;; amdgpu-corpus repo=pytorch/pytorch kind=compiled arch=gfx1030 opt=O3
	.amdgcn_target "amdgcn-amd-amdhsa--gfx1030"
	.amdhsa_code_object_version 6
	.section	.text._ZN7rocprim17ROCPRIM_400000_NS6detail31init_lookback_scan_state_kernelINS1_19lookback_scan_stateIdLb0ELb1EEENS1_16block_id_wrapperIjLb0EEEEEvT_jT0_jPNS7_10value_typeE,"axG",@progbits,_ZN7rocprim17ROCPRIM_400000_NS6detail31init_lookback_scan_state_kernelINS1_19lookback_scan_stateIdLb0ELb1EEENS1_16block_id_wrapperIjLb0EEEEEvT_jT0_jPNS7_10value_typeE,comdat
	.protected	_ZN7rocprim17ROCPRIM_400000_NS6detail31init_lookback_scan_state_kernelINS1_19lookback_scan_stateIdLb0ELb1EEENS1_16block_id_wrapperIjLb0EEEEEvT_jT0_jPNS7_10value_typeE ; -- Begin function _ZN7rocprim17ROCPRIM_400000_NS6detail31init_lookback_scan_state_kernelINS1_19lookback_scan_stateIdLb0ELb1EEENS1_16block_id_wrapperIjLb0EEEEEvT_jT0_jPNS7_10value_typeE
	.globl	_ZN7rocprim17ROCPRIM_400000_NS6detail31init_lookback_scan_state_kernelINS1_19lookback_scan_stateIdLb0ELb1EEENS1_16block_id_wrapperIjLb0EEEEEvT_jT0_jPNS7_10value_typeE
	.p2align	8
	.type	_ZN7rocprim17ROCPRIM_400000_NS6detail31init_lookback_scan_state_kernelINS1_19lookback_scan_stateIdLb0ELb1EEENS1_16block_id_wrapperIjLb0EEEEEvT_jT0_jPNS7_10value_typeE,@function
_ZN7rocprim17ROCPRIM_400000_NS6detail31init_lookback_scan_state_kernelINS1_19lookback_scan_stateIdLb0ELb1EEENS1_16block_id_wrapperIjLb0EEEEEvT_jT0_jPNS7_10value_typeE: ; @_ZN7rocprim17ROCPRIM_400000_NS6detail31init_lookback_scan_state_kernelINS1_19lookback_scan_stateIdLb0ELb1EEENS1_16block_id_wrapperIjLb0EEEEEvT_jT0_jPNS7_10value_typeE
; %bb.0:
	s_clause 0x3
	s_load_dword s8, s[4:5], 0x2c
	s_load_dwordx2 s[2:3], s[4:5], 0x18
	s_load_dwordx2 s[0:1], s[4:5], 0x0
	s_load_dword s7, s[4:5], 0x8
	s_waitcnt lgkmcnt(0)
	s_and_b32 s8, s8, 0xffff
	s_cmp_eq_u64 s[2:3], 0
	v_mad_u64_u32 v[0:1], null, s6, s8, v[0:1]
	s_cbranch_scc1 .LBB0_8
; %bb.1:
	s_load_dword s4, s[4:5], 0x10
	s_waitcnt lgkmcnt(0)
	s_cmp_lt_u32 s4, s7
	s_cselect_b32 s5, s4, 0
	v_cmp_eq_u32_e32 vcc_lo, s5, v0
	s_mov_b32 s5, 0
	s_and_saveexec_b32 s6, vcc_lo
	s_cbranch_execz .LBB0_7
; %bb.2:
	s_add_i32 s4, s4, 32
	v_mov_b32_e32 v5, 0
	s_lshl_b64 s[4:5], s[4:5], 4
	s_mov_b32 s8, exec_lo
	s_add_u32 s4, s0, s4
	s_addc_u32 s5, s1, s5
	v_mov_b32_e32 v1, s4
	v_mov_b32_e32 v2, s5
	;;#ASMSTART
	global_load_dwordx4 v[1:4], v[1:2] off glc dlc	
s_waitcnt vmcnt(0)
	;;#ASMEND
	v_and_b32_e32 v4, 0xff, v3
	v_cmpx_eq_u64_e32 0, v[4:5]
	s_cbranch_execz .LBB0_6
; %bb.3:
	v_mov_b32_e32 v7, s5
	v_mov_b32_e32 v6, s4
	s_mov_b32 s4, 0
.LBB0_4:                                ; =>This Inner Loop Header: Depth=1
	;;#ASMSTART
	global_load_dwordx4 v[1:4], v[6:7] off glc dlc	
s_waitcnt vmcnt(0)
	;;#ASMEND
	v_and_b32_e32 v4, 0xff, v3
	v_cmp_ne_u64_e32 vcc_lo, 0, v[4:5]
	s_or_b32 s4, vcc_lo, s4
	s_andn2_b32 exec_lo, exec_lo, s4
	s_cbranch_execnz .LBB0_4
; %bb.5:
	s_or_b32 exec_lo, exec_lo, s4
.LBB0_6:
	s_or_b32 exec_lo, exec_lo, s8
	v_mov_b32_e32 v3, 0
	global_store_dwordx2 v3, v[1:2], s[2:3]
.LBB0_7:
	s_or_b32 exec_lo, exec_lo, s6
.LBB0_8:
	s_mov_b32 s2, exec_lo
	v_cmpx_gt_u32_e64 s7, v0
	s_cbranch_execz .LBB0_10
; %bb.9:
	v_add_nc_u32_e32 v1, 32, v0
	v_mov_b32_e32 v2, 0
	v_lshlrev_b64 v[4:5], 4, v[1:2]
	v_mov_b32_e32 v1, v2
	v_mov_b32_e32 v3, v2
	v_add_co_u32 v6, vcc_lo, s0, v4
	v_add_co_ci_u32_e64 v7, null, s1, v5, vcc_lo
	v_mov_b32_e32 v4, v2
	global_store_dwordx4 v[6:7], v[1:4], off
.LBB0_10:
	s_or_b32 exec_lo, exec_lo, s2
	s_mov_b32 s2, exec_lo
	v_cmpx_gt_u32_e32 32, v0
	s_cbranch_execz .LBB0_12
; %bb.11:
	v_mov_b32_e32 v1, 0
	v_mov_b32_e32 v2, 0xff
	v_lshlrev_b64 v[3:4], 4, v[0:1]
	v_mov_b32_e32 v0, v1
	v_add_co_u32 v5, vcc_lo, s0, v3
	v_add_co_ci_u32_e64 v6, null, s1, v4, vcc_lo
	v_mov_b32_e32 v3, v1
	global_store_dwordx4 v[5:6], v[0:3], off
.LBB0_12:
	s_endpgm
	.section	.rodata,"a",@progbits
	.p2align	6, 0x0
	.amdhsa_kernel _ZN7rocprim17ROCPRIM_400000_NS6detail31init_lookback_scan_state_kernelINS1_19lookback_scan_stateIdLb0ELb1EEENS1_16block_id_wrapperIjLb0EEEEEvT_jT0_jPNS7_10value_typeE
		.amdhsa_group_segment_fixed_size 0
		.amdhsa_private_segment_fixed_size 0
		.amdhsa_kernarg_size 288
		.amdhsa_user_sgpr_count 6
		.amdhsa_user_sgpr_private_segment_buffer 1
		.amdhsa_user_sgpr_dispatch_ptr 0
		.amdhsa_user_sgpr_queue_ptr 0
		.amdhsa_user_sgpr_kernarg_segment_ptr 1
		.amdhsa_user_sgpr_dispatch_id 0
		.amdhsa_user_sgpr_flat_scratch_init 0
		.amdhsa_user_sgpr_private_segment_size 0
		.amdhsa_wavefront_size32 1
		.amdhsa_uses_dynamic_stack 0
		.amdhsa_system_sgpr_private_segment_wavefront_offset 0
		.amdhsa_system_sgpr_workgroup_id_x 1
		.amdhsa_system_sgpr_workgroup_id_y 0
		.amdhsa_system_sgpr_workgroup_id_z 0
		.amdhsa_system_sgpr_workgroup_info 0
		.amdhsa_system_vgpr_workitem_id 0
		.amdhsa_next_free_vgpr 8
		.amdhsa_next_free_sgpr 9
		.amdhsa_reserve_vcc 1
		.amdhsa_reserve_flat_scratch 0
		.amdhsa_float_round_mode_32 0
		.amdhsa_float_round_mode_16_64 0
		.amdhsa_float_denorm_mode_32 3
		.amdhsa_float_denorm_mode_16_64 3
		.amdhsa_dx10_clamp 1
		.amdhsa_ieee_mode 1
		.amdhsa_fp16_overflow 0
		.amdhsa_workgroup_processor_mode 1
		.amdhsa_memory_ordered 1
		.amdhsa_forward_progress 1
		.amdhsa_shared_vgpr_count 0
		.amdhsa_exception_fp_ieee_invalid_op 0
		.amdhsa_exception_fp_denorm_src 0
		.amdhsa_exception_fp_ieee_div_zero 0
		.amdhsa_exception_fp_ieee_overflow 0
		.amdhsa_exception_fp_ieee_underflow 0
		.amdhsa_exception_fp_ieee_inexact 0
		.amdhsa_exception_int_div_zero 0
	.end_amdhsa_kernel
	.section	.text._ZN7rocprim17ROCPRIM_400000_NS6detail31init_lookback_scan_state_kernelINS1_19lookback_scan_stateIdLb0ELb1EEENS1_16block_id_wrapperIjLb0EEEEEvT_jT0_jPNS7_10value_typeE,"axG",@progbits,_ZN7rocprim17ROCPRIM_400000_NS6detail31init_lookback_scan_state_kernelINS1_19lookback_scan_stateIdLb0ELb1EEENS1_16block_id_wrapperIjLb0EEEEEvT_jT0_jPNS7_10value_typeE,comdat
.Lfunc_end0:
	.size	_ZN7rocprim17ROCPRIM_400000_NS6detail31init_lookback_scan_state_kernelINS1_19lookback_scan_stateIdLb0ELb1EEENS1_16block_id_wrapperIjLb0EEEEEvT_jT0_jPNS7_10value_typeE, .Lfunc_end0-_ZN7rocprim17ROCPRIM_400000_NS6detail31init_lookback_scan_state_kernelINS1_19lookback_scan_stateIdLb0ELb1EEENS1_16block_id_wrapperIjLb0EEEEEvT_jT0_jPNS7_10value_typeE
                                        ; -- End function
	.set _ZN7rocprim17ROCPRIM_400000_NS6detail31init_lookback_scan_state_kernelINS1_19lookback_scan_stateIdLb0ELb1EEENS1_16block_id_wrapperIjLb0EEEEEvT_jT0_jPNS7_10value_typeE.num_vgpr, 8
	.set _ZN7rocprim17ROCPRIM_400000_NS6detail31init_lookback_scan_state_kernelINS1_19lookback_scan_stateIdLb0ELb1EEENS1_16block_id_wrapperIjLb0EEEEEvT_jT0_jPNS7_10value_typeE.num_agpr, 0
	.set _ZN7rocprim17ROCPRIM_400000_NS6detail31init_lookback_scan_state_kernelINS1_19lookback_scan_stateIdLb0ELb1EEENS1_16block_id_wrapperIjLb0EEEEEvT_jT0_jPNS7_10value_typeE.numbered_sgpr, 9
	.set _ZN7rocprim17ROCPRIM_400000_NS6detail31init_lookback_scan_state_kernelINS1_19lookback_scan_stateIdLb0ELb1EEENS1_16block_id_wrapperIjLb0EEEEEvT_jT0_jPNS7_10value_typeE.num_named_barrier, 0
	.set _ZN7rocprim17ROCPRIM_400000_NS6detail31init_lookback_scan_state_kernelINS1_19lookback_scan_stateIdLb0ELb1EEENS1_16block_id_wrapperIjLb0EEEEEvT_jT0_jPNS7_10value_typeE.private_seg_size, 0
	.set _ZN7rocprim17ROCPRIM_400000_NS6detail31init_lookback_scan_state_kernelINS1_19lookback_scan_stateIdLb0ELb1EEENS1_16block_id_wrapperIjLb0EEEEEvT_jT0_jPNS7_10value_typeE.uses_vcc, 1
	.set _ZN7rocprim17ROCPRIM_400000_NS6detail31init_lookback_scan_state_kernelINS1_19lookback_scan_stateIdLb0ELb1EEENS1_16block_id_wrapperIjLb0EEEEEvT_jT0_jPNS7_10value_typeE.uses_flat_scratch, 0
	.set _ZN7rocprim17ROCPRIM_400000_NS6detail31init_lookback_scan_state_kernelINS1_19lookback_scan_stateIdLb0ELb1EEENS1_16block_id_wrapperIjLb0EEEEEvT_jT0_jPNS7_10value_typeE.has_dyn_sized_stack, 0
	.set _ZN7rocprim17ROCPRIM_400000_NS6detail31init_lookback_scan_state_kernelINS1_19lookback_scan_stateIdLb0ELb1EEENS1_16block_id_wrapperIjLb0EEEEEvT_jT0_jPNS7_10value_typeE.has_recursion, 0
	.set _ZN7rocprim17ROCPRIM_400000_NS6detail31init_lookback_scan_state_kernelINS1_19lookback_scan_stateIdLb0ELb1EEENS1_16block_id_wrapperIjLb0EEEEEvT_jT0_jPNS7_10value_typeE.has_indirect_call, 0
	.section	.AMDGPU.csdata,"",@progbits
; Kernel info:
; codeLenInByte = 428
; TotalNumSgprs: 11
; NumVgprs: 8
; ScratchSize: 0
; MemoryBound: 0
; FloatMode: 240
; IeeeMode: 1
; LDSByteSize: 0 bytes/workgroup (compile time only)
; SGPRBlocks: 0
; VGPRBlocks: 0
; NumSGPRsForWavesPerEU: 11
; NumVGPRsForWavesPerEU: 8
; Occupancy: 16
; WaveLimiterHint : 0
; COMPUTE_PGM_RSRC2:SCRATCH_EN: 0
; COMPUTE_PGM_RSRC2:USER_SGPR: 6
; COMPUTE_PGM_RSRC2:TRAP_HANDLER: 0
; COMPUTE_PGM_RSRC2:TGID_X_EN: 1
; COMPUTE_PGM_RSRC2:TGID_Y_EN: 0
; COMPUTE_PGM_RSRC2:TGID_Z_EN: 0
; COMPUTE_PGM_RSRC2:TIDIG_COMP_CNT: 0
	.section	.text._ZN7rocprim17ROCPRIM_400000_NS6detail17trampoline_kernelINS0_14default_configENS1_20scan_config_selectorIdEEZZNS1_9scan_implILNS1_25lookback_scan_determinismE0ELb0ELb0ES3_PKdPddZZZN2at6native31launch_logcumsumexp_cuda_kernelERKNSB_10TensorBaseESF_lENKUlvE_clEvENKUlvE_clEvEUlddE_dEEDaPvRmT3_T4_T5_mT6_P12ihipStream_tbENKUlT_T0_E_clISt17integral_constantIbLb0EESW_EEDaSR_SS_EUlSR_E_NS1_11comp_targetILNS1_3genE0ELNS1_11target_archE4294967295ELNS1_3gpuE0ELNS1_3repE0EEENS1_30default_config_static_selectorELNS0_4arch9wavefront6targetE0EEEvT1_,"axG",@progbits,_ZN7rocprim17ROCPRIM_400000_NS6detail17trampoline_kernelINS0_14default_configENS1_20scan_config_selectorIdEEZZNS1_9scan_implILNS1_25lookback_scan_determinismE0ELb0ELb0ES3_PKdPddZZZN2at6native31launch_logcumsumexp_cuda_kernelERKNSB_10TensorBaseESF_lENKUlvE_clEvENKUlvE_clEvEUlddE_dEEDaPvRmT3_T4_T5_mT6_P12ihipStream_tbENKUlT_T0_E_clISt17integral_constantIbLb0EESW_EEDaSR_SS_EUlSR_E_NS1_11comp_targetILNS1_3genE0ELNS1_11target_archE4294967295ELNS1_3gpuE0ELNS1_3repE0EEENS1_30default_config_static_selectorELNS0_4arch9wavefront6targetE0EEEvT1_,comdat
	.globl	_ZN7rocprim17ROCPRIM_400000_NS6detail17trampoline_kernelINS0_14default_configENS1_20scan_config_selectorIdEEZZNS1_9scan_implILNS1_25lookback_scan_determinismE0ELb0ELb0ES3_PKdPddZZZN2at6native31launch_logcumsumexp_cuda_kernelERKNSB_10TensorBaseESF_lENKUlvE_clEvENKUlvE_clEvEUlddE_dEEDaPvRmT3_T4_T5_mT6_P12ihipStream_tbENKUlT_T0_E_clISt17integral_constantIbLb0EESW_EEDaSR_SS_EUlSR_E_NS1_11comp_targetILNS1_3genE0ELNS1_11target_archE4294967295ELNS1_3gpuE0ELNS1_3repE0EEENS1_30default_config_static_selectorELNS0_4arch9wavefront6targetE0EEEvT1_ ; -- Begin function _ZN7rocprim17ROCPRIM_400000_NS6detail17trampoline_kernelINS0_14default_configENS1_20scan_config_selectorIdEEZZNS1_9scan_implILNS1_25lookback_scan_determinismE0ELb0ELb0ES3_PKdPddZZZN2at6native31launch_logcumsumexp_cuda_kernelERKNSB_10TensorBaseESF_lENKUlvE_clEvENKUlvE_clEvEUlddE_dEEDaPvRmT3_T4_T5_mT6_P12ihipStream_tbENKUlT_T0_E_clISt17integral_constantIbLb0EESW_EEDaSR_SS_EUlSR_E_NS1_11comp_targetILNS1_3genE0ELNS1_11target_archE4294967295ELNS1_3gpuE0ELNS1_3repE0EEENS1_30default_config_static_selectorELNS0_4arch9wavefront6targetE0EEEvT1_
	.p2align	8
	.type	_ZN7rocprim17ROCPRIM_400000_NS6detail17trampoline_kernelINS0_14default_configENS1_20scan_config_selectorIdEEZZNS1_9scan_implILNS1_25lookback_scan_determinismE0ELb0ELb0ES3_PKdPddZZZN2at6native31launch_logcumsumexp_cuda_kernelERKNSB_10TensorBaseESF_lENKUlvE_clEvENKUlvE_clEvEUlddE_dEEDaPvRmT3_T4_T5_mT6_P12ihipStream_tbENKUlT_T0_E_clISt17integral_constantIbLb0EESW_EEDaSR_SS_EUlSR_E_NS1_11comp_targetILNS1_3genE0ELNS1_11target_archE4294967295ELNS1_3gpuE0ELNS1_3repE0EEENS1_30default_config_static_selectorELNS0_4arch9wavefront6targetE0EEEvT1_,@function
_ZN7rocprim17ROCPRIM_400000_NS6detail17trampoline_kernelINS0_14default_configENS1_20scan_config_selectorIdEEZZNS1_9scan_implILNS1_25lookback_scan_determinismE0ELb0ELb0ES3_PKdPddZZZN2at6native31launch_logcumsumexp_cuda_kernelERKNSB_10TensorBaseESF_lENKUlvE_clEvENKUlvE_clEvEUlddE_dEEDaPvRmT3_T4_T5_mT6_P12ihipStream_tbENKUlT_T0_E_clISt17integral_constantIbLb0EESW_EEDaSR_SS_EUlSR_E_NS1_11comp_targetILNS1_3genE0ELNS1_11target_archE4294967295ELNS1_3gpuE0ELNS1_3repE0EEENS1_30default_config_static_selectorELNS0_4arch9wavefront6targetE0EEEvT1_: ; @_ZN7rocprim17ROCPRIM_400000_NS6detail17trampoline_kernelINS0_14default_configENS1_20scan_config_selectorIdEEZZNS1_9scan_implILNS1_25lookback_scan_determinismE0ELb0ELb0ES3_PKdPddZZZN2at6native31launch_logcumsumexp_cuda_kernelERKNSB_10TensorBaseESF_lENKUlvE_clEvENKUlvE_clEvEUlddE_dEEDaPvRmT3_T4_T5_mT6_P12ihipStream_tbENKUlT_T0_E_clISt17integral_constantIbLb0EESW_EEDaSR_SS_EUlSR_E_NS1_11comp_targetILNS1_3genE0ELNS1_11target_archE4294967295ELNS1_3gpuE0ELNS1_3repE0EEENS1_30default_config_static_selectorELNS0_4arch9wavefront6targetE0EEEvT1_
; %bb.0:
	.section	.rodata,"a",@progbits
	.p2align	6, 0x0
	.amdhsa_kernel _ZN7rocprim17ROCPRIM_400000_NS6detail17trampoline_kernelINS0_14default_configENS1_20scan_config_selectorIdEEZZNS1_9scan_implILNS1_25lookback_scan_determinismE0ELb0ELb0ES3_PKdPddZZZN2at6native31launch_logcumsumexp_cuda_kernelERKNSB_10TensorBaseESF_lENKUlvE_clEvENKUlvE_clEvEUlddE_dEEDaPvRmT3_T4_T5_mT6_P12ihipStream_tbENKUlT_T0_E_clISt17integral_constantIbLb0EESW_EEDaSR_SS_EUlSR_E_NS1_11comp_targetILNS1_3genE0ELNS1_11target_archE4294967295ELNS1_3gpuE0ELNS1_3repE0EEENS1_30default_config_static_selectorELNS0_4arch9wavefront6targetE0EEEvT1_
		.amdhsa_group_segment_fixed_size 0
		.amdhsa_private_segment_fixed_size 0
		.amdhsa_kernarg_size 104
		.amdhsa_user_sgpr_count 6
		.amdhsa_user_sgpr_private_segment_buffer 1
		.amdhsa_user_sgpr_dispatch_ptr 0
		.amdhsa_user_sgpr_queue_ptr 0
		.amdhsa_user_sgpr_kernarg_segment_ptr 1
		.amdhsa_user_sgpr_dispatch_id 0
		.amdhsa_user_sgpr_flat_scratch_init 0
		.amdhsa_user_sgpr_private_segment_size 0
		.amdhsa_wavefront_size32 1
		.amdhsa_uses_dynamic_stack 0
		.amdhsa_system_sgpr_private_segment_wavefront_offset 0
		.amdhsa_system_sgpr_workgroup_id_x 1
		.amdhsa_system_sgpr_workgroup_id_y 0
		.amdhsa_system_sgpr_workgroup_id_z 0
		.amdhsa_system_sgpr_workgroup_info 0
		.amdhsa_system_vgpr_workitem_id 0
		.amdhsa_next_free_vgpr 1
		.amdhsa_next_free_sgpr 1
		.amdhsa_reserve_vcc 0
		.amdhsa_reserve_flat_scratch 0
		.amdhsa_float_round_mode_32 0
		.amdhsa_float_round_mode_16_64 0
		.amdhsa_float_denorm_mode_32 3
		.amdhsa_float_denorm_mode_16_64 3
		.amdhsa_dx10_clamp 1
		.amdhsa_ieee_mode 1
		.amdhsa_fp16_overflow 0
		.amdhsa_workgroup_processor_mode 1
		.amdhsa_memory_ordered 1
		.amdhsa_forward_progress 1
		.amdhsa_shared_vgpr_count 0
		.amdhsa_exception_fp_ieee_invalid_op 0
		.amdhsa_exception_fp_denorm_src 0
		.amdhsa_exception_fp_ieee_div_zero 0
		.amdhsa_exception_fp_ieee_overflow 0
		.amdhsa_exception_fp_ieee_underflow 0
		.amdhsa_exception_fp_ieee_inexact 0
		.amdhsa_exception_int_div_zero 0
	.end_amdhsa_kernel
	.section	.text._ZN7rocprim17ROCPRIM_400000_NS6detail17trampoline_kernelINS0_14default_configENS1_20scan_config_selectorIdEEZZNS1_9scan_implILNS1_25lookback_scan_determinismE0ELb0ELb0ES3_PKdPddZZZN2at6native31launch_logcumsumexp_cuda_kernelERKNSB_10TensorBaseESF_lENKUlvE_clEvENKUlvE_clEvEUlddE_dEEDaPvRmT3_T4_T5_mT6_P12ihipStream_tbENKUlT_T0_E_clISt17integral_constantIbLb0EESW_EEDaSR_SS_EUlSR_E_NS1_11comp_targetILNS1_3genE0ELNS1_11target_archE4294967295ELNS1_3gpuE0ELNS1_3repE0EEENS1_30default_config_static_selectorELNS0_4arch9wavefront6targetE0EEEvT1_,"axG",@progbits,_ZN7rocprim17ROCPRIM_400000_NS6detail17trampoline_kernelINS0_14default_configENS1_20scan_config_selectorIdEEZZNS1_9scan_implILNS1_25lookback_scan_determinismE0ELb0ELb0ES3_PKdPddZZZN2at6native31launch_logcumsumexp_cuda_kernelERKNSB_10TensorBaseESF_lENKUlvE_clEvENKUlvE_clEvEUlddE_dEEDaPvRmT3_T4_T5_mT6_P12ihipStream_tbENKUlT_T0_E_clISt17integral_constantIbLb0EESW_EEDaSR_SS_EUlSR_E_NS1_11comp_targetILNS1_3genE0ELNS1_11target_archE4294967295ELNS1_3gpuE0ELNS1_3repE0EEENS1_30default_config_static_selectorELNS0_4arch9wavefront6targetE0EEEvT1_,comdat
.Lfunc_end1:
	.size	_ZN7rocprim17ROCPRIM_400000_NS6detail17trampoline_kernelINS0_14default_configENS1_20scan_config_selectorIdEEZZNS1_9scan_implILNS1_25lookback_scan_determinismE0ELb0ELb0ES3_PKdPddZZZN2at6native31launch_logcumsumexp_cuda_kernelERKNSB_10TensorBaseESF_lENKUlvE_clEvENKUlvE_clEvEUlddE_dEEDaPvRmT3_T4_T5_mT6_P12ihipStream_tbENKUlT_T0_E_clISt17integral_constantIbLb0EESW_EEDaSR_SS_EUlSR_E_NS1_11comp_targetILNS1_3genE0ELNS1_11target_archE4294967295ELNS1_3gpuE0ELNS1_3repE0EEENS1_30default_config_static_selectorELNS0_4arch9wavefront6targetE0EEEvT1_, .Lfunc_end1-_ZN7rocprim17ROCPRIM_400000_NS6detail17trampoline_kernelINS0_14default_configENS1_20scan_config_selectorIdEEZZNS1_9scan_implILNS1_25lookback_scan_determinismE0ELb0ELb0ES3_PKdPddZZZN2at6native31launch_logcumsumexp_cuda_kernelERKNSB_10TensorBaseESF_lENKUlvE_clEvENKUlvE_clEvEUlddE_dEEDaPvRmT3_T4_T5_mT6_P12ihipStream_tbENKUlT_T0_E_clISt17integral_constantIbLb0EESW_EEDaSR_SS_EUlSR_E_NS1_11comp_targetILNS1_3genE0ELNS1_11target_archE4294967295ELNS1_3gpuE0ELNS1_3repE0EEENS1_30default_config_static_selectorELNS0_4arch9wavefront6targetE0EEEvT1_
                                        ; -- End function
	.set _ZN7rocprim17ROCPRIM_400000_NS6detail17trampoline_kernelINS0_14default_configENS1_20scan_config_selectorIdEEZZNS1_9scan_implILNS1_25lookback_scan_determinismE0ELb0ELb0ES3_PKdPddZZZN2at6native31launch_logcumsumexp_cuda_kernelERKNSB_10TensorBaseESF_lENKUlvE_clEvENKUlvE_clEvEUlddE_dEEDaPvRmT3_T4_T5_mT6_P12ihipStream_tbENKUlT_T0_E_clISt17integral_constantIbLb0EESW_EEDaSR_SS_EUlSR_E_NS1_11comp_targetILNS1_3genE0ELNS1_11target_archE4294967295ELNS1_3gpuE0ELNS1_3repE0EEENS1_30default_config_static_selectorELNS0_4arch9wavefront6targetE0EEEvT1_.num_vgpr, 0
	.set _ZN7rocprim17ROCPRIM_400000_NS6detail17trampoline_kernelINS0_14default_configENS1_20scan_config_selectorIdEEZZNS1_9scan_implILNS1_25lookback_scan_determinismE0ELb0ELb0ES3_PKdPddZZZN2at6native31launch_logcumsumexp_cuda_kernelERKNSB_10TensorBaseESF_lENKUlvE_clEvENKUlvE_clEvEUlddE_dEEDaPvRmT3_T4_T5_mT6_P12ihipStream_tbENKUlT_T0_E_clISt17integral_constantIbLb0EESW_EEDaSR_SS_EUlSR_E_NS1_11comp_targetILNS1_3genE0ELNS1_11target_archE4294967295ELNS1_3gpuE0ELNS1_3repE0EEENS1_30default_config_static_selectorELNS0_4arch9wavefront6targetE0EEEvT1_.num_agpr, 0
	.set _ZN7rocprim17ROCPRIM_400000_NS6detail17trampoline_kernelINS0_14default_configENS1_20scan_config_selectorIdEEZZNS1_9scan_implILNS1_25lookback_scan_determinismE0ELb0ELb0ES3_PKdPddZZZN2at6native31launch_logcumsumexp_cuda_kernelERKNSB_10TensorBaseESF_lENKUlvE_clEvENKUlvE_clEvEUlddE_dEEDaPvRmT3_T4_T5_mT6_P12ihipStream_tbENKUlT_T0_E_clISt17integral_constantIbLb0EESW_EEDaSR_SS_EUlSR_E_NS1_11comp_targetILNS1_3genE0ELNS1_11target_archE4294967295ELNS1_3gpuE0ELNS1_3repE0EEENS1_30default_config_static_selectorELNS0_4arch9wavefront6targetE0EEEvT1_.numbered_sgpr, 0
	.set _ZN7rocprim17ROCPRIM_400000_NS6detail17trampoline_kernelINS0_14default_configENS1_20scan_config_selectorIdEEZZNS1_9scan_implILNS1_25lookback_scan_determinismE0ELb0ELb0ES3_PKdPddZZZN2at6native31launch_logcumsumexp_cuda_kernelERKNSB_10TensorBaseESF_lENKUlvE_clEvENKUlvE_clEvEUlddE_dEEDaPvRmT3_T4_T5_mT6_P12ihipStream_tbENKUlT_T0_E_clISt17integral_constantIbLb0EESW_EEDaSR_SS_EUlSR_E_NS1_11comp_targetILNS1_3genE0ELNS1_11target_archE4294967295ELNS1_3gpuE0ELNS1_3repE0EEENS1_30default_config_static_selectorELNS0_4arch9wavefront6targetE0EEEvT1_.num_named_barrier, 0
	.set _ZN7rocprim17ROCPRIM_400000_NS6detail17trampoline_kernelINS0_14default_configENS1_20scan_config_selectorIdEEZZNS1_9scan_implILNS1_25lookback_scan_determinismE0ELb0ELb0ES3_PKdPddZZZN2at6native31launch_logcumsumexp_cuda_kernelERKNSB_10TensorBaseESF_lENKUlvE_clEvENKUlvE_clEvEUlddE_dEEDaPvRmT3_T4_T5_mT6_P12ihipStream_tbENKUlT_T0_E_clISt17integral_constantIbLb0EESW_EEDaSR_SS_EUlSR_E_NS1_11comp_targetILNS1_3genE0ELNS1_11target_archE4294967295ELNS1_3gpuE0ELNS1_3repE0EEENS1_30default_config_static_selectorELNS0_4arch9wavefront6targetE0EEEvT1_.private_seg_size, 0
	.set _ZN7rocprim17ROCPRIM_400000_NS6detail17trampoline_kernelINS0_14default_configENS1_20scan_config_selectorIdEEZZNS1_9scan_implILNS1_25lookback_scan_determinismE0ELb0ELb0ES3_PKdPddZZZN2at6native31launch_logcumsumexp_cuda_kernelERKNSB_10TensorBaseESF_lENKUlvE_clEvENKUlvE_clEvEUlddE_dEEDaPvRmT3_T4_T5_mT6_P12ihipStream_tbENKUlT_T0_E_clISt17integral_constantIbLb0EESW_EEDaSR_SS_EUlSR_E_NS1_11comp_targetILNS1_3genE0ELNS1_11target_archE4294967295ELNS1_3gpuE0ELNS1_3repE0EEENS1_30default_config_static_selectorELNS0_4arch9wavefront6targetE0EEEvT1_.uses_vcc, 0
	.set _ZN7rocprim17ROCPRIM_400000_NS6detail17trampoline_kernelINS0_14default_configENS1_20scan_config_selectorIdEEZZNS1_9scan_implILNS1_25lookback_scan_determinismE0ELb0ELb0ES3_PKdPddZZZN2at6native31launch_logcumsumexp_cuda_kernelERKNSB_10TensorBaseESF_lENKUlvE_clEvENKUlvE_clEvEUlddE_dEEDaPvRmT3_T4_T5_mT6_P12ihipStream_tbENKUlT_T0_E_clISt17integral_constantIbLb0EESW_EEDaSR_SS_EUlSR_E_NS1_11comp_targetILNS1_3genE0ELNS1_11target_archE4294967295ELNS1_3gpuE0ELNS1_3repE0EEENS1_30default_config_static_selectorELNS0_4arch9wavefront6targetE0EEEvT1_.uses_flat_scratch, 0
	.set _ZN7rocprim17ROCPRIM_400000_NS6detail17trampoline_kernelINS0_14default_configENS1_20scan_config_selectorIdEEZZNS1_9scan_implILNS1_25lookback_scan_determinismE0ELb0ELb0ES3_PKdPddZZZN2at6native31launch_logcumsumexp_cuda_kernelERKNSB_10TensorBaseESF_lENKUlvE_clEvENKUlvE_clEvEUlddE_dEEDaPvRmT3_T4_T5_mT6_P12ihipStream_tbENKUlT_T0_E_clISt17integral_constantIbLb0EESW_EEDaSR_SS_EUlSR_E_NS1_11comp_targetILNS1_3genE0ELNS1_11target_archE4294967295ELNS1_3gpuE0ELNS1_3repE0EEENS1_30default_config_static_selectorELNS0_4arch9wavefront6targetE0EEEvT1_.has_dyn_sized_stack, 0
	.set _ZN7rocprim17ROCPRIM_400000_NS6detail17trampoline_kernelINS0_14default_configENS1_20scan_config_selectorIdEEZZNS1_9scan_implILNS1_25lookback_scan_determinismE0ELb0ELb0ES3_PKdPddZZZN2at6native31launch_logcumsumexp_cuda_kernelERKNSB_10TensorBaseESF_lENKUlvE_clEvENKUlvE_clEvEUlddE_dEEDaPvRmT3_T4_T5_mT6_P12ihipStream_tbENKUlT_T0_E_clISt17integral_constantIbLb0EESW_EEDaSR_SS_EUlSR_E_NS1_11comp_targetILNS1_3genE0ELNS1_11target_archE4294967295ELNS1_3gpuE0ELNS1_3repE0EEENS1_30default_config_static_selectorELNS0_4arch9wavefront6targetE0EEEvT1_.has_recursion, 0
	.set _ZN7rocprim17ROCPRIM_400000_NS6detail17trampoline_kernelINS0_14default_configENS1_20scan_config_selectorIdEEZZNS1_9scan_implILNS1_25lookback_scan_determinismE0ELb0ELb0ES3_PKdPddZZZN2at6native31launch_logcumsumexp_cuda_kernelERKNSB_10TensorBaseESF_lENKUlvE_clEvENKUlvE_clEvEUlddE_dEEDaPvRmT3_T4_T5_mT6_P12ihipStream_tbENKUlT_T0_E_clISt17integral_constantIbLb0EESW_EEDaSR_SS_EUlSR_E_NS1_11comp_targetILNS1_3genE0ELNS1_11target_archE4294967295ELNS1_3gpuE0ELNS1_3repE0EEENS1_30default_config_static_selectorELNS0_4arch9wavefront6targetE0EEEvT1_.has_indirect_call, 0
	.section	.AMDGPU.csdata,"",@progbits
; Kernel info:
; codeLenInByte = 0
; TotalNumSgprs: 0
; NumVgprs: 0
; ScratchSize: 0
; MemoryBound: 0
; FloatMode: 240
; IeeeMode: 1
; LDSByteSize: 0 bytes/workgroup (compile time only)
; SGPRBlocks: 0
; VGPRBlocks: 0
; NumSGPRsForWavesPerEU: 1
; NumVGPRsForWavesPerEU: 1
; Occupancy: 16
; WaveLimiterHint : 0
; COMPUTE_PGM_RSRC2:SCRATCH_EN: 0
; COMPUTE_PGM_RSRC2:USER_SGPR: 6
; COMPUTE_PGM_RSRC2:TRAP_HANDLER: 0
; COMPUTE_PGM_RSRC2:TGID_X_EN: 1
; COMPUTE_PGM_RSRC2:TGID_Y_EN: 0
; COMPUTE_PGM_RSRC2:TGID_Z_EN: 0
; COMPUTE_PGM_RSRC2:TIDIG_COMP_CNT: 0
	.section	.text._ZN7rocprim17ROCPRIM_400000_NS6detail17trampoline_kernelINS0_14default_configENS1_20scan_config_selectorIdEEZZNS1_9scan_implILNS1_25lookback_scan_determinismE0ELb0ELb0ES3_PKdPddZZZN2at6native31launch_logcumsumexp_cuda_kernelERKNSB_10TensorBaseESF_lENKUlvE_clEvENKUlvE_clEvEUlddE_dEEDaPvRmT3_T4_T5_mT6_P12ihipStream_tbENKUlT_T0_E_clISt17integral_constantIbLb0EESW_EEDaSR_SS_EUlSR_E_NS1_11comp_targetILNS1_3genE5ELNS1_11target_archE942ELNS1_3gpuE9ELNS1_3repE0EEENS1_30default_config_static_selectorELNS0_4arch9wavefront6targetE0EEEvT1_,"axG",@progbits,_ZN7rocprim17ROCPRIM_400000_NS6detail17trampoline_kernelINS0_14default_configENS1_20scan_config_selectorIdEEZZNS1_9scan_implILNS1_25lookback_scan_determinismE0ELb0ELb0ES3_PKdPddZZZN2at6native31launch_logcumsumexp_cuda_kernelERKNSB_10TensorBaseESF_lENKUlvE_clEvENKUlvE_clEvEUlddE_dEEDaPvRmT3_T4_T5_mT6_P12ihipStream_tbENKUlT_T0_E_clISt17integral_constantIbLb0EESW_EEDaSR_SS_EUlSR_E_NS1_11comp_targetILNS1_3genE5ELNS1_11target_archE942ELNS1_3gpuE9ELNS1_3repE0EEENS1_30default_config_static_selectorELNS0_4arch9wavefront6targetE0EEEvT1_,comdat
	.globl	_ZN7rocprim17ROCPRIM_400000_NS6detail17trampoline_kernelINS0_14default_configENS1_20scan_config_selectorIdEEZZNS1_9scan_implILNS1_25lookback_scan_determinismE0ELb0ELb0ES3_PKdPddZZZN2at6native31launch_logcumsumexp_cuda_kernelERKNSB_10TensorBaseESF_lENKUlvE_clEvENKUlvE_clEvEUlddE_dEEDaPvRmT3_T4_T5_mT6_P12ihipStream_tbENKUlT_T0_E_clISt17integral_constantIbLb0EESW_EEDaSR_SS_EUlSR_E_NS1_11comp_targetILNS1_3genE5ELNS1_11target_archE942ELNS1_3gpuE9ELNS1_3repE0EEENS1_30default_config_static_selectorELNS0_4arch9wavefront6targetE0EEEvT1_ ; -- Begin function _ZN7rocprim17ROCPRIM_400000_NS6detail17trampoline_kernelINS0_14default_configENS1_20scan_config_selectorIdEEZZNS1_9scan_implILNS1_25lookback_scan_determinismE0ELb0ELb0ES3_PKdPddZZZN2at6native31launch_logcumsumexp_cuda_kernelERKNSB_10TensorBaseESF_lENKUlvE_clEvENKUlvE_clEvEUlddE_dEEDaPvRmT3_T4_T5_mT6_P12ihipStream_tbENKUlT_T0_E_clISt17integral_constantIbLb0EESW_EEDaSR_SS_EUlSR_E_NS1_11comp_targetILNS1_3genE5ELNS1_11target_archE942ELNS1_3gpuE9ELNS1_3repE0EEENS1_30default_config_static_selectorELNS0_4arch9wavefront6targetE0EEEvT1_
	.p2align	8
	.type	_ZN7rocprim17ROCPRIM_400000_NS6detail17trampoline_kernelINS0_14default_configENS1_20scan_config_selectorIdEEZZNS1_9scan_implILNS1_25lookback_scan_determinismE0ELb0ELb0ES3_PKdPddZZZN2at6native31launch_logcumsumexp_cuda_kernelERKNSB_10TensorBaseESF_lENKUlvE_clEvENKUlvE_clEvEUlddE_dEEDaPvRmT3_T4_T5_mT6_P12ihipStream_tbENKUlT_T0_E_clISt17integral_constantIbLb0EESW_EEDaSR_SS_EUlSR_E_NS1_11comp_targetILNS1_3genE5ELNS1_11target_archE942ELNS1_3gpuE9ELNS1_3repE0EEENS1_30default_config_static_selectorELNS0_4arch9wavefront6targetE0EEEvT1_,@function
_ZN7rocprim17ROCPRIM_400000_NS6detail17trampoline_kernelINS0_14default_configENS1_20scan_config_selectorIdEEZZNS1_9scan_implILNS1_25lookback_scan_determinismE0ELb0ELb0ES3_PKdPddZZZN2at6native31launch_logcumsumexp_cuda_kernelERKNSB_10TensorBaseESF_lENKUlvE_clEvENKUlvE_clEvEUlddE_dEEDaPvRmT3_T4_T5_mT6_P12ihipStream_tbENKUlT_T0_E_clISt17integral_constantIbLb0EESW_EEDaSR_SS_EUlSR_E_NS1_11comp_targetILNS1_3genE5ELNS1_11target_archE942ELNS1_3gpuE9ELNS1_3repE0EEENS1_30default_config_static_selectorELNS0_4arch9wavefront6targetE0EEEvT1_: ; @_ZN7rocprim17ROCPRIM_400000_NS6detail17trampoline_kernelINS0_14default_configENS1_20scan_config_selectorIdEEZZNS1_9scan_implILNS1_25lookback_scan_determinismE0ELb0ELb0ES3_PKdPddZZZN2at6native31launch_logcumsumexp_cuda_kernelERKNSB_10TensorBaseESF_lENKUlvE_clEvENKUlvE_clEvEUlddE_dEEDaPvRmT3_T4_T5_mT6_P12ihipStream_tbENKUlT_T0_E_clISt17integral_constantIbLb0EESW_EEDaSR_SS_EUlSR_E_NS1_11comp_targetILNS1_3genE5ELNS1_11target_archE942ELNS1_3gpuE9ELNS1_3repE0EEENS1_30default_config_static_selectorELNS0_4arch9wavefront6targetE0EEEvT1_
; %bb.0:
	.section	.rodata,"a",@progbits
	.p2align	6, 0x0
	.amdhsa_kernel _ZN7rocprim17ROCPRIM_400000_NS6detail17trampoline_kernelINS0_14default_configENS1_20scan_config_selectorIdEEZZNS1_9scan_implILNS1_25lookback_scan_determinismE0ELb0ELb0ES3_PKdPddZZZN2at6native31launch_logcumsumexp_cuda_kernelERKNSB_10TensorBaseESF_lENKUlvE_clEvENKUlvE_clEvEUlddE_dEEDaPvRmT3_T4_T5_mT6_P12ihipStream_tbENKUlT_T0_E_clISt17integral_constantIbLb0EESW_EEDaSR_SS_EUlSR_E_NS1_11comp_targetILNS1_3genE5ELNS1_11target_archE942ELNS1_3gpuE9ELNS1_3repE0EEENS1_30default_config_static_selectorELNS0_4arch9wavefront6targetE0EEEvT1_
		.amdhsa_group_segment_fixed_size 0
		.amdhsa_private_segment_fixed_size 0
		.amdhsa_kernarg_size 104
		.amdhsa_user_sgpr_count 6
		.amdhsa_user_sgpr_private_segment_buffer 1
		.amdhsa_user_sgpr_dispatch_ptr 0
		.amdhsa_user_sgpr_queue_ptr 0
		.amdhsa_user_sgpr_kernarg_segment_ptr 1
		.amdhsa_user_sgpr_dispatch_id 0
		.amdhsa_user_sgpr_flat_scratch_init 0
		.amdhsa_user_sgpr_private_segment_size 0
		.amdhsa_wavefront_size32 1
		.amdhsa_uses_dynamic_stack 0
		.amdhsa_system_sgpr_private_segment_wavefront_offset 0
		.amdhsa_system_sgpr_workgroup_id_x 1
		.amdhsa_system_sgpr_workgroup_id_y 0
		.amdhsa_system_sgpr_workgroup_id_z 0
		.amdhsa_system_sgpr_workgroup_info 0
		.amdhsa_system_vgpr_workitem_id 0
		.amdhsa_next_free_vgpr 1
		.amdhsa_next_free_sgpr 1
		.amdhsa_reserve_vcc 0
		.amdhsa_reserve_flat_scratch 0
		.amdhsa_float_round_mode_32 0
		.amdhsa_float_round_mode_16_64 0
		.amdhsa_float_denorm_mode_32 3
		.amdhsa_float_denorm_mode_16_64 3
		.amdhsa_dx10_clamp 1
		.amdhsa_ieee_mode 1
		.amdhsa_fp16_overflow 0
		.amdhsa_workgroup_processor_mode 1
		.amdhsa_memory_ordered 1
		.amdhsa_forward_progress 1
		.amdhsa_shared_vgpr_count 0
		.amdhsa_exception_fp_ieee_invalid_op 0
		.amdhsa_exception_fp_denorm_src 0
		.amdhsa_exception_fp_ieee_div_zero 0
		.amdhsa_exception_fp_ieee_overflow 0
		.amdhsa_exception_fp_ieee_underflow 0
		.amdhsa_exception_fp_ieee_inexact 0
		.amdhsa_exception_int_div_zero 0
	.end_amdhsa_kernel
	.section	.text._ZN7rocprim17ROCPRIM_400000_NS6detail17trampoline_kernelINS0_14default_configENS1_20scan_config_selectorIdEEZZNS1_9scan_implILNS1_25lookback_scan_determinismE0ELb0ELb0ES3_PKdPddZZZN2at6native31launch_logcumsumexp_cuda_kernelERKNSB_10TensorBaseESF_lENKUlvE_clEvENKUlvE_clEvEUlddE_dEEDaPvRmT3_T4_T5_mT6_P12ihipStream_tbENKUlT_T0_E_clISt17integral_constantIbLb0EESW_EEDaSR_SS_EUlSR_E_NS1_11comp_targetILNS1_3genE5ELNS1_11target_archE942ELNS1_3gpuE9ELNS1_3repE0EEENS1_30default_config_static_selectorELNS0_4arch9wavefront6targetE0EEEvT1_,"axG",@progbits,_ZN7rocprim17ROCPRIM_400000_NS6detail17trampoline_kernelINS0_14default_configENS1_20scan_config_selectorIdEEZZNS1_9scan_implILNS1_25lookback_scan_determinismE0ELb0ELb0ES3_PKdPddZZZN2at6native31launch_logcumsumexp_cuda_kernelERKNSB_10TensorBaseESF_lENKUlvE_clEvENKUlvE_clEvEUlddE_dEEDaPvRmT3_T4_T5_mT6_P12ihipStream_tbENKUlT_T0_E_clISt17integral_constantIbLb0EESW_EEDaSR_SS_EUlSR_E_NS1_11comp_targetILNS1_3genE5ELNS1_11target_archE942ELNS1_3gpuE9ELNS1_3repE0EEENS1_30default_config_static_selectorELNS0_4arch9wavefront6targetE0EEEvT1_,comdat
.Lfunc_end2:
	.size	_ZN7rocprim17ROCPRIM_400000_NS6detail17trampoline_kernelINS0_14default_configENS1_20scan_config_selectorIdEEZZNS1_9scan_implILNS1_25lookback_scan_determinismE0ELb0ELb0ES3_PKdPddZZZN2at6native31launch_logcumsumexp_cuda_kernelERKNSB_10TensorBaseESF_lENKUlvE_clEvENKUlvE_clEvEUlddE_dEEDaPvRmT3_T4_T5_mT6_P12ihipStream_tbENKUlT_T0_E_clISt17integral_constantIbLb0EESW_EEDaSR_SS_EUlSR_E_NS1_11comp_targetILNS1_3genE5ELNS1_11target_archE942ELNS1_3gpuE9ELNS1_3repE0EEENS1_30default_config_static_selectorELNS0_4arch9wavefront6targetE0EEEvT1_, .Lfunc_end2-_ZN7rocprim17ROCPRIM_400000_NS6detail17trampoline_kernelINS0_14default_configENS1_20scan_config_selectorIdEEZZNS1_9scan_implILNS1_25lookback_scan_determinismE0ELb0ELb0ES3_PKdPddZZZN2at6native31launch_logcumsumexp_cuda_kernelERKNSB_10TensorBaseESF_lENKUlvE_clEvENKUlvE_clEvEUlddE_dEEDaPvRmT3_T4_T5_mT6_P12ihipStream_tbENKUlT_T0_E_clISt17integral_constantIbLb0EESW_EEDaSR_SS_EUlSR_E_NS1_11comp_targetILNS1_3genE5ELNS1_11target_archE942ELNS1_3gpuE9ELNS1_3repE0EEENS1_30default_config_static_selectorELNS0_4arch9wavefront6targetE0EEEvT1_
                                        ; -- End function
	.set _ZN7rocprim17ROCPRIM_400000_NS6detail17trampoline_kernelINS0_14default_configENS1_20scan_config_selectorIdEEZZNS1_9scan_implILNS1_25lookback_scan_determinismE0ELb0ELb0ES3_PKdPddZZZN2at6native31launch_logcumsumexp_cuda_kernelERKNSB_10TensorBaseESF_lENKUlvE_clEvENKUlvE_clEvEUlddE_dEEDaPvRmT3_T4_T5_mT6_P12ihipStream_tbENKUlT_T0_E_clISt17integral_constantIbLb0EESW_EEDaSR_SS_EUlSR_E_NS1_11comp_targetILNS1_3genE5ELNS1_11target_archE942ELNS1_3gpuE9ELNS1_3repE0EEENS1_30default_config_static_selectorELNS0_4arch9wavefront6targetE0EEEvT1_.num_vgpr, 0
	.set _ZN7rocprim17ROCPRIM_400000_NS6detail17trampoline_kernelINS0_14default_configENS1_20scan_config_selectorIdEEZZNS1_9scan_implILNS1_25lookback_scan_determinismE0ELb0ELb0ES3_PKdPddZZZN2at6native31launch_logcumsumexp_cuda_kernelERKNSB_10TensorBaseESF_lENKUlvE_clEvENKUlvE_clEvEUlddE_dEEDaPvRmT3_T4_T5_mT6_P12ihipStream_tbENKUlT_T0_E_clISt17integral_constantIbLb0EESW_EEDaSR_SS_EUlSR_E_NS1_11comp_targetILNS1_3genE5ELNS1_11target_archE942ELNS1_3gpuE9ELNS1_3repE0EEENS1_30default_config_static_selectorELNS0_4arch9wavefront6targetE0EEEvT1_.num_agpr, 0
	.set _ZN7rocprim17ROCPRIM_400000_NS6detail17trampoline_kernelINS0_14default_configENS1_20scan_config_selectorIdEEZZNS1_9scan_implILNS1_25lookback_scan_determinismE0ELb0ELb0ES3_PKdPddZZZN2at6native31launch_logcumsumexp_cuda_kernelERKNSB_10TensorBaseESF_lENKUlvE_clEvENKUlvE_clEvEUlddE_dEEDaPvRmT3_T4_T5_mT6_P12ihipStream_tbENKUlT_T0_E_clISt17integral_constantIbLb0EESW_EEDaSR_SS_EUlSR_E_NS1_11comp_targetILNS1_3genE5ELNS1_11target_archE942ELNS1_3gpuE9ELNS1_3repE0EEENS1_30default_config_static_selectorELNS0_4arch9wavefront6targetE0EEEvT1_.numbered_sgpr, 0
	.set _ZN7rocprim17ROCPRIM_400000_NS6detail17trampoline_kernelINS0_14default_configENS1_20scan_config_selectorIdEEZZNS1_9scan_implILNS1_25lookback_scan_determinismE0ELb0ELb0ES3_PKdPddZZZN2at6native31launch_logcumsumexp_cuda_kernelERKNSB_10TensorBaseESF_lENKUlvE_clEvENKUlvE_clEvEUlddE_dEEDaPvRmT3_T4_T5_mT6_P12ihipStream_tbENKUlT_T0_E_clISt17integral_constantIbLb0EESW_EEDaSR_SS_EUlSR_E_NS1_11comp_targetILNS1_3genE5ELNS1_11target_archE942ELNS1_3gpuE9ELNS1_3repE0EEENS1_30default_config_static_selectorELNS0_4arch9wavefront6targetE0EEEvT1_.num_named_barrier, 0
	.set _ZN7rocprim17ROCPRIM_400000_NS6detail17trampoline_kernelINS0_14default_configENS1_20scan_config_selectorIdEEZZNS1_9scan_implILNS1_25lookback_scan_determinismE0ELb0ELb0ES3_PKdPddZZZN2at6native31launch_logcumsumexp_cuda_kernelERKNSB_10TensorBaseESF_lENKUlvE_clEvENKUlvE_clEvEUlddE_dEEDaPvRmT3_T4_T5_mT6_P12ihipStream_tbENKUlT_T0_E_clISt17integral_constantIbLb0EESW_EEDaSR_SS_EUlSR_E_NS1_11comp_targetILNS1_3genE5ELNS1_11target_archE942ELNS1_3gpuE9ELNS1_3repE0EEENS1_30default_config_static_selectorELNS0_4arch9wavefront6targetE0EEEvT1_.private_seg_size, 0
	.set _ZN7rocprim17ROCPRIM_400000_NS6detail17trampoline_kernelINS0_14default_configENS1_20scan_config_selectorIdEEZZNS1_9scan_implILNS1_25lookback_scan_determinismE0ELb0ELb0ES3_PKdPddZZZN2at6native31launch_logcumsumexp_cuda_kernelERKNSB_10TensorBaseESF_lENKUlvE_clEvENKUlvE_clEvEUlddE_dEEDaPvRmT3_T4_T5_mT6_P12ihipStream_tbENKUlT_T0_E_clISt17integral_constantIbLb0EESW_EEDaSR_SS_EUlSR_E_NS1_11comp_targetILNS1_3genE5ELNS1_11target_archE942ELNS1_3gpuE9ELNS1_3repE0EEENS1_30default_config_static_selectorELNS0_4arch9wavefront6targetE0EEEvT1_.uses_vcc, 0
	.set _ZN7rocprim17ROCPRIM_400000_NS6detail17trampoline_kernelINS0_14default_configENS1_20scan_config_selectorIdEEZZNS1_9scan_implILNS1_25lookback_scan_determinismE0ELb0ELb0ES3_PKdPddZZZN2at6native31launch_logcumsumexp_cuda_kernelERKNSB_10TensorBaseESF_lENKUlvE_clEvENKUlvE_clEvEUlddE_dEEDaPvRmT3_T4_T5_mT6_P12ihipStream_tbENKUlT_T0_E_clISt17integral_constantIbLb0EESW_EEDaSR_SS_EUlSR_E_NS1_11comp_targetILNS1_3genE5ELNS1_11target_archE942ELNS1_3gpuE9ELNS1_3repE0EEENS1_30default_config_static_selectorELNS0_4arch9wavefront6targetE0EEEvT1_.uses_flat_scratch, 0
	.set _ZN7rocprim17ROCPRIM_400000_NS6detail17trampoline_kernelINS0_14default_configENS1_20scan_config_selectorIdEEZZNS1_9scan_implILNS1_25lookback_scan_determinismE0ELb0ELb0ES3_PKdPddZZZN2at6native31launch_logcumsumexp_cuda_kernelERKNSB_10TensorBaseESF_lENKUlvE_clEvENKUlvE_clEvEUlddE_dEEDaPvRmT3_T4_T5_mT6_P12ihipStream_tbENKUlT_T0_E_clISt17integral_constantIbLb0EESW_EEDaSR_SS_EUlSR_E_NS1_11comp_targetILNS1_3genE5ELNS1_11target_archE942ELNS1_3gpuE9ELNS1_3repE0EEENS1_30default_config_static_selectorELNS0_4arch9wavefront6targetE0EEEvT1_.has_dyn_sized_stack, 0
	.set _ZN7rocprim17ROCPRIM_400000_NS6detail17trampoline_kernelINS0_14default_configENS1_20scan_config_selectorIdEEZZNS1_9scan_implILNS1_25lookback_scan_determinismE0ELb0ELb0ES3_PKdPddZZZN2at6native31launch_logcumsumexp_cuda_kernelERKNSB_10TensorBaseESF_lENKUlvE_clEvENKUlvE_clEvEUlddE_dEEDaPvRmT3_T4_T5_mT6_P12ihipStream_tbENKUlT_T0_E_clISt17integral_constantIbLb0EESW_EEDaSR_SS_EUlSR_E_NS1_11comp_targetILNS1_3genE5ELNS1_11target_archE942ELNS1_3gpuE9ELNS1_3repE0EEENS1_30default_config_static_selectorELNS0_4arch9wavefront6targetE0EEEvT1_.has_recursion, 0
	.set _ZN7rocprim17ROCPRIM_400000_NS6detail17trampoline_kernelINS0_14default_configENS1_20scan_config_selectorIdEEZZNS1_9scan_implILNS1_25lookback_scan_determinismE0ELb0ELb0ES3_PKdPddZZZN2at6native31launch_logcumsumexp_cuda_kernelERKNSB_10TensorBaseESF_lENKUlvE_clEvENKUlvE_clEvEUlddE_dEEDaPvRmT3_T4_T5_mT6_P12ihipStream_tbENKUlT_T0_E_clISt17integral_constantIbLb0EESW_EEDaSR_SS_EUlSR_E_NS1_11comp_targetILNS1_3genE5ELNS1_11target_archE942ELNS1_3gpuE9ELNS1_3repE0EEENS1_30default_config_static_selectorELNS0_4arch9wavefront6targetE0EEEvT1_.has_indirect_call, 0
	.section	.AMDGPU.csdata,"",@progbits
; Kernel info:
; codeLenInByte = 0
; TotalNumSgprs: 0
; NumVgprs: 0
; ScratchSize: 0
; MemoryBound: 0
; FloatMode: 240
; IeeeMode: 1
; LDSByteSize: 0 bytes/workgroup (compile time only)
; SGPRBlocks: 0
; VGPRBlocks: 0
; NumSGPRsForWavesPerEU: 1
; NumVGPRsForWavesPerEU: 1
; Occupancy: 16
; WaveLimiterHint : 0
; COMPUTE_PGM_RSRC2:SCRATCH_EN: 0
; COMPUTE_PGM_RSRC2:USER_SGPR: 6
; COMPUTE_PGM_RSRC2:TRAP_HANDLER: 0
; COMPUTE_PGM_RSRC2:TGID_X_EN: 1
; COMPUTE_PGM_RSRC2:TGID_Y_EN: 0
; COMPUTE_PGM_RSRC2:TGID_Z_EN: 0
; COMPUTE_PGM_RSRC2:TIDIG_COMP_CNT: 0
	.section	.text._ZN7rocprim17ROCPRIM_400000_NS6detail17trampoline_kernelINS0_14default_configENS1_20scan_config_selectorIdEEZZNS1_9scan_implILNS1_25lookback_scan_determinismE0ELb0ELb0ES3_PKdPddZZZN2at6native31launch_logcumsumexp_cuda_kernelERKNSB_10TensorBaseESF_lENKUlvE_clEvENKUlvE_clEvEUlddE_dEEDaPvRmT3_T4_T5_mT6_P12ihipStream_tbENKUlT_T0_E_clISt17integral_constantIbLb0EESW_EEDaSR_SS_EUlSR_E_NS1_11comp_targetILNS1_3genE4ELNS1_11target_archE910ELNS1_3gpuE8ELNS1_3repE0EEENS1_30default_config_static_selectorELNS0_4arch9wavefront6targetE0EEEvT1_,"axG",@progbits,_ZN7rocprim17ROCPRIM_400000_NS6detail17trampoline_kernelINS0_14default_configENS1_20scan_config_selectorIdEEZZNS1_9scan_implILNS1_25lookback_scan_determinismE0ELb0ELb0ES3_PKdPddZZZN2at6native31launch_logcumsumexp_cuda_kernelERKNSB_10TensorBaseESF_lENKUlvE_clEvENKUlvE_clEvEUlddE_dEEDaPvRmT3_T4_T5_mT6_P12ihipStream_tbENKUlT_T0_E_clISt17integral_constantIbLb0EESW_EEDaSR_SS_EUlSR_E_NS1_11comp_targetILNS1_3genE4ELNS1_11target_archE910ELNS1_3gpuE8ELNS1_3repE0EEENS1_30default_config_static_selectorELNS0_4arch9wavefront6targetE0EEEvT1_,comdat
	.globl	_ZN7rocprim17ROCPRIM_400000_NS6detail17trampoline_kernelINS0_14default_configENS1_20scan_config_selectorIdEEZZNS1_9scan_implILNS1_25lookback_scan_determinismE0ELb0ELb0ES3_PKdPddZZZN2at6native31launch_logcumsumexp_cuda_kernelERKNSB_10TensorBaseESF_lENKUlvE_clEvENKUlvE_clEvEUlddE_dEEDaPvRmT3_T4_T5_mT6_P12ihipStream_tbENKUlT_T0_E_clISt17integral_constantIbLb0EESW_EEDaSR_SS_EUlSR_E_NS1_11comp_targetILNS1_3genE4ELNS1_11target_archE910ELNS1_3gpuE8ELNS1_3repE0EEENS1_30default_config_static_selectorELNS0_4arch9wavefront6targetE0EEEvT1_ ; -- Begin function _ZN7rocprim17ROCPRIM_400000_NS6detail17trampoline_kernelINS0_14default_configENS1_20scan_config_selectorIdEEZZNS1_9scan_implILNS1_25lookback_scan_determinismE0ELb0ELb0ES3_PKdPddZZZN2at6native31launch_logcumsumexp_cuda_kernelERKNSB_10TensorBaseESF_lENKUlvE_clEvENKUlvE_clEvEUlddE_dEEDaPvRmT3_T4_T5_mT6_P12ihipStream_tbENKUlT_T0_E_clISt17integral_constantIbLb0EESW_EEDaSR_SS_EUlSR_E_NS1_11comp_targetILNS1_3genE4ELNS1_11target_archE910ELNS1_3gpuE8ELNS1_3repE0EEENS1_30default_config_static_selectorELNS0_4arch9wavefront6targetE0EEEvT1_
	.p2align	8
	.type	_ZN7rocprim17ROCPRIM_400000_NS6detail17trampoline_kernelINS0_14default_configENS1_20scan_config_selectorIdEEZZNS1_9scan_implILNS1_25lookback_scan_determinismE0ELb0ELb0ES3_PKdPddZZZN2at6native31launch_logcumsumexp_cuda_kernelERKNSB_10TensorBaseESF_lENKUlvE_clEvENKUlvE_clEvEUlddE_dEEDaPvRmT3_T4_T5_mT6_P12ihipStream_tbENKUlT_T0_E_clISt17integral_constantIbLb0EESW_EEDaSR_SS_EUlSR_E_NS1_11comp_targetILNS1_3genE4ELNS1_11target_archE910ELNS1_3gpuE8ELNS1_3repE0EEENS1_30default_config_static_selectorELNS0_4arch9wavefront6targetE0EEEvT1_,@function
_ZN7rocprim17ROCPRIM_400000_NS6detail17trampoline_kernelINS0_14default_configENS1_20scan_config_selectorIdEEZZNS1_9scan_implILNS1_25lookback_scan_determinismE0ELb0ELb0ES3_PKdPddZZZN2at6native31launch_logcumsumexp_cuda_kernelERKNSB_10TensorBaseESF_lENKUlvE_clEvENKUlvE_clEvEUlddE_dEEDaPvRmT3_T4_T5_mT6_P12ihipStream_tbENKUlT_T0_E_clISt17integral_constantIbLb0EESW_EEDaSR_SS_EUlSR_E_NS1_11comp_targetILNS1_3genE4ELNS1_11target_archE910ELNS1_3gpuE8ELNS1_3repE0EEENS1_30default_config_static_selectorELNS0_4arch9wavefront6targetE0EEEvT1_: ; @_ZN7rocprim17ROCPRIM_400000_NS6detail17trampoline_kernelINS0_14default_configENS1_20scan_config_selectorIdEEZZNS1_9scan_implILNS1_25lookback_scan_determinismE0ELb0ELb0ES3_PKdPddZZZN2at6native31launch_logcumsumexp_cuda_kernelERKNSB_10TensorBaseESF_lENKUlvE_clEvENKUlvE_clEvEUlddE_dEEDaPvRmT3_T4_T5_mT6_P12ihipStream_tbENKUlT_T0_E_clISt17integral_constantIbLb0EESW_EEDaSR_SS_EUlSR_E_NS1_11comp_targetILNS1_3genE4ELNS1_11target_archE910ELNS1_3gpuE8ELNS1_3repE0EEENS1_30default_config_static_selectorELNS0_4arch9wavefront6targetE0EEEvT1_
; %bb.0:
	.section	.rodata,"a",@progbits
	.p2align	6, 0x0
	.amdhsa_kernel _ZN7rocprim17ROCPRIM_400000_NS6detail17trampoline_kernelINS0_14default_configENS1_20scan_config_selectorIdEEZZNS1_9scan_implILNS1_25lookback_scan_determinismE0ELb0ELb0ES3_PKdPddZZZN2at6native31launch_logcumsumexp_cuda_kernelERKNSB_10TensorBaseESF_lENKUlvE_clEvENKUlvE_clEvEUlddE_dEEDaPvRmT3_T4_T5_mT6_P12ihipStream_tbENKUlT_T0_E_clISt17integral_constantIbLb0EESW_EEDaSR_SS_EUlSR_E_NS1_11comp_targetILNS1_3genE4ELNS1_11target_archE910ELNS1_3gpuE8ELNS1_3repE0EEENS1_30default_config_static_selectorELNS0_4arch9wavefront6targetE0EEEvT1_
		.amdhsa_group_segment_fixed_size 0
		.amdhsa_private_segment_fixed_size 0
		.amdhsa_kernarg_size 104
		.amdhsa_user_sgpr_count 6
		.amdhsa_user_sgpr_private_segment_buffer 1
		.amdhsa_user_sgpr_dispatch_ptr 0
		.amdhsa_user_sgpr_queue_ptr 0
		.amdhsa_user_sgpr_kernarg_segment_ptr 1
		.amdhsa_user_sgpr_dispatch_id 0
		.amdhsa_user_sgpr_flat_scratch_init 0
		.amdhsa_user_sgpr_private_segment_size 0
		.amdhsa_wavefront_size32 1
		.amdhsa_uses_dynamic_stack 0
		.amdhsa_system_sgpr_private_segment_wavefront_offset 0
		.amdhsa_system_sgpr_workgroup_id_x 1
		.amdhsa_system_sgpr_workgroup_id_y 0
		.amdhsa_system_sgpr_workgroup_id_z 0
		.amdhsa_system_sgpr_workgroup_info 0
		.amdhsa_system_vgpr_workitem_id 0
		.amdhsa_next_free_vgpr 1
		.amdhsa_next_free_sgpr 1
		.amdhsa_reserve_vcc 0
		.amdhsa_reserve_flat_scratch 0
		.amdhsa_float_round_mode_32 0
		.amdhsa_float_round_mode_16_64 0
		.amdhsa_float_denorm_mode_32 3
		.amdhsa_float_denorm_mode_16_64 3
		.amdhsa_dx10_clamp 1
		.amdhsa_ieee_mode 1
		.amdhsa_fp16_overflow 0
		.amdhsa_workgroup_processor_mode 1
		.amdhsa_memory_ordered 1
		.amdhsa_forward_progress 1
		.amdhsa_shared_vgpr_count 0
		.amdhsa_exception_fp_ieee_invalid_op 0
		.amdhsa_exception_fp_denorm_src 0
		.amdhsa_exception_fp_ieee_div_zero 0
		.amdhsa_exception_fp_ieee_overflow 0
		.amdhsa_exception_fp_ieee_underflow 0
		.amdhsa_exception_fp_ieee_inexact 0
		.amdhsa_exception_int_div_zero 0
	.end_amdhsa_kernel
	.section	.text._ZN7rocprim17ROCPRIM_400000_NS6detail17trampoline_kernelINS0_14default_configENS1_20scan_config_selectorIdEEZZNS1_9scan_implILNS1_25lookback_scan_determinismE0ELb0ELb0ES3_PKdPddZZZN2at6native31launch_logcumsumexp_cuda_kernelERKNSB_10TensorBaseESF_lENKUlvE_clEvENKUlvE_clEvEUlddE_dEEDaPvRmT3_T4_T5_mT6_P12ihipStream_tbENKUlT_T0_E_clISt17integral_constantIbLb0EESW_EEDaSR_SS_EUlSR_E_NS1_11comp_targetILNS1_3genE4ELNS1_11target_archE910ELNS1_3gpuE8ELNS1_3repE0EEENS1_30default_config_static_selectorELNS0_4arch9wavefront6targetE0EEEvT1_,"axG",@progbits,_ZN7rocprim17ROCPRIM_400000_NS6detail17trampoline_kernelINS0_14default_configENS1_20scan_config_selectorIdEEZZNS1_9scan_implILNS1_25lookback_scan_determinismE0ELb0ELb0ES3_PKdPddZZZN2at6native31launch_logcumsumexp_cuda_kernelERKNSB_10TensorBaseESF_lENKUlvE_clEvENKUlvE_clEvEUlddE_dEEDaPvRmT3_T4_T5_mT6_P12ihipStream_tbENKUlT_T0_E_clISt17integral_constantIbLb0EESW_EEDaSR_SS_EUlSR_E_NS1_11comp_targetILNS1_3genE4ELNS1_11target_archE910ELNS1_3gpuE8ELNS1_3repE0EEENS1_30default_config_static_selectorELNS0_4arch9wavefront6targetE0EEEvT1_,comdat
.Lfunc_end3:
	.size	_ZN7rocprim17ROCPRIM_400000_NS6detail17trampoline_kernelINS0_14default_configENS1_20scan_config_selectorIdEEZZNS1_9scan_implILNS1_25lookback_scan_determinismE0ELb0ELb0ES3_PKdPddZZZN2at6native31launch_logcumsumexp_cuda_kernelERKNSB_10TensorBaseESF_lENKUlvE_clEvENKUlvE_clEvEUlddE_dEEDaPvRmT3_T4_T5_mT6_P12ihipStream_tbENKUlT_T0_E_clISt17integral_constantIbLb0EESW_EEDaSR_SS_EUlSR_E_NS1_11comp_targetILNS1_3genE4ELNS1_11target_archE910ELNS1_3gpuE8ELNS1_3repE0EEENS1_30default_config_static_selectorELNS0_4arch9wavefront6targetE0EEEvT1_, .Lfunc_end3-_ZN7rocprim17ROCPRIM_400000_NS6detail17trampoline_kernelINS0_14default_configENS1_20scan_config_selectorIdEEZZNS1_9scan_implILNS1_25lookback_scan_determinismE0ELb0ELb0ES3_PKdPddZZZN2at6native31launch_logcumsumexp_cuda_kernelERKNSB_10TensorBaseESF_lENKUlvE_clEvENKUlvE_clEvEUlddE_dEEDaPvRmT3_T4_T5_mT6_P12ihipStream_tbENKUlT_T0_E_clISt17integral_constantIbLb0EESW_EEDaSR_SS_EUlSR_E_NS1_11comp_targetILNS1_3genE4ELNS1_11target_archE910ELNS1_3gpuE8ELNS1_3repE0EEENS1_30default_config_static_selectorELNS0_4arch9wavefront6targetE0EEEvT1_
                                        ; -- End function
	.set _ZN7rocprim17ROCPRIM_400000_NS6detail17trampoline_kernelINS0_14default_configENS1_20scan_config_selectorIdEEZZNS1_9scan_implILNS1_25lookback_scan_determinismE0ELb0ELb0ES3_PKdPddZZZN2at6native31launch_logcumsumexp_cuda_kernelERKNSB_10TensorBaseESF_lENKUlvE_clEvENKUlvE_clEvEUlddE_dEEDaPvRmT3_T4_T5_mT6_P12ihipStream_tbENKUlT_T0_E_clISt17integral_constantIbLb0EESW_EEDaSR_SS_EUlSR_E_NS1_11comp_targetILNS1_3genE4ELNS1_11target_archE910ELNS1_3gpuE8ELNS1_3repE0EEENS1_30default_config_static_selectorELNS0_4arch9wavefront6targetE0EEEvT1_.num_vgpr, 0
	.set _ZN7rocprim17ROCPRIM_400000_NS6detail17trampoline_kernelINS0_14default_configENS1_20scan_config_selectorIdEEZZNS1_9scan_implILNS1_25lookback_scan_determinismE0ELb0ELb0ES3_PKdPddZZZN2at6native31launch_logcumsumexp_cuda_kernelERKNSB_10TensorBaseESF_lENKUlvE_clEvENKUlvE_clEvEUlddE_dEEDaPvRmT3_T4_T5_mT6_P12ihipStream_tbENKUlT_T0_E_clISt17integral_constantIbLb0EESW_EEDaSR_SS_EUlSR_E_NS1_11comp_targetILNS1_3genE4ELNS1_11target_archE910ELNS1_3gpuE8ELNS1_3repE0EEENS1_30default_config_static_selectorELNS0_4arch9wavefront6targetE0EEEvT1_.num_agpr, 0
	.set _ZN7rocprim17ROCPRIM_400000_NS6detail17trampoline_kernelINS0_14default_configENS1_20scan_config_selectorIdEEZZNS1_9scan_implILNS1_25lookback_scan_determinismE0ELb0ELb0ES3_PKdPddZZZN2at6native31launch_logcumsumexp_cuda_kernelERKNSB_10TensorBaseESF_lENKUlvE_clEvENKUlvE_clEvEUlddE_dEEDaPvRmT3_T4_T5_mT6_P12ihipStream_tbENKUlT_T0_E_clISt17integral_constantIbLb0EESW_EEDaSR_SS_EUlSR_E_NS1_11comp_targetILNS1_3genE4ELNS1_11target_archE910ELNS1_3gpuE8ELNS1_3repE0EEENS1_30default_config_static_selectorELNS0_4arch9wavefront6targetE0EEEvT1_.numbered_sgpr, 0
	.set _ZN7rocprim17ROCPRIM_400000_NS6detail17trampoline_kernelINS0_14default_configENS1_20scan_config_selectorIdEEZZNS1_9scan_implILNS1_25lookback_scan_determinismE0ELb0ELb0ES3_PKdPddZZZN2at6native31launch_logcumsumexp_cuda_kernelERKNSB_10TensorBaseESF_lENKUlvE_clEvENKUlvE_clEvEUlddE_dEEDaPvRmT3_T4_T5_mT6_P12ihipStream_tbENKUlT_T0_E_clISt17integral_constantIbLb0EESW_EEDaSR_SS_EUlSR_E_NS1_11comp_targetILNS1_3genE4ELNS1_11target_archE910ELNS1_3gpuE8ELNS1_3repE0EEENS1_30default_config_static_selectorELNS0_4arch9wavefront6targetE0EEEvT1_.num_named_barrier, 0
	.set _ZN7rocprim17ROCPRIM_400000_NS6detail17trampoline_kernelINS0_14default_configENS1_20scan_config_selectorIdEEZZNS1_9scan_implILNS1_25lookback_scan_determinismE0ELb0ELb0ES3_PKdPddZZZN2at6native31launch_logcumsumexp_cuda_kernelERKNSB_10TensorBaseESF_lENKUlvE_clEvENKUlvE_clEvEUlddE_dEEDaPvRmT3_T4_T5_mT6_P12ihipStream_tbENKUlT_T0_E_clISt17integral_constantIbLb0EESW_EEDaSR_SS_EUlSR_E_NS1_11comp_targetILNS1_3genE4ELNS1_11target_archE910ELNS1_3gpuE8ELNS1_3repE0EEENS1_30default_config_static_selectorELNS0_4arch9wavefront6targetE0EEEvT1_.private_seg_size, 0
	.set _ZN7rocprim17ROCPRIM_400000_NS6detail17trampoline_kernelINS0_14default_configENS1_20scan_config_selectorIdEEZZNS1_9scan_implILNS1_25lookback_scan_determinismE0ELb0ELb0ES3_PKdPddZZZN2at6native31launch_logcumsumexp_cuda_kernelERKNSB_10TensorBaseESF_lENKUlvE_clEvENKUlvE_clEvEUlddE_dEEDaPvRmT3_T4_T5_mT6_P12ihipStream_tbENKUlT_T0_E_clISt17integral_constantIbLb0EESW_EEDaSR_SS_EUlSR_E_NS1_11comp_targetILNS1_3genE4ELNS1_11target_archE910ELNS1_3gpuE8ELNS1_3repE0EEENS1_30default_config_static_selectorELNS0_4arch9wavefront6targetE0EEEvT1_.uses_vcc, 0
	.set _ZN7rocprim17ROCPRIM_400000_NS6detail17trampoline_kernelINS0_14default_configENS1_20scan_config_selectorIdEEZZNS1_9scan_implILNS1_25lookback_scan_determinismE0ELb0ELb0ES3_PKdPddZZZN2at6native31launch_logcumsumexp_cuda_kernelERKNSB_10TensorBaseESF_lENKUlvE_clEvENKUlvE_clEvEUlddE_dEEDaPvRmT3_T4_T5_mT6_P12ihipStream_tbENKUlT_T0_E_clISt17integral_constantIbLb0EESW_EEDaSR_SS_EUlSR_E_NS1_11comp_targetILNS1_3genE4ELNS1_11target_archE910ELNS1_3gpuE8ELNS1_3repE0EEENS1_30default_config_static_selectorELNS0_4arch9wavefront6targetE0EEEvT1_.uses_flat_scratch, 0
	.set _ZN7rocprim17ROCPRIM_400000_NS6detail17trampoline_kernelINS0_14default_configENS1_20scan_config_selectorIdEEZZNS1_9scan_implILNS1_25lookback_scan_determinismE0ELb0ELb0ES3_PKdPddZZZN2at6native31launch_logcumsumexp_cuda_kernelERKNSB_10TensorBaseESF_lENKUlvE_clEvENKUlvE_clEvEUlddE_dEEDaPvRmT3_T4_T5_mT6_P12ihipStream_tbENKUlT_T0_E_clISt17integral_constantIbLb0EESW_EEDaSR_SS_EUlSR_E_NS1_11comp_targetILNS1_3genE4ELNS1_11target_archE910ELNS1_3gpuE8ELNS1_3repE0EEENS1_30default_config_static_selectorELNS0_4arch9wavefront6targetE0EEEvT1_.has_dyn_sized_stack, 0
	.set _ZN7rocprim17ROCPRIM_400000_NS6detail17trampoline_kernelINS0_14default_configENS1_20scan_config_selectorIdEEZZNS1_9scan_implILNS1_25lookback_scan_determinismE0ELb0ELb0ES3_PKdPddZZZN2at6native31launch_logcumsumexp_cuda_kernelERKNSB_10TensorBaseESF_lENKUlvE_clEvENKUlvE_clEvEUlddE_dEEDaPvRmT3_T4_T5_mT6_P12ihipStream_tbENKUlT_T0_E_clISt17integral_constantIbLb0EESW_EEDaSR_SS_EUlSR_E_NS1_11comp_targetILNS1_3genE4ELNS1_11target_archE910ELNS1_3gpuE8ELNS1_3repE0EEENS1_30default_config_static_selectorELNS0_4arch9wavefront6targetE0EEEvT1_.has_recursion, 0
	.set _ZN7rocprim17ROCPRIM_400000_NS6detail17trampoline_kernelINS0_14default_configENS1_20scan_config_selectorIdEEZZNS1_9scan_implILNS1_25lookback_scan_determinismE0ELb0ELb0ES3_PKdPddZZZN2at6native31launch_logcumsumexp_cuda_kernelERKNSB_10TensorBaseESF_lENKUlvE_clEvENKUlvE_clEvEUlddE_dEEDaPvRmT3_T4_T5_mT6_P12ihipStream_tbENKUlT_T0_E_clISt17integral_constantIbLb0EESW_EEDaSR_SS_EUlSR_E_NS1_11comp_targetILNS1_3genE4ELNS1_11target_archE910ELNS1_3gpuE8ELNS1_3repE0EEENS1_30default_config_static_selectorELNS0_4arch9wavefront6targetE0EEEvT1_.has_indirect_call, 0
	.section	.AMDGPU.csdata,"",@progbits
; Kernel info:
; codeLenInByte = 0
; TotalNumSgprs: 0
; NumVgprs: 0
; ScratchSize: 0
; MemoryBound: 0
; FloatMode: 240
; IeeeMode: 1
; LDSByteSize: 0 bytes/workgroup (compile time only)
; SGPRBlocks: 0
; VGPRBlocks: 0
; NumSGPRsForWavesPerEU: 1
; NumVGPRsForWavesPerEU: 1
; Occupancy: 16
; WaveLimiterHint : 0
; COMPUTE_PGM_RSRC2:SCRATCH_EN: 0
; COMPUTE_PGM_RSRC2:USER_SGPR: 6
; COMPUTE_PGM_RSRC2:TRAP_HANDLER: 0
; COMPUTE_PGM_RSRC2:TGID_X_EN: 1
; COMPUTE_PGM_RSRC2:TGID_Y_EN: 0
; COMPUTE_PGM_RSRC2:TGID_Z_EN: 0
; COMPUTE_PGM_RSRC2:TIDIG_COMP_CNT: 0
	.section	.text._ZN7rocprim17ROCPRIM_400000_NS6detail17trampoline_kernelINS0_14default_configENS1_20scan_config_selectorIdEEZZNS1_9scan_implILNS1_25lookback_scan_determinismE0ELb0ELb0ES3_PKdPddZZZN2at6native31launch_logcumsumexp_cuda_kernelERKNSB_10TensorBaseESF_lENKUlvE_clEvENKUlvE_clEvEUlddE_dEEDaPvRmT3_T4_T5_mT6_P12ihipStream_tbENKUlT_T0_E_clISt17integral_constantIbLb0EESW_EEDaSR_SS_EUlSR_E_NS1_11comp_targetILNS1_3genE3ELNS1_11target_archE908ELNS1_3gpuE7ELNS1_3repE0EEENS1_30default_config_static_selectorELNS0_4arch9wavefront6targetE0EEEvT1_,"axG",@progbits,_ZN7rocprim17ROCPRIM_400000_NS6detail17trampoline_kernelINS0_14default_configENS1_20scan_config_selectorIdEEZZNS1_9scan_implILNS1_25lookback_scan_determinismE0ELb0ELb0ES3_PKdPddZZZN2at6native31launch_logcumsumexp_cuda_kernelERKNSB_10TensorBaseESF_lENKUlvE_clEvENKUlvE_clEvEUlddE_dEEDaPvRmT3_T4_T5_mT6_P12ihipStream_tbENKUlT_T0_E_clISt17integral_constantIbLb0EESW_EEDaSR_SS_EUlSR_E_NS1_11comp_targetILNS1_3genE3ELNS1_11target_archE908ELNS1_3gpuE7ELNS1_3repE0EEENS1_30default_config_static_selectorELNS0_4arch9wavefront6targetE0EEEvT1_,comdat
	.globl	_ZN7rocprim17ROCPRIM_400000_NS6detail17trampoline_kernelINS0_14default_configENS1_20scan_config_selectorIdEEZZNS1_9scan_implILNS1_25lookback_scan_determinismE0ELb0ELb0ES3_PKdPddZZZN2at6native31launch_logcumsumexp_cuda_kernelERKNSB_10TensorBaseESF_lENKUlvE_clEvENKUlvE_clEvEUlddE_dEEDaPvRmT3_T4_T5_mT6_P12ihipStream_tbENKUlT_T0_E_clISt17integral_constantIbLb0EESW_EEDaSR_SS_EUlSR_E_NS1_11comp_targetILNS1_3genE3ELNS1_11target_archE908ELNS1_3gpuE7ELNS1_3repE0EEENS1_30default_config_static_selectorELNS0_4arch9wavefront6targetE0EEEvT1_ ; -- Begin function _ZN7rocprim17ROCPRIM_400000_NS6detail17trampoline_kernelINS0_14default_configENS1_20scan_config_selectorIdEEZZNS1_9scan_implILNS1_25lookback_scan_determinismE0ELb0ELb0ES3_PKdPddZZZN2at6native31launch_logcumsumexp_cuda_kernelERKNSB_10TensorBaseESF_lENKUlvE_clEvENKUlvE_clEvEUlddE_dEEDaPvRmT3_T4_T5_mT6_P12ihipStream_tbENKUlT_T0_E_clISt17integral_constantIbLb0EESW_EEDaSR_SS_EUlSR_E_NS1_11comp_targetILNS1_3genE3ELNS1_11target_archE908ELNS1_3gpuE7ELNS1_3repE0EEENS1_30default_config_static_selectorELNS0_4arch9wavefront6targetE0EEEvT1_
	.p2align	8
	.type	_ZN7rocprim17ROCPRIM_400000_NS6detail17trampoline_kernelINS0_14default_configENS1_20scan_config_selectorIdEEZZNS1_9scan_implILNS1_25lookback_scan_determinismE0ELb0ELb0ES3_PKdPddZZZN2at6native31launch_logcumsumexp_cuda_kernelERKNSB_10TensorBaseESF_lENKUlvE_clEvENKUlvE_clEvEUlddE_dEEDaPvRmT3_T4_T5_mT6_P12ihipStream_tbENKUlT_T0_E_clISt17integral_constantIbLb0EESW_EEDaSR_SS_EUlSR_E_NS1_11comp_targetILNS1_3genE3ELNS1_11target_archE908ELNS1_3gpuE7ELNS1_3repE0EEENS1_30default_config_static_selectorELNS0_4arch9wavefront6targetE0EEEvT1_,@function
_ZN7rocprim17ROCPRIM_400000_NS6detail17trampoline_kernelINS0_14default_configENS1_20scan_config_selectorIdEEZZNS1_9scan_implILNS1_25lookback_scan_determinismE0ELb0ELb0ES3_PKdPddZZZN2at6native31launch_logcumsumexp_cuda_kernelERKNSB_10TensorBaseESF_lENKUlvE_clEvENKUlvE_clEvEUlddE_dEEDaPvRmT3_T4_T5_mT6_P12ihipStream_tbENKUlT_T0_E_clISt17integral_constantIbLb0EESW_EEDaSR_SS_EUlSR_E_NS1_11comp_targetILNS1_3genE3ELNS1_11target_archE908ELNS1_3gpuE7ELNS1_3repE0EEENS1_30default_config_static_selectorELNS0_4arch9wavefront6targetE0EEEvT1_: ; @_ZN7rocprim17ROCPRIM_400000_NS6detail17trampoline_kernelINS0_14default_configENS1_20scan_config_selectorIdEEZZNS1_9scan_implILNS1_25lookback_scan_determinismE0ELb0ELb0ES3_PKdPddZZZN2at6native31launch_logcumsumexp_cuda_kernelERKNSB_10TensorBaseESF_lENKUlvE_clEvENKUlvE_clEvEUlddE_dEEDaPvRmT3_T4_T5_mT6_P12ihipStream_tbENKUlT_T0_E_clISt17integral_constantIbLb0EESW_EEDaSR_SS_EUlSR_E_NS1_11comp_targetILNS1_3genE3ELNS1_11target_archE908ELNS1_3gpuE7ELNS1_3repE0EEENS1_30default_config_static_selectorELNS0_4arch9wavefront6targetE0EEEvT1_
; %bb.0:
	.section	.rodata,"a",@progbits
	.p2align	6, 0x0
	.amdhsa_kernel _ZN7rocprim17ROCPRIM_400000_NS6detail17trampoline_kernelINS0_14default_configENS1_20scan_config_selectorIdEEZZNS1_9scan_implILNS1_25lookback_scan_determinismE0ELb0ELb0ES3_PKdPddZZZN2at6native31launch_logcumsumexp_cuda_kernelERKNSB_10TensorBaseESF_lENKUlvE_clEvENKUlvE_clEvEUlddE_dEEDaPvRmT3_T4_T5_mT6_P12ihipStream_tbENKUlT_T0_E_clISt17integral_constantIbLb0EESW_EEDaSR_SS_EUlSR_E_NS1_11comp_targetILNS1_3genE3ELNS1_11target_archE908ELNS1_3gpuE7ELNS1_3repE0EEENS1_30default_config_static_selectorELNS0_4arch9wavefront6targetE0EEEvT1_
		.amdhsa_group_segment_fixed_size 0
		.amdhsa_private_segment_fixed_size 0
		.amdhsa_kernarg_size 104
		.amdhsa_user_sgpr_count 6
		.amdhsa_user_sgpr_private_segment_buffer 1
		.amdhsa_user_sgpr_dispatch_ptr 0
		.amdhsa_user_sgpr_queue_ptr 0
		.amdhsa_user_sgpr_kernarg_segment_ptr 1
		.amdhsa_user_sgpr_dispatch_id 0
		.amdhsa_user_sgpr_flat_scratch_init 0
		.amdhsa_user_sgpr_private_segment_size 0
		.amdhsa_wavefront_size32 1
		.amdhsa_uses_dynamic_stack 0
		.amdhsa_system_sgpr_private_segment_wavefront_offset 0
		.amdhsa_system_sgpr_workgroup_id_x 1
		.amdhsa_system_sgpr_workgroup_id_y 0
		.amdhsa_system_sgpr_workgroup_id_z 0
		.amdhsa_system_sgpr_workgroup_info 0
		.amdhsa_system_vgpr_workitem_id 0
		.amdhsa_next_free_vgpr 1
		.amdhsa_next_free_sgpr 1
		.amdhsa_reserve_vcc 0
		.amdhsa_reserve_flat_scratch 0
		.amdhsa_float_round_mode_32 0
		.amdhsa_float_round_mode_16_64 0
		.amdhsa_float_denorm_mode_32 3
		.amdhsa_float_denorm_mode_16_64 3
		.amdhsa_dx10_clamp 1
		.amdhsa_ieee_mode 1
		.amdhsa_fp16_overflow 0
		.amdhsa_workgroup_processor_mode 1
		.amdhsa_memory_ordered 1
		.amdhsa_forward_progress 1
		.amdhsa_shared_vgpr_count 0
		.amdhsa_exception_fp_ieee_invalid_op 0
		.amdhsa_exception_fp_denorm_src 0
		.amdhsa_exception_fp_ieee_div_zero 0
		.amdhsa_exception_fp_ieee_overflow 0
		.amdhsa_exception_fp_ieee_underflow 0
		.amdhsa_exception_fp_ieee_inexact 0
		.amdhsa_exception_int_div_zero 0
	.end_amdhsa_kernel
	.section	.text._ZN7rocprim17ROCPRIM_400000_NS6detail17trampoline_kernelINS0_14default_configENS1_20scan_config_selectorIdEEZZNS1_9scan_implILNS1_25lookback_scan_determinismE0ELb0ELb0ES3_PKdPddZZZN2at6native31launch_logcumsumexp_cuda_kernelERKNSB_10TensorBaseESF_lENKUlvE_clEvENKUlvE_clEvEUlddE_dEEDaPvRmT3_T4_T5_mT6_P12ihipStream_tbENKUlT_T0_E_clISt17integral_constantIbLb0EESW_EEDaSR_SS_EUlSR_E_NS1_11comp_targetILNS1_3genE3ELNS1_11target_archE908ELNS1_3gpuE7ELNS1_3repE0EEENS1_30default_config_static_selectorELNS0_4arch9wavefront6targetE0EEEvT1_,"axG",@progbits,_ZN7rocprim17ROCPRIM_400000_NS6detail17trampoline_kernelINS0_14default_configENS1_20scan_config_selectorIdEEZZNS1_9scan_implILNS1_25lookback_scan_determinismE0ELb0ELb0ES3_PKdPddZZZN2at6native31launch_logcumsumexp_cuda_kernelERKNSB_10TensorBaseESF_lENKUlvE_clEvENKUlvE_clEvEUlddE_dEEDaPvRmT3_T4_T5_mT6_P12ihipStream_tbENKUlT_T0_E_clISt17integral_constantIbLb0EESW_EEDaSR_SS_EUlSR_E_NS1_11comp_targetILNS1_3genE3ELNS1_11target_archE908ELNS1_3gpuE7ELNS1_3repE0EEENS1_30default_config_static_selectorELNS0_4arch9wavefront6targetE0EEEvT1_,comdat
.Lfunc_end4:
	.size	_ZN7rocprim17ROCPRIM_400000_NS6detail17trampoline_kernelINS0_14default_configENS1_20scan_config_selectorIdEEZZNS1_9scan_implILNS1_25lookback_scan_determinismE0ELb0ELb0ES3_PKdPddZZZN2at6native31launch_logcumsumexp_cuda_kernelERKNSB_10TensorBaseESF_lENKUlvE_clEvENKUlvE_clEvEUlddE_dEEDaPvRmT3_T4_T5_mT6_P12ihipStream_tbENKUlT_T0_E_clISt17integral_constantIbLb0EESW_EEDaSR_SS_EUlSR_E_NS1_11comp_targetILNS1_3genE3ELNS1_11target_archE908ELNS1_3gpuE7ELNS1_3repE0EEENS1_30default_config_static_selectorELNS0_4arch9wavefront6targetE0EEEvT1_, .Lfunc_end4-_ZN7rocprim17ROCPRIM_400000_NS6detail17trampoline_kernelINS0_14default_configENS1_20scan_config_selectorIdEEZZNS1_9scan_implILNS1_25lookback_scan_determinismE0ELb0ELb0ES3_PKdPddZZZN2at6native31launch_logcumsumexp_cuda_kernelERKNSB_10TensorBaseESF_lENKUlvE_clEvENKUlvE_clEvEUlddE_dEEDaPvRmT3_T4_T5_mT6_P12ihipStream_tbENKUlT_T0_E_clISt17integral_constantIbLb0EESW_EEDaSR_SS_EUlSR_E_NS1_11comp_targetILNS1_3genE3ELNS1_11target_archE908ELNS1_3gpuE7ELNS1_3repE0EEENS1_30default_config_static_selectorELNS0_4arch9wavefront6targetE0EEEvT1_
                                        ; -- End function
	.set _ZN7rocprim17ROCPRIM_400000_NS6detail17trampoline_kernelINS0_14default_configENS1_20scan_config_selectorIdEEZZNS1_9scan_implILNS1_25lookback_scan_determinismE0ELb0ELb0ES3_PKdPddZZZN2at6native31launch_logcumsumexp_cuda_kernelERKNSB_10TensorBaseESF_lENKUlvE_clEvENKUlvE_clEvEUlddE_dEEDaPvRmT3_T4_T5_mT6_P12ihipStream_tbENKUlT_T0_E_clISt17integral_constantIbLb0EESW_EEDaSR_SS_EUlSR_E_NS1_11comp_targetILNS1_3genE3ELNS1_11target_archE908ELNS1_3gpuE7ELNS1_3repE0EEENS1_30default_config_static_selectorELNS0_4arch9wavefront6targetE0EEEvT1_.num_vgpr, 0
	.set _ZN7rocprim17ROCPRIM_400000_NS6detail17trampoline_kernelINS0_14default_configENS1_20scan_config_selectorIdEEZZNS1_9scan_implILNS1_25lookback_scan_determinismE0ELb0ELb0ES3_PKdPddZZZN2at6native31launch_logcumsumexp_cuda_kernelERKNSB_10TensorBaseESF_lENKUlvE_clEvENKUlvE_clEvEUlddE_dEEDaPvRmT3_T4_T5_mT6_P12ihipStream_tbENKUlT_T0_E_clISt17integral_constantIbLb0EESW_EEDaSR_SS_EUlSR_E_NS1_11comp_targetILNS1_3genE3ELNS1_11target_archE908ELNS1_3gpuE7ELNS1_3repE0EEENS1_30default_config_static_selectorELNS0_4arch9wavefront6targetE0EEEvT1_.num_agpr, 0
	.set _ZN7rocprim17ROCPRIM_400000_NS6detail17trampoline_kernelINS0_14default_configENS1_20scan_config_selectorIdEEZZNS1_9scan_implILNS1_25lookback_scan_determinismE0ELb0ELb0ES3_PKdPddZZZN2at6native31launch_logcumsumexp_cuda_kernelERKNSB_10TensorBaseESF_lENKUlvE_clEvENKUlvE_clEvEUlddE_dEEDaPvRmT3_T4_T5_mT6_P12ihipStream_tbENKUlT_T0_E_clISt17integral_constantIbLb0EESW_EEDaSR_SS_EUlSR_E_NS1_11comp_targetILNS1_3genE3ELNS1_11target_archE908ELNS1_3gpuE7ELNS1_3repE0EEENS1_30default_config_static_selectorELNS0_4arch9wavefront6targetE0EEEvT1_.numbered_sgpr, 0
	.set _ZN7rocprim17ROCPRIM_400000_NS6detail17trampoline_kernelINS0_14default_configENS1_20scan_config_selectorIdEEZZNS1_9scan_implILNS1_25lookback_scan_determinismE0ELb0ELb0ES3_PKdPddZZZN2at6native31launch_logcumsumexp_cuda_kernelERKNSB_10TensorBaseESF_lENKUlvE_clEvENKUlvE_clEvEUlddE_dEEDaPvRmT3_T4_T5_mT6_P12ihipStream_tbENKUlT_T0_E_clISt17integral_constantIbLb0EESW_EEDaSR_SS_EUlSR_E_NS1_11comp_targetILNS1_3genE3ELNS1_11target_archE908ELNS1_3gpuE7ELNS1_3repE0EEENS1_30default_config_static_selectorELNS0_4arch9wavefront6targetE0EEEvT1_.num_named_barrier, 0
	.set _ZN7rocprim17ROCPRIM_400000_NS6detail17trampoline_kernelINS0_14default_configENS1_20scan_config_selectorIdEEZZNS1_9scan_implILNS1_25lookback_scan_determinismE0ELb0ELb0ES3_PKdPddZZZN2at6native31launch_logcumsumexp_cuda_kernelERKNSB_10TensorBaseESF_lENKUlvE_clEvENKUlvE_clEvEUlddE_dEEDaPvRmT3_T4_T5_mT6_P12ihipStream_tbENKUlT_T0_E_clISt17integral_constantIbLb0EESW_EEDaSR_SS_EUlSR_E_NS1_11comp_targetILNS1_3genE3ELNS1_11target_archE908ELNS1_3gpuE7ELNS1_3repE0EEENS1_30default_config_static_selectorELNS0_4arch9wavefront6targetE0EEEvT1_.private_seg_size, 0
	.set _ZN7rocprim17ROCPRIM_400000_NS6detail17trampoline_kernelINS0_14default_configENS1_20scan_config_selectorIdEEZZNS1_9scan_implILNS1_25lookback_scan_determinismE0ELb0ELb0ES3_PKdPddZZZN2at6native31launch_logcumsumexp_cuda_kernelERKNSB_10TensorBaseESF_lENKUlvE_clEvENKUlvE_clEvEUlddE_dEEDaPvRmT3_T4_T5_mT6_P12ihipStream_tbENKUlT_T0_E_clISt17integral_constantIbLb0EESW_EEDaSR_SS_EUlSR_E_NS1_11comp_targetILNS1_3genE3ELNS1_11target_archE908ELNS1_3gpuE7ELNS1_3repE0EEENS1_30default_config_static_selectorELNS0_4arch9wavefront6targetE0EEEvT1_.uses_vcc, 0
	.set _ZN7rocprim17ROCPRIM_400000_NS6detail17trampoline_kernelINS0_14default_configENS1_20scan_config_selectorIdEEZZNS1_9scan_implILNS1_25lookback_scan_determinismE0ELb0ELb0ES3_PKdPddZZZN2at6native31launch_logcumsumexp_cuda_kernelERKNSB_10TensorBaseESF_lENKUlvE_clEvENKUlvE_clEvEUlddE_dEEDaPvRmT3_T4_T5_mT6_P12ihipStream_tbENKUlT_T0_E_clISt17integral_constantIbLb0EESW_EEDaSR_SS_EUlSR_E_NS1_11comp_targetILNS1_3genE3ELNS1_11target_archE908ELNS1_3gpuE7ELNS1_3repE0EEENS1_30default_config_static_selectorELNS0_4arch9wavefront6targetE0EEEvT1_.uses_flat_scratch, 0
	.set _ZN7rocprim17ROCPRIM_400000_NS6detail17trampoline_kernelINS0_14default_configENS1_20scan_config_selectorIdEEZZNS1_9scan_implILNS1_25lookback_scan_determinismE0ELb0ELb0ES3_PKdPddZZZN2at6native31launch_logcumsumexp_cuda_kernelERKNSB_10TensorBaseESF_lENKUlvE_clEvENKUlvE_clEvEUlddE_dEEDaPvRmT3_T4_T5_mT6_P12ihipStream_tbENKUlT_T0_E_clISt17integral_constantIbLb0EESW_EEDaSR_SS_EUlSR_E_NS1_11comp_targetILNS1_3genE3ELNS1_11target_archE908ELNS1_3gpuE7ELNS1_3repE0EEENS1_30default_config_static_selectorELNS0_4arch9wavefront6targetE0EEEvT1_.has_dyn_sized_stack, 0
	.set _ZN7rocprim17ROCPRIM_400000_NS6detail17trampoline_kernelINS0_14default_configENS1_20scan_config_selectorIdEEZZNS1_9scan_implILNS1_25lookback_scan_determinismE0ELb0ELb0ES3_PKdPddZZZN2at6native31launch_logcumsumexp_cuda_kernelERKNSB_10TensorBaseESF_lENKUlvE_clEvENKUlvE_clEvEUlddE_dEEDaPvRmT3_T4_T5_mT6_P12ihipStream_tbENKUlT_T0_E_clISt17integral_constantIbLb0EESW_EEDaSR_SS_EUlSR_E_NS1_11comp_targetILNS1_3genE3ELNS1_11target_archE908ELNS1_3gpuE7ELNS1_3repE0EEENS1_30default_config_static_selectorELNS0_4arch9wavefront6targetE0EEEvT1_.has_recursion, 0
	.set _ZN7rocprim17ROCPRIM_400000_NS6detail17trampoline_kernelINS0_14default_configENS1_20scan_config_selectorIdEEZZNS1_9scan_implILNS1_25lookback_scan_determinismE0ELb0ELb0ES3_PKdPddZZZN2at6native31launch_logcumsumexp_cuda_kernelERKNSB_10TensorBaseESF_lENKUlvE_clEvENKUlvE_clEvEUlddE_dEEDaPvRmT3_T4_T5_mT6_P12ihipStream_tbENKUlT_T0_E_clISt17integral_constantIbLb0EESW_EEDaSR_SS_EUlSR_E_NS1_11comp_targetILNS1_3genE3ELNS1_11target_archE908ELNS1_3gpuE7ELNS1_3repE0EEENS1_30default_config_static_selectorELNS0_4arch9wavefront6targetE0EEEvT1_.has_indirect_call, 0
	.section	.AMDGPU.csdata,"",@progbits
; Kernel info:
; codeLenInByte = 0
; TotalNumSgprs: 0
; NumVgprs: 0
; ScratchSize: 0
; MemoryBound: 0
; FloatMode: 240
; IeeeMode: 1
; LDSByteSize: 0 bytes/workgroup (compile time only)
; SGPRBlocks: 0
; VGPRBlocks: 0
; NumSGPRsForWavesPerEU: 1
; NumVGPRsForWavesPerEU: 1
; Occupancy: 16
; WaveLimiterHint : 0
; COMPUTE_PGM_RSRC2:SCRATCH_EN: 0
; COMPUTE_PGM_RSRC2:USER_SGPR: 6
; COMPUTE_PGM_RSRC2:TRAP_HANDLER: 0
; COMPUTE_PGM_RSRC2:TGID_X_EN: 1
; COMPUTE_PGM_RSRC2:TGID_Y_EN: 0
; COMPUTE_PGM_RSRC2:TGID_Z_EN: 0
; COMPUTE_PGM_RSRC2:TIDIG_COMP_CNT: 0
	.section	.text._ZN7rocprim17ROCPRIM_400000_NS6detail17trampoline_kernelINS0_14default_configENS1_20scan_config_selectorIdEEZZNS1_9scan_implILNS1_25lookback_scan_determinismE0ELb0ELb0ES3_PKdPddZZZN2at6native31launch_logcumsumexp_cuda_kernelERKNSB_10TensorBaseESF_lENKUlvE_clEvENKUlvE_clEvEUlddE_dEEDaPvRmT3_T4_T5_mT6_P12ihipStream_tbENKUlT_T0_E_clISt17integral_constantIbLb0EESW_EEDaSR_SS_EUlSR_E_NS1_11comp_targetILNS1_3genE2ELNS1_11target_archE906ELNS1_3gpuE6ELNS1_3repE0EEENS1_30default_config_static_selectorELNS0_4arch9wavefront6targetE0EEEvT1_,"axG",@progbits,_ZN7rocprim17ROCPRIM_400000_NS6detail17trampoline_kernelINS0_14default_configENS1_20scan_config_selectorIdEEZZNS1_9scan_implILNS1_25lookback_scan_determinismE0ELb0ELb0ES3_PKdPddZZZN2at6native31launch_logcumsumexp_cuda_kernelERKNSB_10TensorBaseESF_lENKUlvE_clEvENKUlvE_clEvEUlddE_dEEDaPvRmT3_T4_T5_mT6_P12ihipStream_tbENKUlT_T0_E_clISt17integral_constantIbLb0EESW_EEDaSR_SS_EUlSR_E_NS1_11comp_targetILNS1_3genE2ELNS1_11target_archE906ELNS1_3gpuE6ELNS1_3repE0EEENS1_30default_config_static_selectorELNS0_4arch9wavefront6targetE0EEEvT1_,comdat
	.globl	_ZN7rocprim17ROCPRIM_400000_NS6detail17trampoline_kernelINS0_14default_configENS1_20scan_config_selectorIdEEZZNS1_9scan_implILNS1_25lookback_scan_determinismE0ELb0ELb0ES3_PKdPddZZZN2at6native31launch_logcumsumexp_cuda_kernelERKNSB_10TensorBaseESF_lENKUlvE_clEvENKUlvE_clEvEUlddE_dEEDaPvRmT3_T4_T5_mT6_P12ihipStream_tbENKUlT_T0_E_clISt17integral_constantIbLb0EESW_EEDaSR_SS_EUlSR_E_NS1_11comp_targetILNS1_3genE2ELNS1_11target_archE906ELNS1_3gpuE6ELNS1_3repE0EEENS1_30default_config_static_selectorELNS0_4arch9wavefront6targetE0EEEvT1_ ; -- Begin function _ZN7rocprim17ROCPRIM_400000_NS6detail17trampoline_kernelINS0_14default_configENS1_20scan_config_selectorIdEEZZNS1_9scan_implILNS1_25lookback_scan_determinismE0ELb0ELb0ES3_PKdPddZZZN2at6native31launch_logcumsumexp_cuda_kernelERKNSB_10TensorBaseESF_lENKUlvE_clEvENKUlvE_clEvEUlddE_dEEDaPvRmT3_T4_T5_mT6_P12ihipStream_tbENKUlT_T0_E_clISt17integral_constantIbLb0EESW_EEDaSR_SS_EUlSR_E_NS1_11comp_targetILNS1_3genE2ELNS1_11target_archE906ELNS1_3gpuE6ELNS1_3repE0EEENS1_30default_config_static_selectorELNS0_4arch9wavefront6targetE0EEEvT1_
	.p2align	8
	.type	_ZN7rocprim17ROCPRIM_400000_NS6detail17trampoline_kernelINS0_14default_configENS1_20scan_config_selectorIdEEZZNS1_9scan_implILNS1_25lookback_scan_determinismE0ELb0ELb0ES3_PKdPddZZZN2at6native31launch_logcumsumexp_cuda_kernelERKNSB_10TensorBaseESF_lENKUlvE_clEvENKUlvE_clEvEUlddE_dEEDaPvRmT3_T4_T5_mT6_P12ihipStream_tbENKUlT_T0_E_clISt17integral_constantIbLb0EESW_EEDaSR_SS_EUlSR_E_NS1_11comp_targetILNS1_3genE2ELNS1_11target_archE906ELNS1_3gpuE6ELNS1_3repE0EEENS1_30default_config_static_selectorELNS0_4arch9wavefront6targetE0EEEvT1_,@function
_ZN7rocprim17ROCPRIM_400000_NS6detail17trampoline_kernelINS0_14default_configENS1_20scan_config_selectorIdEEZZNS1_9scan_implILNS1_25lookback_scan_determinismE0ELb0ELb0ES3_PKdPddZZZN2at6native31launch_logcumsumexp_cuda_kernelERKNSB_10TensorBaseESF_lENKUlvE_clEvENKUlvE_clEvEUlddE_dEEDaPvRmT3_T4_T5_mT6_P12ihipStream_tbENKUlT_T0_E_clISt17integral_constantIbLb0EESW_EEDaSR_SS_EUlSR_E_NS1_11comp_targetILNS1_3genE2ELNS1_11target_archE906ELNS1_3gpuE6ELNS1_3repE0EEENS1_30default_config_static_selectorELNS0_4arch9wavefront6targetE0EEEvT1_: ; @_ZN7rocprim17ROCPRIM_400000_NS6detail17trampoline_kernelINS0_14default_configENS1_20scan_config_selectorIdEEZZNS1_9scan_implILNS1_25lookback_scan_determinismE0ELb0ELb0ES3_PKdPddZZZN2at6native31launch_logcumsumexp_cuda_kernelERKNSB_10TensorBaseESF_lENKUlvE_clEvENKUlvE_clEvEUlddE_dEEDaPvRmT3_T4_T5_mT6_P12ihipStream_tbENKUlT_T0_E_clISt17integral_constantIbLb0EESW_EEDaSR_SS_EUlSR_E_NS1_11comp_targetILNS1_3genE2ELNS1_11target_archE906ELNS1_3gpuE6ELNS1_3repE0EEENS1_30default_config_static_selectorELNS0_4arch9wavefront6targetE0EEEvT1_
; %bb.0:
	.section	.rodata,"a",@progbits
	.p2align	6, 0x0
	.amdhsa_kernel _ZN7rocprim17ROCPRIM_400000_NS6detail17trampoline_kernelINS0_14default_configENS1_20scan_config_selectorIdEEZZNS1_9scan_implILNS1_25lookback_scan_determinismE0ELb0ELb0ES3_PKdPddZZZN2at6native31launch_logcumsumexp_cuda_kernelERKNSB_10TensorBaseESF_lENKUlvE_clEvENKUlvE_clEvEUlddE_dEEDaPvRmT3_T4_T5_mT6_P12ihipStream_tbENKUlT_T0_E_clISt17integral_constantIbLb0EESW_EEDaSR_SS_EUlSR_E_NS1_11comp_targetILNS1_3genE2ELNS1_11target_archE906ELNS1_3gpuE6ELNS1_3repE0EEENS1_30default_config_static_selectorELNS0_4arch9wavefront6targetE0EEEvT1_
		.amdhsa_group_segment_fixed_size 0
		.amdhsa_private_segment_fixed_size 0
		.amdhsa_kernarg_size 104
		.amdhsa_user_sgpr_count 6
		.amdhsa_user_sgpr_private_segment_buffer 1
		.amdhsa_user_sgpr_dispatch_ptr 0
		.amdhsa_user_sgpr_queue_ptr 0
		.amdhsa_user_sgpr_kernarg_segment_ptr 1
		.amdhsa_user_sgpr_dispatch_id 0
		.amdhsa_user_sgpr_flat_scratch_init 0
		.amdhsa_user_sgpr_private_segment_size 0
		.amdhsa_wavefront_size32 1
		.amdhsa_uses_dynamic_stack 0
		.amdhsa_system_sgpr_private_segment_wavefront_offset 0
		.amdhsa_system_sgpr_workgroup_id_x 1
		.amdhsa_system_sgpr_workgroup_id_y 0
		.amdhsa_system_sgpr_workgroup_id_z 0
		.amdhsa_system_sgpr_workgroup_info 0
		.amdhsa_system_vgpr_workitem_id 0
		.amdhsa_next_free_vgpr 1
		.amdhsa_next_free_sgpr 1
		.amdhsa_reserve_vcc 0
		.amdhsa_reserve_flat_scratch 0
		.amdhsa_float_round_mode_32 0
		.amdhsa_float_round_mode_16_64 0
		.amdhsa_float_denorm_mode_32 3
		.amdhsa_float_denorm_mode_16_64 3
		.amdhsa_dx10_clamp 1
		.amdhsa_ieee_mode 1
		.amdhsa_fp16_overflow 0
		.amdhsa_workgroup_processor_mode 1
		.amdhsa_memory_ordered 1
		.amdhsa_forward_progress 1
		.amdhsa_shared_vgpr_count 0
		.amdhsa_exception_fp_ieee_invalid_op 0
		.amdhsa_exception_fp_denorm_src 0
		.amdhsa_exception_fp_ieee_div_zero 0
		.amdhsa_exception_fp_ieee_overflow 0
		.amdhsa_exception_fp_ieee_underflow 0
		.amdhsa_exception_fp_ieee_inexact 0
		.amdhsa_exception_int_div_zero 0
	.end_amdhsa_kernel
	.section	.text._ZN7rocprim17ROCPRIM_400000_NS6detail17trampoline_kernelINS0_14default_configENS1_20scan_config_selectorIdEEZZNS1_9scan_implILNS1_25lookback_scan_determinismE0ELb0ELb0ES3_PKdPddZZZN2at6native31launch_logcumsumexp_cuda_kernelERKNSB_10TensorBaseESF_lENKUlvE_clEvENKUlvE_clEvEUlddE_dEEDaPvRmT3_T4_T5_mT6_P12ihipStream_tbENKUlT_T0_E_clISt17integral_constantIbLb0EESW_EEDaSR_SS_EUlSR_E_NS1_11comp_targetILNS1_3genE2ELNS1_11target_archE906ELNS1_3gpuE6ELNS1_3repE0EEENS1_30default_config_static_selectorELNS0_4arch9wavefront6targetE0EEEvT1_,"axG",@progbits,_ZN7rocprim17ROCPRIM_400000_NS6detail17trampoline_kernelINS0_14default_configENS1_20scan_config_selectorIdEEZZNS1_9scan_implILNS1_25lookback_scan_determinismE0ELb0ELb0ES3_PKdPddZZZN2at6native31launch_logcumsumexp_cuda_kernelERKNSB_10TensorBaseESF_lENKUlvE_clEvENKUlvE_clEvEUlddE_dEEDaPvRmT3_T4_T5_mT6_P12ihipStream_tbENKUlT_T0_E_clISt17integral_constantIbLb0EESW_EEDaSR_SS_EUlSR_E_NS1_11comp_targetILNS1_3genE2ELNS1_11target_archE906ELNS1_3gpuE6ELNS1_3repE0EEENS1_30default_config_static_selectorELNS0_4arch9wavefront6targetE0EEEvT1_,comdat
.Lfunc_end5:
	.size	_ZN7rocprim17ROCPRIM_400000_NS6detail17trampoline_kernelINS0_14default_configENS1_20scan_config_selectorIdEEZZNS1_9scan_implILNS1_25lookback_scan_determinismE0ELb0ELb0ES3_PKdPddZZZN2at6native31launch_logcumsumexp_cuda_kernelERKNSB_10TensorBaseESF_lENKUlvE_clEvENKUlvE_clEvEUlddE_dEEDaPvRmT3_T4_T5_mT6_P12ihipStream_tbENKUlT_T0_E_clISt17integral_constantIbLb0EESW_EEDaSR_SS_EUlSR_E_NS1_11comp_targetILNS1_3genE2ELNS1_11target_archE906ELNS1_3gpuE6ELNS1_3repE0EEENS1_30default_config_static_selectorELNS0_4arch9wavefront6targetE0EEEvT1_, .Lfunc_end5-_ZN7rocprim17ROCPRIM_400000_NS6detail17trampoline_kernelINS0_14default_configENS1_20scan_config_selectorIdEEZZNS1_9scan_implILNS1_25lookback_scan_determinismE0ELb0ELb0ES3_PKdPddZZZN2at6native31launch_logcumsumexp_cuda_kernelERKNSB_10TensorBaseESF_lENKUlvE_clEvENKUlvE_clEvEUlddE_dEEDaPvRmT3_T4_T5_mT6_P12ihipStream_tbENKUlT_T0_E_clISt17integral_constantIbLb0EESW_EEDaSR_SS_EUlSR_E_NS1_11comp_targetILNS1_3genE2ELNS1_11target_archE906ELNS1_3gpuE6ELNS1_3repE0EEENS1_30default_config_static_selectorELNS0_4arch9wavefront6targetE0EEEvT1_
                                        ; -- End function
	.set _ZN7rocprim17ROCPRIM_400000_NS6detail17trampoline_kernelINS0_14default_configENS1_20scan_config_selectorIdEEZZNS1_9scan_implILNS1_25lookback_scan_determinismE0ELb0ELb0ES3_PKdPddZZZN2at6native31launch_logcumsumexp_cuda_kernelERKNSB_10TensorBaseESF_lENKUlvE_clEvENKUlvE_clEvEUlddE_dEEDaPvRmT3_T4_T5_mT6_P12ihipStream_tbENKUlT_T0_E_clISt17integral_constantIbLb0EESW_EEDaSR_SS_EUlSR_E_NS1_11comp_targetILNS1_3genE2ELNS1_11target_archE906ELNS1_3gpuE6ELNS1_3repE0EEENS1_30default_config_static_selectorELNS0_4arch9wavefront6targetE0EEEvT1_.num_vgpr, 0
	.set _ZN7rocprim17ROCPRIM_400000_NS6detail17trampoline_kernelINS0_14default_configENS1_20scan_config_selectorIdEEZZNS1_9scan_implILNS1_25lookback_scan_determinismE0ELb0ELb0ES3_PKdPddZZZN2at6native31launch_logcumsumexp_cuda_kernelERKNSB_10TensorBaseESF_lENKUlvE_clEvENKUlvE_clEvEUlddE_dEEDaPvRmT3_T4_T5_mT6_P12ihipStream_tbENKUlT_T0_E_clISt17integral_constantIbLb0EESW_EEDaSR_SS_EUlSR_E_NS1_11comp_targetILNS1_3genE2ELNS1_11target_archE906ELNS1_3gpuE6ELNS1_3repE0EEENS1_30default_config_static_selectorELNS0_4arch9wavefront6targetE0EEEvT1_.num_agpr, 0
	.set _ZN7rocprim17ROCPRIM_400000_NS6detail17trampoline_kernelINS0_14default_configENS1_20scan_config_selectorIdEEZZNS1_9scan_implILNS1_25lookback_scan_determinismE0ELb0ELb0ES3_PKdPddZZZN2at6native31launch_logcumsumexp_cuda_kernelERKNSB_10TensorBaseESF_lENKUlvE_clEvENKUlvE_clEvEUlddE_dEEDaPvRmT3_T4_T5_mT6_P12ihipStream_tbENKUlT_T0_E_clISt17integral_constantIbLb0EESW_EEDaSR_SS_EUlSR_E_NS1_11comp_targetILNS1_3genE2ELNS1_11target_archE906ELNS1_3gpuE6ELNS1_3repE0EEENS1_30default_config_static_selectorELNS0_4arch9wavefront6targetE0EEEvT1_.numbered_sgpr, 0
	.set _ZN7rocprim17ROCPRIM_400000_NS6detail17trampoline_kernelINS0_14default_configENS1_20scan_config_selectorIdEEZZNS1_9scan_implILNS1_25lookback_scan_determinismE0ELb0ELb0ES3_PKdPddZZZN2at6native31launch_logcumsumexp_cuda_kernelERKNSB_10TensorBaseESF_lENKUlvE_clEvENKUlvE_clEvEUlddE_dEEDaPvRmT3_T4_T5_mT6_P12ihipStream_tbENKUlT_T0_E_clISt17integral_constantIbLb0EESW_EEDaSR_SS_EUlSR_E_NS1_11comp_targetILNS1_3genE2ELNS1_11target_archE906ELNS1_3gpuE6ELNS1_3repE0EEENS1_30default_config_static_selectorELNS0_4arch9wavefront6targetE0EEEvT1_.num_named_barrier, 0
	.set _ZN7rocprim17ROCPRIM_400000_NS6detail17trampoline_kernelINS0_14default_configENS1_20scan_config_selectorIdEEZZNS1_9scan_implILNS1_25lookback_scan_determinismE0ELb0ELb0ES3_PKdPddZZZN2at6native31launch_logcumsumexp_cuda_kernelERKNSB_10TensorBaseESF_lENKUlvE_clEvENKUlvE_clEvEUlddE_dEEDaPvRmT3_T4_T5_mT6_P12ihipStream_tbENKUlT_T0_E_clISt17integral_constantIbLb0EESW_EEDaSR_SS_EUlSR_E_NS1_11comp_targetILNS1_3genE2ELNS1_11target_archE906ELNS1_3gpuE6ELNS1_3repE0EEENS1_30default_config_static_selectorELNS0_4arch9wavefront6targetE0EEEvT1_.private_seg_size, 0
	.set _ZN7rocprim17ROCPRIM_400000_NS6detail17trampoline_kernelINS0_14default_configENS1_20scan_config_selectorIdEEZZNS1_9scan_implILNS1_25lookback_scan_determinismE0ELb0ELb0ES3_PKdPddZZZN2at6native31launch_logcumsumexp_cuda_kernelERKNSB_10TensorBaseESF_lENKUlvE_clEvENKUlvE_clEvEUlddE_dEEDaPvRmT3_T4_T5_mT6_P12ihipStream_tbENKUlT_T0_E_clISt17integral_constantIbLb0EESW_EEDaSR_SS_EUlSR_E_NS1_11comp_targetILNS1_3genE2ELNS1_11target_archE906ELNS1_3gpuE6ELNS1_3repE0EEENS1_30default_config_static_selectorELNS0_4arch9wavefront6targetE0EEEvT1_.uses_vcc, 0
	.set _ZN7rocprim17ROCPRIM_400000_NS6detail17trampoline_kernelINS0_14default_configENS1_20scan_config_selectorIdEEZZNS1_9scan_implILNS1_25lookback_scan_determinismE0ELb0ELb0ES3_PKdPddZZZN2at6native31launch_logcumsumexp_cuda_kernelERKNSB_10TensorBaseESF_lENKUlvE_clEvENKUlvE_clEvEUlddE_dEEDaPvRmT3_T4_T5_mT6_P12ihipStream_tbENKUlT_T0_E_clISt17integral_constantIbLb0EESW_EEDaSR_SS_EUlSR_E_NS1_11comp_targetILNS1_3genE2ELNS1_11target_archE906ELNS1_3gpuE6ELNS1_3repE0EEENS1_30default_config_static_selectorELNS0_4arch9wavefront6targetE0EEEvT1_.uses_flat_scratch, 0
	.set _ZN7rocprim17ROCPRIM_400000_NS6detail17trampoline_kernelINS0_14default_configENS1_20scan_config_selectorIdEEZZNS1_9scan_implILNS1_25lookback_scan_determinismE0ELb0ELb0ES3_PKdPddZZZN2at6native31launch_logcumsumexp_cuda_kernelERKNSB_10TensorBaseESF_lENKUlvE_clEvENKUlvE_clEvEUlddE_dEEDaPvRmT3_T4_T5_mT6_P12ihipStream_tbENKUlT_T0_E_clISt17integral_constantIbLb0EESW_EEDaSR_SS_EUlSR_E_NS1_11comp_targetILNS1_3genE2ELNS1_11target_archE906ELNS1_3gpuE6ELNS1_3repE0EEENS1_30default_config_static_selectorELNS0_4arch9wavefront6targetE0EEEvT1_.has_dyn_sized_stack, 0
	.set _ZN7rocprim17ROCPRIM_400000_NS6detail17trampoline_kernelINS0_14default_configENS1_20scan_config_selectorIdEEZZNS1_9scan_implILNS1_25lookback_scan_determinismE0ELb0ELb0ES3_PKdPddZZZN2at6native31launch_logcumsumexp_cuda_kernelERKNSB_10TensorBaseESF_lENKUlvE_clEvENKUlvE_clEvEUlddE_dEEDaPvRmT3_T4_T5_mT6_P12ihipStream_tbENKUlT_T0_E_clISt17integral_constantIbLb0EESW_EEDaSR_SS_EUlSR_E_NS1_11comp_targetILNS1_3genE2ELNS1_11target_archE906ELNS1_3gpuE6ELNS1_3repE0EEENS1_30default_config_static_selectorELNS0_4arch9wavefront6targetE0EEEvT1_.has_recursion, 0
	.set _ZN7rocprim17ROCPRIM_400000_NS6detail17trampoline_kernelINS0_14default_configENS1_20scan_config_selectorIdEEZZNS1_9scan_implILNS1_25lookback_scan_determinismE0ELb0ELb0ES3_PKdPddZZZN2at6native31launch_logcumsumexp_cuda_kernelERKNSB_10TensorBaseESF_lENKUlvE_clEvENKUlvE_clEvEUlddE_dEEDaPvRmT3_T4_T5_mT6_P12ihipStream_tbENKUlT_T0_E_clISt17integral_constantIbLb0EESW_EEDaSR_SS_EUlSR_E_NS1_11comp_targetILNS1_3genE2ELNS1_11target_archE906ELNS1_3gpuE6ELNS1_3repE0EEENS1_30default_config_static_selectorELNS0_4arch9wavefront6targetE0EEEvT1_.has_indirect_call, 0
	.section	.AMDGPU.csdata,"",@progbits
; Kernel info:
; codeLenInByte = 0
; TotalNumSgprs: 0
; NumVgprs: 0
; ScratchSize: 0
; MemoryBound: 0
; FloatMode: 240
; IeeeMode: 1
; LDSByteSize: 0 bytes/workgroup (compile time only)
; SGPRBlocks: 0
; VGPRBlocks: 0
; NumSGPRsForWavesPerEU: 1
; NumVGPRsForWavesPerEU: 1
; Occupancy: 16
; WaveLimiterHint : 0
; COMPUTE_PGM_RSRC2:SCRATCH_EN: 0
; COMPUTE_PGM_RSRC2:USER_SGPR: 6
; COMPUTE_PGM_RSRC2:TRAP_HANDLER: 0
; COMPUTE_PGM_RSRC2:TGID_X_EN: 1
; COMPUTE_PGM_RSRC2:TGID_Y_EN: 0
; COMPUTE_PGM_RSRC2:TGID_Z_EN: 0
; COMPUTE_PGM_RSRC2:TIDIG_COMP_CNT: 0
	.section	.text._ZN7rocprim17ROCPRIM_400000_NS6detail17trampoline_kernelINS0_14default_configENS1_20scan_config_selectorIdEEZZNS1_9scan_implILNS1_25lookback_scan_determinismE0ELb0ELb0ES3_PKdPddZZZN2at6native31launch_logcumsumexp_cuda_kernelERKNSB_10TensorBaseESF_lENKUlvE_clEvENKUlvE_clEvEUlddE_dEEDaPvRmT3_T4_T5_mT6_P12ihipStream_tbENKUlT_T0_E_clISt17integral_constantIbLb0EESW_EEDaSR_SS_EUlSR_E_NS1_11comp_targetILNS1_3genE10ELNS1_11target_archE1201ELNS1_3gpuE5ELNS1_3repE0EEENS1_30default_config_static_selectorELNS0_4arch9wavefront6targetE0EEEvT1_,"axG",@progbits,_ZN7rocprim17ROCPRIM_400000_NS6detail17trampoline_kernelINS0_14default_configENS1_20scan_config_selectorIdEEZZNS1_9scan_implILNS1_25lookback_scan_determinismE0ELb0ELb0ES3_PKdPddZZZN2at6native31launch_logcumsumexp_cuda_kernelERKNSB_10TensorBaseESF_lENKUlvE_clEvENKUlvE_clEvEUlddE_dEEDaPvRmT3_T4_T5_mT6_P12ihipStream_tbENKUlT_T0_E_clISt17integral_constantIbLb0EESW_EEDaSR_SS_EUlSR_E_NS1_11comp_targetILNS1_3genE10ELNS1_11target_archE1201ELNS1_3gpuE5ELNS1_3repE0EEENS1_30default_config_static_selectorELNS0_4arch9wavefront6targetE0EEEvT1_,comdat
	.globl	_ZN7rocprim17ROCPRIM_400000_NS6detail17trampoline_kernelINS0_14default_configENS1_20scan_config_selectorIdEEZZNS1_9scan_implILNS1_25lookback_scan_determinismE0ELb0ELb0ES3_PKdPddZZZN2at6native31launch_logcumsumexp_cuda_kernelERKNSB_10TensorBaseESF_lENKUlvE_clEvENKUlvE_clEvEUlddE_dEEDaPvRmT3_T4_T5_mT6_P12ihipStream_tbENKUlT_T0_E_clISt17integral_constantIbLb0EESW_EEDaSR_SS_EUlSR_E_NS1_11comp_targetILNS1_3genE10ELNS1_11target_archE1201ELNS1_3gpuE5ELNS1_3repE0EEENS1_30default_config_static_selectorELNS0_4arch9wavefront6targetE0EEEvT1_ ; -- Begin function _ZN7rocprim17ROCPRIM_400000_NS6detail17trampoline_kernelINS0_14default_configENS1_20scan_config_selectorIdEEZZNS1_9scan_implILNS1_25lookback_scan_determinismE0ELb0ELb0ES3_PKdPddZZZN2at6native31launch_logcumsumexp_cuda_kernelERKNSB_10TensorBaseESF_lENKUlvE_clEvENKUlvE_clEvEUlddE_dEEDaPvRmT3_T4_T5_mT6_P12ihipStream_tbENKUlT_T0_E_clISt17integral_constantIbLb0EESW_EEDaSR_SS_EUlSR_E_NS1_11comp_targetILNS1_3genE10ELNS1_11target_archE1201ELNS1_3gpuE5ELNS1_3repE0EEENS1_30default_config_static_selectorELNS0_4arch9wavefront6targetE0EEEvT1_
	.p2align	8
	.type	_ZN7rocprim17ROCPRIM_400000_NS6detail17trampoline_kernelINS0_14default_configENS1_20scan_config_selectorIdEEZZNS1_9scan_implILNS1_25lookback_scan_determinismE0ELb0ELb0ES3_PKdPddZZZN2at6native31launch_logcumsumexp_cuda_kernelERKNSB_10TensorBaseESF_lENKUlvE_clEvENKUlvE_clEvEUlddE_dEEDaPvRmT3_T4_T5_mT6_P12ihipStream_tbENKUlT_T0_E_clISt17integral_constantIbLb0EESW_EEDaSR_SS_EUlSR_E_NS1_11comp_targetILNS1_3genE10ELNS1_11target_archE1201ELNS1_3gpuE5ELNS1_3repE0EEENS1_30default_config_static_selectorELNS0_4arch9wavefront6targetE0EEEvT1_,@function
_ZN7rocprim17ROCPRIM_400000_NS6detail17trampoline_kernelINS0_14default_configENS1_20scan_config_selectorIdEEZZNS1_9scan_implILNS1_25lookback_scan_determinismE0ELb0ELb0ES3_PKdPddZZZN2at6native31launch_logcumsumexp_cuda_kernelERKNSB_10TensorBaseESF_lENKUlvE_clEvENKUlvE_clEvEUlddE_dEEDaPvRmT3_T4_T5_mT6_P12ihipStream_tbENKUlT_T0_E_clISt17integral_constantIbLb0EESW_EEDaSR_SS_EUlSR_E_NS1_11comp_targetILNS1_3genE10ELNS1_11target_archE1201ELNS1_3gpuE5ELNS1_3repE0EEENS1_30default_config_static_selectorELNS0_4arch9wavefront6targetE0EEEvT1_: ; @_ZN7rocprim17ROCPRIM_400000_NS6detail17trampoline_kernelINS0_14default_configENS1_20scan_config_selectorIdEEZZNS1_9scan_implILNS1_25lookback_scan_determinismE0ELb0ELb0ES3_PKdPddZZZN2at6native31launch_logcumsumexp_cuda_kernelERKNSB_10TensorBaseESF_lENKUlvE_clEvENKUlvE_clEvEUlddE_dEEDaPvRmT3_T4_T5_mT6_P12ihipStream_tbENKUlT_T0_E_clISt17integral_constantIbLb0EESW_EEDaSR_SS_EUlSR_E_NS1_11comp_targetILNS1_3genE10ELNS1_11target_archE1201ELNS1_3gpuE5ELNS1_3repE0EEENS1_30default_config_static_selectorELNS0_4arch9wavefront6targetE0EEEvT1_
; %bb.0:
	.section	.rodata,"a",@progbits
	.p2align	6, 0x0
	.amdhsa_kernel _ZN7rocprim17ROCPRIM_400000_NS6detail17trampoline_kernelINS0_14default_configENS1_20scan_config_selectorIdEEZZNS1_9scan_implILNS1_25lookback_scan_determinismE0ELb0ELb0ES3_PKdPddZZZN2at6native31launch_logcumsumexp_cuda_kernelERKNSB_10TensorBaseESF_lENKUlvE_clEvENKUlvE_clEvEUlddE_dEEDaPvRmT3_T4_T5_mT6_P12ihipStream_tbENKUlT_T0_E_clISt17integral_constantIbLb0EESW_EEDaSR_SS_EUlSR_E_NS1_11comp_targetILNS1_3genE10ELNS1_11target_archE1201ELNS1_3gpuE5ELNS1_3repE0EEENS1_30default_config_static_selectorELNS0_4arch9wavefront6targetE0EEEvT1_
		.amdhsa_group_segment_fixed_size 0
		.amdhsa_private_segment_fixed_size 0
		.amdhsa_kernarg_size 104
		.amdhsa_user_sgpr_count 6
		.amdhsa_user_sgpr_private_segment_buffer 1
		.amdhsa_user_sgpr_dispatch_ptr 0
		.amdhsa_user_sgpr_queue_ptr 0
		.amdhsa_user_sgpr_kernarg_segment_ptr 1
		.amdhsa_user_sgpr_dispatch_id 0
		.amdhsa_user_sgpr_flat_scratch_init 0
		.amdhsa_user_sgpr_private_segment_size 0
		.amdhsa_wavefront_size32 1
		.amdhsa_uses_dynamic_stack 0
		.amdhsa_system_sgpr_private_segment_wavefront_offset 0
		.amdhsa_system_sgpr_workgroup_id_x 1
		.amdhsa_system_sgpr_workgroup_id_y 0
		.amdhsa_system_sgpr_workgroup_id_z 0
		.amdhsa_system_sgpr_workgroup_info 0
		.amdhsa_system_vgpr_workitem_id 0
		.amdhsa_next_free_vgpr 1
		.amdhsa_next_free_sgpr 1
		.amdhsa_reserve_vcc 0
		.amdhsa_reserve_flat_scratch 0
		.amdhsa_float_round_mode_32 0
		.amdhsa_float_round_mode_16_64 0
		.amdhsa_float_denorm_mode_32 3
		.amdhsa_float_denorm_mode_16_64 3
		.amdhsa_dx10_clamp 1
		.amdhsa_ieee_mode 1
		.amdhsa_fp16_overflow 0
		.amdhsa_workgroup_processor_mode 1
		.amdhsa_memory_ordered 1
		.amdhsa_forward_progress 1
		.amdhsa_shared_vgpr_count 0
		.amdhsa_exception_fp_ieee_invalid_op 0
		.amdhsa_exception_fp_denorm_src 0
		.amdhsa_exception_fp_ieee_div_zero 0
		.amdhsa_exception_fp_ieee_overflow 0
		.amdhsa_exception_fp_ieee_underflow 0
		.amdhsa_exception_fp_ieee_inexact 0
		.amdhsa_exception_int_div_zero 0
	.end_amdhsa_kernel
	.section	.text._ZN7rocprim17ROCPRIM_400000_NS6detail17trampoline_kernelINS0_14default_configENS1_20scan_config_selectorIdEEZZNS1_9scan_implILNS1_25lookback_scan_determinismE0ELb0ELb0ES3_PKdPddZZZN2at6native31launch_logcumsumexp_cuda_kernelERKNSB_10TensorBaseESF_lENKUlvE_clEvENKUlvE_clEvEUlddE_dEEDaPvRmT3_T4_T5_mT6_P12ihipStream_tbENKUlT_T0_E_clISt17integral_constantIbLb0EESW_EEDaSR_SS_EUlSR_E_NS1_11comp_targetILNS1_3genE10ELNS1_11target_archE1201ELNS1_3gpuE5ELNS1_3repE0EEENS1_30default_config_static_selectorELNS0_4arch9wavefront6targetE0EEEvT1_,"axG",@progbits,_ZN7rocprim17ROCPRIM_400000_NS6detail17trampoline_kernelINS0_14default_configENS1_20scan_config_selectorIdEEZZNS1_9scan_implILNS1_25lookback_scan_determinismE0ELb0ELb0ES3_PKdPddZZZN2at6native31launch_logcumsumexp_cuda_kernelERKNSB_10TensorBaseESF_lENKUlvE_clEvENKUlvE_clEvEUlddE_dEEDaPvRmT3_T4_T5_mT6_P12ihipStream_tbENKUlT_T0_E_clISt17integral_constantIbLb0EESW_EEDaSR_SS_EUlSR_E_NS1_11comp_targetILNS1_3genE10ELNS1_11target_archE1201ELNS1_3gpuE5ELNS1_3repE0EEENS1_30default_config_static_selectorELNS0_4arch9wavefront6targetE0EEEvT1_,comdat
.Lfunc_end6:
	.size	_ZN7rocprim17ROCPRIM_400000_NS6detail17trampoline_kernelINS0_14default_configENS1_20scan_config_selectorIdEEZZNS1_9scan_implILNS1_25lookback_scan_determinismE0ELb0ELb0ES3_PKdPddZZZN2at6native31launch_logcumsumexp_cuda_kernelERKNSB_10TensorBaseESF_lENKUlvE_clEvENKUlvE_clEvEUlddE_dEEDaPvRmT3_T4_T5_mT6_P12ihipStream_tbENKUlT_T0_E_clISt17integral_constantIbLb0EESW_EEDaSR_SS_EUlSR_E_NS1_11comp_targetILNS1_3genE10ELNS1_11target_archE1201ELNS1_3gpuE5ELNS1_3repE0EEENS1_30default_config_static_selectorELNS0_4arch9wavefront6targetE0EEEvT1_, .Lfunc_end6-_ZN7rocprim17ROCPRIM_400000_NS6detail17trampoline_kernelINS0_14default_configENS1_20scan_config_selectorIdEEZZNS1_9scan_implILNS1_25lookback_scan_determinismE0ELb0ELb0ES3_PKdPddZZZN2at6native31launch_logcumsumexp_cuda_kernelERKNSB_10TensorBaseESF_lENKUlvE_clEvENKUlvE_clEvEUlddE_dEEDaPvRmT3_T4_T5_mT6_P12ihipStream_tbENKUlT_T0_E_clISt17integral_constantIbLb0EESW_EEDaSR_SS_EUlSR_E_NS1_11comp_targetILNS1_3genE10ELNS1_11target_archE1201ELNS1_3gpuE5ELNS1_3repE0EEENS1_30default_config_static_selectorELNS0_4arch9wavefront6targetE0EEEvT1_
                                        ; -- End function
	.set _ZN7rocprim17ROCPRIM_400000_NS6detail17trampoline_kernelINS0_14default_configENS1_20scan_config_selectorIdEEZZNS1_9scan_implILNS1_25lookback_scan_determinismE0ELb0ELb0ES3_PKdPddZZZN2at6native31launch_logcumsumexp_cuda_kernelERKNSB_10TensorBaseESF_lENKUlvE_clEvENKUlvE_clEvEUlddE_dEEDaPvRmT3_T4_T5_mT6_P12ihipStream_tbENKUlT_T0_E_clISt17integral_constantIbLb0EESW_EEDaSR_SS_EUlSR_E_NS1_11comp_targetILNS1_3genE10ELNS1_11target_archE1201ELNS1_3gpuE5ELNS1_3repE0EEENS1_30default_config_static_selectorELNS0_4arch9wavefront6targetE0EEEvT1_.num_vgpr, 0
	.set _ZN7rocprim17ROCPRIM_400000_NS6detail17trampoline_kernelINS0_14default_configENS1_20scan_config_selectorIdEEZZNS1_9scan_implILNS1_25lookback_scan_determinismE0ELb0ELb0ES3_PKdPddZZZN2at6native31launch_logcumsumexp_cuda_kernelERKNSB_10TensorBaseESF_lENKUlvE_clEvENKUlvE_clEvEUlddE_dEEDaPvRmT3_T4_T5_mT6_P12ihipStream_tbENKUlT_T0_E_clISt17integral_constantIbLb0EESW_EEDaSR_SS_EUlSR_E_NS1_11comp_targetILNS1_3genE10ELNS1_11target_archE1201ELNS1_3gpuE5ELNS1_3repE0EEENS1_30default_config_static_selectorELNS0_4arch9wavefront6targetE0EEEvT1_.num_agpr, 0
	.set _ZN7rocprim17ROCPRIM_400000_NS6detail17trampoline_kernelINS0_14default_configENS1_20scan_config_selectorIdEEZZNS1_9scan_implILNS1_25lookback_scan_determinismE0ELb0ELb0ES3_PKdPddZZZN2at6native31launch_logcumsumexp_cuda_kernelERKNSB_10TensorBaseESF_lENKUlvE_clEvENKUlvE_clEvEUlddE_dEEDaPvRmT3_T4_T5_mT6_P12ihipStream_tbENKUlT_T0_E_clISt17integral_constantIbLb0EESW_EEDaSR_SS_EUlSR_E_NS1_11comp_targetILNS1_3genE10ELNS1_11target_archE1201ELNS1_3gpuE5ELNS1_3repE0EEENS1_30default_config_static_selectorELNS0_4arch9wavefront6targetE0EEEvT1_.numbered_sgpr, 0
	.set _ZN7rocprim17ROCPRIM_400000_NS6detail17trampoline_kernelINS0_14default_configENS1_20scan_config_selectorIdEEZZNS1_9scan_implILNS1_25lookback_scan_determinismE0ELb0ELb0ES3_PKdPddZZZN2at6native31launch_logcumsumexp_cuda_kernelERKNSB_10TensorBaseESF_lENKUlvE_clEvENKUlvE_clEvEUlddE_dEEDaPvRmT3_T4_T5_mT6_P12ihipStream_tbENKUlT_T0_E_clISt17integral_constantIbLb0EESW_EEDaSR_SS_EUlSR_E_NS1_11comp_targetILNS1_3genE10ELNS1_11target_archE1201ELNS1_3gpuE5ELNS1_3repE0EEENS1_30default_config_static_selectorELNS0_4arch9wavefront6targetE0EEEvT1_.num_named_barrier, 0
	.set _ZN7rocprim17ROCPRIM_400000_NS6detail17trampoline_kernelINS0_14default_configENS1_20scan_config_selectorIdEEZZNS1_9scan_implILNS1_25lookback_scan_determinismE0ELb0ELb0ES3_PKdPddZZZN2at6native31launch_logcumsumexp_cuda_kernelERKNSB_10TensorBaseESF_lENKUlvE_clEvENKUlvE_clEvEUlddE_dEEDaPvRmT3_T4_T5_mT6_P12ihipStream_tbENKUlT_T0_E_clISt17integral_constantIbLb0EESW_EEDaSR_SS_EUlSR_E_NS1_11comp_targetILNS1_3genE10ELNS1_11target_archE1201ELNS1_3gpuE5ELNS1_3repE0EEENS1_30default_config_static_selectorELNS0_4arch9wavefront6targetE0EEEvT1_.private_seg_size, 0
	.set _ZN7rocprim17ROCPRIM_400000_NS6detail17trampoline_kernelINS0_14default_configENS1_20scan_config_selectorIdEEZZNS1_9scan_implILNS1_25lookback_scan_determinismE0ELb0ELb0ES3_PKdPddZZZN2at6native31launch_logcumsumexp_cuda_kernelERKNSB_10TensorBaseESF_lENKUlvE_clEvENKUlvE_clEvEUlddE_dEEDaPvRmT3_T4_T5_mT6_P12ihipStream_tbENKUlT_T0_E_clISt17integral_constantIbLb0EESW_EEDaSR_SS_EUlSR_E_NS1_11comp_targetILNS1_3genE10ELNS1_11target_archE1201ELNS1_3gpuE5ELNS1_3repE0EEENS1_30default_config_static_selectorELNS0_4arch9wavefront6targetE0EEEvT1_.uses_vcc, 0
	.set _ZN7rocprim17ROCPRIM_400000_NS6detail17trampoline_kernelINS0_14default_configENS1_20scan_config_selectorIdEEZZNS1_9scan_implILNS1_25lookback_scan_determinismE0ELb0ELb0ES3_PKdPddZZZN2at6native31launch_logcumsumexp_cuda_kernelERKNSB_10TensorBaseESF_lENKUlvE_clEvENKUlvE_clEvEUlddE_dEEDaPvRmT3_T4_T5_mT6_P12ihipStream_tbENKUlT_T0_E_clISt17integral_constantIbLb0EESW_EEDaSR_SS_EUlSR_E_NS1_11comp_targetILNS1_3genE10ELNS1_11target_archE1201ELNS1_3gpuE5ELNS1_3repE0EEENS1_30default_config_static_selectorELNS0_4arch9wavefront6targetE0EEEvT1_.uses_flat_scratch, 0
	.set _ZN7rocprim17ROCPRIM_400000_NS6detail17trampoline_kernelINS0_14default_configENS1_20scan_config_selectorIdEEZZNS1_9scan_implILNS1_25lookback_scan_determinismE0ELb0ELb0ES3_PKdPddZZZN2at6native31launch_logcumsumexp_cuda_kernelERKNSB_10TensorBaseESF_lENKUlvE_clEvENKUlvE_clEvEUlddE_dEEDaPvRmT3_T4_T5_mT6_P12ihipStream_tbENKUlT_T0_E_clISt17integral_constantIbLb0EESW_EEDaSR_SS_EUlSR_E_NS1_11comp_targetILNS1_3genE10ELNS1_11target_archE1201ELNS1_3gpuE5ELNS1_3repE0EEENS1_30default_config_static_selectorELNS0_4arch9wavefront6targetE0EEEvT1_.has_dyn_sized_stack, 0
	.set _ZN7rocprim17ROCPRIM_400000_NS6detail17trampoline_kernelINS0_14default_configENS1_20scan_config_selectorIdEEZZNS1_9scan_implILNS1_25lookback_scan_determinismE0ELb0ELb0ES3_PKdPddZZZN2at6native31launch_logcumsumexp_cuda_kernelERKNSB_10TensorBaseESF_lENKUlvE_clEvENKUlvE_clEvEUlddE_dEEDaPvRmT3_T4_T5_mT6_P12ihipStream_tbENKUlT_T0_E_clISt17integral_constantIbLb0EESW_EEDaSR_SS_EUlSR_E_NS1_11comp_targetILNS1_3genE10ELNS1_11target_archE1201ELNS1_3gpuE5ELNS1_3repE0EEENS1_30default_config_static_selectorELNS0_4arch9wavefront6targetE0EEEvT1_.has_recursion, 0
	.set _ZN7rocprim17ROCPRIM_400000_NS6detail17trampoline_kernelINS0_14default_configENS1_20scan_config_selectorIdEEZZNS1_9scan_implILNS1_25lookback_scan_determinismE0ELb0ELb0ES3_PKdPddZZZN2at6native31launch_logcumsumexp_cuda_kernelERKNSB_10TensorBaseESF_lENKUlvE_clEvENKUlvE_clEvEUlddE_dEEDaPvRmT3_T4_T5_mT6_P12ihipStream_tbENKUlT_T0_E_clISt17integral_constantIbLb0EESW_EEDaSR_SS_EUlSR_E_NS1_11comp_targetILNS1_3genE10ELNS1_11target_archE1201ELNS1_3gpuE5ELNS1_3repE0EEENS1_30default_config_static_selectorELNS0_4arch9wavefront6targetE0EEEvT1_.has_indirect_call, 0
	.section	.AMDGPU.csdata,"",@progbits
; Kernel info:
; codeLenInByte = 0
; TotalNumSgprs: 0
; NumVgprs: 0
; ScratchSize: 0
; MemoryBound: 0
; FloatMode: 240
; IeeeMode: 1
; LDSByteSize: 0 bytes/workgroup (compile time only)
; SGPRBlocks: 0
; VGPRBlocks: 0
; NumSGPRsForWavesPerEU: 1
; NumVGPRsForWavesPerEU: 1
; Occupancy: 16
; WaveLimiterHint : 0
; COMPUTE_PGM_RSRC2:SCRATCH_EN: 0
; COMPUTE_PGM_RSRC2:USER_SGPR: 6
; COMPUTE_PGM_RSRC2:TRAP_HANDLER: 0
; COMPUTE_PGM_RSRC2:TGID_X_EN: 1
; COMPUTE_PGM_RSRC2:TGID_Y_EN: 0
; COMPUTE_PGM_RSRC2:TGID_Z_EN: 0
; COMPUTE_PGM_RSRC2:TIDIG_COMP_CNT: 0
	.section	.text._ZN7rocprim17ROCPRIM_400000_NS6detail17trampoline_kernelINS0_14default_configENS1_20scan_config_selectorIdEEZZNS1_9scan_implILNS1_25lookback_scan_determinismE0ELb0ELb0ES3_PKdPddZZZN2at6native31launch_logcumsumexp_cuda_kernelERKNSB_10TensorBaseESF_lENKUlvE_clEvENKUlvE_clEvEUlddE_dEEDaPvRmT3_T4_T5_mT6_P12ihipStream_tbENKUlT_T0_E_clISt17integral_constantIbLb0EESW_EEDaSR_SS_EUlSR_E_NS1_11comp_targetILNS1_3genE10ELNS1_11target_archE1200ELNS1_3gpuE4ELNS1_3repE0EEENS1_30default_config_static_selectorELNS0_4arch9wavefront6targetE0EEEvT1_,"axG",@progbits,_ZN7rocprim17ROCPRIM_400000_NS6detail17trampoline_kernelINS0_14default_configENS1_20scan_config_selectorIdEEZZNS1_9scan_implILNS1_25lookback_scan_determinismE0ELb0ELb0ES3_PKdPddZZZN2at6native31launch_logcumsumexp_cuda_kernelERKNSB_10TensorBaseESF_lENKUlvE_clEvENKUlvE_clEvEUlddE_dEEDaPvRmT3_T4_T5_mT6_P12ihipStream_tbENKUlT_T0_E_clISt17integral_constantIbLb0EESW_EEDaSR_SS_EUlSR_E_NS1_11comp_targetILNS1_3genE10ELNS1_11target_archE1200ELNS1_3gpuE4ELNS1_3repE0EEENS1_30default_config_static_selectorELNS0_4arch9wavefront6targetE0EEEvT1_,comdat
	.globl	_ZN7rocprim17ROCPRIM_400000_NS6detail17trampoline_kernelINS0_14default_configENS1_20scan_config_selectorIdEEZZNS1_9scan_implILNS1_25lookback_scan_determinismE0ELb0ELb0ES3_PKdPddZZZN2at6native31launch_logcumsumexp_cuda_kernelERKNSB_10TensorBaseESF_lENKUlvE_clEvENKUlvE_clEvEUlddE_dEEDaPvRmT3_T4_T5_mT6_P12ihipStream_tbENKUlT_T0_E_clISt17integral_constantIbLb0EESW_EEDaSR_SS_EUlSR_E_NS1_11comp_targetILNS1_3genE10ELNS1_11target_archE1200ELNS1_3gpuE4ELNS1_3repE0EEENS1_30default_config_static_selectorELNS0_4arch9wavefront6targetE0EEEvT1_ ; -- Begin function _ZN7rocprim17ROCPRIM_400000_NS6detail17trampoline_kernelINS0_14default_configENS1_20scan_config_selectorIdEEZZNS1_9scan_implILNS1_25lookback_scan_determinismE0ELb0ELb0ES3_PKdPddZZZN2at6native31launch_logcumsumexp_cuda_kernelERKNSB_10TensorBaseESF_lENKUlvE_clEvENKUlvE_clEvEUlddE_dEEDaPvRmT3_T4_T5_mT6_P12ihipStream_tbENKUlT_T0_E_clISt17integral_constantIbLb0EESW_EEDaSR_SS_EUlSR_E_NS1_11comp_targetILNS1_3genE10ELNS1_11target_archE1200ELNS1_3gpuE4ELNS1_3repE0EEENS1_30default_config_static_selectorELNS0_4arch9wavefront6targetE0EEEvT1_
	.p2align	8
	.type	_ZN7rocprim17ROCPRIM_400000_NS6detail17trampoline_kernelINS0_14default_configENS1_20scan_config_selectorIdEEZZNS1_9scan_implILNS1_25lookback_scan_determinismE0ELb0ELb0ES3_PKdPddZZZN2at6native31launch_logcumsumexp_cuda_kernelERKNSB_10TensorBaseESF_lENKUlvE_clEvENKUlvE_clEvEUlddE_dEEDaPvRmT3_T4_T5_mT6_P12ihipStream_tbENKUlT_T0_E_clISt17integral_constantIbLb0EESW_EEDaSR_SS_EUlSR_E_NS1_11comp_targetILNS1_3genE10ELNS1_11target_archE1200ELNS1_3gpuE4ELNS1_3repE0EEENS1_30default_config_static_selectorELNS0_4arch9wavefront6targetE0EEEvT1_,@function
_ZN7rocprim17ROCPRIM_400000_NS6detail17trampoline_kernelINS0_14default_configENS1_20scan_config_selectorIdEEZZNS1_9scan_implILNS1_25lookback_scan_determinismE0ELb0ELb0ES3_PKdPddZZZN2at6native31launch_logcumsumexp_cuda_kernelERKNSB_10TensorBaseESF_lENKUlvE_clEvENKUlvE_clEvEUlddE_dEEDaPvRmT3_T4_T5_mT6_P12ihipStream_tbENKUlT_T0_E_clISt17integral_constantIbLb0EESW_EEDaSR_SS_EUlSR_E_NS1_11comp_targetILNS1_3genE10ELNS1_11target_archE1200ELNS1_3gpuE4ELNS1_3repE0EEENS1_30default_config_static_selectorELNS0_4arch9wavefront6targetE0EEEvT1_: ; @_ZN7rocprim17ROCPRIM_400000_NS6detail17trampoline_kernelINS0_14default_configENS1_20scan_config_selectorIdEEZZNS1_9scan_implILNS1_25lookback_scan_determinismE0ELb0ELb0ES3_PKdPddZZZN2at6native31launch_logcumsumexp_cuda_kernelERKNSB_10TensorBaseESF_lENKUlvE_clEvENKUlvE_clEvEUlddE_dEEDaPvRmT3_T4_T5_mT6_P12ihipStream_tbENKUlT_T0_E_clISt17integral_constantIbLb0EESW_EEDaSR_SS_EUlSR_E_NS1_11comp_targetILNS1_3genE10ELNS1_11target_archE1200ELNS1_3gpuE4ELNS1_3repE0EEENS1_30default_config_static_selectorELNS0_4arch9wavefront6targetE0EEEvT1_
; %bb.0:
	.section	.rodata,"a",@progbits
	.p2align	6, 0x0
	.amdhsa_kernel _ZN7rocprim17ROCPRIM_400000_NS6detail17trampoline_kernelINS0_14default_configENS1_20scan_config_selectorIdEEZZNS1_9scan_implILNS1_25lookback_scan_determinismE0ELb0ELb0ES3_PKdPddZZZN2at6native31launch_logcumsumexp_cuda_kernelERKNSB_10TensorBaseESF_lENKUlvE_clEvENKUlvE_clEvEUlddE_dEEDaPvRmT3_T4_T5_mT6_P12ihipStream_tbENKUlT_T0_E_clISt17integral_constantIbLb0EESW_EEDaSR_SS_EUlSR_E_NS1_11comp_targetILNS1_3genE10ELNS1_11target_archE1200ELNS1_3gpuE4ELNS1_3repE0EEENS1_30default_config_static_selectorELNS0_4arch9wavefront6targetE0EEEvT1_
		.amdhsa_group_segment_fixed_size 0
		.amdhsa_private_segment_fixed_size 0
		.amdhsa_kernarg_size 104
		.amdhsa_user_sgpr_count 6
		.amdhsa_user_sgpr_private_segment_buffer 1
		.amdhsa_user_sgpr_dispatch_ptr 0
		.amdhsa_user_sgpr_queue_ptr 0
		.amdhsa_user_sgpr_kernarg_segment_ptr 1
		.amdhsa_user_sgpr_dispatch_id 0
		.amdhsa_user_sgpr_flat_scratch_init 0
		.amdhsa_user_sgpr_private_segment_size 0
		.amdhsa_wavefront_size32 1
		.amdhsa_uses_dynamic_stack 0
		.amdhsa_system_sgpr_private_segment_wavefront_offset 0
		.amdhsa_system_sgpr_workgroup_id_x 1
		.amdhsa_system_sgpr_workgroup_id_y 0
		.amdhsa_system_sgpr_workgroup_id_z 0
		.amdhsa_system_sgpr_workgroup_info 0
		.amdhsa_system_vgpr_workitem_id 0
		.amdhsa_next_free_vgpr 1
		.amdhsa_next_free_sgpr 1
		.amdhsa_reserve_vcc 0
		.amdhsa_reserve_flat_scratch 0
		.amdhsa_float_round_mode_32 0
		.amdhsa_float_round_mode_16_64 0
		.amdhsa_float_denorm_mode_32 3
		.amdhsa_float_denorm_mode_16_64 3
		.amdhsa_dx10_clamp 1
		.amdhsa_ieee_mode 1
		.amdhsa_fp16_overflow 0
		.amdhsa_workgroup_processor_mode 1
		.amdhsa_memory_ordered 1
		.amdhsa_forward_progress 1
		.amdhsa_shared_vgpr_count 0
		.amdhsa_exception_fp_ieee_invalid_op 0
		.amdhsa_exception_fp_denorm_src 0
		.amdhsa_exception_fp_ieee_div_zero 0
		.amdhsa_exception_fp_ieee_overflow 0
		.amdhsa_exception_fp_ieee_underflow 0
		.amdhsa_exception_fp_ieee_inexact 0
		.amdhsa_exception_int_div_zero 0
	.end_amdhsa_kernel
	.section	.text._ZN7rocprim17ROCPRIM_400000_NS6detail17trampoline_kernelINS0_14default_configENS1_20scan_config_selectorIdEEZZNS1_9scan_implILNS1_25lookback_scan_determinismE0ELb0ELb0ES3_PKdPddZZZN2at6native31launch_logcumsumexp_cuda_kernelERKNSB_10TensorBaseESF_lENKUlvE_clEvENKUlvE_clEvEUlddE_dEEDaPvRmT3_T4_T5_mT6_P12ihipStream_tbENKUlT_T0_E_clISt17integral_constantIbLb0EESW_EEDaSR_SS_EUlSR_E_NS1_11comp_targetILNS1_3genE10ELNS1_11target_archE1200ELNS1_3gpuE4ELNS1_3repE0EEENS1_30default_config_static_selectorELNS0_4arch9wavefront6targetE0EEEvT1_,"axG",@progbits,_ZN7rocprim17ROCPRIM_400000_NS6detail17trampoline_kernelINS0_14default_configENS1_20scan_config_selectorIdEEZZNS1_9scan_implILNS1_25lookback_scan_determinismE0ELb0ELb0ES3_PKdPddZZZN2at6native31launch_logcumsumexp_cuda_kernelERKNSB_10TensorBaseESF_lENKUlvE_clEvENKUlvE_clEvEUlddE_dEEDaPvRmT3_T4_T5_mT6_P12ihipStream_tbENKUlT_T0_E_clISt17integral_constantIbLb0EESW_EEDaSR_SS_EUlSR_E_NS1_11comp_targetILNS1_3genE10ELNS1_11target_archE1200ELNS1_3gpuE4ELNS1_3repE0EEENS1_30default_config_static_selectorELNS0_4arch9wavefront6targetE0EEEvT1_,comdat
.Lfunc_end7:
	.size	_ZN7rocprim17ROCPRIM_400000_NS6detail17trampoline_kernelINS0_14default_configENS1_20scan_config_selectorIdEEZZNS1_9scan_implILNS1_25lookback_scan_determinismE0ELb0ELb0ES3_PKdPddZZZN2at6native31launch_logcumsumexp_cuda_kernelERKNSB_10TensorBaseESF_lENKUlvE_clEvENKUlvE_clEvEUlddE_dEEDaPvRmT3_T4_T5_mT6_P12ihipStream_tbENKUlT_T0_E_clISt17integral_constantIbLb0EESW_EEDaSR_SS_EUlSR_E_NS1_11comp_targetILNS1_3genE10ELNS1_11target_archE1200ELNS1_3gpuE4ELNS1_3repE0EEENS1_30default_config_static_selectorELNS0_4arch9wavefront6targetE0EEEvT1_, .Lfunc_end7-_ZN7rocprim17ROCPRIM_400000_NS6detail17trampoline_kernelINS0_14default_configENS1_20scan_config_selectorIdEEZZNS1_9scan_implILNS1_25lookback_scan_determinismE0ELb0ELb0ES3_PKdPddZZZN2at6native31launch_logcumsumexp_cuda_kernelERKNSB_10TensorBaseESF_lENKUlvE_clEvENKUlvE_clEvEUlddE_dEEDaPvRmT3_T4_T5_mT6_P12ihipStream_tbENKUlT_T0_E_clISt17integral_constantIbLb0EESW_EEDaSR_SS_EUlSR_E_NS1_11comp_targetILNS1_3genE10ELNS1_11target_archE1200ELNS1_3gpuE4ELNS1_3repE0EEENS1_30default_config_static_selectorELNS0_4arch9wavefront6targetE0EEEvT1_
                                        ; -- End function
	.set _ZN7rocprim17ROCPRIM_400000_NS6detail17trampoline_kernelINS0_14default_configENS1_20scan_config_selectorIdEEZZNS1_9scan_implILNS1_25lookback_scan_determinismE0ELb0ELb0ES3_PKdPddZZZN2at6native31launch_logcumsumexp_cuda_kernelERKNSB_10TensorBaseESF_lENKUlvE_clEvENKUlvE_clEvEUlddE_dEEDaPvRmT3_T4_T5_mT6_P12ihipStream_tbENKUlT_T0_E_clISt17integral_constantIbLb0EESW_EEDaSR_SS_EUlSR_E_NS1_11comp_targetILNS1_3genE10ELNS1_11target_archE1200ELNS1_3gpuE4ELNS1_3repE0EEENS1_30default_config_static_selectorELNS0_4arch9wavefront6targetE0EEEvT1_.num_vgpr, 0
	.set _ZN7rocprim17ROCPRIM_400000_NS6detail17trampoline_kernelINS0_14default_configENS1_20scan_config_selectorIdEEZZNS1_9scan_implILNS1_25lookback_scan_determinismE0ELb0ELb0ES3_PKdPddZZZN2at6native31launch_logcumsumexp_cuda_kernelERKNSB_10TensorBaseESF_lENKUlvE_clEvENKUlvE_clEvEUlddE_dEEDaPvRmT3_T4_T5_mT6_P12ihipStream_tbENKUlT_T0_E_clISt17integral_constantIbLb0EESW_EEDaSR_SS_EUlSR_E_NS1_11comp_targetILNS1_3genE10ELNS1_11target_archE1200ELNS1_3gpuE4ELNS1_3repE0EEENS1_30default_config_static_selectorELNS0_4arch9wavefront6targetE0EEEvT1_.num_agpr, 0
	.set _ZN7rocprim17ROCPRIM_400000_NS6detail17trampoline_kernelINS0_14default_configENS1_20scan_config_selectorIdEEZZNS1_9scan_implILNS1_25lookback_scan_determinismE0ELb0ELb0ES3_PKdPddZZZN2at6native31launch_logcumsumexp_cuda_kernelERKNSB_10TensorBaseESF_lENKUlvE_clEvENKUlvE_clEvEUlddE_dEEDaPvRmT3_T4_T5_mT6_P12ihipStream_tbENKUlT_T0_E_clISt17integral_constantIbLb0EESW_EEDaSR_SS_EUlSR_E_NS1_11comp_targetILNS1_3genE10ELNS1_11target_archE1200ELNS1_3gpuE4ELNS1_3repE0EEENS1_30default_config_static_selectorELNS0_4arch9wavefront6targetE0EEEvT1_.numbered_sgpr, 0
	.set _ZN7rocprim17ROCPRIM_400000_NS6detail17trampoline_kernelINS0_14default_configENS1_20scan_config_selectorIdEEZZNS1_9scan_implILNS1_25lookback_scan_determinismE0ELb0ELb0ES3_PKdPddZZZN2at6native31launch_logcumsumexp_cuda_kernelERKNSB_10TensorBaseESF_lENKUlvE_clEvENKUlvE_clEvEUlddE_dEEDaPvRmT3_T4_T5_mT6_P12ihipStream_tbENKUlT_T0_E_clISt17integral_constantIbLb0EESW_EEDaSR_SS_EUlSR_E_NS1_11comp_targetILNS1_3genE10ELNS1_11target_archE1200ELNS1_3gpuE4ELNS1_3repE0EEENS1_30default_config_static_selectorELNS0_4arch9wavefront6targetE0EEEvT1_.num_named_barrier, 0
	.set _ZN7rocprim17ROCPRIM_400000_NS6detail17trampoline_kernelINS0_14default_configENS1_20scan_config_selectorIdEEZZNS1_9scan_implILNS1_25lookback_scan_determinismE0ELb0ELb0ES3_PKdPddZZZN2at6native31launch_logcumsumexp_cuda_kernelERKNSB_10TensorBaseESF_lENKUlvE_clEvENKUlvE_clEvEUlddE_dEEDaPvRmT3_T4_T5_mT6_P12ihipStream_tbENKUlT_T0_E_clISt17integral_constantIbLb0EESW_EEDaSR_SS_EUlSR_E_NS1_11comp_targetILNS1_3genE10ELNS1_11target_archE1200ELNS1_3gpuE4ELNS1_3repE0EEENS1_30default_config_static_selectorELNS0_4arch9wavefront6targetE0EEEvT1_.private_seg_size, 0
	.set _ZN7rocprim17ROCPRIM_400000_NS6detail17trampoline_kernelINS0_14default_configENS1_20scan_config_selectorIdEEZZNS1_9scan_implILNS1_25lookback_scan_determinismE0ELb0ELb0ES3_PKdPddZZZN2at6native31launch_logcumsumexp_cuda_kernelERKNSB_10TensorBaseESF_lENKUlvE_clEvENKUlvE_clEvEUlddE_dEEDaPvRmT3_T4_T5_mT6_P12ihipStream_tbENKUlT_T0_E_clISt17integral_constantIbLb0EESW_EEDaSR_SS_EUlSR_E_NS1_11comp_targetILNS1_3genE10ELNS1_11target_archE1200ELNS1_3gpuE4ELNS1_3repE0EEENS1_30default_config_static_selectorELNS0_4arch9wavefront6targetE0EEEvT1_.uses_vcc, 0
	.set _ZN7rocprim17ROCPRIM_400000_NS6detail17trampoline_kernelINS0_14default_configENS1_20scan_config_selectorIdEEZZNS1_9scan_implILNS1_25lookback_scan_determinismE0ELb0ELb0ES3_PKdPddZZZN2at6native31launch_logcumsumexp_cuda_kernelERKNSB_10TensorBaseESF_lENKUlvE_clEvENKUlvE_clEvEUlddE_dEEDaPvRmT3_T4_T5_mT6_P12ihipStream_tbENKUlT_T0_E_clISt17integral_constantIbLb0EESW_EEDaSR_SS_EUlSR_E_NS1_11comp_targetILNS1_3genE10ELNS1_11target_archE1200ELNS1_3gpuE4ELNS1_3repE0EEENS1_30default_config_static_selectorELNS0_4arch9wavefront6targetE0EEEvT1_.uses_flat_scratch, 0
	.set _ZN7rocprim17ROCPRIM_400000_NS6detail17trampoline_kernelINS0_14default_configENS1_20scan_config_selectorIdEEZZNS1_9scan_implILNS1_25lookback_scan_determinismE0ELb0ELb0ES3_PKdPddZZZN2at6native31launch_logcumsumexp_cuda_kernelERKNSB_10TensorBaseESF_lENKUlvE_clEvENKUlvE_clEvEUlddE_dEEDaPvRmT3_T4_T5_mT6_P12ihipStream_tbENKUlT_T0_E_clISt17integral_constantIbLb0EESW_EEDaSR_SS_EUlSR_E_NS1_11comp_targetILNS1_3genE10ELNS1_11target_archE1200ELNS1_3gpuE4ELNS1_3repE0EEENS1_30default_config_static_selectorELNS0_4arch9wavefront6targetE0EEEvT1_.has_dyn_sized_stack, 0
	.set _ZN7rocprim17ROCPRIM_400000_NS6detail17trampoline_kernelINS0_14default_configENS1_20scan_config_selectorIdEEZZNS1_9scan_implILNS1_25lookback_scan_determinismE0ELb0ELb0ES3_PKdPddZZZN2at6native31launch_logcumsumexp_cuda_kernelERKNSB_10TensorBaseESF_lENKUlvE_clEvENKUlvE_clEvEUlddE_dEEDaPvRmT3_T4_T5_mT6_P12ihipStream_tbENKUlT_T0_E_clISt17integral_constantIbLb0EESW_EEDaSR_SS_EUlSR_E_NS1_11comp_targetILNS1_3genE10ELNS1_11target_archE1200ELNS1_3gpuE4ELNS1_3repE0EEENS1_30default_config_static_selectorELNS0_4arch9wavefront6targetE0EEEvT1_.has_recursion, 0
	.set _ZN7rocprim17ROCPRIM_400000_NS6detail17trampoline_kernelINS0_14default_configENS1_20scan_config_selectorIdEEZZNS1_9scan_implILNS1_25lookback_scan_determinismE0ELb0ELb0ES3_PKdPddZZZN2at6native31launch_logcumsumexp_cuda_kernelERKNSB_10TensorBaseESF_lENKUlvE_clEvENKUlvE_clEvEUlddE_dEEDaPvRmT3_T4_T5_mT6_P12ihipStream_tbENKUlT_T0_E_clISt17integral_constantIbLb0EESW_EEDaSR_SS_EUlSR_E_NS1_11comp_targetILNS1_3genE10ELNS1_11target_archE1200ELNS1_3gpuE4ELNS1_3repE0EEENS1_30default_config_static_selectorELNS0_4arch9wavefront6targetE0EEEvT1_.has_indirect_call, 0
	.section	.AMDGPU.csdata,"",@progbits
; Kernel info:
; codeLenInByte = 0
; TotalNumSgprs: 0
; NumVgprs: 0
; ScratchSize: 0
; MemoryBound: 0
; FloatMode: 240
; IeeeMode: 1
; LDSByteSize: 0 bytes/workgroup (compile time only)
; SGPRBlocks: 0
; VGPRBlocks: 0
; NumSGPRsForWavesPerEU: 1
; NumVGPRsForWavesPerEU: 1
; Occupancy: 16
; WaveLimiterHint : 0
; COMPUTE_PGM_RSRC2:SCRATCH_EN: 0
; COMPUTE_PGM_RSRC2:USER_SGPR: 6
; COMPUTE_PGM_RSRC2:TRAP_HANDLER: 0
; COMPUTE_PGM_RSRC2:TGID_X_EN: 1
; COMPUTE_PGM_RSRC2:TGID_Y_EN: 0
; COMPUTE_PGM_RSRC2:TGID_Z_EN: 0
; COMPUTE_PGM_RSRC2:TIDIG_COMP_CNT: 0
	.section	.text._ZN7rocprim17ROCPRIM_400000_NS6detail17trampoline_kernelINS0_14default_configENS1_20scan_config_selectorIdEEZZNS1_9scan_implILNS1_25lookback_scan_determinismE0ELb0ELb0ES3_PKdPddZZZN2at6native31launch_logcumsumexp_cuda_kernelERKNSB_10TensorBaseESF_lENKUlvE_clEvENKUlvE_clEvEUlddE_dEEDaPvRmT3_T4_T5_mT6_P12ihipStream_tbENKUlT_T0_E_clISt17integral_constantIbLb0EESW_EEDaSR_SS_EUlSR_E_NS1_11comp_targetILNS1_3genE9ELNS1_11target_archE1100ELNS1_3gpuE3ELNS1_3repE0EEENS1_30default_config_static_selectorELNS0_4arch9wavefront6targetE0EEEvT1_,"axG",@progbits,_ZN7rocprim17ROCPRIM_400000_NS6detail17trampoline_kernelINS0_14default_configENS1_20scan_config_selectorIdEEZZNS1_9scan_implILNS1_25lookback_scan_determinismE0ELb0ELb0ES3_PKdPddZZZN2at6native31launch_logcumsumexp_cuda_kernelERKNSB_10TensorBaseESF_lENKUlvE_clEvENKUlvE_clEvEUlddE_dEEDaPvRmT3_T4_T5_mT6_P12ihipStream_tbENKUlT_T0_E_clISt17integral_constantIbLb0EESW_EEDaSR_SS_EUlSR_E_NS1_11comp_targetILNS1_3genE9ELNS1_11target_archE1100ELNS1_3gpuE3ELNS1_3repE0EEENS1_30default_config_static_selectorELNS0_4arch9wavefront6targetE0EEEvT1_,comdat
	.globl	_ZN7rocprim17ROCPRIM_400000_NS6detail17trampoline_kernelINS0_14default_configENS1_20scan_config_selectorIdEEZZNS1_9scan_implILNS1_25lookback_scan_determinismE0ELb0ELb0ES3_PKdPddZZZN2at6native31launch_logcumsumexp_cuda_kernelERKNSB_10TensorBaseESF_lENKUlvE_clEvENKUlvE_clEvEUlddE_dEEDaPvRmT3_T4_T5_mT6_P12ihipStream_tbENKUlT_T0_E_clISt17integral_constantIbLb0EESW_EEDaSR_SS_EUlSR_E_NS1_11comp_targetILNS1_3genE9ELNS1_11target_archE1100ELNS1_3gpuE3ELNS1_3repE0EEENS1_30default_config_static_selectorELNS0_4arch9wavefront6targetE0EEEvT1_ ; -- Begin function _ZN7rocprim17ROCPRIM_400000_NS6detail17trampoline_kernelINS0_14default_configENS1_20scan_config_selectorIdEEZZNS1_9scan_implILNS1_25lookback_scan_determinismE0ELb0ELb0ES3_PKdPddZZZN2at6native31launch_logcumsumexp_cuda_kernelERKNSB_10TensorBaseESF_lENKUlvE_clEvENKUlvE_clEvEUlddE_dEEDaPvRmT3_T4_T5_mT6_P12ihipStream_tbENKUlT_T0_E_clISt17integral_constantIbLb0EESW_EEDaSR_SS_EUlSR_E_NS1_11comp_targetILNS1_3genE9ELNS1_11target_archE1100ELNS1_3gpuE3ELNS1_3repE0EEENS1_30default_config_static_selectorELNS0_4arch9wavefront6targetE0EEEvT1_
	.p2align	8
	.type	_ZN7rocprim17ROCPRIM_400000_NS6detail17trampoline_kernelINS0_14default_configENS1_20scan_config_selectorIdEEZZNS1_9scan_implILNS1_25lookback_scan_determinismE0ELb0ELb0ES3_PKdPddZZZN2at6native31launch_logcumsumexp_cuda_kernelERKNSB_10TensorBaseESF_lENKUlvE_clEvENKUlvE_clEvEUlddE_dEEDaPvRmT3_T4_T5_mT6_P12ihipStream_tbENKUlT_T0_E_clISt17integral_constantIbLb0EESW_EEDaSR_SS_EUlSR_E_NS1_11comp_targetILNS1_3genE9ELNS1_11target_archE1100ELNS1_3gpuE3ELNS1_3repE0EEENS1_30default_config_static_selectorELNS0_4arch9wavefront6targetE0EEEvT1_,@function
_ZN7rocprim17ROCPRIM_400000_NS6detail17trampoline_kernelINS0_14default_configENS1_20scan_config_selectorIdEEZZNS1_9scan_implILNS1_25lookback_scan_determinismE0ELb0ELb0ES3_PKdPddZZZN2at6native31launch_logcumsumexp_cuda_kernelERKNSB_10TensorBaseESF_lENKUlvE_clEvENKUlvE_clEvEUlddE_dEEDaPvRmT3_T4_T5_mT6_P12ihipStream_tbENKUlT_T0_E_clISt17integral_constantIbLb0EESW_EEDaSR_SS_EUlSR_E_NS1_11comp_targetILNS1_3genE9ELNS1_11target_archE1100ELNS1_3gpuE3ELNS1_3repE0EEENS1_30default_config_static_selectorELNS0_4arch9wavefront6targetE0EEEvT1_: ; @_ZN7rocprim17ROCPRIM_400000_NS6detail17trampoline_kernelINS0_14default_configENS1_20scan_config_selectorIdEEZZNS1_9scan_implILNS1_25lookback_scan_determinismE0ELb0ELb0ES3_PKdPddZZZN2at6native31launch_logcumsumexp_cuda_kernelERKNSB_10TensorBaseESF_lENKUlvE_clEvENKUlvE_clEvEUlddE_dEEDaPvRmT3_T4_T5_mT6_P12ihipStream_tbENKUlT_T0_E_clISt17integral_constantIbLb0EESW_EEDaSR_SS_EUlSR_E_NS1_11comp_targetILNS1_3genE9ELNS1_11target_archE1100ELNS1_3gpuE3ELNS1_3repE0EEENS1_30default_config_static_selectorELNS0_4arch9wavefront6targetE0EEEvT1_
; %bb.0:
	.section	.rodata,"a",@progbits
	.p2align	6, 0x0
	.amdhsa_kernel _ZN7rocprim17ROCPRIM_400000_NS6detail17trampoline_kernelINS0_14default_configENS1_20scan_config_selectorIdEEZZNS1_9scan_implILNS1_25lookback_scan_determinismE0ELb0ELb0ES3_PKdPddZZZN2at6native31launch_logcumsumexp_cuda_kernelERKNSB_10TensorBaseESF_lENKUlvE_clEvENKUlvE_clEvEUlddE_dEEDaPvRmT3_T4_T5_mT6_P12ihipStream_tbENKUlT_T0_E_clISt17integral_constantIbLb0EESW_EEDaSR_SS_EUlSR_E_NS1_11comp_targetILNS1_3genE9ELNS1_11target_archE1100ELNS1_3gpuE3ELNS1_3repE0EEENS1_30default_config_static_selectorELNS0_4arch9wavefront6targetE0EEEvT1_
		.amdhsa_group_segment_fixed_size 0
		.amdhsa_private_segment_fixed_size 0
		.amdhsa_kernarg_size 104
		.amdhsa_user_sgpr_count 6
		.amdhsa_user_sgpr_private_segment_buffer 1
		.amdhsa_user_sgpr_dispatch_ptr 0
		.amdhsa_user_sgpr_queue_ptr 0
		.amdhsa_user_sgpr_kernarg_segment_ptr 1
		.amdhsa_user_sgpr_dispatch_id 0
		.amdhsa_user_sgpr_flat_scratch_init 0
		.amdhsa_user_sgpr_private_segment_size 0
		.amdhsa_wavefront_size32 1
		.amdhsa_uses_dynamic_stack 0
		.amdhsa_system_sgpr_private_segment_wavefront_offset 0
		.amdhsa_system_sgpr_workgroup_id_x 1
		.amdhsa_system_sgpr_workgroup_id_y 0
		.amdhsa_system_sgpr_workgroup_id_z 0
		.amdhsa_system_sgpr_workgroup_info 0
		.amdhsa_system_vgpr_workitem_id 0
		.amdhsa_next_free_vgpr 1
		.amdhsa_next_free_sgpr 1
		.amdhsa_reserve_vcc 0
		.amdhsa_reserve_flat_scratch 0
		.amdhsa_float_round_mode_32 0
		.amdhsa_float_round_mode_16_64 0
		.amdhsa_float_denorm_mode_32 3
		.amdhsa_float_denorm_mode_16_64 3
		.amdhsa_dx10_clamp 1
		.amdhsa_ieee_mode 1
		.amdhsa_fp16_overflow 0
		.amdhsa_workgroup_processor_mode 1
		.amdhsa_memory_ordered 1
		.amdhsa_forward_progress 1
		.amdhsa_shared_vgpr_count 0
		.amdhsa_exception_fp_ieee_invalid_op 0
		.amdhsa_exception_fp_denorm_src 0
		.amdhsa_exception_fp_ieee_div_zero 0
		.amdhsa_exception_fp_ieee_overflow 0
		.amdhsa_exception_fp_ieee_underflow 0
		.amdhsa_exception_fp_ieee_inexact 0
		.amdhsa_exception_int_div_zero 0
	.end_amdhsa_kernel
	.section	.text._ZN7rocprim17ROCPRIM_400000_NS6detail17trampoline_kernelINS0_14default_configENS1_20scan_config_selectorIdEEZZNS1_9scan_implILNS1_25lookback_scan_determinismE0ELb0ELb0ES3_PKdPddZZZN2at6native31launch_logcumsumexp_cuda_kernelERKNSB_10TensorBaseESF_lENKUlvE_clEvENKUlvE_clEvEUlddE_dEEDaPvRmT3_T4_T5_mT6_P12ihipStream_tbENKUlT_T0_E_clISt17integral_constantIbLb0EESW_EEDaSR_SS_EUlSR_E_NS1_11comp_targetILNS1_3genE9ELNS1_11target_archE1100ELNS1_3gpuE3ELNS1_3repE0EEENS1_30default_config_static_selectorELNS0_4arch9wavefront6targetE0EEEvT1_,"axG",@progbits,_ZN7rocprim17ROCPRIM_400000_NS6detail17trampoline_kernelINS0_14default_configENS1_20scan_config_selectorIdEEZZNS1_9scan_implILNS1_25lookback_scan_determinismE0ELb0ELb0ES3_PKdPddZZZN2at6native31launch_logcumsumexp_cuda_kernelERKNSB_10TensorBaseESF_lENKUlvE_clEvENKUlvE_clEvEUlddE_dEEDaPvRmT3_T4_T5_mT6_P12ihipStream_tbENKUlT_T0_E_clISt17integral_constantIbLb0EESW_EEDaSR_SS_EUlSR_E_NS1_11comp_targetILNS1_3genE9ELNS1_11target_archE1100ELNS1_3gpuE3ELNS1_3repE0EEENS1_30default_config_static_selectorELNS0_4arch9wavefront6targetE0EEEvT1_,comdat
.Lfunc_end8:
	.size	_ZN7rocprim17ROCPRIM_400000_NS6detail17trampoline_kernelINS0_14default_configENS1_20scan_config_selectorIdEEZZNS1_9scan_implILNS1_25lookback_scan_determinismE0ELb0ELb0ES3_PKdPddZZZN2at6native31launch_logcumsumexp_cuda_kernelERKNSB_10TensorBaseESF_lENKUlvE_clEvENKUlvE_clEvEUlddE_dEEDaPvRmT3_T4_T5_mT6_P12ihipStream_tbENKUlT_T0_E_clISt17integral_constantIbLb0EESW_EEDaSR_SS_EUlSR_E_NS1_11comp_targetILNS1_3genE9ELNS1_11target_archE1100ELNS1_3gpuE3ELNS1_3repE0EEENS1_30default_config_static_selectorELNS0_4arch9wavefront6targetE0EEEvT1_, .Lfunc_end8-_ZN7rocprim17ROCPRIM_400000_NS6detail17trampoline_kernelINS0_14default_configENS1_20scan_config_selectorIdEEZZNS1_9scan_implILNS1_25lookback_scan_determinismE0ELb0ELb0ES3_PKdPddZZZN2at6native31launch_logcumsumexp_cuda_kernelERKNSB_10TensorBaseESF_lENKUlvE_clEvENKUlvE_clEvEUlddE_dEEDaPvRmT3_T4_T5_mT6_P12ihipStream_tbENKUlT_T0_E_clISt17integral_constantIbLb0EESW_EEDaSR_SS_EUlSR_E_NS1_11comp_targetILNS1_3genE9ELNS1_11target_archE1100ELNS1_3gpuE3ELNS1_3repE0EEENS1_30default_config_static_selectorELNS0_4arch9wavefront6targetE0EEEvT1_
                                        ; -- End function
	.set _ZN7rocprim17ROCPRIM_400000_NS6detail17trampoline_kernelINS0_14default_configENS1_20scan_config_selectorIdEEZZNS1_9scan_implILNS1_25lookback_scan_determinismE0ELb0ELb0ES3_PKdPddZZZN2at6native31launch_logcumsumexp_cuda_kernelERKNSB_10TensorBaseESF_lENKUlvE_clEvENKUlvE_clEvEUlddE_dEEDaPvRmT3_T4_T5_mT6_P12ihipStream_tbENKUlT_T0_E_clISt17integral_constantIbLb0EESW_EEDaSR_SS_EUlSR_E_NS1_11comp_targetILNS1_3genE9ELNS1_11target_archE1100ELNS1_3gpuE3ELNS1_3repE0EEENS1_30default_config_static_selectorELNS0_4arch9wavefront6targetE0EEEvT1_.num_vgpr, 0
	.set _ZN7rocprim17ROCPRIM_400000_NS6detail17trampoline_kernelINS0_14default_configENS1_20scan_config_selectorIdEEZZNS1_9scan_implILNS1_25lookback_scan_determinismE0ELb0ELb0ES3_PKdPddZZZN2at6native31launch_logcumsumexp_cuda_kernelERKNSB_10TensorBaseESF_lENKUlvE_clEvENKUlvE_clEvEUlddE_dEEDaPvRmT3_T4_T5_mT6_P12ihipStream_tbENKUlT_T0_E_clISt17integral_constantIbLb0EESW_EEDaSR_SS_EUlSR_E_NS1_11comp_targetILNS1_3genE9ELNS1_11target_archE1100ELNS1_3gpuE3ELNS1_3repE0EEENS1_30default_config_static_selectorELNS0_4arch9wavefront6targetE0EEEvT1_.num_agpr, 0
	.set _ZN7rocprim17ROCPRIM_400000_NS6detail17trampoline_kernelINS0_14default_configENS1_20scan_config_selectorIdEEZZNS1_9scan_implILNS1_25lookback_scan_determinismE0ELb0ELb0ES3_PKdPddZZZN2at6native31launch_logcumsumexp_cuda_kernelERKNSB_10TensorBaseESF_lENKUlvE_clEvENKUlvE_clEvEUlddE_dEEDaPvRmT3_T4_T5_mT6_P12ihipStream_tbENKUlT_T0_E_clISt17integral_constantIbLb0EESW_EEDaSR_SS_EUlSR_E_NS1_11comp_targetILNS1_3genE9ELNS1_11target_archE1100ELNS1_3gpuE3ELNS1_3repE0EEENS1_30default_config_static_selectorELNS0_4arch9wavefront6targetE0EEEvT1_.numbered_sgpr, 0
	.set _ZN7rocprim17ROCPRIM_400000_NS6detail17trampoline_kernelINS0_14default_configENS1_20scan_config_selectorIdEEZZNS1_9scan_implILNS1_25lookback_scan_determinismE0ELb0ELb0ES3_PKdPddZZZN2at6native31launch_logcumsumexp_cuda_kernelERKNSB_10TensorBaseESF_lENKUlvE_clEvENKUlvE_clEvEUlddE_dEEDaPvRmT3_T4_T5_mT6_P12ihipStream_tbENKUlT_T0_E_clISt17integral_constantIbLb0EESW_EEDaSR_SS_EUlSR_E_NS1_11comp_targetILNS1_3genE9ELNS1_11target_archE1100ELNS1_3gpuE3ELNS1_3repE0EEENS1_30default_config_static_selectorELNS0_4arch9wavefront6targetE0EEEvT1_.num_named_barrier, 0
	.set _ZN7rocprim17ROCPRIM_400000_NS6detail17trampoline_kernelINS0_14default_configENS1_20scan_config_selectorIdEEZZNS1_9scan_implILNS1_25lookback_scan_determinismE0ELb0ELb0ES3_PKdPddZZZN2at6native31launch_logcumsumexp_cuda_kernelERKNSB_10TensorBaseESF_lENKUlvE_clEvENKUlvE_clEvEUlddE_dEEDaPvRmT3_T4_T5_mT6_P12ihipStream_tbENKUlT_T0_E_clISt17integral_constantIbLb0EESW_EEDaSR_SS_EUlSR_E_NS1_11comp_targetILNS1_3genE9ELNS1_11target_archE1100ELNS1_3gpuE3ELNS1_3repE0EEENS1_30default_config_static_selectorELNS0_4arch9wavefront6targetE0EEEvT1_.private_seg_size, 0
	.set _ZN7rocprim17ROCPRIM_400000_NS6detail17trampoline_kernelINS0_14default_configENS1_20scan_config_selectorIdEEZZNS1_9scan_implILNS1_25lookback_scan_determinismE0ELb0ELb0ES3_PKdPddZZZN2at6native31launch_logcumsumexp_cuda_kernelERKNSB_10TensorBaseESF_lENKUlvE_clEvENKUlvE_clEvEUlddE_dEEDaPvRmT3_T4_T5_mT6_P12ihipStream_tbENKUlT_T0_E_clISt17integral_constantIbLb0EESW_EEDaSR_SS_EUlSR_E_NS1_11comp_targetILNS1_3genE9ELNS1_11target_archE1100ELNS1_3gpuE3ELNS1_3repE0EEENS1_30default_config_static_selectorELNS0_4arch9wavefront6targetE0EEEvT1_.uses_vcc, 0
	.set _ZN7rocprim17ROCPRIM_400000_NS6detail17trampoline_kernelINS0_14default_configENS1_20scan_config_selectorIdEEZZNS1_9scan_implILNS1_25lookback_scan_determinismE0ELb0ELb0ES3_PKdPddZZZN2at6native31launch_logcumsumexp_cuda_kernelERKNSB_10TensorBaseESF_lENKUlvE_clEvENKUlvE_clEvEUlddE_dEEDaPvRmT3_T4_T5_mT6_P12ihipStream_tbENKUlT_T0_E_clISt17integral_constantIbLb0EESW_EEDaSR_SS_EUlSR_E_NS1_11comp_targetILNS1_3genE9ELNS1_11target_archE1100ELNS1_3gpuE3ELNS1_3repE0EEENS1_30default_config_static_selectorELNS0_4arch9wavefront6targetE0EEEvT1_.uses_flat_scratch, 0
	.set _ZN7rocprim17ROCPRIM_400000_NS6detail17trampoline_kernelINS0_14default_configENS1_20scan_config_selectorIdEEZZNS1_9scan_implILNS1_25lookback_scan_determinismE0ELb0ELb0ES3_PKdPddZZZN2at6native31launch_logcumsumexp_cuda_kernelERKNSB_10TensorBaseESF_lENKUlvE_clEvENKUlvE_clEvEUlddE_dEEDaPvRmT3_T4_T5_mT6_P12ihipStream_tbENKUlT_T0_E_clISt17integral_constantIbLb0EESW_EEDaSR_SS_EUlSR_E_NS1_11comp_targetILNS1_3genE9ELNS1_11target_archE1100ELNS1_3gpuE3ELNS1_3repE0EEENS1_30default_config_static_selectorELNS0_4arch9wavefront6targetE0EEEvT1_.has_dyn_sized_stack, 0
	.set _ZN7rocprim17ROCPRIM_400000_NS6detail17trampoline_kernelINS0_14default_configENS1_20scan_config_selectorIdEEZZNS1_9scan_implILNS1_25lookback_scan_determinismE0ELb0ELb0ES3_PKdPddZZZN2at6native31launch_logcumsumexp_cuda_kernelERKNSB_10TensorBaseESF_lENKUlvE_clEvENKUlvE_clEvEUlddE_dEEDaPvRmT3_T4_T5_mT6_P12ihipStream_tbENKUlT_T0_E_clISt17integral_constantIbLb0EESW_EEDaSR_SS_EUlSR_E_NS1_11comp_targetILNS1_3genE9ELNS1_11target_archE1100ELNS1_3gpuE3ELNS1_3repE0EEENS1_30default_config_static_selectorELNS0_4arch9wavefront6targetE0EEEvT1_.has_recursion, 0
	.set _ZN7rocprim17ROCPRIM_400000_NS6detail17trampoline_kernelINS0_14default_configENS1_20scan_config_selectorIdEEZZNS1_9scan_implILNS1_25lookback_scan_determinismE0ELb0ELb0ES3_PKdPddZZZN2at6native31launch_logcumsumexp_cuda_kernelERKNSB_10TensorBaseESF_lENKUlvE_clEvENKUlvE_clEvEUlddE_dEEDaPvRmT3_T4_T5_mT6_P12ihipStream_tbENKUlT_T0_E_clISt17integral_constantIbLb0EESW_EEDaSR_SS_EUlSR_E_NS1_11comp_targetILNS1_3genE9ELNS1_11target_archE1100ELNS1_3gpuE3ELNS1_3repE0EEENS1_30default_config_static_selectorELNS0_4arch9wavefront6targetE0EEEvT1_.has_indirect_call, 0
	.section	.AMDGPU.csdata,"",@progbits
; Kernel info:
; codeLenInByte = 0
; TotalNumSgprs: 0
; NumVgprs: 0
; ScratchSize: 0
; MemoryBound: 0
; FloatMode: 240
; IeeeMode: 1
; LDSByteSize: 0 bytes/workgroup (compile time only)
; SGPRBlocks: 0
; VGPRBlocks: 0
; NumSGPRsForWavesPerEU: 1
; NumVGPRsForWavesPerEU: 1
; Occupancy: 16
; WaveLimiterHint : 0
; COMPUTE_PGM_RSRC2:SCRATCH_EN: 0
; COMPUTE_PGM_RSRC2:USER_SGPR: 6
; COMPUTE_PGM_RSRC2:TRAP_HANDLER: 0
; COMPUTE_PGM_RSRC2:TGID_X_EN: 1
; COMPUTE_PGM_RSRC2:TGID_Y_EN: 0
; COMPUTE_PGM_RSRC2:TGID_Z_EN: 0
; COMPUTE_PGM_RSRC2:TIDIG_COMP_CNT: 0
	.section	.text._ZN7rocprim17ROCPRIM_400000_NS6detail17trampoline_kernelINS0_14default_configENS1_20scan_config_selectorIdEEZZNS1_9scan_implILNS1_25lookback_scan_determinismE0ELb0ELb0ES3_PKdPddZZZN2at6native31launch_logcumsumexp_cuda_kernelERKNSB_10TensorBaseESF_lENKUlvE_clEvENKUlvE_clEvEUlddE_dEEDaPvRmT3_T4_T5_mT6_P12ihipStream_tbENKUlT_T0_E_clISt17integral_constantIbLb0EESW_EEDaSR_SS_EUlSR_E_NS1_11comp_targetILNS1_3genE8ELNS1_11target_archE1030ELNS1_3gpuE2ELNS1_3repE0EEENS1_30default_config_static_selectorELNS0_4arch9wavefront6targetE0EEEvT1_,"axG",@progbits,_ZN7rocprim17ROCPRIM_400000_NS6detail17trampoline_kernelINS0_14default_configENS1_20scan_config_selectorIdEEZZNS1_9scan_implILNS1_25lookback_scan_determinismE0ELb0ELb0ES3_PKdPddZZZN2at6native31launch_logcumsumexp_cuda_kernelERKNSB_10TensorBaseESF_lENKUlvE_clEvENKUlvE_clEvEUlddE_dEEDaPvRmT3_T4_T5_mT6_P12ihipStream_tbENKUlT_T0_E_clISt17integral_constantIbLb0EESW_EEDaSR_SS_EUlSR_E_NS1_11comp_targetILNS1_3genE8ELNS1_11target_archE1030ELNS1_3gpuE2ELNS1_3repE0EEENS1_30default_config_static_selectorELNS0_4arch9wavefront6targetE0EEEvT1_,comdat
	.globl	_ZN7rocprim17ROCPRIM_400000_NS6detail17trampoline_kernelINS0_14default_configENS1_20scan_config_selectorIdEEZZNS1_9scan_implILNS1_25lookback_scan_determinismE0ELb0ELb0ES3_PKdPddZZZN2at6native31launch_logcumsumexp_cuda_kernelERKNSB_10TensorBaseESF_lENKUlvE_clEvENKUlvE_clEvEUlddE_dEEDaPvRmT3_T4_T5_mT6_P12ihipStream_tbENKUlT_T0_E_clISt17integral_constantIbLb0EESW_EEDaSR_SS_EUlSR_E_NS1_11comp_targetILNS1_3genE8ELNS1_11target_archE1030ELNS1_3gpuE2ELNS1_3repE0EEENS1_30default_config_static_selectorELNS0_4arch9wavefront6targetE0EEEvT1_ ; -- Begin function _ZN7rocprim17ROCPRIM_400000_NS6detail17trampoline_kernelINS0_14default_configENS1_20scan_config_selectorIdEEZZNS1_9scan_implILNS1_25lookback_scan_determinismE0ELb0ELb0ES3_PKdPddZZZN2at6native31launch_logcumsumexp_cuda_kernelERKNSB_10TensorBaseESF_lENKUlvE_clEvENKUlvE_clEvEUlddE_dEEDaPvRmT3_T4_T5_mT6_P12ihipStream_tbENKUlT_T0_E_clISt17integral_constantIbLb0EESW_EEDaSR_SS_EUlSR_E_NS1_11comp_targetILNS1_3genE8ELNS1_11target_archE1030ELNS1_3gpuE2ELNS1_3repE0EEENS1_30default_config_static_selectorELNS0_4arch9wavefront6targetE0EEEvT1_
	.p2align	8
	.type	_ZN7rocprim17ROCPRIM_400000_NS6detail17trampoline_kernelINS0_14default_configENS1_20scan_config_selectorIdEEZZNS1_9scan_implILNS1_25lookback_scan_determinismE0ELb0ELb0ES3_PKdPddZZZN2at6native31launch_logcumsumexp_cuda_kernelERKNSB_10TensorBaseESF_lENKUlvE_clEvENKUlvE_clEvEUlddE_dEEDaPvRmT3_T4_T5_mT6_P12ihipStream_tbENKUlT_T0_E_clISt17integral_constantIbLb0EESW_EEDaSR_SS_EUlSR_E_NS1_11comp_targetILNS1_3genE8ELNS1_11target_archE1030ELNS1_3gpuE2ELNS1_3repE0EEENS1_30default_config_static_selectorELNS0_4arch9wavefront6targetE0EEEvT1_,@function
_ZN7rocprim17ROCPRIM_400000_NS6detail17trampoline_kernelINS0_14default_configENS1_20scan_config_selectorIdEEZZNS1_9scan_implILNS1_25lookback_scan_determinismE0ELb0ELb0ES3_PKdPddZZZN2at6native31launch_logcumsumexp_cuda_kernelERKNSB_10TensorBaseESF_lENKUlvE_clEvENKUlvE_clEvEUlddE_dEEDaPvRmT3_T4_T5_mT6_P12ihipStream_tbENKUlT_T0_E_clISt17integral_constantIbLb0EESW_EEDaSR_SS_EUlSR_E_NS1_11comp_targetILNS1_3genE8ELNS1_11target_archE1030ELNS1_3gpuE2ELNS1_3repE0EEENS1_30default_config_static_selectorELNS0_4arch9wavefront6targetE0EEEvT1_: ; @_ZN7rocprim17ROCPRIM_400000_NS6detail17trampoline_kernelINS0_14default_configENS1_20scan_config_selectorIdEEZZNS1_9scan_implILNS1_25lookback_scan_determinismE0ELb0ELb0ES3_PKdPddZZZN2at6native31launch_logcumsumexp_cuda_kernelERKNSB_10TensorBaseESF_lENKUlvE_clEvENKUlvE_clEvEUlddE_dEEDaPvRmT3_T4_T5_mT6_P12ihipStream_tbENKUlT_T0_E_clISt17integral_constantIbLb0EESW_EEDaSR_SS_EUlSR_E_NS1_11comp_targetILNS1_3genE8ELNS1_11target_archE1030ELNS1_3gpuE2ELNS1_3repE0EEENS1_30default_config_static_selectorELNS0_4arch9wavefront6targetE0EEEvT1_
; %bb.0:
	s_clause 0x1
	s_load_dwordx8 s[16:23], s[4:5], 0x0
	s_load_dword s0, s[4:5], 0x38
	s_mov_b32 s1, 0
	v_lshlrev_b32_e32 v75, 3, v0
	s_waitcnt lgkmcnt(0)
	s_lshl_b64 s[18:19], s[18:19], 3
	s_add_u32 s2, s16, s18
	s_addc_u32 s3, s17, s19
	s_add_i32 s0, s0, -1
	s_mul_i32 s7, s0, 0x700
	s_sub_u32 s33, s22, s7
	s_subb_u32 s82, s23, 0
	s_cmp_lg_u32 s6, s0
	s_mul_i32 s0, s6, 0x700
	s_cselect_b32 s83, -1, 0
	s_lshl_b64 s[22:23], s[0:1], 3
	s_mov_b32 s1, -1
	s_add_u32 s2, s2, s22
	s_addc_u32 s3, s3, s23
	s_and_b32 vcc_lo, exec_lo, s83
	s_cbranch_vccz .LBB9_2
; %bb.1:
	v_add_co_u32 v23, s0, s2, v75
	v_add_co_ci_u32_e64 v24, null, s3, 0, s0
	s_clause 0x1
	global_load_dwordx2 v[1:2], v75, s[2:3]
	global_load_dwordx2 v[3:4], v75, s[2:3] offset:1024
	v_add_co_u32 v5, vcc_lo, 0x800, v23
	v_add_co_ci_u32_e64 v6, null, 0, v24, vcc_lo
	v_add_co_u32 v7, vcc_lo, v23, 0x1000
	v_add_co_ci_u32_e64 v8, null, 0, v24, vcc_lo
	;; [unrolled: 2-line block ×9, first 2 shown]
	s_clause 0xb
	global_load_dwordx2 v[11:12], v[7:8], off offset:-2048
	global_load_dwordx2 v[7:8], v[7:8], off
	global_load_dwordx2 v[5:6], v[5:6], off offset:1024
	global_load_dwordx2 v[9:10], v[9:10], off offset:1024
	;; [unrolled: 1-line block ×4, first 2 shown]
	global_load_dwordx2 v[25:26], v[17:18], off offset:-2048
	global_load_dwordx2 v[17:18], v[17:18], off
	global_load_dwordx2 v[27:28], v[21:22], off offset:-2048
	global_load_dwordx2 v[21:22], v[21:22], off
	global_load_dwordx2 v[19:20], v[19:20], off offset:1024
	global_load_dwordx2 v[23:24], v[23:24], off offset:1024
	s_mov_b32 s1, 0
	s_waitcnt vmcnt(12)
	ds_write2st64_b64 v75, v[1:2], v[3:4] offset1:2
	s_waitcnt vmcnt(9)
	ds_write2st64_b64 v75, v[11:12], v[5:6] offset0:4 offset1:6
	s_waitcnt vmcnt(8)
	ds_write2st64_b64 v75, v[7:8], v[9:10] offset0:8 offset1:10
	;; [unrolled: 2-line block ×6, first 2 shown]
	s_waitcnt lgkmcnt(0)
	s_barrier
.LBB9_2:
	s_load_dwordx2 s[34:35], s[4:5], 0x30
	v_cmp_gt_u32_e64 s0, s33, v0
	s_andn2_b32 vcc_lo, exec_lo, s1
	s_cbranch_vccnz .LBB9_32
; %bb.3:
	s_load_dwordx2 s[36:37], s[2:3], 0x0
	s_waitcnt lgkmcnt(0)
	s_mov_b32 s38, s36
	s_mov_b32 s39, s37
	;; [unrolled: 1-line block ×26, first 2 shown]
	v_mov_b32_e32 v1, s36
	v_mov_b32_e32 v2, s37
	;; [unrolled: 1-line block ×32, first 2 shown]
	s_and_saveexec_b32 s1, s0
	s_cbranch_execz .LBB9_5
; %bb.4:
	global_load_dwordx2 v[1:2], v75, s[2:3]
	v_mov_b32_e32 v3, s36
	v_mov_b32_e32 v4, s37
	;; [unrolled: 1-line block ×26, first 2 shown]
.LBB9_5:
	s_or_b32 exec_lo, exec_lo, s1
	v_or_b32_e32 v29, 0x80, v0
	s_mov_b32 s0, exec_lo
	v_cmpx_gt_u32_e64 s33, v29
	s_cbranch_execz .LBB9_7
; %bb.6:
	global_load_dwordx2 v[3:4], v75, s[2:3] offset:1024
.LBB9_7:
	s_or_b32 exec_lo, exec_lo, s0
	v_or_b32_e32 v29, 0x100, v0
	s_mov_b32 s0, exec_lo
	v_cmpx_gt_u32_e64 s33, v29
	s_cbranch_execz .LBB9_9
; %bb.8:
	v_lshlrev_b32_e32 v5, 3, v29
	global_load_dwordx2 v[5:6], v5, s[2:3]
.LBB9_9:
	s_or_b32 exec_lo, exec_lo, s0
	v_or_b32_e32 v29, 0x180, v0
	s_mov_b32 s0, exec_lo
	v_cmpx_gt_u32_e64 s33, v29
	s_cbranch_execz .LBB9_11
; %bb.10:
	v_lshlrev_b32_e32 v7, 3, v29
	global_load_dwordx2 v[7:8], v7, s[2:3]
.LBB9_11:
	;; [unrolled: 9-line block ×12, first 2 shown]
	s_or_b32 exec_lo, exec_lo, s0
	s_waitcnt vmcnt(0)
	ds_write2st64_b64 v75, v[1:2], v[3:4] offset1:2
	ds_write2st64_b64 v75, v[5:6], v[7:8] offset0:4 offset1:6
	ds_write2st64_b64 v75, v[9:10], v[11:12] offset0:8 offset1:10
	;; [unrolled: 1-line block ×6, first 2 shown]
	s_waitcnt lgkmcnt(0)
	s_barrier
.LBB9_32:
	v_mul_u32_u24_e32 v76, 0x70, v0
	s_waitcnt lgkmcnt(0)
	buffer_gl0_inv
	s_load_dwordx8 s[24:31], s[4:5], 0x40
	s_cmp_lg_u32 s6, 0
	ds_read_b128 v[1:4], v76
	ds_read_b128 v[57:60], v76 offset:16
	ds_read_b128 v[53:56], v76 offset:32
	;; [unrolled: 1-line block ×6, first 2 shown]
	s_waitcnt lgkmcnt(0)
	s_barrier
	buffer_gl0_inv
	v_cmp_u_f64_e64 s0, v[3:4], v[3:4]
	v_max_f64 v[61:62], v[3:4], v[3:4]
	s_cbranch_scc0 .LBB9_152
; %bb.33:
	v_max_f64 v[63:64], v[1:2], v[1:2]
	v_cmp_u_f64_e64 s14, v[1:2], v[1:2]
	v_min_f64 v[5:6], v[63:64], v[61:62]
	v_max_f64 v[7:8], v[63:64], v[61:62]
	v_cndmask_b32_e64 v5, v5, v1, s14
	v_cndmask_b32_e64 v6, v6, v2, s14
	;; [unrolled: 1-line block ×8, first 2 shown]
	v_mov_b32_e32 v6, v2
	v_mov_b32_e32 v5, v1
	v_cmp_class_f64_e64 s1, v[9:10], 0x1f8
	v_cmp_neq_f64_e32 vcc_lo, v[9:10], v[7:8]
	s_or_b32 s1, vcc_lo, s1
	s_and_saveexec_b32 s7, s1
	s_cbranch_execz .LBB9_35
; %bb.34:
	v_add_f64 v[5:6], v[9:10], -v[7:8]
	s_mov_b32 s2, 0x652b82fe
	s_mov_b32 s3, 0x3ff71547
	;; [unrolled: 1-line block ×10, first 2 shown]
	v_mul_f64 v[9:10], v[5:6], s[2:3]
	s_mov_b32 s3, 0xbfe62e42
	s_mov_b32 s2, 0xfefa39ef
	v_cmp_nlt_f64_e32 vcc_lo, 0x40900000, v[5:6]
	v_cmp_ngt_f64_e64 s1, 0xc090cc00, v[5:6]
	v_rndne_f64_e32 v[9:10], v[9:10]
	v_fma_f64 v[11:12], v[9:10], s[2:3], v[5:6]
	v_cvt_i32_f64_e32 v15, v[9:10]
	s_mov_b32 s3, 0x3fe62e42
	v_fma_f64 v[11:12], v[9:10], s[4:5], v[11:12]
	s_mov_b32 s5, 0x3c7abc9e
	v_fma_f64 v[13:14], v[11:12], s[10:11], s[8:9]
	s_mov_b32 s8, 0x623fde64
	s_mov_b32 s9, 0x3ec71dee
	;; [unrolled: 1-line block ×4, first 2 shown]
	v_fma_f64 v[13:14], v[11:12], v[13:14], s[8:9]
	s_mov_b32 s8, 0x7c89e6b0
	s_mov_b32 s9, 0x3efa0199
	v_fma_f64 v[13:14], v[11:12], v[13:14], s[8:9]
	s_mov_b32 s8, 0x14761f6e
	s_mov_b32 s9, 0x3f2a01a0
	;; [unrolled: 3-line block ×8, first 2 shown]
	v_fma_f64 v[13:14], v[11:12], v[13:14], 1.0
	v_fma_f64 v[9:10], v[11:12], v[13:14], 1.0
	v_ldexp_f64 v[9:10], v[9:10], v15
	v_cndmask_b32_e32 v10, 0x7ff00000, v10, vcc_lo
	s_and_b32 vcc_lo, s1, vcc_lo
	v_cndmask_b32_e32 v5, 0, v9, vcc_lo
	v_cndmask_b32_e64 v6, 0, v10, s1
	v_add_f64 v[9:10], v[5:6], 1.0
	v_cmp_neq_f64_e64 s1, 0x7ff00000, v[5:6]
	v_frexp_mant_f64_e32 v[11:12], v[9:10]
	v_frexp_exp_i32_f64_e32 v15, v[9:10]
	v_add_f64 v[13:14], v[9:10], -1.0
	v_cmp_gt_f64_e32 vcc_lo, s[8:9], v[11:12]
	s_mov_b32 s8, 0x55555780
	v_add_f64 v[11:12], v[13:14], -v[9:10]
	v_add_f64 v[13:14], v[5:6], -v[13:14]
	v_subrev_co_ci_u32_e64 v31, null, 0, v15, vcc_lo
	v_add_f64 v[11:12], v[11:12], 1.0
	v_cmp_nge_f64_e32 vcc_lo, -1.0, v[5:6]
	v_sub_nc_u32_e32 v17, 0, v31
	v_ldexp_f64 v[9:10], v[9:10], v17
	v_add_f64 v[11:12], v[13:14], v[11:12]
	s_and_b32 vcc_lo, vcc_lo, s1
	v_add_f64 v[15:16], v[9:10], 1.0
	v_add_f64 v[21:22], v[9:10], -1.0
	v_ldexp_f64 v[11:12], v[11:12], v17
	v_add_f64 v[13:14], v[15:16], -1.0
	v_add_f64 v[23:24], v[21:22], 1.0
	v_add_f64 v[13:14], v[9:10], -v[13:14]
	v_add_f64 v[9:10], v[9:10], -v[23:24]
	v_add_f64 v[13:14], v[11:12], v[13:14]
	v_add_f64 v[9:10], v[11:12], v[9:10]
	;; [unrolled: 1-line block ×4, first 2 shown]
	v_rcp_f64_e32 v[19:20], v[17:18]
	v_add_f64 v[15:16], v[17:18], -v[15:16]
	v_add_f64 v[21:22], v[23:24], -v[21:22]
	;; [unrolled: 1-line block ×3, first 2 shown]
	v_fma_f64 v[25:26], -v[17:18], v[19:20], 1.0
	v_add_f64 v[9:10], v[9:10], -v[21:22]
	v_fma_f64 v[19:20], v[25:26], v[19:20], v[19:20]
	v_fma_f64 v[11:12], -v[17:18], v[19:20], 1.0
	v_fma_f64 v[11:12], v[11:12], v[19:20], v[19:20]
	v_mul_f64 v[19:20], v[23:24], v[11:12]
	v_mul_f64 v[25:26], v[17:18], v[19:20]
	v_fma_f64 v[15:16], v[19:20], v[17:18], -v[25:26]
	v_fma_f64 v[15:16], v[19:20], v[13:14], v[15:16]
	v_add_f64 v[27:28], v[25:26], v[15:16]
	v_add_f64 v[29:30], v[23:24], -v[27:28]
	v_add_f64 v[21:22], v[27:28], -v[25:26]
	;; [unrolled: 1-line block ×5, first 2 shown]
	v_add_f64 v[9:10], v[9:10], v[23:24]
	v_add_f64 v[9:10], v[15:16], v[9:10]
	;; [unrolled: 1-line block ×3, first 2 shown]
	v_mul_f64 v[21:22], v[11:12], v[15:16]
	v_add_f64 v[27:28], v[29:30], -v[15:16]
	v_mul_f64 v[23:24], v[17:18], v[21:22]
	v_add_f64 v[9:10], v[9:10], v[27:28]
	v_fma_f64 v[17:18], v[21:22], v[17:18], -v[23:24]
	v_fma_f64 v[13:14], v[21:22], v[13:14], v[17:18]
	v_add_f64 v[17:18], v[23:24], v[13:14]
	v_add_f64 v[25:26], v[15:16], -v[17:18]
	v_add_f64 v[23:24], v[17:18], -v[23:24]
	;; [unrolled: 1-line block ×5, first 2 shown]
	v_add_f64 v[9:10], v[9:10], v[15:16]
	v_add_f64 v[15:16], v[19:20], v[21:22]
	;; [unrolled: 1-line block ×3, first 2 shown]
	v_add_f64 v[13:14], v[15:16], -v[19:20]
	v_add_f64 v[9:10], v[25:26], v[9:10]
	v_add_f64 v[13:14], v[21:22], -v[13:14]
	v_mul_f64 v[9:10], v[11:12], v[9:10]
	v_add_f64 v[9:10], v[13:14], v[9:10]
	v_add_f64 v[11:12], v[15:16], v[9:10]
	v_mul_f64 v[13:14], v[11:12], v[11:12]
	v_fma_f64 v[17:18], v[13:14], s[12:13], s[10:11]
	s_mov_b32 s10, 0xd7f4df2e
	s_mov_b32 s11, 0x3fc7474d
	v_mul_f64 v[19:20], v[11:12], v[13:14]
	v_fma_f64 v[17:18], v[13:14], v[17:18], s[10:11]
	s_mov_b32 s10, 0x16291751
	s_mov_b32 s11, 0x3fcc71c0
	v_fma_f64 v[17:18], v[13:14], v[17:18], s[10:11]
	s_mov_b32 s10, 0x9b27acf1
	s_mov_b32 s11, 0x3fd24924
	;; [unrolled: 3-line block ×3, first 2 shown]
	v_fma_f64 v[17:18], v[13:14], v[17:18], s[10:11]
	v_fma_f64 v[13:14], v[13:14], v[17:18], s[8:9]
	v_ldexp_f64 v[17:18], v[11:12], 1
	v_add_f64 v[11:12], v[11:12], -v[15:16]
	v_mul_f64 v[13:14], v[19:20], v[13:14]
	v_cvt_f64_i32_e32 v[19:20], v31
	v_add_f64 v[9:10], v[9:10], -v[11:12]
	v_add_f64 v[15:16], v[17:18], v[13:14]
	v_mul_f64 v[21:22], v[19:20], s[2:3]
	v_ldexp_f64 v[9:10], v[9:10], 1
	v_add_f64 v[11:12], v[15:16], -v[17:18]
	v_fma_f64 v[17:18], v[19:20], s[2:3], -v[21:22]
	v_cmp_ngt_f64_e64 s2, -1.0, v[5:6]
	v_add_f64 v[11:12], v[13:14], -v[11:12]
	v_fma_f64 v[13:14], v[19:20], s[4:5], v[17:18]
	v_add_f64 v[9:10], v[9:10], v[11:12]
	v_add_f64 v[11:12], v[21:22], v[13:14]
	;; [unrolled: 1-line block ×3, first 2 shown]
	v_add_f64 v[21:22], v[11:12], -v[21:22]
	v_add_f64 v[19:20], v[11:12], v[17:18]
	v_add_f64 v[15:16], v[17:18], -v[15:16]
	v_add_f64 v[13:14], v[13:14], -v[21:22]
	;; [unrolled: 1-line block ×6, first 2 shown]
	v_add_f64 v[17:18], v[13:14], v[9:10]
	v_add_f64 v[11:12], v[11:12], -v[25:26]
	v_add_f64 v[11:12], v[15:16], v[11:12]
	v_add_f64 v[15:16], v[17:18], -v[13:14]
	;; [unrolled: 2-line block ×3, first 2 shown]
	v_add_f64 v[9:10], v[9:10], -v[15:16]
	v_add_f64 v[21:22], v[19:20], v[11:12]
	v_add_f64 v[13:14], v[13:14], -v[17:18]
	v_add_f64 v[15:16], v[21:22], -v[19:20]
	v_add_f64 v[9:10], v[9:10], v[13:14]
	v_add_f64 v[11:12], v[11:12], -v[15:16]
	v_add_f64 v[9:10], v[9:10], v[11:12]
	v_add_f64 v[9:10], v[21:22], v[9:10]
	v_cndmask_b32_e32 v9, 0, v9, vcc_lo
	v_cmp_neq_f64_e32 vcc_lo, -1.0, v[5:6]
	v_cndmask_b32_e64 v10, 0x7ff00000, v10, s1
	v_cndmask_b32_e64 v10, 0x7ff80000, v10, s2
	v_cndmask_b32_e32 v10, 0xfff00000, v10, vcc_lo
	v_add_f64 v[5:6], v[7:8], v[9:10]
.LBB9_35:
	s_or_b32 exec_lo, exec_lo, s7
	v_max_f64 v[13:14], v[57:58], v[57:58]
	v_max_f64 v[7:8], v[5:6], v[5:6]
	v_cmp_u_f64_e32 vcc_lo, v[5:6], v[5:6]
	v_cmp_u_f64_e64 s1, v[57:58], v[57:58]
	v_min_f64 v[9:10], v[7:8], v[13:14]
	v_max_f64 v[7:8], v[7:8], v[13:14]
	v_cndmask_b32_e32 v9, v9, v5, vcc_lo
	v_cndmask_b32_e32 v10, v10, v6, vcc_lo
	;; [unrolled: 1-line block ×4, first 2 shown]
	v_cndmask_b32_e64 v9, v9, v57, s1
	v_cndmask_b32_e64 v10, v10, v58, s1
	;; [unrolled: 1-line block ×4, first 2 shown]
	v_cmp_class_f64_e64 s2, v[9:10], 0x1f8
	v_cmp_neq_f64_e32 vcc_lo, v[9:10], v[7:8]
	s_or_b32 s2, vcc_lo, s2
	s_and_saveexec_b32 s7, s2
	s_cbranch_execz .LBB9_37
; %bb.36:
	v_add_f64 v[5:6], v[9:10], -v[7:8]
	s_mov_b32 s2, 0x652b82fe
	s_mov_b32 s3, 0x3ff71547
	;; [unrolled: 1-line block ×10, first 2 shown]
	v_mul_f64 v[9:10], v[5:6], s[2:3]
	s_mov_b32 s2, 0xfca7ab0c
	s_mov_b32 s3, 0x3e928af3
	v_cmp_nlt_f64_e32 vcc_lo, 0x40900000, v[5:6]
	v_rndne_f64_e32 v[9:10], v[9:10]
	v_fma_f64 v[11:12], v[9:10], s[4:5], v[5:6]
	v_cvt_i32_f64_e32 v17, v[9:10]
	s_mov_b32 s5, 0x3fe62e42
	v_fma_f64 v[11:12], v[9:10], s[8:9], v[11:12]
	s_mov_b32 s9, 0x3c7abc9e
	v_fma_f64 v[15:16], v[11:12], s[10:11], s[2:3]
	s_mov_b32 s2, 0x623fde64
	s_mov_b32 s3, 0x3ec71dee
	;; [unrolled: 1-line block ×4, first 2 shown]
	v_fma_f64 v[15:16], v[11:12], v[15:16], s[2:3]
	s_mov_b32 s2, 0x7c89e6b0
	s_mov_b32 s3, 0x3efa0199
	v_fma_f64 v[15:16], v[11:12], v[15:16], s[2:3]
	s_mov_b32 s2, 0x14761f6e
	s_mov_b32 s3, 0x3f2a01a0
	;; [unrolled: 3-line block ×7, first 2 shown]
	v_fma_f64 v[15:16], v[11:12], v[15:16], s[2:3]
	v_cmp_ngt_f64_e64 s2, 0xc090cc00, v[5:6]
	s_mov_b32 s3, 0x3fe55555
	v_fma_f64 v[15:16], v[11:12], v[15:16], 1.0
	v_fma_f64 v[9:10], v[11:12], v[15:16], 1.0
	v_ldexp_f64 v[9:10], v[9:10], v17
	v_cndmask_b32_e32 v10, 0x7ff00000, v10, vcc_lo
	s_and_b32 vcc_lo, s2, vcc_lo
	v_cndmask_b32_e32 v5, 0, v9, vcc_lo
	v_cndmask_b32_e64 v6, 0, v10, s2
	s_mov_b32 s2, 0x55555555
	v_add_f64 v[9:10], v[5:6], 1.0
	v_frexp_mant_f64_e32 v[11:12], v[9:10]
	v_frexp_exp_i32_f64_e32 v17, v[9:10]
	v_add_f64 v[15:16], v[9:10], -1.0
	v_cmp_gt_f64_e32 vcc_lo, s[2:3], v[11:12]
	s_mov_b32 s2, 0x55555780
	v_add_f64 v[11:12], v[15:16], -v[9:10]
	v_add_f64 v[15:16], v[5:6], -v[15:16]
	v_subrev_co_ci_u32_e64 v33, null, 0, v17, vcc_lo
	v_add_f64 v[11:12], v[11:12], 1.0
	v_cmp_nge_f64_e32 vcc_lo, -1.0, v[5:6]
	v_sub_nc_u32_e32 v19, 0, v33
	v_ldexp_f64 v[9:10], v[9:10], v19
	v_add_f64 v[11:12], v[15:16], v[11:12]
	v_add_f64 v[17:18], v[9:10], 1.0
	v_add_f64 v[23:24], v[9:10], -1.0
	v_ldexp_f64 v[11:12], v[11:12], v19
	v_add_f64 v[15:16], v[17:18], -1.0
	v_add_f64 v[25:26], v[23:24], 1.0
	v_add_f64 v[15:16], v[9:10], -v[15:16]
	v_add_f64 v[9:10], v[9:10], -v[25:26]
	v_add_f64 v[15:16], v[11:12], v[15:16]
	v_add_f64 v[9:10], v[11:12], v[9:10]
	;; [unrolled: 1-line block ×4, first 2 shown]
	v_rcp_f64_e32 v[21:22], v[19:20]
	v_add_f64 v[17:18], v[19:20], -v[17:18]
	v_add_f64 v[23:24], v[25:26], -v[23:24]
	;; [unrolled: 1-line block ×3, first 2 shown]
	v_fma_f64 v[27:28], -v[19:20], v[21:22], 1.0
	v_add_f64 v[9:10], v[9:10], -v[23:24]
	v_fma_f64 v[21:22], v[27:28], v[21:22], v[21:22]
	v_fma_f64 v[11:12], -v[19:20], v[21:22], 1.0
	v_fma_f64 v[11:12], v[11:12], v[21:22], v[21:22]
	v_mul_f64 v[21:22], v[25:26], v[11:12]
	v_mul_f64 v[27:28], v[19:20], v[21:22]
	v_fma_f64 v[17:18], v[21:22], v[19:20], -v[27:28]
	v_fma_f64 v[17:18], v[21:22], v[15:16], v[17:18]
	v_add_f64 v[29:30], v[27:28], v[17:18]
	v_add_f64 v[31:32], v[25:26], -v[29:30]
	v_add_f64 v[23:24], v[29:30], -v[27:28]
	;; [unrolled: 1-line block ×5, first 2 shown]
	v_add_f64 v[9:10], v[9:10], v[25:26]
	v_add_f64 v[9:10], v[17:18], v[9:10]
	;; [unrolled: 1-line block ×3, first 2 shown]
	v_mul_f64 v[23:24], v[11:12], v[17:18]
	v_add_f64 v[29:30], v[31:32], -v[17:18]
	v_mul_f64 v[25:26], v[19:20], v[23:24]
	v_add_f64 v[9:10], v[9:10], v[29:30]
	v_fma_f64 v[19:20], v[23:24], v[19:20], -v[25:26]
	v_fma_f64 v[15:16], v[23:24], v[15:16], v[19:20]
	v_add_f64 v[19:20], v[25:26], v[15:16]
	v_add_f64 v[27:28], v[17:18], -v[19:20]
	v_add_f64 v[25:26], v[19:20], -v[25:26]
	v_add_f64 v[17:18], v[17:18], -v[27:28]
	v_add_f64 v[15:16], v[25:26], -v[15:16]
	v_add_f64 v[17:18], v[17:18], -v[19:20]
	v_add_f64 v[9:10], v[9:10], v[17:18]
	v_add_f64 v[17:18], v[21:22], v[23:24]
	;; [unrolled: 1-line block ×3, first 2 shown]
	v_add_f64 v[15:16], v[17:18], -v[21:22]
	v_add_f64 v[9:10], v[27:28], v[9:10]
	v_add_f64 v[15:16], v[23:24], -v[15:16]
	v_mul_f64 v[9:10], v[11:12], v[9:10]
	v_add_f64 v[9:10], v[15:16], v[9:10]
	v_add_f64 v[11:12], v[17:18], v[9:10]
	v_mul_f64 v[15:16], v[11:12], v[11:12]
	v_fma_f64 v[19:20], v[15:16], s[12:13], s[10:11]
	s_mov_b32 s10, 0xd7f4df2e
	s_mov_b32 s11, 0x3fc7474d
	v_mul_f64 v[21:22], v[11:12], v[15:16]
	v_fma_f64 v[19:20], v[15:16], v[19:20], s[10:11]
	s_mov_b32 s10, 0x16291751
	s_mov_b32 s11, 0x3fcc71c0
	v_fma_f64 v[19:20], v[15:16], v[19:20], s[10:11]
	s_mov_b32 s10, 0x9b27acf1
	s_mov_b32 s11, 0x3fd24924
	;; [unrolled: 3-line block ×3, first 2 shown]
	v_fma_f64 v[19:20], v[15:16], v[19:20], s[10:11]
	v_fma_f64 v[15:16], v[15:16], v[19:20], s[2:3]
	v_ldexp_f64 v[19:20], v[11:12], 1
	v_add_f64 v[11:12], v[11:12], -v[17:18]
	v_cmp_neq_f64_e64 s2, 0x7ff00000, v[5:6]
	v_cmp_ngt_f64_e64 s3, -1.0, v[5:6]
	v_mul_f64 v[15:16], v[21:22], v[15:16]
	v_cvt_f64_i32_e32 v[21:22], v33
	v_add_f64 v[9:10], v[9:10], -v[11:12]
	s_and_b32 vcc_lo, vcc_lo, s2
	v_add_f64 v[17:18], v[19:20], v[15:16]
	v_mul_f64 v[23:24], v[21:22], s[4:5]
	v_ldexp_f64 v[9:10], v[9:10], 1
	v_add_f64 v[11:12], v[17:18], -v[19:20]
	v_fma_f64 v[19:20], v[21:22], s[4:5], -v[23:24]
	v_add_f64 v[11:12], v[15:16], -v[11:12]
	v_fma_f64 v[15:16], v[21:22], s[8:9], v[19:20]
	v_add_f64 v[9:10], v[9:10], v[11:12]
	v_add_f64 v[11:12], v[23:24], v[15:16]
	v_add_f64 v[19:20], v[17:18], v[9:10]
	v_add_f64 v[23:24], v[11:12], -v[23:24]
	v_add_f64 v[21:22], v[11:12], v[19:20]
	v_add_f64 v[17:18], v[19:20], -v[17:18]
	v_add_f64 v[15:16], v[15:16], -v[23:24]
	;; [unrolled: 1-line block ×6, first 2 shown]
	v_add_f64 v[19:20], v[15:16], v[9:10]
	v_add_f64 v[11:12], v[11:12], -v[27:28]
	v_add_f64 v[11:12], v[17:18], v[11:12]
	v_add_f64 v[17:18], v[19:20], -v[15:16]
	;; [unrolled: 2-line block ×3, first 2 shown]
	v_add_f64 v[9:10], v[9:10], -v[17:18]
	v_add_f64 v[23:24], v[21:22], v[11:12]
	v_add_f64 v[15:16], v[15:16], -v[19:20]
	v_add_f64 v[17:18], v[23:24], -v[21:22]
	v_add_f64 v[9:10], v[9:10], v[15:16]
	v_add_f64 v[11:12], v[11:12], -v[17:18]
	v_add_f64 v[9:10], v[9:10], v[11:12]
	v_add_f64 v[9:10], v[23:24], v[9:10]
	v_cndmask_b32_e32 v9, 0, v9, vcc_lo
	v_cmp_neq_f64_e32 vcc_lo, -1.0, v[5:6]
	v_cndmask_b32_e64 v10, 0x7ff00000, v10, s2
	v_cndmask_b32_e64 v10, 0x7ff80000, v10, s3
	v_cndmask_b32_e32 v10, 0xfff00000, v10, vcc_lo
	v_add_f64 v[5:6], v[7:8], v[9:10]
.LBB9_37:
	s_or_b32 exec_lo, exec_lo, s7
	v_max_f64 v[15:16], v[59:60], v[59:60]
	v_max_f64 v[7:8], v[5:6], v[5:6]
	v_cmp_u_f64_e32 vcc_lo, v[5:6], v[5:6]
	v_cmp_u_f64_e64 s2, v[59:60], v[59:60]
	v_min_f64 v[9:10], v[7:8], v[15:16]
	v_max_f64 v[7:8], v[7:8], v[15:16]
	v_cndmask_b32_e32 v9, v9, v5, vcc_lo
	v_cndmask_b32_e32 v10, v10, v6, vcc_lo
	;; [unrolled: 1-line block ×4, first 2 shown]
	v_cndmask_b32_e64 v9, v9, v59, s2
	v_cndmask_b32_e64 v10, v10, v60, s2
	;; [unrolled: 1-line block ×4, first 2 shown]
	v_cmp_class_f64_e64 s3, v[9:10], 0x1f8
	v_cmp_neq_f64_e32 vcc_lo, v[9:10], v[7:8]
	s_or_b32 s3, vcc_lo, s3
	s_and_saveexec_b32 s7, s3
	s_cbranch_execz .LBB9_39
; %bb.38:
	v_add_f64 v[5:6], v[9:10], -v[7:8]
	s_mov_b32 s4, 0x652b82fe
	s_mov_b32 s5, 0x3ff71547
	;; [unrolled: 1-line block ×10, first 2 shown]
	v_mul_f64 v[9:10], v[5:6], s[4:5]
	s_mov_b32 s5, 0xbfe62e42
	s_mov_b32 s4, 0xfefa39ef
	v_cmp_nlt_f64_e32 vcc_lo, 0x40900000, v[5:6]
	v_cmp_ngt_f64_e64 s3, 0xc090cc00, v[5:6]
	v_rndne_f64_e32 v[9:10], v[9:10]
	v_fma_f64 v[11:12], v[9:10], s[4:5], v[5:6]
	v_cvt_i32_f64_e32 v19, v[9:10]
	s_mov_b32 s5, 0x3fe62e42
	v_fma_f64 v[11:12], v[9:10], s[8:9], v[11:12]
	s_mov_b32 s9, 0x3c7abc9e
	v_fma_f64 v[17:18], v[11:12], s[12:13], s[10:11]
	s_mov_b32 s10, 0x623fde64
	s_mov_b32 s11, 0x3ec71dee
	;; [unrolled: 1-line block ×4, first 2 shown]
	v_fma_f64 v[17:18], v[11:12], v[17:18], s[10:11]
	s_mov_b32 s10, 0x7c89e6b0
	s_mov_b32 s11, 0x3efa0199
	v_fma_f64 v[17:18], v[11:12], v[17:18], s[10:11]
	s_mov_b32 s10, 0x14761f6e
	s_mov_b32 s11, 0x3f2a01a0
	;; [unrolled: 3-line block ×8, first 2 shown]
	v_fma_f64 v[17:18], v[11:12], v[17:18], 1.0
	v_fma_f64 v[9:10], v[11:12], v[17:18], 1.0
	v_ldexp_f64 v[9:10], v[9:10], v19
	v_cndmask_b32_e32 v10, 0x7ff00000, v10, vcc_lo
	s_and_b32 vcc_lo, s3, vcc_lo
	v_cndmask_b32_e32 v5, 0, v9, vcc_lo
	v_cndmask_b32_e64 v6, 0, v10, s3
	v_add_f64 v[9:10], v[5:6], 1.0
	v_cmp_neq_f64_e64 s3, 0x7ff00000, v[5:6]
	v_frexp_mant_f64_e32 v[11:12], v[9:10]
	v_frexp_exp_i32_f64_e32 v19, v[9:10]
	v_add_f64 v[17:18], v[9:10], -1.0
	v_cmp_gt_f64_e32 vcc_lo, s[10:11], v[11:12]
	s_mov_b32 s10, 0x55555780
	v_add_f64 v[11:12], v[17:18], -v[9:10]
	v_add_f64 v[17:18], v[5:6], -v[17:18]
	v_subrev_co_ci_u32_e64 v35, null, 0, v19, vcc_lo
	v_add_f64 v[11:12], v[11:12], 1.0
	v_cmp_nge_f64_e32 vcc_lo, -1.0, v[5:6]
	v_sub_nc_u32_e32 v21, 0, v35
	v_ldexp_f64 v[9:10], v[9:10], v21
	v_add_f64 v[11:12], v[17:18], v[11:12]
	s_and_b32 vcc_lo, vcc_lo, s3
	v_add_f64 v[19:20], v[9:10], 1.0
	v_add_f64 v[25:26], v[9:10], -1.0
	v_ldexp_f64 v[11:12], v[11:12], v21
	v_add_f64 v[17:18], v[19:20], -1.0
	v_add_f64 v[27:28], v[25:26], 1.0
	v_add_f64 v[17:18], v[9:10], -v[17:18]
	v_add_f64 v[9:10], v[9:10], -v[27:28]
	v_add_f64 v[17:18], v[11:12], v[17:18]
	v_add_f64 v[9:10], v[11:12], v[9:10]
	;; [unrolled: 1-line block ×4, first 2 shown]
	v_rcp_f64_e32 v[23:24], v[21:22]
	v_add_f64 v[19:20], v[21:22], -v[19:20]
	v_add_f64 v[25:26], v[27:28], -v[25:26]
	;; [unrolled: 1-line block ×3, first 2 shown]
	v_fma_f64 v[29:30], -v[21:22], v[23:24], 1.0
	v_add_f64 v[9:10], v[9:10], -v[25:26]
	v_fma_f64 v[23:24], v[29:30], v[23:24], v[23:24]
	v_fma_f64 v[11:12], -v[21:22], v[23:24], 1.0
	v_fma_f64 v[11:12], v[11:12], v[23:24], v[23:24]
	v_mul_f64 v[23:24], v[27:28], v[11:12]
	v_mul_f64 v[29:30], v[21:22], v[23:24]
	v_fma_f64 v[19:20], v[23:24], v[21:22], -v[29:30]
	v_fma_f64 v[19:20], v[23:24], v[17:18], v[19:20]
	v_add_f64 v[31:32], v[29:30], v[19:20]
	v_add_f64 v[33:34], v[27:28], -v[31:32]
	v_add_f64 v[25:26], v[31:32], -v[29:30]
	;; [unrolled: 1-line block ×5, first 2 shown]
	v_add_f64 v[9:10], v[9:10], v[27:28]
	v_add_f64 v[9:10], v[19:20], v[9:10]
	;; [unrolled: 1-line block ×3, first 2 shown]
	v_mul_f64 v[25:26], v[11:12], v[19:20]
	v_add_f64 v[31:32], v[33:34], -v[19:20]
	v_mul_f64 v[27:28], v[21:22], v[25:26]
	v_add_f64 v[9:10], v[9:10], v[31:32]
	v_fma_f64 v[21:22], v[25:26], v[21:22], -v[27:28]
	v_fma_f64 v[17:18], v[25:26], v[17:18], v[21:22]
	v_add_f64 v[21:22], v[27:28], v[17:18]
	v_add_f64 v[29:30], v[19:20], -v[21:22]
	v_add_f64 v[27:28], v[21:22], -v[27:28]
	;; [unrolled: 1-line block ×5, first 2 shown]
	v_add_f64 v[9:10], v[9:10], v[19:20]
	v_add_f64 v[19:20], v[23:24], v[25:26]
	;; [unrolled: 1-line block ×3, first 2 shown]
	v_add_f64 v[17:18], v[19:20], -v[23:24]
	v_add_f64 v[9:10], v[29:30], v[9:10]
	v_add_f64 v[17:18], v[25:26], -v[17:18]
	v_mul_f64 v[9:10], v[11:12], v[9:10]
	v_add_f64 v[9:10], v[17:18], v[9:10]
	v_add_f64 v[11:12], v[19:20], v[9:10]
	v_mul_f64 v[17:18], v[11:12], v[11:12]
	v_fma_f64 v[21:22], v[17:18], s[16:17], s[12:13]
	s_mov_b32 s12, 0xd7f4df2e
	s_mov_b32 s13, 0x3fc7474d
	v_mul_f64 v[23:24], v[11:12], v[17:18]
	v_fma_f64 v[21:22], v[17:18], v[21:22], s[12:13]
	s_mov_b32 s12, 0x16291751
	s_mov_b32 s13, 0x3fcc71c0
	v_fma_f64 v[21:22], v[17:18], v[21:22], s[12:13]
	s_mov_b32 s12, 0x9b27acf1
	s_mov_b32 s13, 0x3fd24924
	;; [unrolled: 3-line block ×3, first 2 shown]
	v_fma_f64 v[21:22], v[17:18], v[21:22], s[12:13]
	v_fma_f64 v[17:18], v[17:18], v[21:22], s[10:11]
	v_ldexp_f64 v[21:22], v[11:12], 1
	v_add_f64 v[11:12], v[11:12], -v[19:20]
	v_mul_f64 v[17:18], v[23:24], v[17:18]
	v_cvt_f64_i32_e32 v[23:24], v35
	v_add_f64 v[9:10], v[9:10], -v[11:12]
	v_add_f64 v[19:20], v[21:22], v[17:18]
	v_mul_f64 v[25:26], v[23:24], s[4:5]
	v_ldexp_f64 v[9:10], v[9:10], 1
	v_add_f64 v[11:12], v[19:20], -v[21:22]
	v_fma_f64 v[21:22], v[23:24], s[4:5], -v[25:26]
	v_cmp_ngt_f64_e64 s4, -1.0, v[5:6]
	v_add_f64 v[11:12], v[17:18], -v[11:12]
	v_fma_f64 v[17:18], v[23:24], s[8:9], v[21:22]
	v_add_f64 v[9:10], v[9:10], v[11:12]
	v_add_f64 v[11:12], v[25:26], v[17:18]
	;; [unrolled: 1-line block ×3, first 2 shown]
	v_add_f64 v[25:26], v[11:12], -v[25:26]
	v_add_f64 v[23:24], v[11:12], v[21:22]
	v_add_f64 v[19:20], v[21:22], -v[19:20]
	v_add_f64 v[17:18], v[17:18], -v[25:26]
	v_add_f64 v[27:28], v[23:24], -v[11:12]
	v_add_f64 v[9:10], v[9:10], -v[19:20]
	v_add_f64 v[29:30], v[23:24], -v[27:28]
	v_add_f64 v[19:20], v[21:22], -v[27:28]
	v_add_f64 v[21:22], v[17:18], v[9:10]
	v_add_f64 v[11:12], v[11:12], -v[29:30]
	v_add_f64 v[11:12], v[19:20], v[11:12]
	v_add_f64 v[19:20], v[21:22], -v[17:18]
	v_add_f64 v[11:12], v[21:22], v[11:12]
	v_add_f64 v[21:22], v[21:22], -v[19:20]
	v_add_f64 v[9:10], v[9:10], -v[19:20]
	v_add_f64 v[25:26], v[23:24], v[11:12]
	v_add_f64 v[17:18], v[17:18], -v[21:22]
	v_add_f64 v[19:20], v[25:26], -v[23:24]
	v_add_f64 v[9:10], v[9:10], v[17:18]
	v_add_f64 v[11:12], v[11:12], -v[19:20]
	v_add_f64 v[9:10], v[9:10], v[11:12]
	v_add_f64 v[9:10], v[25:26], v[9:10]
	v_cndmask_b32_e32 v9, 0, v9, vcc_lo
	v_cmp_neq_f64_e32 vcc_lo, -1.0, v[5:6]
	v_cndmask_b32_e64 v10, 0x7ff00000, v10, s3
	v_cndmask_b32_e64 v10, 0x7ff80000, v10, s4
	v_cndmask_b32_e32 v10, 0xfff00000, v10, vcc_lo
	v_add_f64 v[5:6], v[7:8], v[9:10]
.LBB9_39:
	s_or_b32 exec_lo, exec_lo, s7
	v_max_f64 v[17:18], v[53:54], v[53:54]
	v_max_f64 v[7:8], v[5:6], v[5:6]
	v_cmp_u_f64_e32 vcc_lo, v[5:6], v[5:6]
	v_cmp_u_f64_e64 s3, v[53:54], v[53:54]
	v_min_f64 v[9:10], v[7:8], v[17:18]
	v_max_f64 v[7:8], v[7:8], v[17:18]
	v_cndmask_b32_e32 v9, v9, v5, vcc_lo
	v_cndmask_b32_e32 v10, v10, v6, vcc_lo
	;; [unrolled: 1-line block ×4, first 2 shown]
	v_cndmask_b32_e64 v9, v9, v53, s3
	v_cndmask_b32_e64 v10, v10, v54, s3
	;; [unrolled: 1-line block ×4, first 2 shown]
	v_cmp_class_f64_e64 s4, v[9:10], 0x1f8
	v_cmp_neq_f64_e32 vcc_lo, v[9:10], v[7:8]
	s_or_b32 s4, vcc_lo, s4
	s_and_saveexec_b32 s7, s4
	s_cbranch_execz .LBB9_41
; %bb.40:
	v_add_f64 v[5:6], v[9:10], -v[7:8]
	s_mov_b32 s4, 0x652b82fe
	s_mov_b32 s5, 0x3ff71547
	s_mov_b32 s9, 0xbfe62e42
	s_mov_b32 s8, 0xfefa39ef
	s_mov_b32 s11, 0xbc7abc9e
	s_mov_b32 s10, 0x3b39803f
	s_mov_b32 s12, 0x6a5dcb37
	s_mov_b32 s13, 0x3e5ade15
	s_mov_b32 s16, 0xbf559e2b
	s_mov_b32 s17, 0x3fc3ab76
	v_mul_f64 v[9:10], v[5:6], s[4:5]
	s_mov_b32 s4, 0xfca7ab0c
	s_mov_b32 s5, 0x3e928af3
	v_cmp_nlt_f64_e32 vcc_lo, 0x40900000, v[5:6]
	v_rndne_f64_e32 v[9:10], v[9:10]
	v_fma_f64 v[11:12], v[9:10], s[8:9], v[5:6]
	v_cvt_i32_f64_e32 v21, v[9:10]
	s_mov_b32 s9, 0x3fe62e42
	v_fma_f64 v[11:12], v[9:10], s[10:11], v[11:12]
	s_mov_b32 s11, 0x3c7abc9e
	v_fma_f64 v[19:20], v[11:12], s[12:13], s[4:5]
	s_mov_b32 s4, 0x623fde64
	s_mov_b32 s5, 0x3ec71dee
	;; [unrolled: 1-line block ×4, first 2 shown]
	v_fma_f64 v[19:20], v[11:12], v[19:20], s[4:5]
	s_mov_b32 s4, 0x7c89e6b0
	s_mov_b32 s5, 0x3efa0199
	v_fma_f64 v[19:20], v[11:12], v[19:20], s[4:5]
	s_mov_b32 s4, 0x14761f6e
	s_mov_b32 s5, 0x3f2a01a0
	v_fma_f64 v[19:20], v[11:12], v[19:20], s[4:5]
	s_mov_b32 s4, 0x1852b7b0
	s_mov_b32 s5, 0x3f56c16c
	v_fma_f64 v[19:20], v[11:12], v[19:20], s[4:5]
	s_mov_b32 s4, 0x11122322
	s_mov_b32 s5, 0x3f811111
	v_fma_f64 v[19:20], v[11:12], v[19:20], s[4:5]
	s_mov_b32 s4, 0x555502a1
	s_mov_b32 s5, 0x3fa55555
	v_fma_f64 v[19:20], v[11:12], v[19:20], s[4:5]
	s_mov_b32 s4, 0x55555511
	s_mov_b32 s5, 0x3fc55555
	v_fma_f64 v[19:20], v[11:12], v[19:20], s[4:5]
	s_mov_b32 s4, 11
	s_mov_b32 s5, 0x3fe00000
	v_fma_f64 v[19:20], v[11:12], v[19:20], s[4:5]
	v_cmp_ngt_f64_e64 s4, 0xc090cc00, v[5:6]
	s_mov_b32 s5, 0x3fe55555
	v_fma_f64 v[19:20], v[11:12], v[19:20], 1.0
	v_fma_f64 v[9:10], v[11:12], v[19:20], 1.0
	v_ldexp_f64 v[9:10], v[9:10], v21
	v_cndmask_b32_e32 v10, 0x7ff00000, v10, vcc_lo
	s_and_b32 vcc_lo, s4, vcc_lo
	v_cndmask_b32_e32 v5, 0, v9, vcc_lo
	v_cndmask_b32_e64 v6, 0, v10, s4
	s_mov_b32 s4, 0x55555555
	v_add_f64 v[9:10], v[5:6], 1.0
	v_frexp_mant_f64_e32 v[11:12], v[9:10]
	v_frexp_exp_i32_f64_e32 v21, v[9:10]
	v_add_f64 v[19:20], v[9:10], -1.0
	v_cmp_gt_f64_e32 vcc_lo, s[4:5], v[11:12]
	s_mov_b32 s4, 0x55555780
	v_add_f64 v[11:12], v[19:20], -v[9:10]
	v_add_f64 v[19:20], v[5:6], -v[19:20]
	v_subrev_co_ci_u32_e64 v65, null, 0, v21, vcc_lo
	v_add_f64 v[11:12], v[11:12], 1.0
	v_cmp_nge_f64_e32 vcc_lo, -1.0, v[5:6]
	v_sub_nc_u32_e32 v23, 0, v65
	v_ldexp_f64 v[9:10], v[9:10], v23
	v_add_f64 v[11:12], v[19:20], v[11:12]
	v_add_f64 v[21:22], v[9:10], 1.0
	v_add_f64 v[27:28], v[9:10], -1.0
	v_ldexp_f64 v[11:12], v[11:12], v23
	v_add_f64 v[19:20], v[21:22], -1.0
	v_add_f64 v[29:30], v[27:28], 1.0
	v_add_f64 v[19:20], v[9:10], -v[19:20]
	v_add_f64 v[9:10], v[9:10], -v[29:30]
	v_add_f64 v[19:20], v[11:12], v[19:20]
	v_add_f64 v[9:10], v[11:12], v[9:10]
	;; [unrolled: 1-line block ×4, first 2 shown]
	v_rcp_f64_e32 v[25:26], v[23:24]
	v_add_f64 v[21:22], v[23:24], -v[21:22]
	v_add_f64 v[27:28], v[29:30], -v[27:28]
	;; [unrolled: 1-line block ×3, first 2 shown]
	v_fma_f64 v[31:32], -v[23:24], v[25:26], 1.0
	v_add_f64 v[9:10], v[9:10], -v[27:28]
	v_fma_f64 v[25:26], v[31:32], v[25:26], v[25:26]
	v_fma_f64 v[11:12], -v[23:24], v[25:26], 1.0
	v_fma_f64 v[11:12], v[11:12], v[25:26], v[25:26]
	v_mul_f64 v[25:26], v[29:30], v[11:12]
	v_mul_f64 v[31:32], v[23:24], v[25:26]
	v_fma_f64 v[21:22], v[25:26], v[23:24], -v[31:32]
	v_fma_f64 v[21:22], v[25:26], v[19:20], v[21:22]
	v_add_f64 v[33:34], v[31:32], v[21:22]
	v_add_f64 v[35:36], v[29:30], -v[33:34]
	v_add_f64 v[27:28], v[33:34], -v[31:32]
	;; [unrolled: 1-line block ×5, first 2 shown]
	v_add_f64 v[9:10], v[9:10], v[29:30]
	v_add_f64 v[9:10], v[21:22], v[9:10]
	;; [unrolled: 1-line block ×3, first 2 shown]
	v_mul_f64 v[27:28], v[11:12], v[21:22]
	v_add_f64 v[33:34], v[35:36], -v[21:22]
	v_mul_f64 v[29:30], v[23:24], v[27:28]
	v_add_f64 v[9:10], v[9:10], v[33:34]
	v_fma_f64 v[23:24], v[27:28], v[23:24], -v[29:30]
	v_fma_f64 v[19:20], v[27:28], v[19:20], v[23:24]
	v_add_f64 v[23:24], v[29:30], v[19:20]
	v_add_f64 v[31:32], v[21:22], -v[23:24]
	v_add_f64 v[29:30], v[23:24], -v[29:30]
	;; [unrolled: 1-line block ×5, first 2 shown]
	v_add_f64 v[9:10], v[9:10], v[21:22]
	v_add_f64 v[21:22], v[25:26], v[27:28]
	;; [unrolled: 1-line block ×3, first 2 shown]
	v_add_f64 v[19:20], v[21:22], -v[25:26]
	v_add_f64 v[9:10], v[31:32], v[9:10]
	v_add_f64 v[19:20], v[27:28], -v[19:20]
	v_mul_f64 v[9:10], v[11:12], v[9:10]
	v_add_f64 v[9:10], v[19:20], v[9:10]
	v_add_f64 v[11:12], v[21:22], v[9:10]
	v_mul_f64 v[19:20], v[11:12], v[11:12]
	v_fma_f64 v[23:24], v[19:20], s[16:17], s[12:13]
	s_mov_b32 s12, 0xd7f4df2e
	s_mov_b32 s13, 0x3fc7474d
	v_mul_f64 v[25:26], v[11:12], v[19:20]
	v_fma_f64 v[23:24], v[19:20], v[23:24], s[12:13]
	s_mov_b32 s12, 0x16291751
	s_mov_b32 s13, 0x3fcc71c0
	v_fma_f64 v[23:24], v[19:20], v[23:24], s[12:13]
	s_mov_b32 s12, 0x9b27acf1
	s_mov_b32 s13, 0x3fd24924
	;; [unrolled: 3-line block ×3, first 2 shown]
	v_fma_f64 v[23:24], v[19:20], v[23:24], s[12:13]
	v_fma_f64 v[19:20], v[19:20], v[23:24], s[4:5]
	v_ldexp_f64 v[23:24], v[11:12], 1
	v_add_f64 v[11:12], v[11:12], -v[21:22]
	v_cmp_neq_f64_e64 s4, 0x7ff00000, v[5:6]
	v_cmp_ngt_f64_e64 s5, -1.0, v[5:6]
	v_mul_f64 v[19:20], v[25:26], v[19:20]
	v_cvt_f64_i32_e32 v[25:26], v65
	v_add_f64 v[9:10], v[9:10], -v[11:12]
	s_and_b32 vcc_lo, vcc_lo, s4
	v_add_f64 v[21:22], v[23:24], v[19:20]
	v_mul_f64 v[27:28], v[25:26], s[8:9]
	v_ldexp_f64 v[9:10], v[9:10], 1
	v_add_f64 v[11:12], v[21:22], -v[23:24]
	v_fma_f64 v[23:24], v[25:26], s[8:9], -v[27:28]
	v_add_f64 v[11:12], v[19:20], -v[11:12]
	v_fma_f64 v[19:20], v[25:26], s[10:11], v[23:24]
	v_add_f64 v[9:10], v[9:10], v[11:12]
	v_add_f64 v[11:12], v[27:28], v[19:20]
	;; [unrolled: 1-line block ×3, first 2 shown]
	v_add_f64 v[27:28], v[11:12], -v[27:28]
	v_add_f64 v[25:26], v[11:12], v[23:24]
	v_add_f64 v[21:22], v[23:24], -v[21:22]
	v_add_f64 v[19:20], v[19:20], -v[27:28]
	;; [unrolled: 1-line block ×6, first 2 shown]
	v_add_f64 v[23:24], v[19:20], v[9:10]
	v_add_f64 v[11:12], v[11:12], -v[31:32]
	v_add_f64 v[11:12], v[21:22], v[11:12]
	v_add_f64 v[21:22], v[23:24], -v[19:20]
	;; [unrolled: 2-line block ×3, first 2 shown]
	v_add_f64 v[9:10], v[9:10], -v[21:22]
	v_add_f64 v[27:28], v[25:26], v[11:12]
	v_add_f64 v[19:20], v[19:20], -v[23:24]
	v_add_f64 v[21:22], v[27:28], -v[25:26]
	v_add_f64 v[9:10], v[9:10], v[19:20]
	v_add_f64 v[11:12], v[11:12], -v[21:22]
	v_add_f64 v[9:10], v[9:10], v[11:12]
	v_add_f64 v[9:10], v[27:28], v[9:10]
	v_cndmask_b32_e32 v9, 0, v9, vcc_lo
	v_cmp_neq_f64_e32 vcc_lo, -1.0, v[5:6]
	v_cndmask_b32_e64 v10, 0x7ff00000, v10, s4
	v_cndmask_b32_e64 v10, 0x7ff80000, v10, s5
	v_cndmask_b32_e32 v10, 0xfff00000, v10, vcc_lo
	v_add_f64 v[5:6], v[7:8], v[9:10]
.LBB9_41:
	s_or_b32 exec_lo, exec_lo, s7
	v_max_f64 v[19:20], v[55:56], v[55:56]
	v_max_f64 v[7:8], v[5:6], v[5:6]
	v_cmp_u_f64_e32 vcc_lo, v[5:6], v[5:6]
	v_cmp_u_f64_e64 s4, v[55:56], v[55:56]
	v_min_f64 v[9:10], v[7:8], v[19:20]
	v_max_f64 v[7:8], v[7:8], v[19:20]
	v_cndmask_b32_e32 v9, v9, v5, vcc_lo
	v_cndmask_b32_e32 v10, v10, v6, vcc_lo
	;; [unrolled: 1-line block ×4, first 2 shown]
	v_cndmask_b32_e64 v9, v9, v55, s4
	v_cndmask_b32_e64 v10, v10, v56, s4
	;; [unrolled: 1-line block ×4, first 2 shown]
	v_cmp_class_f64_e64 s5, v[9:10], 0x1f8
	v_cmp_neq_f64_e32 vcc_lo, v[9:10], v[7:8]
	s_or_b32 s5, vcc_lo, s5
	s_and_saveexec_b32 s15, s5
	s_cbranch_execz .LBB9_43
; %bb.42:
	v_add_f64 v[5:6], v[9:10], -v[7:8]
	s_mov_b32 s8, 0x652b82fe
	s_mov_b32 s9, 0x3ff71547
	;; [unrolled: 1-line block ×10, first 2 shown]
	v_mul_f64 v[9:10], v[5:6], s[8:9]
	s_mov_b32 s9, 0xbfe62e42
	s_mov_b32 s8, 0xfefa39ef
	v_cmp_nlt_f64_e32 vcc_lo, 0x40900000, v[5:6]
	v_cmp_ngt_f64_e64 s5, 0xc090cc00, v[5:6]
	v_rndne_f64_e32 v[9:10], v[9:10]
	v_fma_f64 v[11:12], v[9:10], s[8:9], v[5:6]
	v_cvt_i32_f64_e32 v23, v[9:10]
	s_mov_b32 s9, 0x3fe62e42
	v_fma_f64 v[11:12], v[9:10], s[10:11], v[11:12]
	s_mov_b32 s11, 0x3c7abc9e
	v_fma_f64 v[21:22], v[11:12], s[16:17], s[12:13]
	s_mov_b32 s12, 0x623fde64
	s_mov_b32 s13, 0x3ec71dee
	;; [unrolled: 1-line block ×4, first 2 shown]
	v_fma_f64 v[21:22], v[11:12], v[21:22], s[12:13]
	s_mov_b32 s12, 0x7c89e6b0
	s_mov_b32 s13, 0x3efa0199
	v_fma_f64 v[21:22], v[11:12], v[21:22], s[12:13]
	s_mov_b32 s12, 0x14761f6e
	s_mov_b32 s13, 0x3f2a01a0
	;; [unrolled: 3-line block ×8, first 2 shown]
	v_fma_f64 v[21:22], v[11:12], v[21:22], 1.0
	v_fma_f64 v[9:10], v[11:12], v[21:22], 1.0
	v_ldexp_f64 v[9:10], v[9:10], v23
	v_cndmask_b32_e32 v10, 0x7ff00000, v10, vcc_lo
	s_and_b32 vcc_lo, s5, vcc_lo
	v_cndmask_b32_e32 v5, 0, v9, vcc_lo
	v_cndmask_b32_e64 v6, 0, v10, s5
	v_add_f64 v[9:10], v[5:6], 1.0
	v_cmp_neq_f64_e64 s5, 0x7ff00000, v[5:6]
	v_cmp_ngt_f64_e64 s7, -1.0, v[5:6]
	v_frexp_mant_f64_e32 v[11:12], v[9:10]
	v_frexp_exp_i32_f64_e32 v23, v[9:10]
	v_add_f64 v[21:22], v[9:10], -1.0
	v_cmp_gt_f64_e32 vcc_lo, s[12:13], v[11:12]
	s_mov_b32 s12, 0x55555780
	v_add_f64 v[11:12], v[21:22], -v[9:10]
	v_add_f64 v[21:22], v[5:6], -v[21:22]
	v_subrev_co_ci_u32_e64 v67, null, 0, v23, vcc_lo
	v_add_f64 v[11:12], v[11:12], 1.0
	v_cmp_nge_f64_e32 vcc_lo, -1.0, v[5:6]
	v_sub_nc_u32_e32 v25, 0, v67
	v_ldexp_f64 v[9:10], v[9:10], v25
	v_add_f64 v[11:12], v[21:22], v[11:12]
	s_and_b32 vcc_lo, vcc_lo, s5
	v_add_f64 v[23:24], v[9:10], 1.0
	v_add_f64 v[29:30], v[9:10], -1.0
	v_ldexp_f64 v[11:12], v[11:12], v25
	v_add_f64 v[21:22], v[23:24], -1.0
	v_add_f64 v[31:32], v[29:30], 1.0
	v_add_f64 v[21:22], v[9:10], -v[21:22]
	v_add_f64 v[9:10], v[9:10], -v[31:32]
	v_add_f64 v[21:22], v[11:12], v[21:22]
	v_add_f64 v[9:10], v[11:12], v[9:10]
	;; [unrolled: 1-line block ×4, first 2 shown]
	v_rcp_f64_e32 v[27:28], v[25:26]
	v_add_f64 v[23:24], v[25:26], -v[23:24]
	v_add_f64 v[29:30], v[31:32], -v[29:30]
	;; [unrolled: 1-line block ×3, first 2 shown]
	v_fma_f64 v[33:34], -v[25:26], v[27:28], 1.0
	v_add_f64 v[9:10], v[9:10], -v[29:30]
	v_fma_f64 v[27:28], v[33:34], v[27:28], v[27:28]
	v_fma_f64 v[11:12], -v[25:26], v[27:28], 1.0
	v_fma_f64 v[11:12], v[11:12], v[27:28], v[27:28]
	v_mul_f64 v[27:28], v[31:32], v[11:12]
	v_mul_f64 v[33:34], v[25:26], v[27:28]
	v_fma_f64 v[23:24], v[27:28], v[25:26], -v[33:34]
	v_fma_f64 v[23:24], v[27:28], v[21:22], v[23:24]
	v_add_f64 v[35:36], v[33:34], v[23:24]
	v_add_f64 v[65:66], v[31:32], -v[35:36]
	v_add_f64 v[29:30], v[35:36], -v[33:34]
	;; [unrolled: 1-line block ×5, first 2 shown]
	v_add_f64 v[9:10], v[9:10], v[31:32]
	v_add_f64 v[9:10], v[23:24], v[9:10]
	;; [unrolled: 1-line block ×3, first 2 shown]
	v_mul_f64 v[29:30], v[11:12], v[23:24]
	v_add_f64 v[35:36], v[65:66], -v[23:24]
	v_mul_f64 v[31:32], v[25:26], v[29:30]
	v_add_f64 v[9:10], v[9:10], v[35:36]
	v_fma_f64 v[25:26], v[29:30], v[25:26], -v[31:32]
	v_fma_f64 v[21:22], v[29:30], v[21:22], v[25:26]
	v_add_f64 v[25:26], v[31:32], v[21:22]
	v_add_f64 v[33:34], v[23:24], -v[25:26]
	v_add_f64 v[31:32], v[25:26], -v[31:32]
	;; [unrolled: 1-line block ×5, first 2 shown]
	v_add_f64 v[9:10], v[9:10], v[23:24]
	v_add_f64 v[23:24], v[27:28], v[29:30]
	;; [unrolled: 1-line block ×3, first 2 shown]
	v_add_f64 v[21:22], v[23:24], -v[27:28]
	v_add_f64 v[9:10], v[33:34], v[9:10]
	v_add_f64 v[21:22], v[29:30], -v[21:22]
	v_mul_f64 v[9:10], v[11:12], v[9:10]
	v_add_f64 v[9:10], v[21:22], v[9:10]
	v_add_f64 v[11:12], v[23:24], v[9:10]
	v_mul_f64 v[21:22], v[11:12], v[11:12]
	v_fma_f64 v[25:26], v[21:22], s[36:37], s[16:17]
	s_mov_b32 s16, 0xd7f4df2e
	s_mov_b32 s17, 0x3fc7474d
	v_mul_f64 v[27:28], v[11:12], v[21:22]
	v_fma_f64 v[25:26], v[21:22], v[25:26], s[16:17]
	s_mov_b32 s16, 0x16291751
	s_mov_b32 s17, 0x3fcc71c0
	v_fma_f64 v[25:26], v[21:22], v[25:26], s[16:17]
	s_mov_b32 s16, 0x9b27acf1
	s_mov_b32 s17, 0x3fd24924
	;; [unrolled: 3-line block ×3, first 2 shown]
	v_fma_f64 v[25:26], v[21:22], v[25:26], s[16:17]
	v_fma_f64 v[21:22], v[21:22], v[25:26], s[12:13]
	v_ldexp_f64 v[25:26], v[11:12], 1
	v_add_f64 v[11:12], v[11:12], -v[23:24]
	v_mul_f64 v[21:22], v[27:28], v[21:22]
	v_cvt_f64_i32_e32 v[27:28], v67
	v_add_f64 v[9:10], v[9:10], -v[11:12]
	v_add_f64 v[23:24], v[25:26], v[21:22]
	v_mul_f64 v[29:30], v[27:28], s[8:9]
	v_ldexp_f64 v[9:10], v[9:10], 1
	v_add_f64 v[11:12], v[23:24], -v[25:26]
	v_fma_f64 v[25:26], v[27:28], s[8:9], -v[29:30]
	v_add_f64 v[11:12], v[21:22], -v[11:12]
	v_fma_f64 v[21:22], v[27:28], s[10:11], v[25:26]
	v_add_f64 v[9:10], v[9:10], v[11:12]
	v_add_f64 v[11:12], v[29:30], v[21:22]
	;; [unrolled: 1-line block ×3, first 2 shown]
	v_add_f64 v[29:30], v[11:12], -v[29:30]
	v_add_f64 v[27:28], v[11:12], v[25:26]
	v_add_f64 v[23:24], v[25:26], -v[23:24]
	v_add_f64 v[21:22], v[21:22], -v[29:30]
	;; [unrolled: 1-line block ×6, first 2 shown]
	v_add_f64 v[25:26], v[21:22], v[9:10]
	v_add_f64 v[11:12], v[11:12], -v[33:34]
	v_add_f64 v[11:12], v[23:24], v[11:12]
	v_add_f64 v[23:24], v[25:26], -v[21:22]
	;; [unrolled: 2-line block ×3, first 2 shown]
	v_add_f64 v[9:10], v[9:10], -v[23:24]
	v_add_f64 v[29:30], v[27:28], v[11:12]
	v_add_f64 v[21:22], v[21:22], -v[25:26]
	v_add_f64 v[23:24], v[29:30], -v[27:28]
	v_add_f64 v[9:10], v[9:10], v[21:22]
	v_add_f64 v[11:12], v[11:12], -v[23:24]
	v_add_f64 v[9:10], v[9:10], v[11:12]
	v_add_f64 v[9:10], v[29:30], v[9:10]
	v_cndmask_b32_e32 v9, 0, v9, vcc_lo
	v_cmp_neq_f64_e32 vcc_lo, -1.0, v[5:6]
	v_cndmask_b32_e64 v10, 0x7ff00000, v10, s5
	v_cndmask_b32_e64 v10, 0x7ff80000, v10, s7
	v_cndmask_b32_e32 v10, 0xfff00000, v10, vcc_lo
	v_add_f64 v[5:6], v[7:8], v[9:10]
.LBB9_43:
	s_or_b32 exec_lo, exec_lo, s15
	v_max_f64 v[21:22], v[49:50], v[49:50]
	v_max_f64 v[7:8], v[5:6], v[5:6]
	v_cmp_u_f64_e32 vcc_lo, v[5:6], v[5:6]
	v_cmp_u_f64_e64 s5, v[49:50], v[49:50]
	v_min_f64 v[9:10], v[7:8], v[21:22]
	v_max_f64 v[7:8], v[7:8], v[21:22]
	v_cndmask_b32_e32 v9, v9, v5, vcc_lo
	v_cndmask_b32_e32 v10, v10, v6, vcc_lo
	;; [unrolled: 1-line block ×4, first 2 shown]
	v_cndmask_b32_e64 v9, v9, v49, s5
	v_cndmask_b32_e64 v10, v10, v50, s5
	;; [unrolled: 1-line block ×4, first 2 shown]
	v_cmp_class_f64_e64 s7, v[9:10], 0x1f8
	v_cmp_neq_f64_e32 vcc_lo, v[9:10], v[7:8]
	s_or_b32 s7, vcc_lo, s7
	s_and_saveexec_b32 s15, s7
	s_cbranch_execz .LBB9_45
; %bb.44:
	v_add_f64 v[5:6], v[9:10], -v[7:8]
	s_mov_b32 s8, 0x652b82fe
	s_mov_b32 s9, 0x3ff71547
	;; [unrolled: 1-line block ×10, first 2 shown]
	v_mul_f64 v[9:10], v[5:6], s[8:9]
	s_mov_b32 s9, 0xbfe62e42
	s_mov_b32 s8, 0xfefa39ef
	v_cmp_nlt_f64_e32 vcc_lo, 0x40900000, v[5:6]
	v_cmp_ngt_f64_e64 s7, 0xc090cc00, v[5:6]
	v_rndne_f64_e32 v[9:10], v[9:10]
	v_fma_f64 v[11:12], v[9:10], s[8:9], v[5:6]
	v_cvt_i32_f64_e32 v25, v[9:10]
	s_mov_b32 s9, 0x3fe62e42
	v_fma_f64 v[11:12], v[9:10], s[10:11], v[11:12]
	s_mov_b32 s11, 0x3c7abc9e
	v_fma_f64 v[23:24], v[11:12], s[16:17], s[12:13]
	s_mov_b32 s12, 0x623fde64
	s_mov_b32 s13, 0x3ec71dee
	;; [unrolled: 1-line block ×4, first 2 shown]
	v_fma_f64 v[23:24], v[11:12], v[23:24], s[12:13]
	s_mov_b32 s12, 0x7c89e6b0
	s_mov_b32 s13, 0x3efa0199
	v_fma_f64 v[23:24], v[11:12], v[23:24], s[12:13]
	s_mov_b32 s12, 0x14761f6e
	s_mov_b32 s13, 0x3f2a01a0
	;; [unrolled: 3-line block ×8, first 2 shown]
	v_fma_f64 v[23:24], v[11:12], v[23:24], 1.0
	v_fma_f64 v[9:10], v[11:12], v[23:24], 1.0
	v_ldexp_f64 v[9:10], v[9:10], v25
	v_cndmask_b32_e32 v10, 0x7ff00000, v10, vcc_lo
	s_and_b32 vcc_lo, s7, vcc_lo
	v_cndmask_b32_e32 v5, 0, v9, vcc_lo
	v_cndmask_b32_e64 v6, 0, v10, s7
	v_add_f64 v[9:10], v[5:6], 1.0
	v_cmp_neq_f64_e64 s7, 0x7ff00000, v[5:6]
	v_frexp_mant_f64_e32 v[11:12], v[9:10]
	v_frexp_exp_i32_f64_e32 v25, v[9:10]
	v_add_f64 v[23:24], v[9:10], -1.0
	v_cmp_gt_f64_e32 vcc_lo, s[12:13], v[11:12]
	s_mov_b32 s12, 0x55555780
	v_add_f64 v[11:12], v[23:24], -v[9:10]
	v_add_f64 v[23:24], v[5:6], -v[23:24]
	v_subrev_co_ci_u32_e64 v69, null, 0, v25, vcc_lo
	v_add_f64 v[11:12], v[11:12], 1.0
	v_cmp_nge_f64_e32 vcc_lo, -1.0, v[5:6]
	v_sub_nc_u32_e32 v27, 0, v69
	v_ldexp_f64 v[9:10], v[9:10], v27
	v_add_f64 v[11:12], v[23:24], v[11:12]
	s_and_b32 vcc_lo, vcc_lo, s7
	v_add_f64 v[25:26], v[9:10], 1.0
	v_add_f64 v[31:32], v[9:10], -1.0
	v_ldexp_f64 v[11:12], v[11:12], v27
	v_add_f64 v[23:24], v[25:26], -1.0
	v_add_f64 v[33:34], v[31:32], 1.0
	v_add_f64 v[23:24], v[9:10], -v[23:24]
	v_add_f64 v[9:10], v[9:10], -v[33:34]
	v_add_f64 v[23:24], v[11:12], v[23:24]
	v_add_f64 v[9:10], v[11:12], v[9:10]
	;; [unrolled: 1-line block ×4, first 2 shown]
	v_rcp_f64_e32 v[29:30], v[27:28]
	v_add_f64 v[25:26], v[27:28], -v[25:26]
	v_add_f64 v[31:32], v[33:34], -v[31:32]
	v_add_f64 v[23:24], v[23:24], -v[25:26]
	v_fma_f64 v[35:36], -v[27:28], v[29:30], 1.0
	v_add_f64 v[9:10], v[9:10], -v[31:32]
	v_fma_f64 v[29:30], v[35:36], v[29:30], v[29:30]
	v_fma_f64 v[11:12], -v[27:28], v[29:30], 1.0
	v_fma_f64 v[11:12], v[11:12], v[29:30], v[29:30]
	v_mul_f64 v[29:30], v[33:34], v[11:12]
	v_mul_f64 v[35:36], v[27:28], v[29:30]
	v_fma_f64 v[25:26], v[29:30], v[27:28], -v[35:36]
	v_fma_f64 v[25:26], v[29:30], v[23:24], v[25:26]
	v_add_f64 v[65:66], v[35:36], v[25:26]
	v_add_f64 v[67:68], v[33:34], -v[65:66]
	v_add_f64 v[31:32], v[65:66], -v[35:36]
	;; [unrolled: 1-line block ×5, first 2 shown]
	v_add_f64 v[9:10], v[9:10], v[33:34]
	v_add_f64 v[9:10], v[25:26], v[9:10]
	;; [unrolled: 1-line block ×3, first 2 shown]
	v_mul_f64 v[31:32], v[11:12], v[25:26]
	v_add_f64 v[65:66], v[67:68], -v[25:26]
	v_mul_f64 v[33:34], v[27:28], v[31:32]
	v_add_f64 v[9:10], v[9:10], v[65:66]
	v_fma_f64 v[27:28], v[31:32], v[27:28], -v[33:34]
	v_fma_f64 v[23:24], v[31:32], v[23:24], v[27:28]
	v_add_f64 v[27:28], v[33:34], v[23:24]
	v_add_f64 v[35:36], v[25:26], -v[27:28]
	v_add_f64 v[33:34], v[27:28], -v[33:34]
	;; [unrolled: 1-line block ×5, first 2 shown]
	v_add_f64 v[9:10], v[9:10], v[25:26]
	v_add_f64 v[25:26], v[29:30], v[31:32]
	;; [unrolled: 1-line block ×3, first 2 shown]
	v_add_f64 v[23:24], v[25:26], -v[29:30]
	v_add_f64 v[9:10], v[35:36], v[9:10]
	v_add_f64 v[23:24], v[31:32], -v[23:24]
	v_mul_f64 v[9:10], v[11:12], v[9:10]
	v_add_f64 v[9:10], v[23:24], v[9:10]
	v_add_f64 v[11:12], v[25:26], v[9:10]
	v_mul_f64 v[23:24], v[11:12], v[11:12]
	v_fma_f64 v[27:28], v[23:24], s[36:37], s[16:17]
	s_mov_b32 s16, 0xd7f4df2e
	s_mov_b32 s17, 0x3fc7474d
	v_mul_f64 v[29:30], v[11:12], v[23:24]
	v_fma_f64 v[27:28], v[23:24], v[27:28], s[16:17]
	s_mov_b32 s16, 0x16291751
	s_mov_b32 s17, 0x3fcc71c0
	v_fma_f64 v[27:28], v[23:24], v[27:28], s[16:17]
	s_mov_b32 s16, 0x9b27acf1
	s_mov_b32 s17, 0x3fd24924
	;; [unrolled: 3-line block ×3, first 2 shown]
	v_fma_f64 v[27:28], v[23:24], v[27:28], s[16:17]
	v_fma_f64 v[23:24], v[23:24], v[27:28], s[12:13]
	v_ldexp_f64 v[27:28], v[11:12], 1
	v_add_f64 v[11:12], v[11:12], -v[25:26]
	v_mul_f64 v[23:24], v[29:30], v[23:24]
	v_cvt_f64_i32_e32 v[29:30], v69
	v_add_f64 v[9:10], v[9:10], -v[11:12]
	v_add_f64 v[25:26], v[27:28], v[23:24]
	v_mul_f64 v[31:32], v[29:30], s[8:9]
	v_ldexp_f64 v[9:10], v[9:10], 1
	v_add_f64 v[11:12], v[25:26], -v[27:28]
	v_fma_f64 v[27:28], v[29:30], s[8:9], -v[31:32]
	v_cmp_ngt_f64_e64 s8, -1.0, v[5:6]
	v_add_f64 v[11:12], v[23:24], -v[11:12]
	v_fma_f64 v[23:24], v[29:30], s[10:11], v[27:28]
	v_add_f64 v[9:10], v[9:10], v[11:12]
	v_add_f64 v[11:12], v[31:32], v[23:24]
	;; [unrolled: 1-line block ×3, first 2 shown]
	v_add_f64 v[31:32], v[11:12], -v[31:32]
	v_add_f64 v[29:30], v[11:12], v[27:28]
	v_add_f64 v[25:26], v[27:28], -v[25:26]
	v_add_f64 v[23:24], v[23:24], -v[31:32]
	;; [unrolled: 1-line block ×6, first 2 shown]
	v_add_f64 v[27:28], v[23:24], v[9:10]
	v_add_f64 v[11:12], v[11:12], -v[35:36]
	v_add_f64 v[11:12], v[25:26], v[11:12]
	v_add_f64 v[25:26], v[27:28], -v[23:24]
	;; [unrolled: 2-line block ×3, first 2 shown]
	v_add_f64 v[9:10], v[9:10], -v[25:26]
	v_add_f64 v[31:32], v[29:30], v[11:12]
	v_add_f64 v[23:24], v[23:24], -v[27:28]
	v_add_f64 v[25:26], v[31:32], -v[29:30]
	v_add_f64 v[9:10], v[9:10], v[23:24]
	v_add_f64 v[11:12], v[11:12], -v[25:26]
	v_add_f64 v[9:10], v[9:10], v[11:12]
	v_add_f64 v[9:10], v[31:32], v[9:10]
	v_cndmask_b32_e32 v9, 0, v9, vcc_lo
	v_cmp_neq_f64_e32 vcc_lo, -1.0, v[5:6]
	v_cndmask_b32_e64 v10, 0x7ff00000, v10, s7
	v_cndmask_b32_e64 v10, 0x7ff80000, v10, s8
	v_cndmask_b32_e32 v10, 0xfff00000, v10, vcc_lo
	v_add_f64 v[5:6], v[7:8], v[9:10]
.LBB9_45:
	s_or_b32 exec_lo, exec_lo, s15
	v_max_f64 v[23:24], v[51:52], v[51:52]
	v_max_f64 v[7:8], v[5:6], v[5:6]
	v_cmp_u_f64_e32 vcc_lo, v[5:6], v[5:6]
	v_cmp_u_f64_e64 s7, v[51:52], v[51:52]
	v_min_f64 v[9:10], v[7:8], v[23:24]
	v_max_f64 v[7:8], v[7:8], v[23:24]
	v_cndmask_b32_e32 v9, v9, v5, vcc_lo
	v_cndmask_b32_e32 v10, v10, v6, vcc_lo
	;; [unrolled: 1-line block ×4, first 2 shown]
	v_cndmask_b32_e64 v9, v9, v51, s7
	v_cndmask_b32_e64 v10, v10, v52, s7
	;; [unrolled: 1-line block ×4, first 2 shown]
	v_cmp_class_f64_e64 s8, v[9:10], 0x1f8
	v_cmp_neq_f64_e32 vcc_lo, v[9:10], v[7:8]
	s_or_b32 s8, vcc_lo, s8
	s_and_saveexec_b32 s15, s8
	s_cbranch_execz .LBB9_47
; %bb.46:
	v_add_f64 v[5:6], v[9:10], -v[7:8]
	s_mov_b32 s8, 0x652b82fe
	s_mov_b32 s9, 0x3ff71547
	;; [unrolled: 1-line block ×10, first 2 shown]
	v_mul_f64 v[9:10], v[5:6], s[8:9]
	s_mov_b32 s8, 0xfca7ab0c
	s_mov_b32 s9, 0x3e928af3
	v_cmp_nlt_f64_e32 vcc_lo, 0x40900000, v[5:6]
	v_rndne_f64_e32 v[9:10], v[9:10]
	v_fma_f64 v[11:12], v[9:10], s[10:11], v[5:6]
	v_cvt_i32_f64_e32 v27, v[9:10]
	s_mov_b32 s11, 0x3fe62e42
	v_fma_f64 v[11:12], v[9:10], s[12:13], v[11:12]
	s_mov_b32 s13, 0x3c7abc9e
	v_fma_f64 v[25:26], v[11:12], s[16:17], s[8:9]
	s_mov_b32 s8, 0x623fde64
	s_mov_b32 s9, 0x3ec71dee
	;; [unrolled: 1-line block ×4, first 2 shown]
	v_fma_f64 v[25:26], v[11:12], v[25:26], s[8:9]
	s_mov_b32 s8, 0x7c89e6b0
	s_mov_b32 s9, 0x3efa0199
	v_fma_f64 v[25:26], v[11:12], v[25:26], s[8:9]
	s_mov_b32 s8, 0x14761f6e
	s_mov_b32 s9, 0x3f2a01a0
	;; [unrolled: 3-line block ×7, first 2 shown]
	v_fma_f64 v[25:26], v[11:12], v[25:26], s[8:9]
	v_cmp_ngt_f64_e64 s8, 0xc090cc00, v[5:6]
	s_mov_b32 s9, 0x3fe55555
	v_fma_f64 v[25:26], v[11:12], v[25:26], 1.0
	v_fma_f64 v[9:10], v[11:12], v[25:26], 1.0
	v_ldexp_f64 v[9:10], v[9:10], v27
	v_cndmask_b32_e32 v10, 0x7ff00000, v10, vcc_lo
	s_and_b32 vcc_lo, s8, vcc_lo
	v_cndmask_b32_e32 v5, 0, v9, vcc_lo
	v_cndmask_b32_e64 v6, 0, v10, s8
	s_mov_b32 s8, 0x55555555
	v_add_f64 v[9:10], v[5:6], 1.0
	v_frexp_mant_f64_e32 v[11:12], v[9:10]
	v_frexp_exp_i32_f64_e32 v27, v[9:10]
	v_add_f64 v[25:26], v[9:10], -1.0
	v_cmp_gt_f64_e32 vcc_lo, s[8:9], v[11:12]
	s_mov_b32 s8, 0x55555780
	v_add_f64 v[11:12], v[25:26], -v[9:10]
	v_add_f64 v[25:26], v[5:6], -v[25:26]
	v_subrev_co_ci_u32_e64 v71, null, 0, v27, vcc_lo
	v_add_f64 v[11:12], v[11:12], 1.0
	v_cmp_nge_f64_e32 vcc_lo, -1.0, v[5:6]
	v_sub_nc_u32_e32 v29, 0, v71
	v_ldexp_f64 v[9:10], v[9:10], v29
	v_add_f64 v[11:12], v[25:26], v[11:12]
	v_add_f64 v[27:28], v[9:10], 1.0
	v_add_f64 v[33:34], v[9:10], -1.0
	v_ldexp_f64 v[11:12], v[11:12], v29
	v_add_f64 v[25:26], v[27:28], -1.0
	v_add_f64 v[35:36], v[33:34], 1.0
	v_add_f64 v[25:26], v[9:10], -v[25:26]
	v_add_f64 v[9:10], v[9:10], -v[35:36]
	v_add_f64 v[25:26], v[11:12], v[25:26]
	v_add_f64 v[9:10], v[11:12], v[9:10]
	;; [unrolled: 1-line block ×4, first 2 shown]
	v_rcp_f64_e32 v[31:32], v[29:30]
	v_add_f64 v[27:28], v[29:30], -v[27:28]
	v_add_f64 v[33:34], v[35:36], -v[33:34]
	;; [unrolled: 1-line block ×3, first 2 shown]
	v_fma_f64 v[65:66], -v[29:30], v[31:32], 1.0
	v_add_f64 v[9:10], v[9:10], -v[33:34]
	v_fma_f64 v[31:32], v[65:66], v[31:32], v[31:32]
	v_fma_f64 v[11:12], -v[29:30], v[31:32], 1.0
	v_fma_f64 v[11:12], v[11:12], v[31:32], v[31:32]
	v_mul_f64 v[31:32], v[35:36], v[11:12]
	v_mul_f64 v[65:66], v[29:30], v[31:32]
	v_fma_f64 v[27:28], v[31:32], v[29:30], -v[65:66]
	v_fma_f64 v[27:28], v[31:32], v[25:26], v[27:28]
	v_add_f64 v[67:68], v[65:66], v[27:28]
	v_add_f64 v[69:70], v[35:36], -v[67:68]
	v_add_f64 v[33:34], v[67:68], -v[65:66]
	;; [unrolled: 1-line block ×5, first 2 shown]
	v_add_f64 v[9:10], v[9:10], v[35:36]
	v_add_f64 v[9:10], v[27:28], v[9:10]
	v_add_f64 v[27:28], v[69:70], v[9:10]
	v_mul_f64 v[33:34], v[11:12], v[27:28]
	v_add_f64 v[67:68], v[69:70], -v[27:28]
	v_mul_f64 v[35:36], v[29:30], v[33:34]
	v_add_f64 v[9:10], v[9:10], v[67:68]
	v_fma_f64 v[29:30], v[33:34], v[29:30], -v[35:36]
	v_fma_f64 v[25:26], v[33:34], v[25:26], v[29:30]
	v_add_f64 v[29:30], v[35:36], v[25:26]
	v_add_f64 v[65:66], v[27:28], -v[29:30]
	v_add_f64 v[35:36], v[29:30], -v[35:36]
	v_add_f64 v[27:28], v[27:28], -v[65:66]
	v_add_f64 v[25:26], v[35:36], -v[25:26]
	v_add_f64 v[27:28], v[27:28], -v[29:30]
	v_add_f64 v[9:10], v[9:10], v[27:28]
	v_add_f64 v[27:28], v[31:32], v[33:34]
	;; [unrolled: 1-line block ×3, first 2 shown]
	v_add_f64 v[25:26], v[27:28], -v[31:32]
	v_add_f64 v[9:10], v[65:66], v[9:10]
	v_add_f64 v[25:26], v[33:34], -v[25:26]
	v_mul_f64 v[9:10], v[11:12], v[9:10]
	v_add_f64 v[9:10], v[25:26], v[9:10]
	v_add_f64 v[11:12], v[27:28], v[9:10]
	v_mul_f64 v[25:26], v[11:12], v[11:12]
	v_fma_f64 v[29:30], v[25:26], s[36:37], s[16:17]
	s_mov_b32 s16, 0xd7f4df2e
	s_mov_b32 s17, 0x3fc7474d
	v_mul_f64 v[31:32], v[11:12], v[25:26]
	v_fma_f64 v[29:30], v[25:26], v[29:30], s[16:17]
	s_mov_b32 s16, 0x16291751
	s_mov_b32 s17, 0x3fcc71c0
	v_fma_f64 v[29:30], v[25:26], v[29:30], s[16:17]
	s_mov_b32 s16, 0x9b27acf1
	s_mov_b32 s17, 0x3fd24924
	;; [unrolled: 3-line block ×3, first 2 shown]
	v_fma_f64 v[29:30], v[25:26], v[29:30], s[16:17]
	v_fma_f64 v[25:26], v[25:26], v[29:30], s[8:9]
	v_ldexp_f64 v[29:30], v[11:12], 1
	v_add_f64 v[11:12], v[11:12], -v[27:28]
	v_cmp_neq_f64_e64 s8, 0x7ff00000, v[5:6]
	v_cmp_ngt_f64_e64 s9, -1.0, v[5:6]
	v_mul_f64 v[25:26], v[31:32], v[25:26]
	v_cvt_f64_i32_e32 v[31:32], v71
	v_add_f64 v[9:10], v[9:10], -v[11:12]
	s_and_b32 vcc_lo, vcc_lo, s8
	v_add_f64 v[27:28], v[29:30], v[25:26]
	v_mul_f64 v[33:34], v[31:32], s[10:11]
	v_ldexp_f64 v[9:10], v[9:10], 1
	v_add_f64 v[11:12], v[27:28], -v[29:30]
	v_fma_f64 v[29:30], v[31:32], s[10:11], -v[33:34]
	v_add_f64 v[11:12], v[25:26], -v[11:12]
	v_fma_f64 v[25:26], v[31:32], s[12:13], v[29:30]
	v_add_f64 v[9:10], v[9:10], v[11:12]
	v_add_f64 v[11:12], v[33:34], v[25:26]
	;; [unrolled: 1-line block ×3, first 2 shown]
	v_add_f64 v[33:34], v[11:12], -v[33:34]
	v_add_f64 v[31:32], v[11:12], v[29:30]
	v_add_f64 v[27:28], v[29:30], -v[27:28]
	v_add_f64 v[25:26], v[25:26], -v[33:34]
	;; [unrolled: 1-line block ×6, first 2 shown]
	v_add_f64 v[29:30], v[25:26], v[9:10]
	v_add_f64 v[11:12], v[11:12], -v[65:66]
	v_add_f64 v[11:12], v[27:28], v[11:12]
	v_add_f64 v[27:28], v[29:30], -v[25:26]
	v_add_f64 v[11:12], v[29:30], v[11:12]
	v_add_f64 v[29:30], v[29:30], -v[27:28]
	v_add_f64 v[9:10], v[9:10], -v[27:28]
	v_add_f64 v[33:34], v[31:32], v[11:12]
	v_add_f64 v[25:26], v[25:26], -v[29:30]
	v_add_f64 v[27:28], v[33:34], -v[31:32]
	v_add_f64 v[9:10], v[9:10], v[25:26]
	v_add_f64 v[11:12], v[11:12], -v[27:28]
	v_add_f64 v[9:10], v[9:10], v[11:12]
	v_add_f64 v[9:10], v[33:34], v[9:10]
	v_cndmask_b32_e32 v9, 0, v9, vcc_lo
	v_cmp_neq_f64_e32 vcc_lo, -1.0, v[5:6]
	v_cndmask_b32_e64 v10, 0x7ff00000, v10, s8
	v_cndmask_b32_e64 v10, 0x7ff80000, v10, s9
	v_cndmask_b32_e32 v10, 0xfff00000, v10, vcc_lo
	v_add_f64 v[5:6], v[7:8], v[9:10]
.LBB9_47:
	s_or_b32 exec_lo, exec_lo, s15
	v_max_f64 v[25:26], v[45:46], v[45:46]
	v_max_f64 v[7:8], v[5:6], v[5:6]
	v_cmp_u_f64_e32 vcc_lo, v[5:6], v[5:6]
	v_cmp_u_f64_e64 s8, v[45:46], v[45:46]
	v_min_f64 v[9:10], v[7:8], v[25:26]
	v_max_f64 v[7:8], v[7:8], v[25:26]
	v_cndmask_b32_e32 v9, v9, v5, vcc_lo
	v_cndmask_b32_e32 v10, v10, v6, vcc_lo
	;; [unrolled: 1-line block ×4, first 2 shown]
	v_cndmask_b32_e64 v9, v9, v45, s8
	v_cndmask_b32_e64 v10, v10, v46, s8
	;; [unrolled: 1-line block ×4, first 2 shown]
	v_cmp_class_f64_e64 s9, v[9:10], 0x1f8
	v_cmp_neq_f64_e32 vcc_lo, v[9:10], v[7:8]
	s_or_b32 s9, vcc_lo, s9
	s_and_saveexec_b32 s15, s9
	s_cbranch_execz .LBB9_49
; %bb.48:
	v_add_f64 v[5:6], v[9:10], -v[7:8]
	s_mov_b32 s10, 0x652b82fe
	s_mov_b32 s11, 0x3ff71547
	;; [unrolled: 1-line block ×10, first 2 shown]
	v_mul_f64 v[9:10], v[5:6], s[10:11]
	s_mov_b32 s11, 0xbfe62e42
	s_mov_b32 s10, 0xfefa39ef
	v_cmp_nlt_f64_e32 vcc_lo, 0x40900000, v[5:6]
	v_cmp_ngt_f64_e64 s9, 0xc090cc00, v[5:6]
	v_rndne_f64_e32 v[9:10], v[9:10]
	v_fma_f64 v[11:12], v[9:10], s[10:11], v[5:6]
	v_cvt_i32_f64_e32 v29, v[9:10]
	s_mov_b32 s11, 0x3fe62e42
	v_fma_f64 v[11:12], v[9:10], s[12:13], v[11:12]
	s_mov_b32 s13, 0x3c7abc9e
	v_fma_f64 v[27:28], v[11:12], s[36:37], s[16:17]
	s_mov_b32 s16, 0x623fde64
	s_mov_b32 s17, 0x3ec71dee
	;; [unrolled: 1-line block ×4, first 2 shown]
	v_fma_f64 v[27:28], v[11:12], v[27:28], s[16:17]
	s_mov_b32 s16, 0x7c89e6b0
	s_mov_b32 s17, 0x3efa0199
	v_fma_f64 v[27:28], v[11:12], v[27:28], s[16:17]
	s_mov_b32 s16, 0x14761f6e
	s_mov_b32 s17, 0x3f2a01a0
	;; [unrolled: 3-line block ×8, first 2 shown]
	v_fma_f64 v[27:28], v[11:12], v[27:28], 1.0
	v_fma_f64 v[9:10], v[11:12], v[27:28], 1.0
	v_ldexp_f64 v[9:10], v[9:10], v29
	v_cndmask_b32_e32 v10, 0x7ff00000, v10, vcc_lo
	s_and_b32 vcc_lo, s9, vcc_lo
	v_cndmask_b32_e32 v5, 0, v9, vcc_lo
	v_cndmask_b32_e64 v6, 0, v10, s9
	v_add_f64 v[9:10], v[5:6], 1.0
	v_cmp_neq_f64_e64 s9, 0x7ff00000, v[5:6]
	v_frexp_mant_f64_e32 v[11:12], v[9:10]
	v_frexp_exp_i32_f64_e32 v29, v[9:10]
	v_add_f64 v[27:28], v[9:10], -1.0
	v_cmp_gt_f64_e32 vcc_lo, s[16:17], v[11:12]
	s_mov_b32 s16, 0x55555780
	v_add_f64 v[11:12], v[27:28], -v[9:10]
	v_add_f64 v[27:28], v[5:6], -v[27:28]
	v_subrev_co_ci_u32_e64 v73, null, 0, v29, vcc_lo
	v_add_f64 v[11:12], v[11:12], 1.0
	v_cmp_nge_f64_e32 vcc_lo, -1.0, v[5:6]
	v_sub_nc_u32_e32 v31, 0, v73
	v_ldexp_f64 v[9:10], v[9:10], v31
	v_add_f64 v[11:12], v[27:28], v[11:12]
	s_and_b32 vcc_lo, vcc_lo, s9
	v_add_f64 v[29:30], v[9:10], 1.0
	v_add_f64 v[35:36], v[9:10], -1.0
	v_ldexp_f64 v[11:12], v[11:12], v31
	v_add_f64 v[27:28], v[29:30], -1.0
	v_add_f64 v[65:66], v[35:36], 1.0
	v_add_f64 v[27:28], v[9:10], -v[27:28]
	v_add_f64 v[9:10], v[9:10], -v[65:66]
	v_add_f64 v[27:28], v[11:12], v[27:28]
	v_add_f64 v[9:10], v[11:12], v[9:10]
	;; [unrolled: 1-line block ×4, first 2 shown]
	v_rcp_f64_e32 v[33:34], v[31:32]
	v_add_f64 v[29:30], v[31:32], -v[29:30]
	v_add_f64 v[35:36], v[65:66], -v[35:36]
	;; [unrolled: 1-line block ×3, first 2 shown]
	v_fma_f64 v[67:68], -v[31:32], v[33:34], 1.0
	v_add_f64 v[9:10], v[9:10], -v[35:36]
	v_fma_f64 v[33:34], v[67:68], v[33:34], v[33:34]
	v_fma_f64 v[11:12], -v[31:32], v[33:34], 1.0
	v_fma_f64 v[11:12], v[11:12], v[33:34], v[33:34]
	v_mul_f64 v[33:34], v[65:66], v[11:12]
	v_mul_f64 v[67:68], v[31:32], v[33:34]
	v_fma_f64 v[29:30], v[33:34], v[31:32], -v[67:68]
	v_fma_f64 v[29:30], v[33:34], v[27:28], v[29:30]
	v_add_f64 v[69:70], v[67:68], v[29:30]
	v_add_f64 v[71:72], v[65:66], -v[69:70]
	v_add_f64 v[35:36], v[69:70], -v[67:68]
	;; [unrolled: 1-line block ×5, first 2 shown]
	v_add_f64 v[9:10], v[9:10], v[65:66]
	v_add_f64 v[9:10], v[29:30], v[9:10]
	;; [unrolled: 1-line block ×3, first 2 shown]
	v_mul_f64 v[35:36], v[11:12], v[29:30]
	v_add_f64 v[69:70], v[71:72], -v[29:30]
	v_mul_f64 v[65:66], v[31:32], v[35:36]
	v_add_f64 v[9:10], v[9:10], v[69:70]
	v_fma_f64 v[31:32], v[35:36], v[31:32], -v[65:66]
	v_fma_f64 v[27:28], v[35:36], v[27:28], v[31:32]
	v_add_f64 v[31:32], v[65:66], v[27:28]
	v_add_f64 v[67:68], v[29:30], -v[31:32]
	v_add_f64 v[65:66], v[31:32], -v[65:66]
	;; [unrolled: 1-line block ×5, first 2 shown]
	v_add_f64 v[9:10], v[9:10], v[29:30]
	v_add_f64 v[29:30], v[33:34], v[35:36]
	;; [unrolled: 1-line block ×3, first 2 shown]
	v_add_f64 v[27:28], v[29:30], -v[33:34]
	v_add_f64 v[9:10], v[67:68], v[9:10]
	v_add_f64 v[27:28], v[35:36], -v[27:28]
	v_mul_f64 v[9:10], v[11:12], v[9:10]
	v_add_f64 v[9:10], v[27:28], v[9:10]
	v_add_f64 v[11:12], v[29:30], v[9:10]
	v_mul_f64 v[27:28], v[11:12], v[11:12]
	v_fma_f64 v[31:32], v[27:28], s[38:39], s[36:37]
	s_mov_b32 s36, 0xd7f4df2e
	s_mov_b32 s37, 0x3fc7474d
	v_mul_f64 v[33:34], v[11:12], v[27:28]
	v_fma_f64 v[31:32], v[27:28], v[31:32], s[36:37]
	s_mov_b32 s36, 0x16291751
	s_mov_b32 s37, 0x3fcc71c0
	v_fma_f64 v[31:32], v[27:28], v[31:32], s[36:37]
	s_mov_b32 s36, 0x9b27acf1
	s_mov_b32 s37, 0x3fd24924
	;; [unrolled: 3-line block ×3, first 2 shown]
	v_fma_f64 v[31:32], v[27:28], v[31:32], s[36:37]
	v_fma_f64 v[27:28], v[27:28], v[31:32], s[16:17]
	v_ldexp_f64 v[31:32], v[11:12], 1
	v_add_f64 v[11:12], v[11:12], -v[29:30]
	v_mul_f64 v[27:28], v[33:34], v[27:28]
	v_cvt_f64_i32_e32 v[33:34], v73
	v_add_f64 v[9:10], v[9:10], -v[11:12]
	v_add_f64 v[29:30], v[31:32], v[27:28]
	v_mul_f64 v[35:36], v[33:34], s[10:11]
	v_ldexp_f64 v[9:10], v[9:10], 1
	v_add_f64 v[11:12], v[29:30], -v[31:32]
	v_fma_f64 v[31:32], v[33:34], s[10:11], -v[35:36]
	v_cmp_ngt_f64_e64 s10, -1.0, v[5:6]
	v_add_f64 v[11:12], v[27:28], -v[11:12]
	v_fma_f64 v[27:28], v[33:34], s[12:13], v[31:32]
	v_add_f64 v[9:10], v[9:10], v[11:12]
	v_add_f64 v[11:12], v[35:36], v[27:28]
	;; [unrolled: 1-line block ×3, first 2 shown]
	v_add_f64 v[35:36], v[11:12], -v[35:36]
	v_add_f64 v[33:34], v[11:12], v[31:32]
	v_add_f64 v[29:30], v[31:32], -v[29:30]
	v_add_f64 v[27:28], v[27:28], -v[35:36]
	;; [unrolled: 1-line block ×6, first 2 shown]
	v_add_f64 v[31:32], v[27:28], v[9:10]
	v_add_f64 v[11:12], v[11:12], -v[67:68]
	v_add_f64 v[11:12], v[29:30], v[11:12]
	v_add_f64 v[29:30], v[31:32], -v[27:28]
	;; [unrolled: 2-line block ×3, first 2 shown]
	v_add_f64 v[9:10], v[9:10], -v[29:30]
	v_add_f64 v[35:36], v[33:34], v[11:12]
	v_add_f64 v[27:28], v[27:28], -v[31:32]
	v_add_f64 v[29:30], v[35:36], -v[33:34]
	v_add_f64 v[9:10], v[9:10], v[27:28]
	v_add_f64 v[11:12], v[11:12], -v[29:30]
	v_add_f64 v[9:10], v[9:10], v[11:12]
	v_add_f64 v[9:10], v[35:36], v[9:10]
	v_cndmask_b32_e32 v9, 0, v9, vcc_lo
	v_cmp_neq_f64_e32 vcc_lo, -1.0, v[5:6]
	v_cndmask_b32_e64 v10, 0x7ff00000, v10, s9
	v_cndmask_b32_e64 v10, 0x7ff80000, v10, s10
	v_cndmask_b32_e32 v10, 0xfff00000, v10, vcc_lo
	v_add_f64 v[5:6], v[7:8], v[9:10]
.LBB9_49:
	s_or_b32 exec_lo, exec_lo, s15
	v_max_f64 v[27:28], v[47:48], v[47:48]
	v_max_f64 v[7:8], v[5:6], v[5:6]
	v_cmp_u_f64_e32 vcc_lo, v[5:6], v[5:6]
	v_cmp_u_f64_e64 s9, v[47:48], v[47:48]
	v_min_f64 v[9:10], v[7:8], v[27:28]
	v_max_f64 v[7:8], v[7:8], v[27:28]
	v_cndmask_b32_e32 v9, v9, v5, vcc_lo
	v_cndmask_b32_e32 v10, v10, v6, vcc_lo
	;; [unrolled: 1-line block ×4, first 2 shown]
	v_cndmask_b32_e64 v9, v9, v47, s9
	v_cndmask_b32_e64 v10, v10, v48, s9
	;; [unrolled: 1-line block ×4, first 2 shown]
	v_cmp_class_f64_e64 s10, v[9:10], 0x1f8
	v_cmp_neq_f64_e32 vcc_lo, v[9:10], v[7:8]
	s_or_b32 s10, vcc_lo, s10
	s_and_saveexec_b32 s15, s10
	s_cbranch_execz .LBB9_51
; %bb.50:
	v_add_f64 v[5:6], v[9:10], -v[7:8]
	s_mov_b32 s10, 0x652b82fe
	s_mov_b32 s11, 0x3ff71547
	;; [unrolled: 1-line block ×10, first 2 shown]
	v_mul_f64 v[9:10], v[5:6], s[10:11]
	s_mov_b32 s10, 0xfca7ab0c
	s_mov_b32 s11, 0x3e928af3
	v_cmp_nlt_f64_e32 vcc_lo, 0x40900000, v[5:6]
	v_rndne_f64_e32 v[9:10], v[9:10]
	v_fma_f64 v[11:12], v[9:10], s[12:13], v[5:6]
	v_cvt_i32_f64_e32 v31, v[9:10]
	s_mov_b32 s13, 0x3fe62e42
	v_fma_f64 v[11:12], v[9:10], s[16:17], v[11:12]
	s_mov_b32 s17, 0x3c7abc9e
	v_fma_f64 v[29:30], v[11:12], s[36:37], s[10:11]
	s_mov_b32 s10, 0x623fde64
	s_mov_b32 s11, 0x3ec71dee
	s_mov_b32 s36, 0x6b47b09a
	s_mov_b32 s37, 0x3fc38538
	v_fma_f64 v[29:30], v[11:12], v[29:30], s[10:11]
	s_mov_b32 s10, 0x7c89e6b0
	s_mov_b32 s11, 0x3efa0199
	v_fma_f64 v[29:30], v[11:12], v[29:30], s[10:11]
	s_mov_b32 s10, 0x14761f6e
	s_mov_b32 s11, 0x3f2a01a0
	;; [unrolled: 3-line block ×7, first 2 shown]
	v_fma_f64 v[29:30], v[11:12], v[29:30], s[10:11]
	v_cmp_ngt_f64_e64 s10, 0xc090cc00, v[5:6]
	s_mov_b32 s11, 0x3fe55555
	v_fma_f64 v[29:30], v[11:12], v[29:30], 1.0
	v_fma_f64 v[9:10], v[11:12], v[29:30], 1.0
	v_ldexp_f64 v[9:10], v[9:10], v31
	v_cndmask_b32_e32 v10, 0x7ff00000, v10, vcc_lo
	s_and_b32 vcc_lo, s10, vcc_lo
	v_cndmask_b32_e32 v5, 0, v9, vcc_lo
	v_cndmask_b32_e64 v6, 0, v10, s10
	s_mov_b32 s10, 0x55555555
	v_add_f64 v[9:10], v[5:6], 1.0
	v_frexp_mant_f64_e32 v[11:12], v[9:10]
	v_frexp_exp_i32_f64_e32 v31, v[9:10]
	v_add_f64 v[29:30], v[9:10], -1.0
	v_cmp_gt_f64_e32 vcc_lo, s[10:11], v[11:12]
	s_mov_b32 s10, 0x55555780
	v_add_f64 v[11:12], v[29:30], -v[9:10]
	v_add_f64 v[29:30], v[5:6], -v[29:30]
	v_subrev_co_ci_u32_e64 v77, null, 0, v31, vcc_lo
	v_add_f64 v[11:12], v[11:12], 1.0
	v_cmp_nge_f64_e32 vcc_lo, -1.0, v[5:6]
	v_sub_nc_u32_e32 v33, 0, v77
	v_ldexp_f64 v[9:10], v[9:10], v33
	v_add_f64 v[11:12], v[29:30], v[11:12]
	v_add_f64 v[31:32], v[9:10], 1.0
	v_add_f64 v[65:66], v[9:10], -1.0
	v_ldexp_f64 v[11:12], v[11:12], v33
	v_add_f64 v[29:30], v[31:32], -1.0
	v_add_f64 v[67:68], v[65:66], 1.0
	v_add_f64 v[29:30], v[9:10], -v[29:30]
	v_add_f64 v[9:10], v[9:10], -v[67:68]
	v_add_f64 v[29:30], v[11:12], v[29:30]
	v_add_f64 v[9:10], v[11:12], v[9:10]
	;; [unrolled: 1-line block ×4, first 2 shown]
	v_rcp_f64_e32 v[35:36], v[33:34]
	v_add_f64 v[31:32], v[33:34], -v[31:32]
	v_add_f64 v[65:66], v[67:68], -v[65:66]
	;; [unrolled: 1-line block ×3, first 2 shown]
	v_fma_f64 v[69:70], -v[33:34], v[35:36], 1.0
	v_add_f64 v[9:10], v[9:10], -v[65:66]
	v_fma_f64 v[35:36], v[69:70], v[35:36], v[35:36]
	v_fma_f64 v[11:12], -v[33:34], v[35:36], 1.0
	v_fma_f64 v[11:12], v[11:12], v[35:36], v[35:36]
	v_mul_f64 v[35:36], v[67:68], v[11:12]
	v_mul_f64 v[69:70], v[33:34], v[35:36]
	v_fma_f64 v[31:32], v[35:36], v[33:34], -v[69:70]
	v_fma_f64 v[31:32], v[35:36], v[29:30], v[31:32]
	v_add_f64 v[71:72], v[69:70], v[31:32]
	v_add_f64 v[73:74], v[67:68], -v[71:72]
	v_add_f64 v[65:66], v[71:72], -v[69:70]
	;; [unrolled: 1-line block ×5, first 2 shown]
	v_add_f64 v[9:10], v[9:10], v[67:68]
	v_add_f64 v[9:10], v[31:32], v[9:10]
	;; [unrolled: 1-line block ×3, first 2 shown]
	v_mul_f64 v[65:66], v[11:12], v[31:32]
	v_add_f64 v[71:72], v[73:74], -v[31:32]
	v_mul_f64 v[67:68], v[33:34], v[65:66]
	v_add_f64 v[9:10], v[9:10], v[71:72]
	v_fma_f64 v[33:34], v[65:66], v[33:34], -v[67:68]
	v_fma_f64 v[29:30], v[65:66], v[29:30], v[33:34]
	v_add_f64 v[33:34], v[67:68], v[29:30]
	v_add_f64 v[69:70], v[31:32], -v[33:34]
	v_add_f64 v[67:68], v[33:34], -v[67:68]
	;; [unrolled: 1-line block ×5, first 2 shown]
	v_add_f64 v[9:10], v[9:10], v[31:32]
	v_add_f64 v[31:32], v[35:36], v[65:66]
	;; [unrolled: 1-line block ×3, first 2 shown]
	v_add_f64 v[29:30], v[31:32], -v[35:36]
	v_add_f64 v[9:10], v[69:70], v[9:10]
	v_add_f64 v[29:30], v[65:66], -v[29:30]
	v_mul_f64 v[9:10], v[11:12], v[9:10]
	v_add_f64 v[9:10], v[29:30], v[9:10]
	v_add_f64 v[11:12], v[31:32], v[9:10]
	v_mul_f64 v[29:30], v[11:12], v[11:12]
	v_fma_f64 v[33:34], v[29:30], s[38:39], s[36:37]
	s_mov_b32 s36, 0xd7f4df2e
	s_mov_b32 s37, 0x3fc7474d
	v_mul_f64 v[35:36], v[11:12], v[29:30]
	v_fma_f64 v[33:34], v[29:30], v[33:34], s[36:37]
	s_mov_b32 s36, 0x16291751
	s_mov_b32 s37, 0x3fcc71c0
	v_fma_f64 v[33:34], v[29:30], v[33:34], s[36:37]
	s_mov_b32 s36, 0x9b27acf1
	s_mov_b32 s37, 0x3fd24924
	v_fma_f64 v[33:34], v[29:30], v[33:34], s[36:37]
	s_mov_b32 s36, 0x998ef7b6
	s_mov_b32 s37, 0x3fd99999
	v_fma_f64 v[33:34], v[29:30], v[33:34], s[36:37]
	v_fma_f64 v[29:30], v[29:30], v[33:34], s[10:11]
	v_ldexp_f64 v[33:34], v[11:12], 1
	v_add_f64 v[11:12], v[11:12], -v[31:32]
	v_cmp_neq_f64_e64 s10, 0x7ff00000, v[5:6]
	v_cmp_ngt_f64_e64 s11, -1.0, v[5:6]
	v_mul_f64 v[29:30], v[35:36], v[29:30]
	v_cvt_f64_i32_e32 v[35:36], v77
	v_add_f64 v[9:10], v[9:10], -v[11:12]
	s_and_b32 vcc_lo, vcc_lo, s10
	v_add_f64 v[31:32], v[33:34], v[29:30]
	v_mul_f64 v[65:66], v[35:36], s[12:13]
	v_ldexp_f64 v[9:10], v[9:10], 1
	v_add_f64 v[11:12], v[31:32], -v[33:34]
	v_fma_f64 v[33:34], v[35:36], s[12:13], -v[65:66]
	v_add_f64 v[11:12], v[29:30], -v[11:12]
	v_fma_f64 v[29:30], v[35:36], s[16:17], v[33:34]
	v_add_f64 v[9:10], v[9:10], v[11:12]
	v_add_f64 v[11:12], v[65:66], v[29:30]
	;; [unrolled: 1-line block ×3, first 2 shown]
	v_add_f64 v[65:66], v[11:12], -v[65:66]
	v_add_f64 v[35:36], v[11:12], v[33:34]
	v_add_f64 v[31:32], v[33:34], -v[31:32]
	v_add_f64 v[29:30], v[29:30], -v[65:66]
	;; [unrolled: 1-line block ×6, first 2 shown]
	v_add_f64 v[33:34], v[29:30], v[9:10]
	v_add_f64 v[11:12], v[11:12], -v[69:70]
	v_add_f64 v[11:12], v[31:32], v[11:12]
	v_add_f64 v[31:32], v[33:34], -v[29:30]
	;; [unrolled: 2-line block ×3, first 2 shown]
	v_add_f64 v[9:10], v[9:10], -v[31:32]
	v_add_f64 v[65:66], v[35:36], v[11:12]
	v_add_f64 v[29:30], v[29:30], -v[33:34]
	v_add_f64 v[31:32], v[65:66], -v[35:36]
	v_add_f64 v[9:10], v[9:10], v[29:30]
	v_add_f64 v[11:12], v[11:12], -v[31:32]
	v_add_f64 v[9:10], v[9:10], v[11:12]
	v_add_f64 v[9:10], v[65:66], v[9:10]
	v_cndmask_b32_e32 v9, 0, v9, vcc_lo
	v_cmp_neq_f64_e32 vcc_lo, -1.0, v[5:6]
	v_cndmask_b32_e64 v10, 0x7ff00000, v10, s10
	v_cndmask_b32_e64 v10, 0x7ff80000, v10, s11
	v_cndmask_b32_e32 v10, 0xfff00000, v10, vcc_lo
	v_add_f64 v[5:6], v[7:8], v[9:10]
.LBB9_51:
	s_or_b32 exec_lo, exec_lo, s15
	v_max_f64 v[29:30], v[41:42], v[41:42]
	v_max_f64 v[7:8], v[5:6], v[5:6]
	v_cmp_u_f64_e32 vcc_lo, v[5:6], v[5:6]
	v_cmp_u_f64_e64 s10, v[41:42], v[41:42]
	v_min_f64 v[9:10], v[7:8], v[29:30]
	v_max_f64 v[7:8], v[7:8], v[29:30]
	v_cndmask_b32_e32 v9, v9, v5, vcc_lo
	v_cndmask_b32_e32 v10, v10, v6, vcc_lo
	;; [unrolled: 1-line block ×4, first 2 shown]
	v_cndmask_b32_e64 v9, v9, v41, s10
	v_cndmask_b32_e64 v10, v10, v42, s10
	;; [unrolled: 1-line block ×4, first 2 shown]
	v_cmp_class_f64_e64 s11, v[9:10], 0x1f8
	v_cmp_neq_f64_e32 vcc_lo, v[9:10], v[7:8]
	s_or_b32 s11, vcc_lo, s11
	s_and_saveexec_b32 s15, s11
	s_cbranch_execz .LBB9_53
; %bb.52:
	v_add_f64 v[5:6], v[9:10], -v[7:8]
	s_mov_b32 s12, 0x652b82fe
	s_mov_b32 s13, 0x3ff71547
	;; [unrolled: 1-line block ×10, first 2 shown]
	v_mul_f64 v[9:10], v[5:6], s[12:13]
	s_mov_b32 s13, 0xbfe62e42
	s_mov_b32 s12, 0xfefa39ef
	v_cmp_nlt_f64_e32 vcc_lo, 0x40900000, v[5:6]
	v_cmp_ngt_f64_e64 s11, 0xc090cc00, v[5:6]
	v_rndne_f64_e32 v[9:10], v[9:10]
	v_fma_f64 v[11:12], v[9:10], s[12:13], v[5:6]
	v_cvt_i32_f64_e32 v33, v[9:10]
	s_mov_b32 s13, 0x3fe62e42
	v_fma_f64 v[11:12], v[9:10], s[16:17], v[11:12]
	s_mov_b32 s17, 0x3c7abc9e
	v_fma_f64 v[31:32], v[11:12], s[38:39], s[36:37]
	s_mov_b32 s36, 0x623fde64
	s_mov_b32 s37, 0x3ec71dee
	;; [unrolled: 1-line block ×4, first 2 shown]
	v_fma_f64 v[31:32], v[11:12], v[31:32], s[36:37]
	s_mov_b32 s36, 0x7c89e6b0
	s_mov_b32 s37, 0x3efa0199
	v_fma_f64 v[31:32], v[11:12], v[31:32], s[36:37]
	s_mov_b32 s36, 0x14761f6e
	s_mov_b32 s37, 0x3f2a01a0
	;; [unrolled: 3-line block ×8, first 2 shown]
	v_fma_f64 v[31:32], v[11:12], v[31:32], 1.0
	v_fma_f64 v[9:10], v[11:12], v[31:32], 1.0
	v_ldexp_f64 v[9:10], v[9:10], v33
	v_cndmask_b32_e32 v10, 0x7ff00000, v10, vcc_lo
	s_and_b32 vcc_lo, s11, vcc_lo
	v_cndmask_b32_e32 v5, 0, v9, vcc_lo
	v_cndmask_b32_e64 v6, 0, v10, s11
	v_add_f64 v[9:10], v[5:6], 1.0
	v_cmp_neq_f64_e64 s11, 0x7ff00000, v[5:6]
	v_frexp_mant_f64_e32 v[11:12], v[9:10]
	v_frexp_exp_i32_f64_e32 v33, v[9:10]
	v_add_f64 v[31:32], v[9:10], -1.0
	v_cmp_gt_f64_e32 vcc_lo, s[36:37], v[11:12]
	s_mov_b32 s36, 0x55555780
	v_add_f64 v[11:12], v[31:32], -v[9:10]
	v_add_f64 v[31:32], v[5:6], -v[31:32]
	v_subrev_co_ci_u32_e64 v79, null, 0, v33, vcc_lo
	v_add_f64 v[11:12], v[11:12], 1.0
	v_cmp_nge_f64_e32 vcc_lo, -1.0, v[5:6]
	v_sub_nc_u32_e32 v35, 0, v79
	v_ldexp_f64 v[9:10], v[9:10], v35
	v_add_f64 v[11:12], v[31:32], v[11:12]
	s_and_b32 vcc_lo, vcc_lo, s11
	v_add_f64 v[33:34], v[9:10], 1.0
	v_add_f64 v[67:68], v[9:10], -1.0
	v_ldexp_f64 v[11:12], v[11:12], v35
	v_add_f64 v[31:32], v[33:34], -1.0
	v_add_f64 v[69:70], v[67:68], 1.0
	v_add_f64 v[31:32], v[9:10], -v[31:32]
	v_add_f64 v[9:10], v[9:10], -v[69:70]
	v_add_f64 v[31:32], v[11:12], v[31:32]
	v_add_f64 v[9:10], v[11:12], v[9:10]
	;; [unrolled: 1-line block ×4, first 2 shown]
	v_rcp_f64_e32 v[65:66], v[35:36]
	v_add_f64 v[33:34], v[35:36], -v[33:34]
	v_add_f64 v[67:68], v[69:70], -v[67:68]
	v_add_f64 v[31:32], v[31:32], -v[33:34]
	v_fma_f64 v[71:72], -v[35:36], v[65:66], 1.0
	v_add_f64 v[9:10], v[9:10], -v[67:68]
	v_fma_f64 v[65:66], v[71:72], v[65:66], v[65:66]
	v_fma_f64 v[11:12], -v[35:36], v[65:66], 1.0
	v_fma_f64 v[11:12], v[11:12], v[65:66], v[65:66]
	v_mul_f64 v[65:66], v[69:70], v[11:12]
	v_mul_f64 v[71:72], v[35:36], v[65:66]
	v_fma_f64 v[33:34], v[65:66], v[35:36], -v[71:72]
	v_fma_f64 v[33:34], v[65:66], v[31:32], v[33:34]
	v_add_f64 v[73:74], v[71:72], v[33:34]
	v_add_f64 v[77:78], v[69:70], -v[73:74]
	v_add_f64 v[67:68], v[73:74], -v[71:72]
	;; [unrolled: 1-line block ×5, first 2 shown]
	v_add_f64 v[9:10], v[9:10], v[69:70]
	v_add_f64 v[9:10], v[33:34], v[9:10]
	;; [unrolled: 1-line block ×3, first 2 shown]
	v_mul_f64 v[67:68], v[11:12], v[33:34]
	v_add_f64 v[73:74], v[77:78], -v[33:34]
	v_mul_f64 v[69:70], v[35:36], v[67:68]
	v_add_f64 v[9:10], v[9:10], v[73:74]
	v_fma_f64 v[35:36], v[67:68], v[35:36], -v[69:70]
	v_fma_f64 v[31:32], v[67:68], v[31:32], v[35:36]
	v_add_f64 v[35:36], v[69:70], v[31:32]
	v_add_f64 v[71:72], v[33:34], -v[35:36]
	v_add_f64 v[69:70], v[35:36], -v[69:70]
	;; [unrolled: 1-line block ×5, first 2 shown]
	v_add_f64 v[9:10], v[9:10], v[33:34]
	v_add_f64 v[33:34], v[65:66], v[67:68]
	v_add_f64 v[9:10], v[31:32], v[9:10]
	v_add_f64 v[31:32], v[33:34], -v[65:66]
	v_add_f64 v[9:10], v[71:72], v[9:10]
	v_add_f64 v[31:32], v[67:68], -v[31:32]
	v_mul_f64 v[9:10], v[11:12], v[9:10]
	v_add_f64 v[9:10], v[31:32], v[9:10]
	v_add_f64 v[11:12], v[33:34], v[9:10]
	v_mul_f64 v[31:32], v[11:12], v[11:12]
	v_fma_f64 v[35:36], v[31:32], s[40:41], s[38:39]
	s_mov_b32 s38, 0xd7f4df2e
	s_mov_b32 s39, 0x3fc7474d
	v_mul_f64 v[65:66], v[11:12], v[31:32]
	v_fma_f64 v[35:36], v[31:32], v[35:36], s[38:39]
	s_mov_b32 s38, 0x16291751
	s_mov_b32 s39, 0x3fcc71c0
	v_fma_f64 v[35:36], v[31:32], v[35:36], s[38:39]
	s_mov_b32 s38, 0x9b27acf1
	s_mov_b32 s39, 0x3fd24924
	;; [unrolled: 3-line block ×3, first 2 shown]
	v_fma_f64 v[35:36], v[31:32], v[35:36], s[38:39]
	v_fma_f64 v[31:32], v[31:32], v[35:36], s[36:37]
	v_ldexp_f64 v[35:36], v[11:12], 1
	v_add_f64 v[11:12], v[11:12], -v[33:34]
	v_mul_f64 v[31:32], v[65:66], v[31:32]
	v_cvt_f64_i32_e32 v[65:66], v79
	v_add_f64 v[9:10], v[9:10], -v[11:12]
	v_add_f64 v[33:34], v[35:36], v[31:32]
	v_mul_f64 v[67:68], v[65:66], s[12:13]
	v_ldexp_f64 v[9:10], v[9:10], 1
	v_add_f64 v[11:12], v[33:34], -v[35:36]
	v_fma_f64 v[35:36], v[65:66], s[12:13], -v[67:68]
	v_cmp_ngt_f64_e64 s12, -1.0, v[5:6]
	v_add_f64 v[11:12], v[31:32], -v[11:12]
	v_fma_f64 v[31:32], v[65:66], s[16:17], v[35:36]
	v_add_f64 v[9:10], v[9:10], v[11:12]
	v_add_f64 v[11:12], v[67:68], v[31:32]
	;; [unrolled: 1-line block ×3, first 2 shown]
	v_add_f64 v[67:68], v[11:12], -v[67:68]
	v_add_f64 v[65:66], v[11:12], v[35:36]
	v_add_f64 v[33:34], v[35:36], -v[33:34]
	v_add_f64 v[31:32], v[31:32], -v[67:68]
	;; [unrolled: 1-line block ×6, first 2 shown]
	v_add_f64 v[35:36], v[31:32], v[9:10]
	v_add_f64 v[11:12], v[11:12], -v[71:72]
	v_add_f64 v[11:12], v[33:34], v[11:12]
	v_add_f64 v[33:34], v[35:36], -v[31:32]
	;; [unrolled: 2-line block ×3, first 2 shown]
	v_add_f64 v[9:10], v[9:10], -v[33:34]
	v_add_f64 v[67:68], v[65:66], v[11:12]
	v_add_f64 v[31:32], v[31:32], -v[35:36]
	v_add_f64 v[33:34], v[67:68], -v[65:66]
	v_add_f64 v[9:10], v[9:10], v[31:32]
	v_add_f64 v[11:12], v[11:12], -v[33:34]
	v_add_f64 v[9:10], v[9:10], v[11:12]
	v_add_f64 v[9:10], v[67:68], v[9:10]
	v_cndmask_b32_e32 v9, 0, v9, vcc_lo
	v_cmp_neq_f64_e32 vcc_lo, -1.0, v[5:6]
	v_cndmask_b32_e64 v10, 0x7ff00000, v10, s11
	v_cndmask_b32_e64 v10, 0x7ff80000, v10, s12
	v_cndmask_b32_e32 v10, 0xfff00000, v10, vcc_lo
	v_add_f64 v[5:6], v[7:8], v[9:10]
.LBB9_53:
	s_or_b32 exec_lo, exec_lo, s15
	v_max_f64 v[31:32], v[43:44], v[43:44]
	v_max_f64 v[7:8], v[5:6], v[5:6]
	v_cmp_u_f64_e32 vcc_lo, v[5:6], v[5:6]
	v_cmp_u_f64_e64 s11, v[43:44], v[43:44]
	v_min_f64 v[9:10], v[7:8], v[31:32]
	v_max_f64 v[7:8], v[7:8], v[31:32]
	v_cndmask_b32_e32 v9, v9, v5, vcc_lo
	v_cndmask_b32_e32 v10, v10, v6, vcc_lo
	;; [unrolled: 1-line block ×4, first 2 shown]
	v_cndmask_b32_e64 v9, v9, v43, s11
	v_cndmask_b32_e64 v10, v10, v44, s11
	;; [unrolled: 1-line block ×4, first 2 shown]
	v_cmp_class_f64_e64 s12, v[9:10], 0x1f8
	v_cmp_neq_f64_e32 vcc_lo, v[9:10], v[7:8]
	s_or_b32 s12, vcc_lo, s12
	s_and_saveexec_b32 s15, s12
	s_cbranch_execz .LBB9_55
; %bb.54:
	v_add_f64 v[5:6], v[9:10], -v[7:8]
	s_mov_b32 s12, 0x652b82fe
	s_mov_b32 s13, 0x3ff71547
	;; [unrolled: 1-line block ×10, first 2 shown]
	v_mul_f64 v[9:10], v[5:6], s[12:13]
	s_mov_b32 s12, 0xfca7ab0c
	s_mov_b32 s13, 0x3e928af3
	v_cmp_nlt_f64_e32 vcc_lo, 0x40900000, v[5:6]
	v_rndne_f64_e32 v[9:10], v[9:10]
	v_fma_f64 v[11:12], v[9:10], s[16:17], v[5:6]
	v_cvt_i32_f64_e32 v35, v[9:10]
	s_mov_b32 s17, 0x3fe62e42
	v_fma_f64 v[11:12], v[9:10], s[36:37], v[11:12]
	s_mov_b32 s37, 0x3c7abc9e
	v_fma_f64 v[33:34], v[11:12], s[38:39], s[12:13]
	s_mov_b32 s12, 0x623fde64
	s_mov_b32 s13, 0x3ec71dee
	;; [unrolled: 1-line block ×4, first 2 shown]
	v_fma_f64 v[33:34], v[11:12], v[33:34], s[12:13]
	s_mov_b32 s12, 0x7c89e6b0
	s_mov_b32 s13, 0x3efa0199
	v_fma_f64 v[33:34], v[11:12], v[33:34], s[12:13]
	s_mov_b32 s12, 0x14761f6e
	s_mov_b32 s13, 0x3f2a01a0
	;; [unrolled: 3-line block ×7, first 2 shown]
	v_fma_f64 v[33:34], v[11:12], v[33:34], s[12:13]
	v_cmp_ngt_f64_e64 s12, 0xc090cc00, v[5:6]
	s_mov_b32 s13, 0x3fe55555
	v_fma_f64 v[33:34], v[11:12], v[33:34], 1.0
	v_fma_f64 v[9:10], v[11:12], v[33:34], 1.0
	v_ldexp_f64 v[9:10], v[9:10], v35
	v_cndmask_b32_e32 v10, 0x7ff00000, v10, vcc_lo
	s_and_b32 vcc_lo, s12, vcc_lo
	v_cndmask_b32_e32 v5, 0, v9, vcc_lo
	v_cndmask_b32_e64 v6, 0, v10, s12
	s_mov_b32 s12, 0x55555555
	v_add_f64 v[9:10], v[5:6], 1.0
	v_frexp_mant_f64_e32 v[11:12], v[9:10]
	v_frexp_exp_i32_f64_e32 v35, v[9:10]
	v_add_f64 v[33:34], v[9:10], -1.0
	v_cmp_gt_f64_e32 vcc_lo, s[12:13], v[11:12]
	s_mov_b32 s12, 0x55555780
	v_add_f64 v[11:12], v[33:34], -v[9:10]
	v_add_f64 v[33:34], v[5:6], -v[33:34]
	v_subrev_co_ci_u32_e64 v81, null, 0, v35, vcc_lo
	v_add_f64 v[11:12], v[11:12], 1.0
	v_cmp_nge_f64_e32 vcc_lo, -1.0, v[5:6]
	v_sub_nc_u32_e32 v65, 0, v81
	v_ldexp_f64 v[9:10], v[9:10], v65
	v_add_f64 v[11:12], v[33:34], v[11:12]
	v_add_f64 v[35:36], v[9:10], 1.0
	v_add_f64 v[69:70], v[9:10], -1.0
	v_ldexp_f64 v[11:12], v[11:12], v65
	v_add_f64 v[33:34], v[35:36], -1.0
	v_add_f64 v[71:72], v[69:70], 1.0
	v_add_f64 v[33:34], v[9:10], -v[33:34]
	v_add_f64 v[9:10], v[9:10], -v[71:72]
	v_add_f64 v[33:34], v[11:12], v[33:34]
	v_add_f64 v[9:10], v[11:12], v[9:10]
	;; [unrolled: 1-line block ×4, first 2 shown]
	v_rcp_f64_e32 v[67:68], v[65:66]
	v_add_f64 v[35:36], v[65:66], -v[35:36]
	v_add_f64 v[69:70], v[71:72], -v[69:70]
	;; [unrolled: 1-line block ×3, first 2 shown]
	v_fma_f64 v[73:74], -v[65:66], v[67:68], 1.0
	v_add_f64 v[9:10], v[9:10], -v[69:70]
	v_fma_f64 v[67:68], v[73:74], v[67:68], v[67:68]
	v_fma_f64 v[11:12], -v[65:66], v[67:68], 1.0
	v_fma_f64 v[11:12], v[11:12], v[67:68], v[67:68]
	v_mul_f64 v[67:68], v[71:72], v[11:12]
	v_mul_f64 v[73:74], v[65:66], v[67:68]
	v_fma_f64 v[35:36], v[67:68], v[65:66], -v[73:74]
	v_fma_f64 v[35:36], v[67:68], v[33:34], v[35:36]
	v_add_f64 v[77:78], v[73:74], v[35:36]
	v_add_f64 v[79:80], v[71:72], -v[77:78]
	v_add_f64 v[69:70], v[77:78], -v[73:74]
	v_add_f64 v[71:72], v[71:72], -v[79:80]
	v_add_f64 v[35:36], v[69:70], -v[35:36]
	v_add_f64 v[71:72], v[71:72], -v[77:78]
	v_add_f64 v[9:10], v[9:10], v[71:72]
	v_add_f64 v[9:10], v[35:36], v[9:10]
	;; [unrolled: 1-line block ×3, first 2 shown]
	v_mul_f64 v[69:70], v[11:12], v[35:36]
	v_add_f64 v[77:78], v[79:80], -v[35:36]
	v_mul_f64 v[71:72], v[65:66], v[69:70]
	v_add_f64 v[9:10], v[9:10], v[77:78]
	v_fma_f64 v[65:66], v[69:70], v[65:66], -v[71:72]
	v_fma_f64 v[33:34], v[69:70], v[33:34], v[65:66]
	v_add_f64 v[65:66], v[71:72], v[33:34]
	v_add_f64 v[73:74], v[35:36], -v[65:66]
	v_add_f64 v[71:72], v[65:66], -v[71:72]
	;; [unrolled: 1-line block ×5, first 2 shown]
	v_add_f64 v[9:10], v[9:10], v[35:36]
	v_add_f64 v[35:36], v[67:68], v[69:70]
	;; [unrolled: 1-line block ×3, first 2 shown]
	v_add_f64 v[33:34], v[35:36], -v[67:68]
	v_add_f64 v[9:10], v[73:74], v[9:10]
	v_add_f64 v[33:34], v[69:70], -v[33:34]
	v_mul_f64 v[9:10], v[11:12], v[9:10]
	v_add_f64 v[9:10], v[33:34], v[9:10]
	v_add_f64 v[11:12], v[35:36], v[9:10]
	v_mul_f64 v[33:34], v[11:12], v[11:12]
	v_fma_f64 v[65:66], v[33:34], s[40:41], s[38:39]
	s_mov_b32 s38, 0xd7f4df2e
	s_mov_b32 s39, 0x3fc7474d
	v_mul_f64 v[67:68], v[11:12], v[33:34]
	v_fma_f64 v[65:66], v[33:34], v[65:66], s[38:39]
	s_mov_b32 s38, 0x16291751
	s_mov_b32 s39, 0x3fcc71c0
	v_fma_f64 v[65:66], v[33:34], v[65:66], s[38:39]
	s_mov_b32 s38, 0x9b27acf1
	s_mov_b32 s39, 0x3fd24924
	;; [unrolled: 3-line block ×3, first 2 shown]
	v_fma_f64 v[65:66], v[33:34], v[65:66], s[38:39]
	v_fma_f64 v[33:34], v[33:34], v[65:66], s[12:13]
	v_ldexp_f64 v[65:66], v[11:12], 1
	v_add_f64 v[11:12], v[11:12], -v[35:36]
	v_cmp_neq_f64_e64 s12, 0x7ff00000, v[5:6]
	v_cmp_ngt_f64_e64 s13, -1.0, v[5:6]
	v_mul_f64 v[33:34], v[67:68], v[33:34]
	v_cvt_f64_i32_e32 v[67:68], v81
	v_add_f64 v[9:10], v[9:10], -v[11:12]
	s_and_b32 vcc_lo, vcc_lo, s12
	v_add_f64 v[35:36], v[65:66], v[33:34]
	v_mul_f64 v[69:70], v[67:68], s[16:17]
	v_ldexp_f64 v[9:10], v[9:10], 1
	v_add_f64 v[11:12], v[35:36], -v[65:66]
	v_fma_f64 v[65:66], v[67:68], s[16:17], -v[69:70]
	v_add_f64 v[11:12], v[33:34], -v[11:12]
	v_fma_f64 v[33:34], v[67:68], s[36:37], v[65:66]
	v_add_f64 v[9:10], v[9:10], v[11:12]
	v_add_f64 v[11:12], v[69:70], v[33:34]
	;; [unrolled: 1-line block ×3, first 2 shown]
	v_add_f64 v[69:70], v[11:12], -v[69:70]
	v_add_f64 v[67:68], v[11:12], v[65:66]
	v_add_f64 v[35:36], v[65:66], -v[35:36]
	v_add_f64 v[33:34], v[33:34], -v[69:70]
	;; [unrolled: 1-line block ×6, first 2 shown]
	v_add_f64 v[65:66], v[33:34], v[9:10]
	v_add_f64 v[11:12], v[11:12], -v[73:74]
	v_add_f64 v[11:12], v[35:36], v[11:12]
	v_add_f64 v[35:36], v[65:66], -v[33:34]
	;; [unrolled: 2-line block ×3, first 2 shown]
	v_add_f64 v[9:10], v[9:10], -v[35:36]
	v_add_f64 v[69:70], v[67:68], v[11:12]
	v_add_f64 v[33:34], v[33:34], -v[65:66]
	v_add_f64 v[35:36], v[69:70], -v[67:68]
	v_add_f64 v[9:10], v[9:10], v[33:34]
	v_add_f64 v[11:12], v[11:12], -v[35:36]
	v_add_f64 v[9:10], v[9:10], v[11:12]
	v_add_f64 v[9:10], v[69:70], v[9:10]
	v_cndmask_b32_e32 v9, 0, v9, vcc_lo
	v_cmp_neq_f64_e32 vcc_lo, -1.0, v[5:6]
	v_cndmask_b32_e64 v10, 0x7ff00000, v10, s12
	v_cndmask_b32_e64 v10, 0x7ff80000, v10, s13
	v_cndmask_b32_e32 v10, 0xfff00000, v10, vcc_lo
	v_add_f64 v[5:6], v[7:8], v[9:10]
.LBB9_55:
	s_or_b32 exec_lo, exec_lo, s15
	v_max_f64 v[33:34], v[37:38], v[37:38]
	v_max_f64 v[7:8], v[5:6], v[5:6]
	v_cmp_u_f64_e32 vcc_lo, v[5:6], v[5:6]
	v_cmp_u_f64_e64 s12, v[37:38], v[37:38]
	v_min_f64 v[9:10], v[7:8], v[33:34]
	v_max_f64 v[7:8], v[7:8], v[33:34]
	v_cndmask_b32_e32 v9, v9, v5, vcc_lo
	v_cndmask_b32_e32 v10, v10, v6, vcc_lo
	;; [unrolled: 1-line block ×4, first 2 shown]
	v_cndmask_b32_e64 v9, v9, v37, s12
	v_cndmask_b32_e64 v10, v10, v38, s12
	;; [unrolled: 1-line block ×4, first 2 shown]
	v_cmp_class_f64_e64 s13, v[9:10], 0x1f8
	v_cmp_neq_f64_e32 vcc_lo, v[9:10], v[7:8]
	s_or_b32 s13, vcc_lo, s13
	s_and_saveexec_b32 s40, s13
	s_cbranch_execz .LBB9_57
; %bb.56:
	v_add_f64 v[5:6], v[9:10], -v[7:8]
	s_mov_b32 s16, 0x652b82fe
	s_mov_b32 s17, 0x3ff71547
	;; [unrolled: 1-line block ×10, first 2 shown]
	v_mul_f64 v[9:10], v[5:6], s[16:17]
	s_mov_b32 s17, 0xbfe62e42
	s_mov_b32 s16, 0xfefa39ef
	v_cmp_nlt_f64_e32 vcc_lo, 0x40900000, v[5:6]
	v_cmp_ngt_f64_e64 s13, 0xc090cc00, v[5:6]
	v_rndne_f64_e32 v[9:10], v[9:10]
	v_fma_f64 v[11:12], v[9:10], s[16:17], v[5:6]
	v_cvt_i32_f64_e32 v65, v[9:10]
	s_mov_b32 s17, 0x3fe62e42
	v_fma_f64 v[11:12], v[9:10], s[36:37], v[11:12]
	s_mov_b32 s37, 0x3c7abc9e
	v_fma_f64 v[35:36], v[11:12], s[42:43], s[38:39]
	s_mov_b32 s38, 0x623fde64
	s_mov_b32 s39, 0x3ec71dee
	;; [unrolled: 1-line block ×4, first 2 shown]
	v_fma_f64 v[35:36], v[11:12], v[35:36], s[38:39]
	s_mov_b32 s38, 0x7c89e6b0
	s_mov_b32 s39, 0x3efa0199
	v_fma_f64 v[35:36], v[11:12], v[35:36], s[38:39]
	s_mov_b32 s38, 0x14761f6e
	s_mov_b32 s39, 0x3f2a01a0
	;; [unrolled: 3-line block ×8, first 2 shown]
	v_fma_f64 v[35:36], v[11:12], v[35:36], 1.0
	v_fma_f64 v[9:10], v[11:12], v[35:36], 1.0
	v_ldexp_f64 v[9:10], v[9:10], v65
	v_cndmask_b32_e32 v10, 0x7ff00000, v10, vcc_lo
	s_and_b32 vcc_lo, s13, vcc_lo
	v_cndmask_b32_e32 v5, 0, v9, vcc_lo
	v_cndmask_b32_e64 v6, 0, v10, s13
	v_add_f64 v[9:10], v[5:6], 1.0
	v_cmp_neq_f64_e64 s13, 0x7ff00000, v[5:6]
	v_cmp_ngt_f64_e64 s15, -1.0, v[5:6]
	v_frexp_mant_f64_e32 v[11:12], v[9:10]
	v_frexp_exp_i32_f64_e32 v65, v[9:10]
	v_add_f64 v[35:36], v[9:10], -1.0
	v_cmp_gt_f64_e32 vcc_lo, s[38:39], v[11:12]
	s_mov_b32 s38, 0x55555780
	v_add_f64 v[11:12], v[35:36], -v[9:10]
	v_add_f64 v[35:36], v[5:6], -v[35:36]
	v_subrev_co_ci_u32_e64 v83, null, 0, v65, vcc_lo
	v_add_f64 v[11:12], v[11:12], 1.0
	v_cmp_nge_f64_e32 vcc_lo, -1.0, v[5:6]
	v_sub_nc_u32_e32 v67, 0, v83
	v_ldexp_f64 v[9:10], v[9:10], v67
	v_add_f64 v[11:12], v[35:36], v[11:12]
	s_and_b32 vcc_lo, vcc_lo, s13
	v_add_f64 v[65:66], v[9:10], 1.0
	v_add_f64 v[71:72], v[9:10], -1.0
	v_ldexp_f64 v[11:12], v[11:12], v67
	v_add_f64 v[35:36], v[65:66], -1.0
	v_add_f64 v[73:74], v[71:72], 1.0
	v_add_f64 v[35:36], v[9:10], -v[35:36]
	v_add_f64 v[9:10], v[9:10], -v[73:74]
	v_add_f64 v[35:36], v[11:12], v[35:36]
	v_add_f64 v[9:10], v[11:12], v[9:10]
	v_add_f64 v[67:68], v[65:66], v[35:36]
	v_add_f64 v[73:74], v[71:72], v[9:10]
	v_rcp_f64_e32 v[69:70], v[67:68]
	v_add_f64 v[65:66], v[67:68], -v[65:66]
	v_add_f64 v[71:72], v[73:74], -v[71:72]
	;; [unrolled: 1-line block ×3, first 2 shown]
	v_fma_f64 v[77:78], -v[67:68], v[69:70], 1.0
	v_add_f64 v[9:10], v[9:10], -v[71:72]
	v_fma_f64 v[69:70], v[77:78], v[69:70], v[69:70]
	v_fma_f64 v[11:12], -v[67:68], v[69:70], 1.0
	v_fma_f64 v[11:12], v[11:12], v[69:70], v[69:70]
	v_mul_f64 v[69:70], v[73:74], v[11:12]
	v_mul_f64 v[77:78], v[67:68], v[69:70]
	v_fma_f64 v[65:66], v[69:70], v[67:68], -v[77:78]
	v_fma_f64 v[65:66], v[69:70], v[35:36], v[65:66]
	v_add_f64 v[79:80], v[77:78], v[65:66]
	v_add_f64 v[81:82], v[73:74], -v[79:80]
	v_add_f64 v[71:72], v[79:80], -v[77:78]
	;; [unrolled: 1-line block ×5, first 2 shown]
	v_add_f64 v[9:10], v[9:10], v[73:74]
	v_add_f64 v[9:10], v[65:66], v[9:10]
	;; [unrolled: 1-line block ×3, first 2 shown]
	v_mul_f64 v[71:72], v[11:12], v[65:66]
	v_add_f64 v[79:80], v[81:82], -v[65:66]
	v_mul_f64 v[73:74], v[67:68], v[71:72]
	v_add_f64 v[9:10], v[9:10], v[79:80]
	v_fma_f64 v[67:68], v[71:72], v[67:68], -v[73:74]
	v_fma_f64 v[35:36], v[71:72], v[35:36], v[67:68]
	v_add_f64 v[67:68], v[73:74], v[35:36]
	v_add_f64 v[77:78], v[65:66], -v[67:68]
	v_add_f64 v[73:74], v[67:68], -v[73:74]
	;; [unrolled: 1-line block ×5, first 2 shown]
	v_add_f64 v[9:10], v[9:10], v[65:66]
	v_add_f64 v[65:66], v[69:70], v[71:72]
	;; [unrolled: 1-line block ×3, first 2 shown]
	v_add_f64 v[35:36], v[65:66], -v[69:70]
	v_add_f64 v[9:10], v[77:78], v[9:10]
	v_add_f64 v[35:36], v[71:72], -v[35:36]
	v_mul_f64 v[9:10], v[11:12], v[9:10]
	v_add_f64 v[9:10], v[35:36], v[9:10]
	v_add_f64 v[11:12], v[65:66], v[9:10]
	v_mul_f64 v[35:36], v[11:12], v[11:12]
	v_fma_f64 v[67:68], v[35:36], s[44:45], s[42:43]
	s_mov_b32 s42, 0xd7f4df2e
	s_mov_b32 s43, 0x3fc7474d
	v_mul_f64 v[69:70], v[11:12], v[35:36]
	v_fma_f64 v[67:68], v[35:36], v[67:68], s[42:43]
	s_mov_b32 s42, 0x16291751
	s_mov_b32 s43, 0x3fcc71c0
	v_fma_f64 v[67:68], v[35:36], v[67:68], s[42:43]
	s_mov_b32 s42, 0x9b27acf1
	s_mov_b32 s43, 0x3fd24924
	;; [unrolled: 3-line block ×3, first 2 shown]
	v_fma_f64 v[67:68], v[35:36], v[67:68], s[42:43]
	v_fma_f64 v[35:36], v[35:36], v[67:68], s[38:39]
	v_ldexp_f64 v[67:68], v[11:12], 1
	v_add_f64 v[11:12], v[11:12], -v[65:66]
	v_mul_f64 v[35:36], v[69:70], v[35:36]
	v_cvt_f64_i32_e32 v[69:70], v83
	v_add_f64 v[9:10], v[9:10], -v[11:12]
	v_add_f64 v[65:66], v[67:68], v[35:36]
	v_mul_f64 v[71:72], v[69:70], s[16:17]
	v_ldexp_f64 v[9:10], v[9:10], 1
	v_add_f64 v[11:12], v[65:66], -v[67:68]
	v_fma_f64 v[67:68], v[69:70], s[16:17], -v[71:72]
	v_add_f64 v[11:12], v[35:36], -v[11:12]
	v_fma_f64 v[35:36], v[69:70], s[36:37], v[67:68]
	v_add_f64 v[9:10], v[9:10], v[11:12]
	v_add_f64 v[11:12], v[71:72], v[35:36]
	;; [unrolled: 1-line block ×3, first 2 shown]
	v_add_f64 v[71:72], v[11:12], -v[71:72]
	v_add_f64 v[69:70], v[11:12], v[67:68]
	v_add_f64 v[65:66], v[67:68], -v[65:66]
	v_add_f64 v[35:36], v[35:36], -v[71:72]
	;; [unrolled: 1-line block ×6, first 2 shown]
	v_add_f64 v[67:68], v[35:36], v[9:10]
	v_add_f64 v[11:12], v[11:12], -v[77:78]
	v_add_f64 v[11:12], v[65:66], v[11:12]
	v_add_f64 v[65:66], v[67:68], -v[35:36]
	;; [unrolled: 2-line block ×3, first 2 shown]
	v_add_f64 v[9:10], v[9:10], -v[65:66]
	v_add_f64 v[71:72], v[69:70], v[11:12]
	v_add_f64 v[35:36], v[35:36], -v[67:68]
	v_add_f64 v[65:66], v[71:72], -v[69:70]
	v_add_f64 v[9:10], v[9:10], v[35:36]
	v_add_f64 v[11:12], v[11:12], -v[65:66]
	v_add_f64 v[9:10], v[9:10], v[11:12]
	v_add_f64 v[9:10], v[71:72], v[9:10]
	v_cndmask_b32_e32 v9, 0, v9, vcc_lo
	v_cmp_neq_f64_e32 vcc_lo, -1.0, v[5:6]
	v_cndmask_b32_e64 v10, 0x7ff00000, v10, s13
	v_cndmask_b32_e64 v10, 0x7ff80000, v10, s15
	v_cndmask_b32_e32 v10, 0xfff00000, v10, vcc_lo
	v_add_f64 v[5:6], v[7:8], v[9:10]
.LBB9_57:
	s_or_b32 exec_lo, exec_lo, s40
	v_max_f64 v[35:36], v[39:40], v[39:40]
	v_max_f64 v[7:8], v[5:6], v[5:6]
	v_cmp_u_f64_e32 vcc_lo, v[5:6], v[5:6]
	v_cmp_u_f64_e64 s13, v[39:40], v[39:40]
	v_min_f64 v[9:10], v[7:8], v[35:36]
	v_max_f64 v[7:8], v[7:8], v[35:36]
	v_cndmask_b32_e32 v9, v9, v5, vcc_lo
	v_cndmask_b32_e32 v10, v10, v6, vcc_lo
	v_cndmask_b32_e32 v8, v8, v6, vcc_lo
	v_cndmask_b32_e32 v7, v7, v5, vcc_lo
	v_cndmask_b32_e64 v9, v9, v39, s13
	v_cndmask_b32_e64 v10, v10, v40, s13
	;; [unrolled: 1-line block ×4, first 2 shown]
	v_cmp_class_f64_e64 s15, v[9:10], 0x1f8
	v_cmp_neq_f64_e32 vcc_lo, v[9:10], v[7:8]
	s_or_b32 s15, vcc_lo, s15
	s_and_saveexec_b32 s40, s15
	s_cbranch_execz .LBB9_59
; %bb.58:
	v_add_f64 v[5:6], v[9:10], -v[7:8]
	s_mov_b32 s16, 0x652b82fe
	s_mov_b32 s17, 0x3ff71547
	s_mov_b32 s37, 0xbc7abc9e
	s_mov_b32 s36, 0x3b39803f
	s_mov_b32 s38, 0xfca7ab0c
	s_mov_b32 s42, 0x6a5dcb37
	s_mov_b32 s39, 0x3e928af3
	s_mov_b32 s43, 0x3e5ade15
	s_mov_b32 s44, 0xbf559e2b
	s_mov_b32 s45, 0x3fc3ab76
	v_mul_f64 v[9:10], v[5:6], s[16:17]
	s_mov_b32 s17, 0xbfe62e42
	s_mov_b32 s16, 0xfefa39ef
	v_cmp_nlt_f64_e32 vcc_lo, 0x40900000, v[5:6]
	v_cmp_ngt_f64_e64 s15, 0xc090cc00, v[5:6]
	v_rndne_f64_e32 v[9:10], v[9:10]
	v_fma_f64 v[11:12], v[9:10], s[16:17], v[5:6]
	v_cvt_i32_f64_e32 v67, v[9:10]
	s_mov_b32 s17, 0x3fe62e42
	v_fma_f64 v[11:12], v[9:10], s[36:37], v[11:12]
	s_mov_b32 s37, 0x3c7abc9e
	v_fma_f64 v[65:66], v[11:12], s[42:43], s[38:39]
	s_mov_b32 s38, 0x623fde64
	s_mov_b32 s39, 0x3ec71dee
	s_mov_b32 s42, 0x6b47b09a
	s_mov_b32 s43, 0x3fc38538
	v_fma_f64 v[65:66], v[11:12], v[65:66], s[38:39]
	s_mov_b32 s38, 0x7c89e6b0
	s_mov_b32 s39, 0x3efa0199
	v_fma_f64 v[65:66], v[11:12], v[65:66], s[38:39]
	s_mov_b32 s38, 0x14761f6e
	s_mov_b32 s39, 0x3f2a01a0
	;; [unrolled: 3-line block ×8, first 2 shown]
	v_fma_f64 v[65:66], v[11:12], v[65:66], 1.0
	v_fma_f64 v[9:10], v[11:12], v[65:66], 1.0
	v_ldexp_f64 v[9:10], v[9:10], v67
	v_cndmask_b32_e32 v10, 0x7ff00000, v10, vcc_lo
	s_and_b32 vcc_lo, s15, vcc_lo
	v_cndmask_b32_e32 v5, 0, v9, vcc_lo
	v_cndmask_b32_e64 v6, 0, v10, s15
	v_add_f64 v[9:10], v[5:6], 1.0
	v_cmp_neq_f64_e64 s15, 0x7ff00000, v[5:6]
	v_frexp_mant_f64_e32 v[11:12], v[9:10]
	v_frexp_exp_i32_f64_e32 v67, v[9:10]
	v_add_f64 v[65:66], v[9:10], -1.0
	v_cmp_gt_f64_e32 vcc_lo, s[38:39], v[11:12]
	s_mov_b32 s38, 0x55555780
	v_add_f64 v[11:12], v[65:66], -v[9:10]
	v_add_f64 v[65:66], v[5:6], -v[65:66]
	v_subrev_co_ci_u32_e64 v85, null, 0, v67, vcc_lo
	v_add_f64 v[11:12], v[11:12], 1.0
	v_cmp_nge_f64_e32 vcc_lo, -1.0, v[5:6]
	v_sub_nc_u32_e32 v69, 0, v85
	v_ldexp_f64 v[9:10], v[9:10], v69
	v_add_f64 v[11:12], v[65:66], v[11:12]
	s_and_b32 vcc_lo, vcc_lo, s15
	v_add_f64 v[67:68], v[9:10], 1.0
	v_add_f64 v[73:74], v[9:10], -1.0
	v_ldexp_f64 v[11:12], v[11:12], v69
	v_add_f64 v[65:66], v[67:68], -1.0
	v_add_f64 v[77:78], v[73:74], 1.0
	v_add_f64 v[65:66], v[9:10], -v[65:66]
	v_add_f64 v[9:10], v[9:10], -v[77:78]
	v_add_f64 v[65:66], v[11:12], v[65:66]
	v_add_f64 v[9:10], v[11:12], v[9:10]
	;; [unrolled: 1-line block ×4, first 2 shown]
	v_rcp_f64_e32 v[71:72], v[69:70]
	v_add_f64 v[67:68], v[69:70], -v[67:68]
	v_add_f64 v[73:74], v[77:78], -v[73:74]
	;; [unrolled: 1-line block ×3, first 2 shown]
	v_fma_f64 v[79:80], -v[69:70], v[71:72], 1.0
	v_add_f64 v[9:10], v[9:10], -v[73:74]
	v_fma_f64 v[71:72], v[79:80], v[71:72], v[71:72]
	v_fma_f64 v[11:12], -v[69:70], v[71:72], 1.0
	v_fma_f64 v[11:12], v[11:12], v[71:72], v[71:72]
	v_mul_f64 v[71:72], v[77:78], v[11:12]
	v_mul_f64 v[79:80], v[69:70], v[71:72]
	v_fma_f64 v[67:68], v[71:72], v[69:70], -v[79:80]
	v_fma_f64 v[67:68], v[71:72], v[65:66], v[67:68]
	v_add_f64 v[81:82], v[79:80], v[67:68]
	v_add_f64 v[83:84], v[77:78], -v[81:82]
	v_add_f64 v[73:74], v[81:82], -v[79:80]
	;; [unrolled: 1-line block ×5, first 2 shown]
	v_add_f64 v[9:10], v[9:10], v[77:78]
	v_add_f64 v[9:10], v[67:68], v[9:10]
	;; [unrolled: 1-line block ×3, first 2 shown]
	v_mul_f64 v[73:74], v[11:12], v[67:68]
	v_add_f64 v[81:82], v[83:84], -v[67:68]
	v_mul_f64 v[77:78], v[69:70], v[73:74]
	v_add_f64 v[9:10], v[9:10], v[81:82]
	v_fma_f64 v[69:70], v[73:74], v[69:70], -v[77:78]
	v_fma_f64 v[65:66], v[73:74], v[65:66], v[69:70]
	v_add_f64 v[69:70], v[77:78], v[65:66]
	v_add_f64 v[79:80], v[67:68], -v[69:70]
	v_add_f64 v[77:78], v[69:70], -v[77:78]
	;; [unrolled: 1-line block ×5, first 2 shown]
	v_add_f64 v[9:10], v[9:10], v[67:68]
	v_add_f64 v[67:68], v[71:72], v[73:74]
	;; [unrolled: 1-line block ×3, first 2 shown]
	v_add_f64 v[65:66], v[67:68], -v[71:72]
	v_add_f64 v[9:10], v[79:80], v[9:10]
	v_add_f64 v[65:66], v[73:74], -v[65:66]
	v_mul_f64 v[9:10], v[11:12], v[9:10]
	v_add_f64 v[9:10], v[65:66], v[9:10]
	v_add_f64 v[11:12], v[67:68], v[9:10]
	v_mul_f64 v[65:66], v[11:12], v[11:12]
	v_fma_f64 v[69:70], v[65:66], s[44:45], s[42:43]
	s_mov_b32 s42, 0xd7f4df2e
	s_mov_b32 s43, 0x3fc7474d
	v_mul_f64 v[71:72], v[11:12], v[65:66]
	v_fma_f64 v[69:70], v[65:66], v[69:70], s[42:43]
	s_mov_b32 s42, 0x16291751
	s_mov_b32 s43, 0x3fcc71c0
	v_fma_f64 v[69:70], v[65:66], v[69:70], s[42:43]
	s_mov_b32 s42, 0x9b27acf1
	s_mov_b32 s43, 0x3fd24924
	;; [unrolled: 3-line block ×3, first 2 shown]
	v_fma_f64 v[69:70], v[65:66], v[69:70], s[42:43]
	v_fma_f64 v[65:66], v[65:66], v[69:70], s[38:39]
	v_ldexp_f64 v[69:70], v[11:12], 1
	v_add_f64 v[11:12], v[11:12], -v[67:68]
	v_mul_f64 v[65:66], v[71:72], v[65:66]
	v_cvt_f64_i32_e32 v[71:72], v85
	v_add_f64 v[9:10], v[9:10], -v[11:12]
	v_add_f64 v[67:68], v[69:70], v[65:66]
	v_mul_f64 v[73:74], v[71:72], s[16:17]
	v_ldexp_f64 v[9:10], v[9:10], 1
	v_add_f64 v[11:12], v[67:68], -v[69:70]
	v_fma_f64 v[69:70], v[71:72], s[16:17], -v[73:74]
	v_cmp_ngt_f64_e64 s16, -1.0, v[5:6]
	v_add_f64 v[11:12], v[65:66], -v[11:12]
	v_fma_f64 v[65:66], v[71:72], s[36:37], v[69:70]
	v_add_f64 v[9:10], v[9:10], v[11:12]
	v_add_f64 v[11:12], v[73:74], v[65:66]
	v_add_f64 v[69:70], v[67:68], v[9:10]
	v_add_f64 v[73:74], v[11:12], -v[73:74]
	v_add_f64 v[71:72], v[11:12], v[69:70]
	v_add_f64 v[67:68], v[69:70], -v[67:68]
	v_add_f64 v[65:66], v[65:66], -v[73:74]
	;; [unrolled: 1-line block ×6, first 2 shown]
	v_add_f64 v[69:70], v[65:66], v[9:10]
	v_add_f64 v[11:12], v[11:12], -v[79:80]
	v_add_f64 v[11:12], v[67:68], v[11:12]
	v_add_f64 v[67:68], v[69:70], -v[65:66]
	;; [unrolled: 2-line block ×3, first 2 shown]
	v_add_f64 v[9:10], v[9:10], -v[67:68]
	v_add_f64 v[73:74], v[71:72], v[11:12]
	v_add_f64 v[65:66], v[65:66], -v[69:70]
	v_add_f64 v[67:68], v[73:74], -v[71:72]
	v_add_f64 v[9:10], v[9:10], v[65:66]
	v_add_f64 v[11:12], v[11:12], -v[67:68]
	v_add_f64 v[9:10], v[9:10], v[11:12]
	v_add_f64 v[9:10], v[73:74], v[9:10]
	v_cndmask_b32_e32 v9, 0, v9, vcc_lo
	v_cmp_neq_f64_e32 vcc_lo, -1.0, v[5:6]
	v_cndmask_b32_e64 v10, 0x7ff00000, v10, s15
	v_cndmask_b32_e64 v10, 0x7ff80000, v10, s16
	v_cndmask_b32_e32 v10, 0xfff00000, v10, vcc_lo
	v_add_f64 v[5:6], v[7:8], v[9:10]
.LBB9_59:
	s_or_b32 exec_lo, exec_lo, s40
	v_mbcnt_lo_u32_b32 v77, -1, 0
	v_mov_b32_dpp v7, v5 row_shr:1 row_mask:0xf bank_mask:0xf
	v_mov_b32_dpp v8, v6 row_shr:1 row_mask:0xf bank_mask:0xf
	v_mov_b32_e32 v9, v5
	v_mov_b32_e32 v10, v6
	v_and_b32_e32 v11, 15, v77
	s_mov_b32 s40, exec_lo
	v_cmpx_ne_u32_e32 0, v11
	s_cbranch_execz .LBB9_63
; %bb.60:
	v_max_f64 v[9:10], v[7:8], v[7:8]
	v_max_f64 v[65:66], v[5:6], v[5:6]
	v_cmp_u_f64_e32 vcc_lo, v[7:8], v[7:8]
	v_cmp_u_f64_e64 s15, v[5:6], v[5:6]
	v_min_f64 v[67:68], v[9:10], v[65:66]
	v_max_f64 v[9:10], v[9:10], v[65:66]
	v_cndmask_b32_e32 v12, v68, v8, vcc_lo
	v_cndmask_b32_e32 v65, v67, v7, vcc_lo
	v_cndmask_b32_e32 v66, v10, v8, vcc_lo
	v_cndmask_b32_e32 v67, v9, v7, vcc_lo
	v_cndmask_b32_e64 v10, v12, v6, s15
	v_cndmask_b32_e64 v9, v65, v5, s15
	;; [unrolled: 1-line block ×4, first 2 shown]
	v_cmp_class_f64_e64 s15, v[9:10], 0x1f8
	v_cmp_neq_f64_e32 vcc_lo, v[9:10], v[5:6]
	s_or_b32 s15, vcc_lo, s15
	s_and_saveexec_b32 s41, s15
	s_cbranch_execz .LBB9_62
; %bb.61:
	v_add_f64 v[7:8], v[9:10], -v[5:6]
	s_mov_b32 s16, 0x652b82fe
	s_mov_b32 s17, 0x3ff71547
	;; [unrolled: 1-line block ×10, first 2 shown]
	v_mul_f64 v[9:10], v[7:8], s[16:17]
	s_mov_b32 s17, 0xbfe62e42
	s_mov_b32 s16, 0xfefa39ef
	v_cmp_nlt_f64_e32 vcc_lo, 0x40900000, v[7:8]
	v_cmp_ngt_f64_e64 s15, 0xc090cc00, v[7:8]
	v_rndne_f64_e32 v[9:10], v[9:10]
	v_fma_f64 v[65:66], v[9:10], s[16:17], v[7:8]
	v_cvt_i32_f64_e32 v12, v[9:10]
	s_mov_b32 s17, 0x3fe62e42
	v_fma_f64 v[65:66], v[9:10], s[36:37], v[65:66]
	s_mov_b32 s37, 0x3c7abc9e
	v_fma_f64 v[67:68], v[65:66], s[42:43], s[38:39]
	s_mov_b32 s38, 0x623fde64
	s_mov_b32 s39, 0x3ec71dee
	;; [unrolled: 1-line block ×4, first 2 shown]
	v_fma_f64 v[67:68], v[65:66], v[67:68], s[38:39]
	s_mov_b32 s38, 0x7c89e6b0
	s_mov_b32 s39, 0x3efa0199
	v_fma_f64 v[67:68], v[65:66], v[67:68], s[38:39]
	s_mov_b32 s38, 0x14761f6e
	s_mov_b32 s39, 0x3f2a01a0
	;; [unrolled: 3-line block ×8, first 2 shown]
	v_fma_f64 v[67:68], v[65:66], v[67:68], 1.0
	v_fma_f64 v[9:10], v[65:66], v[67:68], 1.0
	v_ldexp_f64 v[9:10], v[9:10], v12
	v_cndmask_b32_e32 v10, 0x7ff00000, v10, vcc_lo
	s_and_b32 vcc_lo, s15, vcc_lo
	v_cndmask_b32_e32 v7, 0, v9, vcc_lo
	v_cndmask_b32_e64 v8, 0, v10, s15
	v_add_f64 v[9:10], v[7:8], 1.0
	v_cmp_neq_f64_e64 s15, 0x7ff00000, v[7:8]
	v_frexp_mant_f64_e32 v[65:66], v[9:10]
	v_frexp_exp_i32_f64_e32 v12, v[9:10]
	v_add_f64 v[67:68], v[9:10], -1.0
	v_cmp_gt_f64_e32 vcc_lo, s[38:39], v[65:66]
	s_mov_b32 s38, 0x55555780
	v_add_f64 v[65:66], v[67:68], -v[9:10]
	v_add_f64 v[67:68], v[7:8], -v[67:68]
	v_subrev_co_ci_u32_e64 v12, null, 0, v12, vcc_lo
	v_add_f64 v[65:66], v[65:66], 1.0
	v_cmp_nge_f64_e32 vcc_lo, -1.0, v[7:8]
	v_sub_nc_u32_e32 v71, 0, v12
	v_ldexp_f64 v[9:10], v[9:10], v71
	v_add_f64 v[65:66], v[67:68], v[65:66]
	s_and_b32 vcc_lo, vcc_lo, s15
	v_add_f64 v[69:70], v[9:10], 1.0
	v_add_f64 v[78:79], v[9:10], -1.0
	v_ldexp_f64 v[65:66], v[65:66], v71
	v_add_f64 v[67:68], v[69:70], -1.0
	v_add_f64 v[80:81], v[78:79], 1.0
	v_add_f64 v[67:68], v[9:10], -v[67:68]
	v_add_f64 v[9:10], v[9:10], -v[80:81]
	v_add_f64 v[67:68], v[65:66], v[67:68]
	v_add_f64 v[9:10], v[65:66], v[9:10]
	v_add_f64 v[71:72], v[69:70], v[67:68]
	v_add_f64 v[80:81], v[78:79], v[9:10]
	v_rcp_f64_e32 v[73:74], v[71:72]
	v_add_f64 v[69:70], v[71:72], -v[69:70]
	v_add_f64 v[78:79], v[80:81], -v[78:79]
	v_add_f64 v[67:68], v[67:68], -v[69:70]
	v_fma_f64 v[82:83], -v[71:72], v[73:74], 1.0
	v_add_f64 v[9:10], v[9:10], -v[78:79]
	v_fma_f64 v[73:74], v[82:83], v[73:74], v[73:74]
	v_fma_f64 v[65:66], -v[71:72], v[73:74], 1.0
	v_fma_f64 v[65:66], v[65:66], v[73:74], v[73:74]
	v_mul_f64 v[73:74], v[80:81], v[65:66]
	v_mul_f64 v[82:83], v[71:72], v[73:74]
	v_fma_f64 v[69:70], v[73:74], v[71:72], -v[82:83]
	v_fma_f64 v[69:70], v[73:74], v[67:68], v[69:70]
	v_add_f64 v[84:85], v[82:83], v[69:70]
	v_add_f64 v[86:87], v[80:81], -v[84:85]
	v_add_f64 v[78:79], v[84:85], -v[82:83]
	v_add_f64 v[80:81], v[80:81], -v[86:87]
	v_add_f64 v[69:70], v[78:79], -v[69:70]
	v_add_f64 v[80:81], v[80:81], -v[84:85]
	v_add_f64 v[9:10], v[9:10], v[80:81]
	v_add_f64 v[9:10], v[69:70], v[9:10]
	;; [unrolled: 1-line block ×3, first 2 shown]
	v_mul_f64 v[78:79], v[65:66], v[69:70]
	v_add_f64 v[84:85], v[86:87], -v[69:70]
	v_mul_f64 v[80:81], v[71:72], v[78:79]
	v_add_f64 v[9:10], v[9:10], v[84:85]
	v_fma_f64 v[71:72], v[78:79], v[71:72], -v[80:81]
	v_fma_f64 v[67:68], v[78:79], v[67:68], v[71:72]
	v_add_f64 v[71:72], v[80:81], v[67:68]
	v_add_f64 v[82:83], v[69:70], -v[71:72]
	v_add_f64 v[80:81], v[71:72], -v[80:81]
	;; [unrolled: 1-line block ×5, first 2 shown]
	v_add_f64 v[9:10], v[9:10], v[69:70]
	v_add_f64 v[69:70], v[73:74], v[78:79]
	;; [unrolled: 1-line block ×3, first 2 shown]
	v_add_f64 v[67:68], v[69:70], -v[73:74]
	v_add_f64 v[9:10], v[82:83], v[9:10]
	v_add_f64 v[67:68], v[78:79], -v[67:68]
	v_mul_f64 v[9:10], v[65:66], v[9:10]
	v_add_f64 v[9:10], v[67:68], v[9:10]
	v_add_f64 v[65:66], v[69:70], v[9:10]
	v_mul_f64 v[67:68], v[65:66], v[65:66]
	v_fma_f64 v[71:72], v[67:68], s[44:45], s[42:43]
	s_mov_b32 s42, 0xd7f4df2e
	s_mov_b32 s43, 0x3fc7474d
	v_mul_f64 v[73:74], v[65:66], v[67:68]
	v_fma_f64 v[71:72], v[67:68], v[71:72], s[42:43]
	s_mov_b32 s42, 0x16291751
	s_mov_b32 s43, 0x3fcc71c0
	v_fma_f64 v[71:72], v[67:68], v[71:72], s[42:43]
	s_mov_b32 s42, 0x9b27acf1
	s_mov_b32 s43, 0x3fd24924
	;; [unrolled: 3-line block ×3, first 2 shown]
	v_fma_f64 v[71:72], v[67:68], v[71:72], s[42:43]
	v_fma_f64 v[67:68], v[67:68], v[71:72], s[38:39]
	v_ldexp_f64 v[71:72], v[65:66], 1
	v_add_f64 v[65:66], v[65:66], -v[69:70]
	v_mul_f64 v[67:68], v[73:74], v[67:68]
	v_cvt_f64_i32_e32 v[73:74], v12
	v_add_f64 v[9:10], v[9:10], -v[65:66]
	v_add_f64 v[69:70], v[71:72], v[67:68]
	v_mul_f64 v[78:79], v[73:74], s[16:17]
	v_ldexp_f64 v[9:10], v[9:10], 1
	v_add_f64 v[65:66], v[69:70], -v[71:72]
	v_fma_f64 v[71:72], v[73:74], s[16:17], -v[78:79]
	v_cmp_ngt_f64_e64 s16, -1.0, v[7:8]
	v_add_f64 v[65:66], v[67:68], -v[65:66]
	v_fma_f64 v[67:68], v[73:74], s[36:37], v[71:72]
	v_add_f64 v[9:10], v[9:10], v[65:66]
	v_add_f64 v[65:66], v[78:79], v[67:68]
	;; [unrolled: 1-line block ×3, first 2 shown]
	v_add_f64 v[78:79], v[65:66], -v[78:79]
	v_add_f64 v[73:74], v[65:66], v[71:72]
	v_add_f64 v[69:70], v[71:72], -v[69:70]
	v_add_f64 v[67:68], v[67:68], -v[78:79]
	;; [unrolled: 1-line block ×6, first 2 shown]
	v_add_f64 v[71:72], v[67:68], v[9:10]
	v_add_f64 v[65:66], v[65:66], -v[82:83]
	v_add_f64 v[65:66], v[69:70], v[65:66]
	v_add_f64 v[69:70], v[71:72], -v[67:68]
	;; [unrolled: 2-line block ×3, first 2 shown]
	v_add_f64 v[9:10], v[9:10], -v[69:70]
	v_add_f64 v[78:79], v[73:74], v[65:66]
	v_add_f64 v[67:68], v[67:68], -v[71:72]
	v_add_f64 v[69:70], v[78:79], -v[73:74]
	v_add_f64 v[9:10], v[9:10], v[67:68]
	v_add_f64 v[65:66], v[65:66], -v[69:70]
	v_add_f64 v[9:10], v[9:10], v[65:66]
	v_add_f64 v[9:10], v[78:79], v[9:10]
	v_cndmask_b32_e32 v9, 0, v9, vcc_lo
	v_cmp_neq_f64_e32 vcc_lo, -1.0, v[7:8]
	v_cndmask_b32_e64 v10, 0x7ff00000, v10, s15
	v_cndmask_b32_e64 v10, 0x7ff80000, v10, s16
	v_cndmask_b32_e32 v10, 0xfff00000, v10, vcc_lo
	v_add_f64 v[7:8], v[5:6], v[9:10]
.LBB9_62:
	s_or_b32 exec_lo, exec_lo, s41
	v_mov_b32_e32 v5, v7
	v_mov_b32_e32 v9, v7
	;; [unrolled: 1-line block ×4, first 2 shown]
.LBB9_63:
	s_or_b32 exec_lo, exec_lo, s40
	v_mov_b32_dpp v7, v9 row_shr:2 row_mask:0xf bank_mask:0xf
	v_mov_b32_dpp v8, v10 row_shr:2 row_mask:0xf bank_mask:0xf
	s_mov_b32 s40, exec_lo
	v_cmpx_lt_u32_e32 1, v11
	s_cbranch_execz .LBB9_67
; %bb.64:
	v_max_f64 v[9:10], v[7:8], v[7:8]
	v_max_f64 v[65:66], v[5:6], v[5:6]
	v_cmp_u_f64_e32 vcc_lo, v[7:8], v[7:8]
	v_cmp_u_f64_e64 s15, v[5:6], v[5:6]
	v_min_f64 v[67:68], v[9:10], v[65:66]
	v_max_f64 v[9:10], v[9:10], v[65:66]
	v_cndmask_b32_e32 v12, v68, v8, vcc_lo
	v_cndmask_b32_e32 v65, v67, v7, vcc_lo
	;; [unrolled: 1-line block ×4, first 2 shown]
	v_cndmask_b32_e64 v10, v12, v6, s15
	v_cndmask_b32_e64 v9, v65, v5, s15
	;; [unrolled: 1-line block ×4, first 2 shown]
	v_cmp_class_f64_e64 s15, v[9:10], 0x1f8
	v_cmp_neq_f64_e32 vcc_lo, v[9:10], v[5:6]
	s_or_b32 s15, vcc_lo, s15
	s_and_saveexec_b32 s41, s15
	s_cbranch_execz .LBB9_66
; %bb.65:
	v_add_f64 v[7:8], v[9:10], -v[5:6]
	s_mov_b32 s16, 0x652b82fe
	s_mov_b32 s17, 0x3ff71547
	;; [unrolled: 1-line block ×10, first 2 shown]
	v_mul_f64 v[9:10], v[7:8], s[16:17]
	s_mov_b32 s17, 0xbfe62e42
	s_mov_b32 s16, 0xfefa39ef
	v_cmp_nlt_f64_e32 vcc_lo, 0x40900000, v[7:8]
	v_cmp_ngt_f64_e64 s15, 0xc090cc00, v[7:8]
	v_rndne_f64_e32 v[9:10], v[9:10]
	v_fma_f64 v[65:66], v[9:10], s[16:17], v[7:8]
	v_cvt_i32_f64_e32 v12, v[9:10]
	s_mov_b32 s17, 0x3fe62e42
	v_fma_f64 v[65:66], v[9:10], s[36:37], v[65:66]
	s_mov_b32 s37, 0x3c7abc9e
	v_fma_f64 v[67:68], v[65:66], s[42:43], s[38:39]
	s_mov_b32 s38, 0x623fde64
	s_mov_b32 s39, 0x3ec71dee
	s_mov_b32 s42, 0x6b47b09a
	s_mov_b32 s43, 0x3fc38538
	v_fma_f64 v[67:68], v[65:66], v[67:68], s[38:39]
	s_mov_b32 s38, 0x7c89e6b0
	s_mov_b32 s39, 0x3efa0199
	v_fma_f64 v[67:68], v[65:66], v[67:68], s[38:39]
	s_mov_b32 s38, 0x14761f6e
	s_mov_b32 s39, 0x3f2a01a0
	;; [unrolled: 3-line block ×8, first 2 shown]
	v_fma_f64 v[67:68], v[65:66], v[67:68], 1.0
	v_fma_f64 v[9:10], v[65:66], v[67:68], 1.0
	v_ldexp_f64 v[9:10], v[9:10], v12
	v_cndmask_b32_e32 v10, 0x7ff00000, v10, vcc_lo
	s_and_b32 vcc_lo, s15, vcc_lo
	v_cndmask_b32_e32 v7, 0, v9, vcc_lo
	v_cndmask_b32_e64 v8, 0, v10, s15
	v_add_f64 v[9:10], v[7:8], 1.0
	v_cmp_neq_f64_e64 s15, 0x7ff00000, v[7:8]
	v_frexp_mant_f64_e32 v[65:66], v[9:10]
	v_frexp_exp_i32_f64_e32 v12, v[9:10]
	v_add_f64 v[67:68], v[9:10], -1.0
	v_cmp_gt_f64_e32 vcc_lo, s[38:39], v[65:66]
	s_mov_b32 s38, 0x55555780
	v_add_f64 v[65:66], v[67:68], -v[9:10]
	v_add_f64 v[67:68], v[7:8], -v[67:68]
	v_subrev_co_ci_u32_e64 v12, null, 0, v12, vcc_lo
	v_add_f64 v[65:66], v[65:66], 1.0
	v_cmp_nge_f64_e32 vcc_lo, -1.0, v[7:8]
	v_sub_nc_u32_e32 v71, 0, v12
	v_ldexp_f64 v[9:10], v[9:10], v71
	v_add_f64 v[65:66], v[67:68], v[65:66]
	s_and_b32 vcc_lo, vcc_lo, s15
	v_add_f64 v[69:70], v[9:10], 1.0
	v_add_f64 v[78:79], v[9:10], -1.0
	v_ldexp_f64 v[65:66], v[65:66], v71
	v_add_f64 v[67:68], v[69:70], -1.0
	v_add_f64 v[80:81], v[78:79], 1.0
	v_add_f64 v[67:68], v[9:10], -v[67:68]
	v_add_f64 v[9:10], v[9:10], -v[80:81]
	v_add_f64 v[67:68], v[65:66], v[67:68]
	v_add_f64 v[9:10], v[65:66], v[9:10]
	;; [unrolled: 1-line block ×4, first 2 shown]
	v_rcp_f64_e32 v[73:74], v[71:72]
	v_add_f64 v[69:70], v[71:72], -v[69:70]
	v_add_f64 v[78:79], v[80:81], -v[78:79]
	;; [unrolled: 1-line block ×3, first 2 shown]
	v_fma_f64 v[82:83], -v[71:72], v[73:74], 1.0
	v_add_f64 v[9:10], v[9:10], -v[78:79]
	v_fma_f64 v[73:74], v[82:83], v[73:74], v[73:74]
	v_fma_f64 v[65:66], -v[71:72], v[73:74], 1.0
	v_fma_f64 v[65:66], v[65:66], v[73:74], v[73:74]
	v_mul_f64 v[73:74], v[80:81], v[65:66]
	v_mul_f64 v[82:83], v[71:72], v[73:74]
	v_fma_f64 v[69:70], v[73:74], v[71:72], -v[82:83]
	v_fma_f64 v[69:70], v[73:74], v[67:68], v[69:70]
	v_add_f64 v[84:85], v[82:83], v[69:70]
	v_add_f64 v[86:87], v[80:81], -v[84:85]
	v_add_f64 v[78:79], v[84:85], -v[82:83]
	;; [unrolled: 1-line block ×5, first 2 shown]
	v_add_f64 v[9:10], v[9:10], v[80:81]
	v_add_f64 v[9:10], v[69:70], v[9:10]
	v_add_f64 v[69:70], v[86:87], v[9:10]
	v_mul_f64 v[78:79], v[65:66], v[69:70]
	v_add_f64 v[84:85], v[86:87], -v[69:70]
	v_mul_f64 v[80:81], v[71:72], v[78:79]
	v_add_f64 v[9:10], v[9:10], v[84:85]
	v_fma_f64 v[71:72], v[78:79], v[71:72], -v[80:81]
	v_fma_f64 v[67:68], v[78:79], v[67:68], v[71:72]
	v_add_f64 v[71:72], v[80:81], v[67:68]
	v_add_f64 v[82:83], v[69:70], -v[71:72]
	v_add_f64 v[80:81], v[71:72], -v[80:81]
	;; [unrolled: 1-line block ×5, first 2 shown]
	v_add_f64 v[9:10], v[9:10], v[69:70]
	v_add_f64 v[69:70], v[73:74], v[78:79]
	;; [unrolled: 1-line block ×3, first 2 shown]
	v_add_f64 v[67:68], v[69:70], -v[73:74]
	v_add_f64 v[9:10], v[82:83], v[9:10]
	v_add_f64 v[67:68], v[78:79], -v[67:68]
	v_mul_f64 v[9:10], v[65:66], v[9:10]
	v_add_f64 v[9:10], v[67:68], v[9:10]
	v_add_f64 v[65:66], v[69:70], v[9:10]
	v_mul_f64 v[67:68], v[65:66], v[65:66]
	v_fma_f64 v[71:72], v[67:68], s[44:45], s[42:43]
	s_mov_b32 s42, 0xd7f4df2e
	s_mov_b32 s43, 0x3fc7474d
	v_mul_f64 v[73:74], v[65:66], v[67:68]
	v_fma_f64 v[71:72], v[67:68], v[71:72], s[42:43]
	s_mov_b32 s42, 0x16291751
	s_mov_b32 s43, 0x3fcc71c0
	v_fma_f64 v[71:72], v[67:68], v[71:72], s[42:43]
	s_mov_b32 s42, 0x9b27acf1
	s_mov_b32 s43, 0x3fd24924
	;; [unrolled: 3-line block ×3, first 2 shown]
	v_fma_f64 v[71:72], v[67:68], v[71:72], s[42:43]
	v_fma_f64 v[67:68], v[67:68], v[71:72], s[38:39]
	v_ldexp_f64 v[71:72], v[65:66], 1
	v_add_f64 v[65:66], v[65:66], -v[69:70]
	v_mul_f64 v[67:68], v[73:74], v[67:68]
	v_cvt_f64_i32_e32 v[73:74], v12
	v_add_f64 v[9:10], v[9:10], -v[65:66]
	v_add_f64 v[69:70], v[71:72], v[67:68]
	v_mul_f64 v[78:79], v[73:74], s[16:17]
	v_ldexp_f64 v[9:10], v[9:10], 1
	v_add_f64 v[65:66], v[69:70], -v[71:72]
	v_fma_f64 v[71:72], v[73:74], s[16:17], -v[78:79]
	v_cmp_ngt_f64_e64 s16, -1.0, v[7:8]
	v_add_f64 v[65:66], v[67:68], -v[65:66]
	v_fma_f64 v[67:68], v[73:74], s[36:37], v[71:72]
	v_add_f64 v[9:10], v[9:10], v[65:66]
	v_add_f64 v[65:66], v[78:79], v[67:68]
	;; [unrolled: 1-line block ×3, first 2 shown]
	v_add_f64 v[78:79], v[65:66], -v[78:79]
	v_add_f64 v[73:74], v[65:66], v[71:72]
	v_add_f64 v[69:70], v[71:72], -v[69:70]
	v_add_f64 v[67:68], v[67:68], -v[78:79]
	;; [unrolled: 1-line block ×6, first 2 shown]
	v_add_f64 v[71:72], v[67:68], v[9:10]
	v_add_f64 v[65:66], v[65:66], -v[82:83]
	v_add_f64 v[65:66], v[69:70], v[65:66]
	v_add_f64 v[69:70], v[71:72], -v[67:68]
	;; [unrolled: 2-line block ×3, first 2 shown]
	v_add_f64 v[9:10], v[9:10], -v[69:70]
	v_add_f64 v[78:79], v[73:74], v[65:66]
	v_add_f64 v[67:68], v[67:68], -v[71:72]
	v_add_f64 v[69:70], v[78:79], -v[73:74]
	v_add_f64 v[9:10], v[9:10], v[67:68]
	v_add_f64 v[65:66], v[65:66], -v[69:70]
	v_add_f64 v[9:10], v[9:10], v[65:66]
	v_add_f64 v[9:10], v[78:79], v[9:10]
	v_cndmask_b32_e32 v9, 0, v9, vcc_lo
	v_cmp_neq_f64_e32 vcc_lo, -1.0, v[7:8]
	v_cndmask_b32_e64 v10, 0x7ff00000, v10, s15
	v_cndmask_b32_e64 v10, 0x7ff80000, v10, s16
	v_cndmask_b32_e32 v10, 0xfff00000, v10, vcc_lo
	v_add_f64 v[7:8], v[5:6], v[9:10]
.LBB9_66:
	s_or_b32 exec_lo, exec_lo, s41
	v_mov_b32_e32 v5, v7
	v_mov_b32_e32 v6, v8
	;; [unrolled: 1-line block ×4, first 2 shown]
.LBB9_67:
	s_or_b32 exec_lo, exec_lo, s40
	v_mov_b32_dpp v7, v9 row_shr:4 row_mask:0xf bank_mask:0xf
	v_mov_b32_dpp v8, v10 row_shr:4 row_mask:0xf bank_mask:0xf
	s_mov_b32 s40, exec_lo
	v_cmpx_lt_u32_e32 3, v11
	s_cbranch_execz .LBB9_71
; %bb.68:
	v_max_f64 v[9:10], v[7:8], v[7:8]
	v_max_f64 v[65:66], v[5:6], v[5:6]
	v_cmp_u_f64_e32 vcc_lo, v[7:8], v[7:8]
	v_cmp_u_f64_e64 s15, v[5:6], v[5:6]
	v_min_f64 v[67:68], v[9:10], v[65:66]
	v_max_f64 v[9:10], v[9:10], v[65:66]
	v_cndmask_b32_e32 v12, v68, v8, vcc_lo
	v_cndmask_b32_e32 v65, v67, v7, vcc_lo
	;; [unrolled: 1-line block ×4, first 2 shown]
	v_cndmask_b32_e64 v10, v12, v6, s15
	v_cndmask_b32_e64 v9, v65, v5, s15
	;; [unrolled: 1-line block ×4, first 2 shown]
	v_cmp_class_f64_e64 s15, v[9:10], 0x1f8
	v_cmp_neq_f64_e32 vcc_lo, v[9:10], v[5:6]
	s_or_b32 s15, vcc_lo, s15
	s_and_saveexec_b32 s41, s15
	s_cbranch_execz .LBB9_70
; %bb.69:
	v_add_f64 v[7:8], v[9:10], -v[5:6]
	s_mov_b32 s16, 0x652b82fe
	s_mov_b32 s17, 0x3ff71547
	;; [unrolled: 1-line block ×10, first 2 shown]
	v_mul_f64 v[9:10], v[7:8], s[16:17]
	s_mov_b32 s17, 0xbfe62e42
	s_mov_b32 s16, 0xfefa39ef
	v_cmp_nlt_f64_e32 vcc_lo, 0x40900000, v[7:8]
	v_cmp_ngt_f64_e64 s15, 0xc090cc00, v[7:8]
	v_rndne_f64_e32 v[9:10], v[9:10]
	v_fma_f64 v[65:66], v[9:10], s[16:17], v[7:8]
	v_cvt_i32_f64_e32 v12, v[9:10]
	s_mov_b32 s17, 0x3fe62e42
	v_fma_f64 v[65:66], v[9:10], s[36:37], v[65:66]
	s_mov_b32 s37, 0x3c7abc9e
	v_fma_f64 v[67:68], v[65:66], s[42:43], s[38:39]
	s_mov_b32 s38, 0x623fde64
	s_mov_b32 s39, 0x3ec71dee
	;; [unrolled: 1-line block ×4, first 2 shown]
	v_fma_f64 v[67:68], v[65:66], v[67:68], s[38:39]
	s_mov_b32 s38, 0x7c89e6b0
	s_mov_b32 s39, 0x3efa0199
	v_fma_f64 v[67:68], v[65:66], v[67:68], s[38:39]
	s_mov_b32 s38, 0x14761f6e
	s_mov_b32 s39, 0x3f2a01a0
	;; [unrolled: 3-line block ×8, first 2 shown]
	v_fma_f64 v[67:68], v[65:66], v[67:68], 1.0
	v_fma_f64 v[9:10], v[65:66], v[67:68], 1.0
	v_ldexp_f64 v[9:10], v[9:10], v12
	v_cndmask_b32_e32 v10, 0x7ff00000, v10, vcc_lo
	s_and_b32 vcc_lo, s15, vcc_lo
	v_cndmask_b32_e32 v7, 0, v9, vcc_lo
	v_cndmask_b32_e64 v8, 0, v10, s15
	v_add_f64 v[9:10], v[7:8], 1.0
	v_cmp_neq_f64_e64 s15, 0x7ff00000, v[7:8]
	v_frexp_mant_f64_e32 v[65:66], v[9:10]
	v_frexp_exp_i32_f64_e32 v12, v[9:10]
	v_add_f64 v[67:68], v[9:10], -1.0
	v_cmp_gt_f64_e32 vcc_lo, s[38:39], v[65:66]
	s_mov_b32 s38, 0x55555780
	v_add_f64 v[65:66], v[67:68], -v[9:10]
	v_add_f64 v[67:68], v[7:8], -v[67:68]
	v_subrev_co_ci_u32_e64 v12, null, 0, v12, vcc_lo
	v_add_f64 v[65:66], v[65:66], 1.0
	v_cmp_nge_f64_e32 vcc_lo, -1.0, v[7:8]
	v_sub_nc_u32_e32 v71, 0, v12
	v_ldexp_f64 v[9:10], v[9:10], v71
	v_add_f64 v[65:66], v[67:68], v[65:66]
	s_and_b32 vcc_lo, vcc_lo, s15
	v_add_f64 v[69:70], v[9:10], 1.0
	v_add_f64 v[78:79], v[9:10], -1.0
	v_ldexp_f64 v[65:66], v[65:66], v71
	v_add_f64 v[67:68], v[69:70], -1.0
	v_add_f64 v[80:81], v[78:79], 1.0
	v_add_f64 v[67:68], v[9:10], -v[67:68]
	v_add_f64 v[9:10], v[9:10], -v[80:81]
	v_add_f64 v[67:68], v[65:66], v[67:68]
	v_add_f64 v[9:10], v[65:66], v[9:10]
	;; [unrolled: 1-line block ×4, first 2 shown]
	v_rcp_f64_e32 v[73:74], v[71:72]
	v_add_f64 v[69:70], v[71:72], -v[69:70]
	v_add_f64 v[78:79], v[80:81], -v[78:79]
	v_add_f64 v[67:68], v[67:68], -v[69:70]
	v_fma_f64 v[82:83], -v[71:72], v[73:74], 1.0
	v_add_f64 v[9:10], v[9:10], -v[78:79]
	v_fma_f64 v[73:74], v[82:83], v[73:74], v[73:74]
	v_fma_f64 v[65:66], -v[71:72], v[73:74], 1.0
	v_fma_f64 v[65:66], v[65:66], v[73:74], v[73:74]
	v_mul_f64 v[73:74], v[80:81], v[65:66]
	v_mul_f64 v[82:83], v[71:72], v[73:74]
	v_fma_f64 v[69:70], v[73:74], v[71:72], -v[82:83]
	v_fma_f64 v[69:70], v[73:74], v[67:68], v[69:70]
	v_add_f64 v[84:85], v[82:83], v[69:70]
	v_add_f64 v[86:87], v[80:81], -v[84:85]
	v_add_f64 v[78:79], v[84:85], -v[82:83]
	;; [unrolled: 1-line block ×5, first 2 shown]
	v_add_f64 v[9:10], v[9:10], v[80:81]
	v_add_f64 v[9:10], v[69:70], v[9:10]
	;; [unrolled: 1-line block ×3, first 2 shown]
	v_mul_f64 v[78:79], v[65:66], v[69:70]
	v_add_f64 v[84:85], v[86:87], -v[69:70]
	v_mul_f64 v[80:81], v[71:72], v[78:79]
	v_add_f64 v[9:10], v[9:10], v[84:85]
	v_fma_f64 v[71:72], v[78:79], v[71:72], -v[80:81]
	v_fma_f64 v[67:68], v[78:79], v[67:68], v[71:72]
	v_add_f64 v[71:72], v[80:81], v[67:68]
	v_add_f64 v[82:83], v[69:70], -v[71:72]
	v_add_f64 v[80:81], v[71:72], -v[80:81]
	;; [unrolled: 1-line block ×5, first 2 shown]
	v_add_f64 v[9:10], v[9:10], v[69:70]
	v_add_f64 v[69:70], v[73:74], v[78:79]
	;; [unrolled: 1-line block ×3, first 2 shown]
	v_add_f64 v[67:68], v[69:70], -v[73:74]
	v_add_f64 v[9:10], v[82:83], v[9:10]
	v_add_f64 v[67:68], v[78:79], -v[67:68]
	v_mul_f64 v[9:10], v[65:66], v[9:10]
	v_add_f64 v[9:10], v[67:68], v[9:10]
	v_add_f64 v[65:66], v[69:70], v[9:10]
	v_mul_f64 v[67:68], v[65:66], v[65:66]
	v_fma_f64 v[71:72], v[67:68], s[44:45], s[42:43]
	s_mov_b32 s42, 0xd7f4df2e
	s_mov_b32 s43, 0x3fc7474d
	v_mul_f64 v[73:74], v[65:66], v[67:68]
	v_fma_f64 v[71:72], v[67:68], v[71:72], s[42:43]
	s_mov_b32 s42, 0x16291751
	s_mov_b32 s43, 0x3fcc71c0
	v_fma_f64 v[71:72], v[67:68], v[71:72], s[42:43]
	s_mov_b32 s42, 0x9b27acf1
	s_mov_b32 s43, 0x3fd24924
	;; [unrolled: 3-line block ×3, first 2 shown]
	v_fma_f64 v[71:72], v[67:68], v[71:72], s[42:43]
	v_fma_f64 v[67:68], v[67:68], v[71:72], s[38:39]
	v_ldexp_f64 v[71:72], v[65:66], 1
	v_add_f64 v[65:66], v[65:66], -v[69:70]
	v_mul_f64 v[67:68], v[73:74], v[67:68]
	v_cvt_f64_i32_e32 v[73:74], v12
	v_add_f64 v[9:10], v[9:10], -v[65:66]
	v_add_f64 v[69:70], v[71:72], v[67:68]
	v_mul_f64 v[78:79], v[73:74], s[16:17]
	v_ldexp_f64 v[9:10], v[9:10], 1
	v_add_f64 v[65:66], v[69:70], -v[71:72]
	v_fma_f64 v[71:72], v[73:74], s[16:17], -v[78:79]
	v_cmp_ngt_f64_e64 s16, -1.0, v[7:8]
	v_add_f64 v[65:66], v[67:68], -v[65:66]
	v_fma_f64 v[67:68], v[73:74], s[36:37], v[71:72]
	v_add_f64 v[9:10], v[9:10], v[65:66]
	v_add_f64 v[65:66], v[78:79], v[67:68]
	;; [unrolled: 1-line block ×3, first 2 shown]
	v_add_f64 v[78:79], v[65:66], -v[78:79]
	v_add_f64 v[73:74], v[65:66], v[71:72]
	v_add_f64 v[69:70], v[71:72], -v[69:70]
	v_add_f64 v[67:68], v[67:68], -v[78:79]
	;; [unrolled: 1-line block ×6, first 2 shown]
	v_add_f64 v[71:72], v[67:68], v[9:10]
	v_add_f64 v[65:66], v[65:66], -v[82:83]
	v_add_f64 v[65:66], v[69:70], v[65:66]
	v_add_f64 v[69:70], v[71:72], -v[67:68]
	;; [unrolled: 2-line block ×3, first 2 shown]
	v_add_f64 v[9:10], v[9:10], -v[69:70]
	v_add_f64 v[78:79], v[73:74], v[65:66]
	v_add_f64 v[67:68], v[67:68], -v[71:72]
	v_add_f64 v[69:70], v[78:79], -v[73:74]
	v_add_f64 v[9:10], v[9:10], v[67:68]
	v_add_f64 v[65:66], v[65:66], -v[69:70]
	v_add_f64 v[9:10], v[9:10], v[65:66]
	v_add_f64 v[9:10], v[78:79], v[9:10]
	v_cndmask_b32_e32 v9, 0, v9, vcc_lo
	v_cmp_neq_f64_e32 vcc_lo, -1.0, v[7:8]
	v_cndmask_b32_e64 v10, 0x7ff00000, v10, s15
	v_cndmask_b32_e64 v10, 0x7ff80000, v10, s16
	v_cndmask_b32_e32 v10, 0xfff00000, v10, vcc_lo
	v_add_f64 v[7:8], v[5:6], v[9:10]
.LBB9_70:
	s_or_b32 exec_lo, exec_lo, s41
	v_mov_b32_e32 v5, v7
	v_mov_b32_e32 v6, v8
	;; [unrolled: 1-line block ×4, first 2 shown]
.LBB9_71:
	s_or_b32 exec_lo, exec_lo, s40
	v_mov_b32_dpp v7, v9 row_shr:8 row_mask:0xf bank_mask:0xf
	v_mov_b32_dpp v8, v10 row_shr:8 row_mask:0xf bank_mask:0xf
	s_mov_b32 s40, exec_lo
	v_cmpx_lt_u32_e32 7, v11
	s_cbranch_execz .LBB9_75
; %bb.72:
	v_max_f64 v[9:10], v[7:8], v[7:8]
	v_max_f64 v[11:12], v[5:6], v[5:6]
	v_cmp_u_f64_e32 vcc_lo, v[7:8], v[7:8]
	v_cmp_u_f64_e64 s15, v[5:6], v[5:6]
	v_min_f64 v[65:66], v[9:10], v[11:12]
	v_max_f64 v[9:10], v[9:10], v[11:12]
	v_cndmask_b32_e32 v11, v66, v8, vcc_lo
	v_cndmask_b32_e32 v12, v65, v7, vcc_lo
	;; [unrolled: 1-line block ×4, first 2 shown]
	v_cndmask_b32_e64 v10, v11, v6, s15
	v_cndmask_b32_e64 v9, v12, v5, s15
	;; [unrolled: 1-line block ×4, first 2 shown]
	v_cmp_class_f64_e64 s15, v[9:10], 0x1f8
	v_cmp_neq_f64_e32 vcc_lo, v[9:10], v[5:6]
	s_or_b32 s15, vcc_lo, s15
	s_and_saveexec_b32 s41, s15
	s_cbranch_execz .LBB9_74
; %bb.73:
	v_add_f64 v[7:8], v[9:10], -v[5:6]
	s_mov_b32 s16, 0x652b82fe
	s_mov_b32 s17, 0x3ff71547
	;; [unrolled: 1-line block ×10, first 2 shown]
	v_mul_f64 v[9:10], v[7:8], s[16:17]
	s_mov_b32 s17, 0xbfe62e42
	s_mov_b32 s16, 0xfefa39ef
	v_cmp_nlt_f64_e32 vcc_lo, 0x40900000, v[7:8]
	v_cmp_ngt_f64_e64 s15, 0xc090cc00, v[7:8]
	v_rndne_f64_e32 v[9:10], v[9:10]
	v_fma_f64 v[11:12], v[9:10], s[16:17], v[7:8]
	v_cvt_i32_f64_e32 v67, v[9:10]
	s_mov_b32 s17, 0x3fe62e42
	v_fma_f64 v[11:12], v[9:10], s[36:37], v[11:12]
	s_mov_b32 s37, 0x3c7abc9e
	v_fma_f64 v[65:66], v[11:12], s[42:43], s[38:39]
	s_mov_b32 s38, 0x623fde64
	s_mov_b32 s39, 0x3ec71dee
	;; [unrolled: 1-line block ×4, first 2 shown]
	v_fma_f64 v[65:66], v[11:12], v[65:66], s[38:39]
	s_mov_b32 s38, 0x7c89e6b0
	s_mov_b32 s39, 0x3efa0199
	v_fma_f64 v[65:66], v[11:12], v[65:66], s[38:39]
	s_mov_b32 s38, 0x14761f6e
	s_mov_b32 s39, 0x3f2a01a0
	;; [unrolled: 3-line block ×8, first 2 shown]
	v_fma_f64 v[65:66], v[11:12], v[65:66], 1.0
	v_fma_f64 v[9:10], v[11:12], v[65:66], 1.0
	v_ldexp_f64 v[9:10], v[9:10], v67
	v_cndmask_b32_e32 v10, 0x7ff00000, v10, vcc_lo
	s_and_b32 vcc_lo, s15, vcc_lo
	v_cndmask_b32_e32 v7, 0, v9, vcc_lo
	v_cndmask_b32_e64 v8, 0, v10, s15
	v_add_f64 v[9:10], v[7:8], 1.0
	v_cmp_neq_f64_e64 s15, 0x7ff00000, v[7:8]
	v_frexp_mant_f64_e32 v[11:12], v[9:10]
	v_frexp_exp_i32_f64_e32 v67, v[9:10]
	v_add_f64 v[65:66], v[9:10], -1.0
	v_cmp_gt_f64_e32 vcc_lo, s[38:39], v[11:12]
	s_mov_b32 s38, 0x55555780
	v_add_f64 v[11:12], v[65:66], -v[9:10]
	v_add_f64 v[65:66], v[7:8], -v[65:66]
	v_subrev_co_ci_u32_e64 v86, null, 0, v67, vcc_lo
	v_add_f64 v[11:12], v[11:12], 1.0
	v_cmp_nge_f64_e32 vcc_lo, -1.0, v[7:8]
	v_sub_nc_u32_e32 v69, 0, v86
	v_ldexp_f64 v[9:10], v[9:10], v69
	v_add_f64 v[11:12], v[65:66], v[11:12]
	s_and_b32 vcc_lo, vcc_lo, s15
	v_add_f64 v[67:68], v[9:10], 1.0
	v_add_f64 v[73:74], v[9:10], -1.0
	v_ldexp_f64 v[11:12], v[11:12], v69
	v_add_f64 v[65:66], v[67:68], -1.0
	v_add_f64 v[78:79], v[73:74], 1.0
	v_add_f64 v[65:66], v[9:10], -v[65:66]
	v_add_f64 v[9:10], v[9:10], -v[78:79]
	v_add_f64 v[65:66], v[11:12], v[65:66]
	v_add_f64 v[9:10], v[11:12], v[9:10]
	;; [unrolled: 1-line block ×4, first 2 shown]
	v_rcp_f64_e32 v[71:72], v[69:70]
	v_add_f64 v[67:68], v[69:70], -v[67:68]
	v_add_f64 v[73:74], v[78:79], -v[73:74]
	v_add_f64 v[65:66], v[65:66], -v[67:68]
	v_fma_f64 v[80:81], -v[69:70], v[71:72], 1.0
	v_add_f64 v[9:10], v[9:10], -v[73:74]
	v_fma_f64 v[71:72], v[80:81], v[71:72], v[71:72]
	v_fma_f64 v[11:12], -v[69:70], v[71:72], 1.0
	v_fma_f64 v[11:12], v[11:12], v[71:72], v[71:72]
	v_mul_f64 v[71:72], v[78:79], v[11:12]
	v_mul_f64 v[80:81], v[69:70], v[71:72]
	v_fma_f64 v[67:68], v[71:72], v[69:70], -v[80:81]
	v_fma_f64 v[67:68], v[71:72], v[65:66], v[67:68]
	v_add_f64 v[82:83], v[80:81], v[67:68]
	v_add_f64 v[84:85], v[78:79], -v[82:83]
	v_add_f64 v[73:74], v[82:83], -v[80:81]
	;; [unrolled: 1-line block ×5, first 2 shown]
	v_add_f64 v[9:10], v[9:10], v[78:79]
	v_add_f64 v[9:10], v[67:68], v[9:10]
	v_add_f64 v[67:68], v[84:85], v[9:10]
	v_mul_f64 v[73:74], v[11:12], v[67:68]
	v_add_f64 v[82:83], v[84:85], -v[67:68]
	v_mul_f64 v[78:79], v[69:70], v[73:74]
	v_add_f64 v[9:10], v[9:10], v[82:83]
	v_fma_f64 v[69:70], v[73:74], v[69:70], -v[78:79]
	v_fma_f64 v[65:66], v[73:74], v[65:66], v[69:70]
	v_add_f64 v[69:70], v[78:79], v[65:66]
	v_add_f64 v[80:81], v[67:68], -v[69:70]
	v_add_f64 v[78:79], v[69:70], -v[78:79]
	;; [unrolled: 1-line block ×5, first 2 shown]
	v_add_f64 v[9:10], v[9:10], v[67:68]
	v_add_f64 v[67:68], v[71:72], v[73:74]
	;; [unrolled: 1-line block ×3, first 2 shown]
	v_add_f64 v[65:66], v[67:68], -v[71:72]
	v_add_f64 v[9:10], v[80:81], v[9:10]
	v_add_f64 v[65:66], v[73:74], -v[65:66]
	v_mul_f64 v[9:10], v[11:12], v[9:10]
	v_add_f64 v[9:10], v[65:66], v[9:10]
	v_add_f64 v[11:12], v[67:68], v[9:10]
	v_mul_f64 v[65:66], v[11:12], v[11:12]
	v_fma_f64 v[69:70], v[65:66], s[44:45], s[42:43]
	s_mov_b32 s42, 0xd7f4df2e
	s_mov_b32 s43, 0x3fc7474d
	v_mul_f64 v[71:72], v[11:12], v[65:66]
	v_fma_f64 v[69:70], v[65:66], v[69:70], s[42:43]
	s_mov_b32 s42, 0x16291751
	s_mov_b32 s43, 0x3fcc71c0
	v_fma_f64 v[69:70], v[65:66], v[69:70], s[42:43]
	s_mov_b32 s42, 0x9b27acf1
	s_mov_b32 s43, 0x3fd24924
	;; [unrolled: 3-line block ×3, first 2 shown]
	v_fma_f64 v[69:70], v[65:66], v[69:70], s[42:43]
	v_fma_f64 v[65:66], v[65:66], v[69:70], s[38:39]
	v_ldexp_f64 v[69:70], v[11:12], 1
	v_add_f64 v[11:12], v[11:12], -v[67:68]
	v_mul_f64 v[65:66], v[71:72], v[65:66]
	v_cvt_f64_i32_e32 v[71:72], v86
	v_add_f64 v[9:10], v[9:10], -v[11:12]
	v_add_f64 v[67:68], v[69:70], v[65:66]
	v_mul_f64 v[73:74], v[71:72], s[16:17]
	v_ldexp_f64 v[9:10], v[9:10], 1
	v_add_f64 v[11:12], v[67:68], -v[69:70]
	v_fma_f64 v[69:70], v[71:72], s[16:17], -v[73:74]
	v_cmp_ngt_f64_e64 s16, -1.0, v[7:8]
	v_add_f64 v[11:12], v[65:66], -v[11:12]
	v_fma_f64 v[65:66], v[71:72], s[36:37], v[69:70]
	v_add_f64 v[9:10], v[9:10], v[11:12]
	v_add_f64 v[11:12], v[73:74], v[65:66]
	;; [unrolled: 1-line block ×3, first 2 shown]
	v_add_f64 v[73:74], v[11:12], -v[73:74]
	v_add_f64 v[71:72], v[11:12], v[69:70]
	v_add_f64 v[67:68], v[69:70], -v[67:68]
	v_add_f64 v[65:66], v[65:66], -v[73:74]
	;; [unrolled: 1-line block ×6, first 2 shown]
	v_add_f64 v[69:70], v[65:66], v[9:10]
	v_add_f64 v[11:12], v[11:12], -v[80:81]
	v_add_f64 v[11:12], v[67:68], v[11:12]
	v_add_f64 v[67:68], v[69:70], -v[65:66]
	;; [unrolled: 2-line block ×3, first 2 shown]
	v_add_f64 v[9:10], v[9:10], -v[67:68]
	v_add_f64 v[73:74], v[71:72], v[11:12]
	v_add_f64 v[65:66], v[65:66], -v[69:70]
	v_add_f64 v[67:68], v[73:74], -v[71:72]
	v_add_f64 v[9:10], v[9:10], v[65:66]
	v_add_f64 v[11:12], v[11:12], -v[67:68]
	v_add_f64 v[9:10], v[9:10], v[11:12]
	v_add_f64 v[9:10], v[73:74], v[9:10]
	v_cndmask_b32_e32 v9, 0, v9, vcc_lo
	v_cmp_neq_f64_e32 vcc_lo, -1.0, v[7:8]
	v_cndmask_b32_e64 v10, 0x7ff00000, v10, s15
	v_cndmask_b32_e64 v10, 0x7ff80000, v10, s16
	v_cndmask_b32_e32 v10, 0xfff00000, v10, vcc_lo
	v_add_f64 v[7:8], v[5:6], v[9:10]
.LBB9_74:
	s_or_b32 exec_lo, exec_lo, s41
	v_mov_b32_e32 v5, v7
	v_mov_b32_e32 v9, v7
	;; [unrolled: 1-line block ×4, first 2 shown]
.LBB9_75:
	s_or_b32 exec_lo, exec_lo, s40
	ds_swizzle_b32 v7, v9 offset:swizzle(BROADCAST,32,15)
	ds_swizzle_b32 v8, v10 offset:swizzle(BROADCAST,32,15)
	v_and_b32_e32 v9, 16, v77
	s_mov_b32 s40, exec_lo
	v_cmpx_ne_u32_e32 0, v9
	s_cbranch_execz .LBB9_79
; %bb.76:
	s_waitcnt lgkmcnt(0)
	v_max_f64 v[9:10], v[7:8], v[7:8]
	v_max_f64 v[11:12], v[5:6], v[5:6]
	v_cmp_u_f64_e32 vcc_lo, v[7:8], v[7:8]
	v_cmp_u_f64_e64 s15, v[5:6], v[5:6]
	v_min_f64 v[65:66], v[9:10], v[11:12]
	v_max_f64 v[9:10], v[9:10], v[11:12]
	v_cndmask_b32_e32 v11, v66, v8, vcc_lo
	v_cndmask_b32_e32 v12, v65, v7, vcc_lo
	;; [unrolled: 1-line block ×4, first 2 shown]
	v_cndmask_b32_e64 v10, v11, v6, s15
	v_cndmask_b32_e64 v9, v12, v5, s15
	;; [unrolled: 1-line block ×4, first 2 shown]
	v_cmp_class_f64_e64 s15, v[9:10], 0x1f8
	v_cmp_neq_f64_e32 vcc_lo, v[9:10], v[5:6]
	s_or_b32 s15, vcc_lo, s15
	s_and_saveexec_b32 s41, s15
	s_cbranch_execz .LBB9_78
; %bb.77:
	v_add_f64 v[7:8], v[9:10], -v[5:6]
	s_mov_b32 s16, 0x652b82fe
	s_mov_b32 s17, 0x3ff71547
	;; [unrolled: 1-line block ×10, first 2 shown]
	v_mul_f64 v[9:10], v[7:8], s[16:17]
	s_mov_b32 s17, 0xbfe62e42
	s_mov_b32 s16, 0xfefa39ef
	v_cmp_nlt_f64_e32 vcc_lo, 0x40900000, v[7:8]
	v_cmp_ngt_f64_e64 s15, 0xc090cc00, v[7:8]
	v_rndne_f64_e32 v[9:10], v[9:10]
	v_fma_f64 v[11:12], v[9:10], s[16:17], v[7:8]
	v_cvt_i32_f64_e32 v67, v[9:10]
	s_mov_b32 s17, 0x3fe62e42
	v_fma_f64 v[11:12], v[9:10], s[36:37], v[11:12]
	s_mov_b32 s37, 0x3c7abc9e
	v_fma_f64 v[65:66], v[11:12], s[42:43], s[38:39]
	s_mov_b32 s38, 0x623fde64
	s_mov_b32 s39, 0x3ec71dee
	;; [unrolled: 1-line block ×4, first 2 shown]
	v_fma_f64 v[65:66], v[11:12], v[65:66], s[38:39]
	s_mov_b32 s38, 0x7c89e6b0
	s_mov_b32 s39, 0x3efa0199
	v_fma_f64 v[65:66], v[11:12], v[65:66], s[38:39]
	s_mov_b32 s38, 0x14761f6e
	s_mov_b32 s39, 0x3f2a01a0
	v_fma_f64 v[65:66], v[11:12], v[65:66], s[38:39]
	s_mov_b32 s38, 0x1852b7b0
	s_mov_b32 s39, 0x3f56c16c
	v_fma_f64 v[65:66], v[11:12], v[65:66], s[38:39]
	s_mov_b32 s38, 0x11122322
	s_mov_b32 s39, 0x3f811111
	v_fma_f64 v[65:66], v[11:12], v[65:66], s[38:39]
	s_mov_b32 s38, 0x555502a1
	s_mov_b32 s39, 0x3fa55555
	v_fma_f64 v[65:66], v[11:12], v[65:66], s[38:39]
	s_mov_b32 s38, 0x55555511
	s_mov_b32 s39, 0x3fc55555
	v_fma_f64 v[65:66], v[11:12], v[65:66], s[38:39]
	s_mov_b32 s38, 11
	s_mov_b32 s39, 0x3fe00000
	v_fma_f64 v[65:66], v[11:12], v[65:66], s[38:39]
	s_mov_b32 s39, 0x3fe55555
	s_mov_b32 s38, 0x55555555
	v_fma_f64 v[65:66], v[11:12], v[65:66], 1.0
	v_fma_f64 v[9:10], v[11:12], v[65:66], 1.0
	v_ldexp_f64 v[9:10], v[9:10], v67
	v_cndmask_b32_e32 v10, 0x7ff00000, v10, vcc_lo
	s_and_b32 vcc_lo, s15, vcc_lo
	v_cndmask_b32_e32 v7, 0, v9, vcc_lo
	v_cndmask_b32_e64 v8, 0, v10, s15
	v_add_f64 v[9:10], v[7:8], 1.0
	v_cmp_neq_f64_e64 s15, 0x7ff00000, v[7:8]
	v_frexp_mant_f64_e32 v[11:12], v[9:10]
	v_frexp_exp_i32_f64_e32 v67, v[9:10]
	v_add_f64 v[65:66], v[9:10], -1.0
	v_cmp_gt_f64_e32 vcc_lo, s[38:39], v[11:12]
	s_mov_b32 s38, 0x55555780
	v_add_f64 v[11:12], v[65:66], -v[9:10]
	v_add_f64 v[65:66], v[7:8], -v[65:66]
	v_subrev_co_ci_u32_e64 v86, null, 0, v67, vcc_lo
	v_add_f64 v[11:12], v[11:12], 1.0
	v_cmp_nge_f64_e32 vcc_lo, -1.0, v[7:8]
	v_sub_nc_u32_e32 v69, 0, v86
	v_ldexp_f64 v[9:10], v[9:10], v69
	v_add_f64 v[11:12], v[65:66], v[11:12]
	s_and_b32 vcc_lo, vcc_lo, s15
	v_add_f64 v[67:68], v[9:10], 1.0
	v_add_f64 v[73:74], v[9:10], -1.0
	v_ldexp_f64 v[11:12], v[11:12], v69
	v_add_f64 v[65:66], v[67:68], -1.0
	v_add_f64 v[78:79], v[73:74], 1.0
	v_add_f64 v[65:66], v[9:10], -v[65:66]
	v_add_f64 v[9:10], v[9:10], -v[78:79]
	v_add_f64 v[65:66], v[11:12], v[65:66]
	v_add_f64 v[9:10], v[11:12], v[9:10]
	;; [unrolled: 1-line block ×4, first 2 shown]
	v_rcp_f64_e32 v[71:72], v[69:70]
	v_add_f64 v[67:68], v[69:70], -v[67:68]
	v_add_f64 v[73:74], v[78:79], -v[73:74]
	;; [unrolled: 1-line block ×3, first 2 shown]
	v_fma_f64 v[80:81], -v[69:70], v[71:72], 1.0
	v_add_f64 v[9:10], v[9:10], -v[73:74]
	v_fma_f64 v[71:72], v[80:81], v[71:72], v[71:72]
	v_fma_f64 v[11:12], -v[69:70], v[71:72], 1.0
	v_fma_f64 v[11:12], v[11:12], v[71:72], v[71:72]
	v_mul_f64 v[71:72], v[78:79], v[11:12]
	v_mul_f64 v[80:81], v[69:70], v[71:72]
	v_fma_f64 v[67:68], v[71:72], v[69:70], -v[80:81]
	v_fma_f64 v[67:68], v[71:72], v[65:66], v[67:68]
	v_add_f64 v[82:83], v[80:81], v[67:68]
	v_add_f64 v[84:85], v[78:79], -v[82:83]
	v_add_f64 v[73:74], v[82:83], -v[80:81]
	;; [unrolled: 1-line block ×5, first 2 shown]
	v_add_f64 v[9:10], v[9:10], v[78:79]
	v_add_f64 v[9:10], v[67:68], v[9:10]
	;; [unrolled: 1-line block ×3, first 2 shown]
	v_mul_f64 v[73:74], v[11:12], v[67:68]
	v_add_f64 v[82:83], v[84:85], -v[67:68]
	v_mul_f64 v[78:79], v[69:70], v[73:74]
	v_add_f64 v[9:10], v[9:10], v[82:83]
	v_fma_f64 v[69:70], v[73:74], v[69:70], -v[78:79]
	v_fma_f64 v[65:66], v[73:74], v[65:66], v[69:70]
	v_add_f64 v[69:70], v[78:79], v[65:66]
	v_add_f64 v[80:81], v[67:68], -v[69:70]
	v_add_f64 v[78:79], v[69:70], -v[78:79]
	;; [unrolled: 1-line block ×5, first 2 shown]
	v_add_f64 v[9:10], v[9:10], v[67:68]
	v_add_f64 v[67:68], v[71:72], v[73:74]
	;; [unrolled: 1-line block ×3, first 2 shown]
	v_add_f64 v[65:66], v[67:68], -v[71:72]
	v_add_f64 v[9:10], v[80:81], v[9:10]
	v_add_f64 v[65:66], v[73:74], -v[65:66]
	v_mul_f64 v[9:10], v[11:12], v[9:10]
	v_add_f64 v[9:10], v[65:66], v[9:10]
	v_add_f64 v[11:12], v[67:68], v[9:10]
	v_mul_f64 v[65:66], v[11:12], v[11:12]
	v_fma_f64 v[69:70], v[65:66], s[44:45], s[42:43]
	s_mov_b32 s42, 0xd7f4df2e
	s_mov_b32 s43, 0x3fc7474d
	v_mul_f64 v[71:72], v[11:12], v[65:66]
	v_fma_f64 v[69:70], v[65:66], v[69:70], s[42:43]
	s_mov_b32 s42, 0x16291751
	s_mov_b32 s43, 0x3fcc71c0
	v_fma_f64 v[69:70], v[65:66], v[69:70], s[42:43]
	s_mov_b32 s42, 0x9b27acf1
	s_mov_b32 s43, 0x3fd24924
	;; [unrolled: 3-line block ×3, first 2 shown]
	v_fma_f64 v[69:70], v[65:66], v[69:70], s[42:43]
	v_fma_f64 v[65:66], v[65:66], v[69:70], s[38:39]
	v_ldexp_f64 v[69:70], v[11:12], 1
	v_add_f64 v[11:12], v[11:12], -v[67:68]
	v_mul_f64 v[65:66], v[71:72], v[65:66]
	v_cvt_f64_i32_e32 v[71:72], v86
	v_add_f64 v[9:10], v[9:10], -v[11:12]
	v_add_f64 v[67:68], v[69:70], v[65:66]
	v_mul_f64 v[73:74], v[71:72], s[16:17]
	v_ldexp_f64 v[9:10], v[9:10], 1
	v_add_f64 v[11:12], v[67:68], -v[69:70]
	v_fma_f64 v[69:70], v[71:72], s[16:17], -v[73:74]
	v_cmp_ngt_f64_e64 s16, -1.0, v[7:8]
	v_add_f64 v[11:12], v[65:66], -v[11:12]
	v_fma_f64 v[65:66], v[71:72], s[36:37], v[69:70]
	v_add_f64 v[9:10], v[9:10], v[11:12]
	v_add_f64 v[11:12], v[73:74], v[65:66]
	;; [unrolled: 1-line block ×3, first 2 shown]
	v_add_f64 v[73:74], v[11:12], -v[73:74]
	v_add_f64 v[71:72], v[11:12], v[69:70]
	v_add_f64 v[67:68], v[69:70], -v[67:68]
	v_add_f64 v[65:66], v[65:66], -v[73:74]
	;; [unrolled: 1-line block ×6, first 2 shown]
	v_add_f64 v[69:70], v[65:66], v[9:10]
	v_add_f64 v[11:12], v[11:12], -v[80:81]
	v_add_f64 v[11:12], v[67:68], v[11:12]
	v_add_f64 v[67:68], v[69:70], -v[65:66]
	;; [unrolled: 2-line block ×3, first 2 shown]
	v_add_f64 v[9:10], v[9:10], -v[67:68]
	v_add_f64 v[73:74], v[71:72], v[11:12]
	v_add_f64 v[65:66], v[65:66], -v[69:70]
	v_add_f64 v[67:68], v[73:74], -v[71:72]
	v_add_f64 v[9:10], v[9:10], v[65:66]
	v_add_f64 v[11:12], v[11:12], -v[67:68]
	v_add_f64 v[9:10], v[9:10], v[11:12]
	v_add_f64 v[9:10], v[73:74], v[9:10]
	v_cndmask_b32_e32 v9, 0, v9, vcc_lo
	v_cmp_neq_f64_e32 vcc_lo, -1.0, v[7:8]
	v_cndmask_b32_e64 v10, 0x7ff00000, v10, s15
	v_cndmask_b32_e64 v10, 0x7ff80000, v10, s16
	v_cndmask_b32_e32 v10, 0xfff00000, v10, vcc_lo
	v_add_f64 v[7:8], v[5:6], v[9:10]
.LBB9_78:
	s_or_b32 exec_lo, exec_lo, s41
	v_mov_b32_e32 v5, v7
	v_mov_b32_e32 v6, v8
.LBB9_79:
	s_or_b32 exec_lo, exec_lo, s40
	s_waitcnt lgkmcnt(1)
	v_or_b32_e32 v7, 31, v0
	v_lshrrev_b32_e32 v67, 5, v0
	s_mov_b32 s15, exec_lo
	v_cmpx_eq_u32_e64 v0, v7
; %bb.80:
	v_lshlrev_b32_e32 v7, 3, v67
	ds_write_b64 v7, v[5:6]
; %bb.81:
	s_or_b32 exec_lo, exec_lo, s15
	s_mov_b32 s40, exec_lo
	s_waitcnt lgkmcnt(0)
	s_barrier
	buffer_gl0_inv
	v_cmpx_gt_u32_e32 4, v0
	s_cbranch_execz .LBB9_91
; %bb.82:
	ds_read_b64 v[7:8], v75
	v_and_b32_e32 v65, 3, v77
	s_mov_b32 s41, exec_lo
	s_waitcnt lgkmcnt(0)
	v_mov_b32_dpp v9, v7 row_shr:1 row_mask:0xf bank_mask:0xf
	v_mov_b32_dpp v10, v8 row_shr:1 row_mask:0xf bank_mask:0xf
	v_mov_b32_e32 v11, v7
	v_mov_b32_e32 v12, v8
	v_cmpx_ne_u32_e32 0, v65
	s_cbranch_execz .LBB9_86
; %bb.83:
	v_max_f64 v[11:12], v[9:10], v[9:10]
	v_max_f64 v[68:69], v[7:8], v[7:8]
	v_cmp_u_f64_e32 vcc_lo, v[9:10], v[9:10]
	v_cmp_u_f64_e64 s15, v[7:8], v[7:8]
	v_min_f64 v[70:71], v[11:12], v[68:69]
	v_max_f64 v[11:12], v[11:12], v[68:69]
	v_cndmask_b32_e32 v66, v71, v10, vcc_lo
	v_cndmask_b32_e32 v68, v70, v9, vcc_lo
	;; [unrolled: 1-line block ×4, first 2 shown]
	v_cndmask_b32_e64 v12, v66, v8, s15
	v_cndmask_b32_e64 v11, v68, v7, s15
	;; [unrolled: 1-line block ×4, first 2 shown]
	v_cmp_class_f64_e64 s15, v[11:12], 0x1f8
	v_cmp_neq_f64_e32 vcc_lo, v[11:12], v[7:8]
	s_or_b32 s15, vcc_lo, s15
	s_and_saveexec_b32 s42, s15
	s_cbranch_execz .LBB9_85
; %bb.84:
	v_add_f64 v[9:10], v[11:12], -v[7:8]
	s_mov_b32 s16, 0x652b82fe
	s_mov_b32 s17, 0x3ff71547
	;; [unrolled: 1-line block ×10, first 2 shown]
	v_mul_f64 v[11:12], v[9:10], s[16:17]
	s_mov_b32 s17, 0xbfe62e42
	s_mov_b32 s16, 0xfefa39ef
	v_cmp_nlt_f64_e32 vcc_lo, 0x40900000, v[9:10]
	v_cmp_ngt_f64_e64 s15, 0xc090cc00, v[9:10]
	v_rndne_f64_e32 v[11:12], v[11:12]
	v_fma_f64 v[68:69], v[11:12], s[16:17], v[9:10]
	v_cvt_i32_f64_e32 v66, v[11:12]
	s_mov_b32 s17, 0x3fe62e42
	v_fma_f64 v[68:69], v[11:12], s[36:37], v[68:69]
	s_mov_b32 s37, 0x3c7abc9e
	v_fma_f64 v[70:71], v[68:69], s[44:45], s[38:39]
	s_mov_b32 s38, 0x623fde64
	s_mov_b32 s39, 0x3ec71dee
	;; [unrolled: 1-line block ×4, first 2 shown]
	v_fma_f64 v[70:71], v[68:69], v[70:71], s[38:39]
	s_mov_b32 s38, 0x7c89e6b0
	s_mov_b32 s39, 0x3efa0199
	v_fma_f64 v[70:71], v[68:69], v[70:71], s[38:39]
	s_mov_b32 s38, 0x14761f6e
	s_mov_b32 s39, 0x3f2a01a0
	;; [unrolled: 3-line block ×8, first 2 shown]
	v_fma_f64 v[70:71], v[68:69], v[70:71], 1.0
	v_fma_f64 v[11:12], v[68:69], v[70:71], 1.0
	v_ldexp_f64 v[11:12], v[11:12], v66
	v_cndmask_b32_e32 v12, 0x7ff00000, v12, vcc_lo
	s_and_b32 vcc_lo, s15, vcc_lo
	v_cndmask_b32_e32 v9, 0, v11, vcc_lo
	v_cndmask_b32_e64 v10, 0, v12, s15
	v_add_f64 v[11:12], v[9:10], 1.0
	v_cmp_neq_f64_e64 s15, 0x7ff00000, v[9:10]
	v_frexp_mant_f64_e32 v[68:69], v[11:12]
	v_frexp_exp_i32_f64_e32 v66, v[11:12]
	v_add_f64 v[70:71], v[11:12], -1.0
	v_cmp_gt_f64_e32 vcc_lo, s[38:39], v[68:69]
	s_mov_b32 s38, 0x55555780
	v_add_f64 v[68:69], v[70:71], -v[11:12]
	v_add_f64 v[70:71], v[9:10], -v[70:71]
	v_subrev_co_ci_u32_e64 v66, null, 0, v66, vcc_lo
	v_add_f64 v[68:69], v[68:69], 1.0
	v_cmp_nge_f64_e32 vcc_lo, -1.0, v[9:10]
	v_sub_nc_u32_e32 v74, 0, v66
	v_ldexp_f64 v[11:12], v[11:12], v74
	v_add_f64 v[68:69], v[70:71], v[68:69]
	s_and_b32 vcc_lo, vcc_lo, s15
	v_add_f64 v[72:73], v[11:12], 1.0
	v_add_f64 v[82:83], v[11:12], -1.0
	v_ldexp_f64 v[68:69], v[68:69], v74
	v_add_f64 v[70:71], v[72:73], -1.0
	v_add_f64 v[84:85], v[82:83], 1.0
	v_add_f64 v[70:71], v[11:12], -v[70:71]
	v_add_f64 v[11:12], v[11:12], -v[84:85]
	v_add_f64 v[70:71], v[68:69], v[70:71]
	v_add_f64 v[11:12], v[68:69], v[11:12]
	;; [unrolled: 1-line block ×4, first 2 shown]
	v_rcp_f64_e32 v[80:81], v[78:79]
	v_add_f64 v[72:73], v[78:79], -v[72:73]
	v_add_f64 v[82:83], v[84:85], -v[82:83]
	;; [unrolled: 1-line block ×3, first 2 shown]
	v_fma_f64 v[86:87], -v[78:79], v[80:81], 1.0
	v_add_f64 v[11:12], v[11:12], -v[82:83]
	v_fma_f64 v[80:81], v[86:87], v[80:81], v[80:81]
	v_fma_f64 v[68:69], -v[78:79], v[80:81], 1.0
	v_fma_f64 v[68:69], v[68:69], v[80:81], v[80:81]
	v_mul_f64 v[80:81], v[84:85], v[68:69]
	v_mul_f64 v[86:87], v[78:79], v[80:81]
	v_fma_f64 v[72:73], v[80:81], v[78:79], -v[86:87]
	v_fma_f64 v[72:73], v[80:81], v[70:71], v[72:73]
	v_add_f64 v[88:89], v[86:87], v[72:73]
	v_add_f64 v[90:91], v[84:85], -v[88:89]
	v_add_f64 v[82:83], v[88:89], -v[86:87]
	;; [unrolled: 1-line block ×5, first 2 shown]
	v_add_f64 v[11:12], v[11:12], v[84:85]
	v_add_f64 v[11:12], v[72:73], v[11:12]
	;; [unrolled: 1-line block ×3, first 2 shown]
	v_mul_f64 v[82:83], v[68:69], v[72:73]
	v_add_f64 v[88:89], v[90:91], -v[72:73]
	v_mul_f64 v[84:85], v[78:79], v[82:83]
	v_add_f64 v[11:12], v[11:12], v[88:89]
	v_fma_f64 v[78:79], v[82:83], v[78:79], -v[84:85]
	v_fma_f64 v[70:71], v[82:83], v[70:71], v[78:79]
	v_add_f64 v[78:79], v[84:85], v[70:71]
	v_add_f64 v[86:87], v[72:73], -v[78:79]
	v_add_f64 v[84:85], v[78:79], -v[84:85]
	;; [unrolled: 1-line block ×5, first 2 shown]
	v_add_f64 v[11:12], v[11:12], v[72:73]
	v_add_f64 v[72:73], v[80:81], v[82:83]
	;; [unrolled: 1-line block ×3, first 2 shown]
	v_add_f64 v[70:71], v[72:73], -v[80:81]
	v_add_f64 v[11:12], v[86:87], v[11:12]
	v_add_f64 v[70:71], v[82:83], -v[70:71]
	v_mul_f64 v[11:12], v[68:69], v[11:12]
	v_add_f64 v[11:12], v[70:71], v[11:12]
	v_add_f64 v[68:69], v[72:73], v[11:12]
	v_mul_f64 v[70:71], v[68:69], v[68:69]
	v_fma_f64 v[78:79], v[70:71], s[46:47], s[44:45]
	s_mov_b32 s44, 0xd7f4df2e
	s_mov_b32 s45, 0x3fc7474d
	v_mul_f64 v[80:81], v[68:69], v[70:71]
	v_fma_f64 v[78:79], v[70:71], v[78:79], s[44:45]
	s_mov_b32 s44, 0x16291751
	s_mov_b32 s45, 0x3fcc71c0
	v_fma_f64 v[78:79], v[70:71], v[78:79], s[44:45]
	s_mov_b32 s44, 0x9b27acf1
	s_mov_b32 s45, 0x3fd24924
	;; [unrolled: 3-line block ×3, first 2 shown]
	v_fma_f64 v[78:79], v[70:71], v[78:79], s[44:45]
	v_fma_f64 v[70:71], v[70:71], v[78:79], s[38:39]
	v_ldexp_f64 v[78:79], v[68:69], 1
	v_add_f64 v[68:69], v[68:69], -v[72:73]
	v_mul_f64 v[70:71], v[80:81], v[70:71]
	v_cvt_f64_i32_e32 v[80:81], v66
	v_add_f64 v[11:12], v[11:12], -v[68:69]
	v_add_f64 v[72:73], v[78:79], v[70:71]
	v_mul_f64 v[82:83], v[80:81], s[16:17]
	v_ldexp_f64 v[11:12], v[11:12], 1
	v_add_f64 v[68:69], v[72:73], -v[78:79]
	v_fma_f64 v[78:79], v[80:81], s[16:17], -v[82:83]
	v_cmp_ngt_f64_e64 s16, -1.0, v[9:10]
	v_add_f64 v[68:69], v[70:71], -v[68:69]
	v_fma_f64 v[70:71], v[80:81], s[36:37], v[78:79]
	v_add_f64 v[11:12], v[11:12], v[68:69]
	v_add_f64 v[68:69], v[82:83], v[70:71]
	;; [unrolled: 1-line block ×3, first 2 shown]
	v_add_f64 v[82:83], v[68:69], -v[82:83]
	v_add_f64 v[80:81], v[68:69], v[78:79]
	v_add_f64 v[72:73], v[78:79], -v[72:73]
	v_add_f64 v[70:71], v[70:71], -v[82:83]
	;; [unrolled: 1-line block ×6, first 2 shown]
	v_add_f64 v[78:79], v[70:71], v[11:12]
	v_add_f64 v[68:69], v[68:69], -v[86:87]
	v_add_f64 v[68:69], v[72:73], v[68:69]
	v_add_f64 v[72:73], v[78:79], -v[70:71]
	;; [unrolled: 2-line block ×3, first 2 shown]
	v_add_f64 v[11:12], v[11:12], -v[72:73]
	v_add_f64 v[82:83], v[80:81], v[68:69]
	v_add_f64 v[70:71], v[70:71], -v[78:79]
	v_add_f64 v[72:73], v[82:83], -v[80:81]
	v_add_f64 v[11:12], v[11:12], v[70:71]
	v_add_f64 v[68:69], v[68:69], -v[72:73]
	v_add_f64 v[11:12], v[11:12], v[68:69]
	v_add_f64 v[11:12], v[82:83], v[11:12]
	v_cndmask_b32_e32 v11, 0, v11, vcc_lo
	v_cmp_neq_f64_e32 vcc_lo, -1.0, v[9:10]
	v_cndmask_b32_e64 v12, 0x7ff00000, v12, s15
	v_cndmask_b32_e64 v12, 0x7ff80000, v12, s16
	v_cndmask_b32_e32 v12, 0xfff00000, v12, vcc_lo
	v_add_f64 v[9:10], v[7:8], v[11:12]
.LBB9_85:
	s_or_b32 exec_lo, exec_lo, s42
	v_mov_b32_e32 v7, v9
	v_mov_b32_e32 v11, v9
	;; [unrolled: 1-line block ×4, first 2 shown]
.LBB9_86:
	s_or_b32 exec_lo, exec_lo, s41
	v_mov_b32_dpp v9, v11 row_shr:2 row_mask:0xf bank_mask:0xf
	v_mov_b32_dpp v10, v12 row_shr:2 row_mask:0xf bank_mask:0xf
	s_mov_b32 s41, exec_lo
	v_cmpx_lt_u32_e32 1, v65
	s_cbranch_execz .LBB9_90
; %bb.87:
	v_max_f64 v[11:12], v[9:10], v[9:10]
	v_max_f64 v[65:66], v[7:8], v[7:8]
	v_cmp_u_f64_e32 vcc_lo, v[9:10], v[9:10]
	v_cmp_u_f64_e64 s15, v[7:8], v[7:8]
	v_min_f64 v[68:69], v[11:12], v[65:66]
	v_max_f64 v[11:12], v[11:12], v[65:66]
	v_cndmask_b32_e32 v65, v69, v10, vcc_lo
	v_cndmask_b32_e32 v66, v68, v9, vcc_lo
	;; [unrolled: 1-line block ×4, first 2 shown]
	v_cndmask_b32_e64 v12, v65, v8, s15
	v_cndmask_b32_e64 v11, v66, v7, s15
	v_cndmask_b32_e64 v8, v68, v8, s15
	v_cndmask_b32_e64 v7, v69, v7, s15
	v_cmp_class_f64_e64 s15, v[11:12], 0x1f8
	v_cmp_neq_f64_e32 vcc_lo, v[11:12], v[7:8]
	s_or_b32 s15, vcc_lo, s15
	s_and_saveexec_b32 s42, s15
	s_cbranch_execz .LBB9_89
; %bb.88:
	v_add_f64 v[9:10], v[11:12], -v[7:8]
	s_mov_b32 s16, 0x652b82fe
	s_mov_b32 s17, 0x3ff71547
	;; [unrolled: 1-line block ×10, first 2 shown]
	v_mul_f64 v[11:12], v[9:10], s[16:17]
	s_mov_b32 s17, 0xbfe62e42
	s_mov_b32 s16, 0xfefa39ef
	v_cmp_nlt_f64_e32 vcc_lo, 0x40900000, v[9:10]
	v_cmp_ngt_f64_e64 s15, 0xc090cc00, v[9:10]
	v_rndne_f64_e32 v[11:12], v[11:12]
	v_fma_f64 v[65:66], v[11:12], s[16:17], v[9:10]
	v_cvt_i32_f64_e32 v70, v[11:12]
	s_mov_b32 s17, 0x3fe62e42
	v_fma_f64 v[65:66], v[11:12], s[36:37], v[65:66]
	s_mov_b32 s37, 0x3c7abc9e
	v_fma_f64 v[68:69], v[65:66], s[44:45], s[38:39]
	s_mov_b32 s38, 0x623fde64
	s_mov_b32 s39, 0x3ec71dee
	s_mov_b32 s44, 0x6b47b09a
	s_mov_b32 s45, 0x3fc38538
	v_fma_f64 v[68:69], v[65:66], v[68:69], s[38:39]
	s_mov_b32 s38, 0x7c89e6b0
	s_mov_b32 s39, 0x3efa0199
	v_fma_f64 v[68:69], v[65:66], v[68:69], s[38:39]
	s_mov_b32 s38, 0x14761f6e
	s_mov_b32 s39, 0x3f2a01a0
	;; [unrolled: 3-line block ×8, first 2 shown]
	v_fma_f64 v[68:69], v[65:66], v[68:69], 1.0
	v_fma_f64 v[11:12], v[65:66], v[68:69], 1.0
	v_ldexp_f64 v[11:12], v[11:12], v70
	v_cndmask_b32_e32 v12, 0x7ff00000, v12, vcc_lo
	s_and_b32 vcc_lo, s15, vcc_lo
	v_cndmask_b32_e32 v9, 0, v11, vcc_lo
	v_cndmask_b32_e64 v10, 0, v12, s15
	v_add_f64 v[11:12], v[9:10], 1.0
	v_cmp_neq_f64_e64 s15, 0x7ff00000, v[9:10]
	v_frexp_mant_f64_e32 v[65:66], v[11:12]
	v_frexp_exp_i32_f64_e32 v70, v[11:12]
	v_add_f64 v[68:69], v[11:12], -1.0
	v_cmp_gt_f64_e32 vcc_lo, s[38:39], v[65:66]
	s_mov_b32 s38, 0x55555780
	v_add_f64 v[65:66], v[68:69], -v[11:12]
	v_add_f64 v[68:69], v[9:10], -v[68:69]
	v_subrev_co_ci_u32_e64 v74, null, 0, v70, vcc_lo
	v_add_f64 v[65:66], v[65:66], 1.0
	v_cmp_nge_f64_e32 vcc_lo, -1.0, v[9:10]
	v_sub_nc_u32_e32 v72, 0, v74
	v_ldexp_f64 v[11:12], v[11:12], v72
	v_add_f64 v[65:66], v[68:69], v[65:66]
	s_and_b32 vcc_lo, vcc_lo, s15
	v_add_f64 v[70:71], v[11:12], 1.0
	v_add_f64 v[80:81], v[11:12], -1.0
	v_ldexp_f64 v[65:66], v[65:66], v72
	v_add_f64 v[68:69], v[70:71], -1.0
	v_add_f64 v[82:83], v[80:81], 1.0
	v_add_f64 v[68:69], v[11:12], -v[68:69]
	v_add_f64 v[11:12], v[11:12], -v[82:83]
	v_add_f64 v[68:69], v[65:66], v[68:69]
	v_add_f64 v[11:12], v[65:66], v[11:12]
	;; [unrolled: 1-line block ×4, first 2 shown]
	v_rcp_f64_e32 v[78:79], v[72:73]
	v_add_f64 v[70:71], v[72:73], -v[70:71]
	v_add_f64 v[80:81], v[82:83], -v[80:81]
	;; [unrolled: 1-line block ×3, first 2 shown]
	v_fma_f64 v[84:85], -v[72:73], v[78:79], 1.0
	v_add_f64 v[11:12], v[11:12], -v[80:81]
	v_fma_f64 v[78:79], v[84:85], v[78:79], v[78:79]
	v_fma_f64 v[65:66], -v[72:73], v[78:79], 1.0
	v_fma_f64 v[65:66], v[65:66], v[78:79], v[78:79]
	v_mul_f64 v[78:79], v[82:83], v[65:66]
	v_mul_f64 v[84:85], v[72:73], v[78:79]
	v_fma_f64 v[70:71], v[78:79], v[72:73], -v[84:85]
	v_fma_f64 v[70:71], v[78:79], v[68:69], v[70:71]
	v_add_f64 v[86:87], v[84:85], v[70:71]
	v_add_f64 v[88:89], v[82:83], -v[86:87]
	v_add_f64 v[80:81], v[86:87], -v[84:85]
	;; [unrolled: 1-line block ×5, first 2 shown]
	v_add_f64 v[11:12], v[11:12], v[82:83]
	v_add_f64 v[11:12], v[70:71], v[11:12]
	;; [unrolled: 1-line block ×3, first 2 shown]
	v_mul_f64 v[80:81], v[65:66], v[70:71]
	v_add_f64 v[86:87], v[88:89], -v[70:71]
	v_mul_f64 v[82:83], v[72:73], v[80:81]
	v_add_f64 v[11:12], v[11:12], v[86:87]
	v_fma_f64 v[72:73], v[80:81], v[72:73], -v[82:83]
	v_fma_f64 v[68:69], v[80:81], v[68:69], v[72:73]
	v_add_f64 v[72:73], v[82:83], v[68:69]
	v_add_f64 v[84:85], v[70:71], -v[72:73]
	v_add_f64 v[82:83], v[72:73], -v[82:83]
	;; [unrolled: 1-line block ×5, first 2 shown]
	v_add_f64 v[11:12], v[11:12], v[70:71]
	v_add_f64 v[70:71], v[78:79], v[80:81]
	;; [unrolled: 1-line block ×3, first 2 shown]
	v_add_f64 v[68:69], v[70:71], -v[78:79]
	v_add_f64 v[11:12], v[84:85], v[11:12]
	v_add_f64 v[68:69], v[80:81], -v[68:69]
	v_mul_f64 v[11:12], v[65:66], v[11:12]
	v_add_f64 v[11:12], v[68:69], v[11:12]
	v_add_f64 v[65:66], v[70:71], v[11:12]
	v_mul_f64 v[68:69], v[65:66], v[65:66]
	v_fma_f64 v[72:73], v[68:69], s[46:47], s[44:45]
	s_mov_b32 s44, 0xd7f4df2e
	s_mov_b32 s45, 0x3fc7474d
	v_mul_f64 v[78:79], v[65:66], v[68:69]
	v_fma_f64 v[72:73], v[68:69], v[72:73], s[44:45]
	s_mov_b32 s44, 0x16291751
	s_mov_b32 s45, 0x3fcc71c0
	v_fma_f64 v[72:73], v[68:69], v[72:73], s[44:45]
	s_mov_b32 s44, 0x9b27acf1
	s_mov_b32 s45, 0x3fd24924
	;; [unrolled: 3-line block ×3, first 2 shown]
	v_fma_f64 v[72:73], v[68:69], v[72:73], s[44:45]
	v_fma_f64 v[68:69], v[68:69], v[72:73], s[38:39]
	v_ldexp_f64 v[72:73], v[65:66], 1
	v_add_f64 v[65:66], v[65:66], -v[70:71]
	v_mul_f64 v[68:69], v[78:79], v[68:69]
	v_cvt_f64_i32_e32 v[78:79], v74
	v_add_f64 v[11:12], v[11:12], -v[65:66]
	v_add_f64 v[70:71], v[72:73], v[68:69]
	v_mul_f64 v[80:81], v[78:79], s[16:17]
	v_ldexp_f64 v[11:12], v[11:12], 1
	v_add_f64 v[65:66], v[70:71], -v[72:73]
	v_fma_f64 v[72:73], v[78:79], s[16:17], -v[80:81]
	v_cmp_ngt_f64_e64 s16, -1.0, v[9:10]
	v_add_f64 v[65:66], v[68:69], -v[65:66]
	v_fma_f64 v[68:69], v[78:79], s[36:37], v[72:73]
	v_add_f64 v[11:12], v[11:12], v[65:66]
	v_add_f64 v[65:66], v[80:81], v[68:69]
	;; [unrolled: 1-line block ×3, first 2 shown]
	v_add_f64 v[80:81], v[65:66], -v[80:81]
	v_add_f64 v[78:79], v[65:66], v[72:73]
	v_add_f64 v[70:71], v[72:73], -v[70:71]
	v_add_f64 v[68:69], v[68:69], -v[80:81]
	;; [unrolled: 1-line block ×6, first 2 shown]
	v_add_f64 v[72:73], v[68:69], v[11:12]
	v_add_f64 v[65:66], v[65:66], -v[84:85]
	v_add_f64 v[65:66], v[70:71], v[65:66]
	v_add_f64 v[70:71], v[72:73], -v[68:69]
	;; [unrolled: 2-line block ×3, first 2 shown]
	v_add_f64 v[11:12], v[11:12], -v[70:71]
	v_add_f64 v[80:81], v[78:79], v[65:66]
	v_add_f64 v[68:69], v[68:69], -v[72:73]
	v_add_f64 v[70:71], v[80:81], -v[78:79]
	v_add_f64 v[11:12], v[11:12], v[68:69]
	v_add_f64 v[65:66], v[65:66], -v[70:71]
	v_add_f64 v[11:12], v[11:12], v[65:66]
	v_add_f64 v[11:12], v[80:81], v[11:12]
	v_cndmask_b32_e32 v11, 0, v11, vcc_lo
	v_cmp_neq_f64_e32 vcc_lo, -1.0, v[9:10]
	v_cndmask_b32_e64 v12, 0x7ff00000, v12, s15
	v_cndmask_b32_e64 v12, 0x7ff80000, v12, s16
	v_cndmask_b32_e32 v12, 0xfff00000, v12, vcc_lo
	v_add_f64 v[9:10], v[7:8], v[11:12]
.LBB9_89:
	s_or_b32 exec_lo, exec_lo, s42
	v_mov_b32_e32 v7, v9
	v_mov_b32_e32 v8, v10
.LBB9_90:
	s_or_b32 exec_lo, exec_lo, s41
	ds_write_b64 v75, v[7:8]
.LBB9_91:
	s_or_b32 exec_lo, exec_lo, s40
	s_mov_b32 s40, exec_lo
	v_cmp_gt_u32_e32 vcc_lo, 32, v0
	s_waitcnt lgkmcnt(0)
	s_barrier
	buffer_gl0_inv
                                        ; implicit-def: $vgpr65_vgpr66
	v_cmpx_lt_u32_e32 31, v0
	s_cbranch_execz .LBB9_95
; %bb.92:
	v_lshl_add_u32 v7, v67, 3, -8
	v_cmp_u_f64_e64 s16, v[5:6], v[5:6]
	ds_read_b64 v[65:66], v7
	v_max_f64 v[7:8], v[5:6], v[5:6]
	s_waitcnt lgkmcnt(0)
	v_max_f64 v[9:10], v[65:66], v[65:66]
	v_cmp_u_f64_e64 s15, v[65:66], v[65:66]
	v_min_f64 v[11:12], v[9:10], v[7:8]
	v_max_f64 v[7:8], v[9:10], v[7:8]
	v_cndmask_b32_e64 v9, v11, v65, s15
	v_cndmask_b32_e64 v10, v12, v66, s15
	;; [unrolled: 1-line block ×8, first 2 shown]
	v_mov_b32_e32 v5, v65
	v_mov_b32_e32 v6, v66
	v_cmp_class_f64_e64 s16, v[9:10], 0x1f8
	v_cmp_neq_f64_e64 s15, v[9:10], v[7:8]
	s_or_b32 s15, s15, s16
	s_and_saveexec_b32 s41, s15
	s_cbranch_execz .LBB9_94
; %bb.93:
	v_add_f64 v[5:6], v[9:10], -v[7:8]
	s_mov_b32 s16, 0x652b82fe
	s_mov_b32 s17, 0x3ff71547
	;; [unrolled: 1-line block ×10, first 2 shown]
	v_mul_f64 v[9:10], v[5:6], s[16:17]
	s_mov_b32 s16, 0xfca7ab0c
	s_mov_b32 s17, 0x3e928af3
	v_cmp_nlt_f64_e64 s15, 0x40900000, v[5:6]
	v_rndne_f64_e32 v[9:10], v[9:10]
	v_fma_f64 v[11:12], v[9:10], s[36:37], v[5:6]
	v_cvt_i32_f64_e32 v69, v[9:10]
	s_mov_b32 s37, 0x3fe62e42
	v_fma_f64 v[11:12], v[9:10], s[38:39], v[11:12]
	s_mov_b32 s39, 0x3c7abc9e
	v_fma_f64 v[67:68], v[11:12], s[42:43], s[16:17]
	s_mov_b32 s16, 0x623fde64
	s_mov_b32 s17, 0x3ec71dee
	;; [unrolled: 1-line block ×4, first 2 shown]
	v_fma_f64 v[67:68], v[11:12], v[67:68], s[16:17]
	s_mov_b32 s16, 0x7c89e6b0
	s_mov_b32 s17, 0x3efa0199
	v_fma_f64 v[67:68], v[11:12], v[67:68], s[16:17]
	s_mov_b32 s16, 0x14761f6e
	s_mov_b32 s17, 0x3f2a01a0
	;; [unrolled: 3-line block ×7, first 2 shown]
	v_fma_f64 v[67:68], v[11:12], v[67:68], s[16:17]
	v_cmp_ngt_f64_e64 s16, 0xc090cc00, v[5:6]
	s_mov_b32 s17, 0x3fe55555
	v_fma_f64 v[67:68], v[11:12], v[67:68], 1.0
	v_fma_f64 v[9:10], v[11:12], v[67:68], 1.0
	v_ldexp_f64 v[9:10], v[9:10], v69
	v_cndmask_b32_e64 v10, 0x7ff00000, v10, s15
	s_and_b32 s15, s16, s15
	v_cndmask_b32_e64 v5, 0, v9, s15
	v_cndmask_b32_e64 v6, 0, v10, s16
	s_mov_b32 s16, 0x55555555
	v_add_f64 v[9:10], v[5:6], 1.0
	v_frexp_mant_f64_e32 v[11:12], v[9:10]
	v_frexp_exp_i32_f64_e32 v69, v[9:10]
	v_add_f64 v[67:68], v[9:10], -1.0
	v_cmp_gt_f64_e64 s15, s[16:17], v[11:12]
	s_mov_b32 s16, 0x55555780
	v_add_f64 v[11:12], v[67:68], -v[9:10]
	v_add_f64 v[67:68], v[5:6], -v[67:68]
	v_subrev_co_ci_u32_e64 v88, null, 0, v69, s15
	v_add_f64 v[11:12], v[11:12], 1.0
	v_cmp_nge_f64_e64 s15, -1.0, v[5:6]
	v_sub_nc_u32_e32 v71, 0, v88
	v_ldexp_f64 v[9:10], v[9:10], v71
	v_add_f64 v[11:12], v[67:68], v[11:12]
	v_add_f64 v[69:70], v[9:10], 1.0
	v_add_f64 v[78:79], v[9:10], -1.0
	v_ldexp_f64 v[11:12], v[11:12], v71
	v_add_f64 v[67:68], v[69:70], -1.0
	v_add_f64 v[80:81], v[78:79], 1.0
	v_add_f64 v[67:68], v[9:10], -v[67:68]
	v_add_f64 v[9:10], v[9:10], -v[80:81]
	v_add_f64 v[67:68], v[11:12], v[67:68]
	v_add_f64 v[9:10], v[11:12], v[9:10]
	;; [unrolled: 1-line block ×4, first 2 shown]
	v_rcp_f64_e32 v[73:74], v[71:72]
	v_add_f64 v[69:70], v[71:72], -v[69:70]
	v_add_f64 v[78:79], v[80:81], -v[78:79]
	;; [unrolled: 1-line block ×3, first 2 shown]
	v_fma_f64 v[82:83], -v[71:72], v[73:74], 1.0
	v_add_f64 v[9:10], v[9:10], -v[78:79]
	v_fma_f64 v[73:74], v[82:83], v[73:74], v[73:74]
	v_fma_f64 v[11:12], -v[71:72], v[73:74], 1.0
	v_fma_f64 v[11:12], v[11:12], v[73:74], v[73:74]
	v_mul_f64 v[73:74], v[80:81], v[11:12]
	v_mul_f64 v[82:83], v[71:72], v[73:74]
	v_fma_f64 v[69:70], v[73:74], v[71:72], -v[82:83]
	v_fma_f64 v[69:70], v[73:74], v[67:68], v[69:70]
	v_add_f64 v[84:85], v[82:83], v[69:70]
	v_add_f64 v[86:87], v[80:81], -v[84:85]
	v_add_f64 v[78:79], v[84:85], -v[82:83]
	v_add_f64 v[80:81], v[80:81], -v[86:87]
	v_add_f64 v[69:70], v[78:79], -v[69:70]
	v_add_f64 v[80:81], v[80:81], -v[84:85]
	v_add_f64 v[9:10], v[9:10], v[80:81]
	v_add_f64 v[9:10], v[69:70], v[9:10]
	;; [unrolled: 1-line block ×3, first 2 shown]
	v_mul_f64 v[78:79], v[11:12], v[69:70]
	v_add_f64 v[84:85], v[86:87], -v[69:70]
	v_mul_f64 v[80:81], v[71:72], v[78:79]
	v_add_f64 v[9:10], v[9:10], v[84:85]
	v_fma_f64 v[71:72], v[78:79], v[71:72], -v[80:81]
	v_fma_f64 v[67:68], v[78:79], v[67:68], v[71:72]
	v_add_f64 v[71:72], v[80:81], v[67:68]
	v_add_f64 v[82:83], v[69:70], -v[71:72]
	v_add_f64 v[80:81], v[71:72], -v[80:81]
	;; [unrolled: 1-line block ×5, first 2 shown]
	v_add_f64 v[9:10], v[9:10], v[69:70]
	v_add_f64 v[69:70], v[73:74], v[78:79]
	;; [unrolled: 1-line block ×3, first 2 shown]
	v_add_f64 v[67:68], v[69:70], -v[73:74]
	v_add_f64 v[9:10], v[82:83], v[9:10]
	v_add_f64 v[67:68], v[78:79], -v[67:68]
	v_mul_f64 v[9:10], v[11:12], v[9:10]
	v_add_f64 v[9:10], v[67:68], v[9:10]
	v_add_f64 v[11:12], v[69:70], v[9:10]
	v_mul_f64 v[67:68], v[11:12], v[11:12]
	v_fma_f64 v[71:72], v[67:68], s[44:45], s[42:43]
	s_mov_b32 s42, 0xd7f4df2e
	s_mov_b32 s43, 0x3fc7474d
	v_mul_f64 v[73:74], v[11:12], v[67:68]
	v_fma_f64 v[71:72], v[67:68], v[71:72], s[42:43]
	s_mov_b32 s42, 0x16291751
	s_mov_b32 s43, 0x3fcc71c0
	v_fma_f64 v[71:72], v[67:68], v[71:72], s[42:43]
	s_mov_b32 s42, 0x9b27acf1
	s_mov_b32 s43, 0x3fd24924
	;; [unrolled: 3-line block ×3, first 2 shown]
	v_fma_f64 v[71:72], v[67:68], v[71:72], s[42:43]
	v_fma_f64 v[67:68], v[67:68], v[71:72], s[16:17]
	v_ldexp_f64 v[71:72], v[11:12], 1
	v_add_f64 v[11:12], v[11:12], -v[69:70]
	v_cmp_neq_f64_e64 s16, 0x7ff00000, v[5:6]
	v_cmp_ngt_f64_e64 s17, -1.0, v[5:6]
	v_mul_f64 v[67:68], v[73:74], v[67:68]
	v_cvt_f64_i32_e32 v[73:74], v88
	v_add_f64 v[9:10], v[9:10], -v[11:12]
	s_and_b32 s15, s15, s16
	v_add_f64 v[69:70], v[71:72], v[67:68]
	v_mul_f64 v[78:79], v[73:74], s[36:37]
	v_ldexp_f64 v[9:10], v[9:10], 1
	v_add_f64 v[11:12], v[69:70], -v[71:72]
	v_fma_f64 v[71:72], v[73:74], s[36:37], -v[78:79]
	v_add_f64 v[11:12], v[67:68], -v[11:12]
	v_fma_f64 v[67:68], v[73:74], s[38:39], v[71:72]
	v_add_f64 v[9:10], v[9:10], v[11:12]
	v_add_f64 v[11:12], v[78:79], v[67:68]
	;; [unrolled: 1-line block ×3, first 2 shown]
	v_add_f64 v[78:79], v[11:12], -v[78:79]
	v_add_f64 v[73:74], v[11:12], v[71:72]
	v_add_f64 v[69:70], v[71:72], -v[69:70]
	v_add_f64 v[67:68], v[67:68], -v[78:79]
	;; [unrolled: 1-line block ×6, first 2 shown]
	v_add_f64 v[71:72], v[67:68], v[9:10]
	v_add_f64 v[11:12], v[11:12], -v[82:83]
	v_add_f64 v[11:12], v[69:70], v[11:12]
	v_add_f64 v[69:70], v[71:72], -v[67:68]
	;; [unrolled: 2-line block ×3, first 2 shown]
	v_add_f64 v[9:10], v[9:10], -v[69:70]
	v_add_f64 v[78:79], v[73:74], v[11:12]
	v_add_f64 v[67:68], v[67:68], -v[71:72]
	v_add_f64 v[69:70], v[78:79], -v[73:74]
	v_add_f64 v[9:10], v[9:10], v[67:68]
	v_add_f64 v[11:12], v[11:12], -v[69:70]
	v_add_f64 v[9:10], v[9:10], v[11:12]
	v_add_f64 v[9:10], v[78:79], v[9:10]
	v_cndmask_b32_e64 v9, 0, v9, s15
	v_cmp_neq_f64_e64 s15, -1.0, v[5:6]
	v_cndmask_b32_e64 v10, 0x7ff00000, v10, s16
	v_cndmask_b32_e64 v10, 0x7ff80000, v10, s17
	;; [unrolled: 1-line block ×3, first 2 shown]
	v_add_f64 v[5:6], v[7:8], v[9:10]
.LBB9_94:
	s_or_b32 exec_lo, exec_lo, s41
.LBB9_95:
	s_or_b32 exec_lo, exec_lo, s40
	v_sub_co_u32 v7, s15, v77, 1
	v_cmp_gt_i32_e64 s16, 0, v7
	v_cndmask_b32_e64 v7, v7, v77, s16
	v_lshlrev_b32_e32 v7, 2, v7
	ds_bpermute_b32 v78, v7, v5
	ds_bpermute_b32 v79, v7, v6
	s_and_saveexec_b32 s84, vcc_lo
	s_cbranch_execz .LBB9_159
; %bb.96:
	v_mov_b32_e32 v8, 0
	ds_read_b64 v[5:6], v8 offset:24
	s_and_saveexec_b32 s16, s15
	s_cbranch_execz .LBB9_98
; %bb.97:
	s_add_i32 s36, s6, 32
	s_mov_b32 s37, 0
	v_mov_b32_e32 v7, 1
	s_lshl_b64 s[36:37], s[36:37], 4
	s_add_u32 s36, s34, s36
	s_addc_u32 s37, s35, s37
	v_mov_b32_e32 v9, s36
	v_mov_b32_e32 v10, s37
	s_waitcnt lgkmcnt(0)
	;;#ASMSTART
	global_store_dwordx4 v[9:10], v[5:8] off	
s_waitcnt vmcnt(0)
	;;#ASMEND
.LBB9_98:
	s_or_b32 exec_lo, exec_lo, s16
	v_xad_u32 v67, v77, -1, s6
	s_mov_b32 s17, 0
	v_add_nc_u32_e32 v7, 32, v67
	v_lshlrev_b64 v[9:10], 4, v[7:8]
	v_add_co_u32 v68, vcc_lo, s34, v9
	v_add_co_ci_u32_e64 v69, null, s35, v10, vcc_lo
	;;#ASMSTART
	global_load_dwordx4 v[9:12], v[68:69] off glc dlc	
s_waitcnt vmcnt(0)
	;;#ASMEND
	v_cmp_eq_u16_sdwa s36, v11, v8 src0_sel:BYTE_0 src1_sel:DWORD
	s_and_saveexec_b32 s16, s36
	s_cbranch_execz .LBB9_102
; %bb.99:
	v_mov_b32_e32 v7, 0
.LBB9_100:                              ; =>This Inner Loop Header: Depth=1
	;;#ASMSTART
	global_load_dwordx4 v[9:12], v[68:69] off glc dlc	
s_waitcnt vmcnt(0)
	;;#ASMEND
	v_cmp_ne_u16_sdwa s36, v11, v7 src0_sel:BYTE_0 src1_sel:DWORD
	s_or_b32 s17, s36, s17
	s_andn2_b32 exec_lo, exec_lo, s17
	s_cbranch_execnz .LBB9_100
; %bb.101:
	s_or_b32 exec_lo, exec_lo, s17
.LBB9_102:
	s_or_b32 exec_lo, exec_lo, s16
	v_cmp_ne_u32_e32 vcc_lo, 31, v77
	v_mov_b32_e32 v8, 2
	v_lshlrev_b32_e64 v81, v77, -1
	s_mov_b32 s40, exec_lo
	v_add_co_ci_u32_e64 v7, null, 0, v77, vcc_lo
	v_cmp_eq_u16_sdwa s16, v11, v8 src0_sel:BYTE_0 src1_sel:DWORD
	v_lshlrev_b32_e32 v80, 2, v7
	v_and_or_b32 v7, s16, v81, 0x80000000
	ds_bpermute_b32 v68, v80, v9
	ds_bpermute_b32 v69, v80, v10
	v_ffbl_b32_e32 v12, v7
	v_mov_b32_e32 v7, v9
	v_mov_b32_e32 v8, v10
	v_cmpx_lt_u32_e64 v77, v12
	s_cbranch_execz .LBB9_106
; %bb.103:
	s_waitcnt lgkmcnt(0)
	v_max_f64 v[7:8], v[68:69], v[68:69]
	v_max_f64 v[70:71], v[9:10], v[9:10]
	v_cmp_u_f64_e32 vcc_lo, v[68:69], v[68:69]
	v_cmp_u_f64_e64 s16, v[9:10], v[9:10]
	v_min_f64 v[72:73], v[7:8], v[70:71]
	v_max_f64 v[7:8], v[7:8], v[70:71]
	v_cndmask_b32_e32 v70, v73, v69, vcc_lo
	v_cndmask_b32_e32 v72, v72, v68, vcc_lo
	;; [unrolled: 1-line block ×4, first 2 shown]
	v_cndmask_b32_e64 v71, v70, v10, s16
	v_cndmask_b32_e64 v70, v72, v9, s16
	;; [unrolled: 1-line block ×4, first 2 shown]
	v_cmp_class_f64_e64 s16, v[70:71], 0x1f8
	v_cmp_neq_f64_e32 vcc_lo, v[70:71], v[7:8]
	s_or_b32 s16, vcc_lo, s16
	s_and_saveexec_b32 s41, s16
	s_cbranch_execz .LBB9_105
; %bb.104:
	v_add_f64 v[9:10], v[70:71], -v[7:8]
	s_mov_b32 s16, 0x652b82fe
	s_mov_b32 s17, 0x3ff71547
	s_mov_b32 s37, 0xbfe62e42
	s_mov_b32 s36, 0xfefa39ef
	s_mov_b32 s39, 0xbc7abc9e
	s_mov_b32 s38, 0x3b39803f
	s_mov_b32 s42, 0x6a5dcb37
	s_mov_b32 s43, 0x3e5ade15
	s_mov_b32 s44, 0xbf559e2b
	s_mov_b32 s45, 0x3fc3ab76
	v_mul_f64 v[68:69], v[9:10], s[16:17]
	s_mov_b32 s16, 0xfca7ab0c
	s_mov_b32 s17, 0x3e928af3
	v_cmp_nlt_f64_e32 vcc_lo, 0x40900000, v[9:10]
	v_rndne_f64_e32 v[68:69], v[68:69]
	v_fma_f64 v[70:71], v[68:69], s[36:37], v[9:10]
	v_cvt_i32_f64_e32 v74, v[68:69]
	s_mov_b32 s37, 0x3fe62e42
	v_fma_f64 v[70:71], v[68:69], s[38:39], v[70:71]
	s_mov_b32 s39, 0x3c7abc9e
	v_fma_f64 v[72:73], v[70:71], s[42:43], s[16:17]
	s_mov_b32 s16, 0x623fde64
	s_mov_b32 s17, 0x3ec71dee
	;; [unrolled: 1-line block ×4, first 2 shown]
	v_fma_f64 v[72:73], v[70:71], v[72:73], s[16:17]
	s_mov_b32 s16, 0x7c89e6b0
	s_mov_b32 s17, 0x3efa0199
	v_fma_f64 v[72:73], v[70:71], v[72:73], s[16:17]
	s_mov_b32 s16, 0x14761f6e
	s_mov_b32 s17, 0x3f2a01a0
	;; [unrolled: 3-line block ×7, first 2 shown]
	v_fma_f64 v[72:73], v[70:71], v[72:73], s[16:17]
	v_cmp_ngt_f64_e64 s16, 0xc090cc00, v[9:10]
	s_mov_b32 s17, 0x3fe55555
	v_fma_f64 v[72:73], v[70:71], v[72:73], 1.0
	v_fma_f64 v[68:69], v[70:71], v[72:73], 1.0
	v_ldexp_f64 v[68:69], v[68:69], v74
	v_cndmask_b32_e32 v69, 0x7ff00000, v69, vcc_lo
	s_and_b32 vcc_lo, s16, vcc_lo
	v_cndmask_b32_e32 v9, 0, v68, vcc_lo
	v_cndmask_b32_e64 v10, 0, v69, s16
	s_mov_b32 s16, 0x55555555
	v_add_f64 v[68:69], v[9:10], 1.0
	v_frexp_mant_f64_e32 v[70:71], v[68:69]
	v_frexp_exp_i32_f64_e32 v74, v[68:69]
	v_add_f64 v[72:73], v[68:69], -1.0
	v_cmp_gt_f64_e32 vcc_lo, s[16:17], v[70:71]
	s_mov_b32 s16, 0x55555780
	v_add_f64 v[70:71], v[72:73], -v[68:69]
	v_add_f64 v[72:73], v[9:10], -v[72:73]
	v_subrev_co_ci_u32_e64 v74, null, 0, v74, vcc_lo
	v_add_f64 v[70:71], v[70:71], 1.0
	v_cmp_nge_f64_e32 vcc_lo, -1.0, v[9:10]
	v_sub_nc_u32_e32 v84, 0, v74
	v_ldexp_f64 v[68:69], v[68:69], v84
	v_add_f64 v[70:71], v[72:73], v[70:71]
	v_add_f64 v[82:83], v[68:69], 1.0
	v_add_f64 v[88:89], v[68:69], -1.0
	v_ldexp_f64 v[70:71], v[70:71], v84
	v_add_f64 v[72:73], v[82:83], -1.0
	v_add_f64 v[90:91], v[88:89], 1.0
	v_add_f64 v[72:73], v[68:69], -v[72:73]
	v_add_f64 v[68:69], v[68:69], -v[90:91]
	v_add_f64 v[72:73], v[70:71], v[72:73]
	v_add_f64 v[68:69], v[70:71], v[68:69]
	;; [unrolled: 1-line block ×4, first 2 shown]
	v_rcp_f64_e32 v[86:87], v[84:85]
	v_add_f64 v[82:83], v[84:85], -v[82:83]
	v_add_f64 v[88:89], v[90:91], -v[88:89]
	;; [unrolled: 1-line block ×3, first 2 shown]
	v_fma_f64 v[92:93], -v[84:85], v[86:87], 1.0
	v_add_f64 v[68:69], v[68:69], -v[88:89]
	v_fma_f64 v[86:87], v[92:93], v[86:87], v[86:87]
	v_fma_f64 v[70:71], -v[84:85], v[86:87], 1.0
	v_fma_f64 v[70:71], v[70:71], v[86:87], v[86:87]
	v_mul_f64 v[86:87], v[90:91], v[70:71]
	v_mul_f64 v[92:93], v[84:85], v[86:87]
	v_fma_f64 v[82:83], v[86:87], v[84:85], -v[92:93]
	v_fma_f64 v[82:83], v[86:87], v[72:73], v[82:83]
	v_add_f64 v[94:95], v[92:93], v[82:83]
	v_add_f64 v[96:97], v[90:91], -v[94:95]
	v_add_f64 v[88:89], v[94:95], -v[92:93]
	v_add_f64 v[90:91], v[90:91], -v[96:97]
	v_add_f64 v[82:83], v[88:89], -v[82:83]
	v_add_f64 v[90:91], v[90:91], -v[94:95]
	v_add_f64 v[68:69], v[68:69], v[90:91]
	v_add_f64 v[68:69], v[82:83], v[68:69]
	;; [unrolled: 1-line block ×3, first 2 shown]
	v_mul_f64 v[88:89], v[70:71], v[82:83]
	v_add_f64 v[94:95], v[96:97], -v[82:83]
	v_mul_f64 v[90:91], v[84:85], v[88:89]
	v_add_f64 v[68:69], v[68:69], v[94:95]
	v_fma_f64 v[84:85], v[88:89], v[84:85], -v[90:91]
	v_fma_f64 v[72:73], v[88:89], v[72:73], v[84:85]
	v_add_f64 v[84:85], v[90:91], v[72:73]
	v_add_f64 v[92:93], v[82:83], -v[84:85]
	v_add_f64 v[90:91], v[84:85], -v[90:91]
	;; [unrolled: 1-line block ×5, first 2 shown]
	v_add_f64 v[68:69], v[68:69], v[82:83]
	v_add_f64 v[82:83], v[86:87], v[88:89]
	;; [unrolled: 1-line block ×3, first 2 shown]
	v_add_f64 v[72:73], v[82:83], -v[86:87]
	v_add_f64 v[68:69], v[92:93], v[68:69]
	v_add_f64 v[72:73], v[88:89], -v[72:73]
	v_mul_f64 v[68:69], v[70:71], v[68:69]
	v_add_f64 v[68:69], v[72:73], v[68:69]
	v_add_f64 v[70:71], v[82:83], v[68:69]
	v_mul_f64 v[72:73], v[70:71], v[70:71]
	v_fma_f64 v[84:85], v[72:73], s[44:45], s[42:43]
	s_mov_b32 s42, 0xd7f4df2e
	s_mov_b32 s43, 0x3fc7474d
	v_mul_f64 v[86:87], v[70:71], v[72:73]
	v_fma_f64 v[84:85], v[72:73], v[84:85], s[42:43]
	s_mov_b32 s42, 0x16291751
	s_mov_b32 s43, 0x3fcc71c0
	v_fma_f64 v[84:85], v[72:73], v[84:85], s[42:43]
	s_mov_b32 s42, 0x9b27acf1
	s_mov_b32 s43, 0x3fd24924
	;; [unrolled: 3-line block ×3, first 2 shown]
	v_fma_f64 v[84:85], v[72:73], v[84:85], s[42:43]
	v_fma_f64 v[72:73], v[72:73], v[84:85], s[16:17]
	v_ldexp_f64 v[84:85], v[70:71], 1
	v_add_f64 v[70:71], v[70:71], -v[82:83]
	v_cmp_neq_f64_e64 s16, 0x7ff00000, v[9:10]
	v_cmp_ngt_f64_e64 s17, -1.0, v[9:10]
	v_mul_f64 v[72:73], v[86:87], v[72:73]
	v_cvt_f64_i32_e32 v[86:87], v74
	v_add_f64 v[68:69], v[68:69], -v[70:71]
	s_and_b32 vcc_lo, vcc_lo, s16
	v_add_f64 v[82:83], v[84:85], v[72:73]
	v_mul_f64 v[88:89], v[86:87], s[36:37]
	v_ldexp_f64 v[68:69], v[68:69], 1
	v_add_f64 v[70:71], v[82:83], -v[84:85]
	v_fma_f64 v[84:85], v[86:87], s[36:37], -v[88:89]
	v_add_f64 v[70:71], v[72:73], -v[70:71]
	v_fma_f64 v[72:73], v[86:87], s[38:39], v[84:85]
	v_add_f64 v[68:69], v[68:69], v[70:71]
	v_add_f64 v[70:71], v[88:89], v[72:73]
	;; [unrolled: 1-line block ×3, first 2 shown]
	v_add_f64 v[88:89], v[70:71], -v[88:89]
	v_add_f64 v[86:87], v[70:71], v[84:85]
	v_add_f64 v[82:83], v[84:85], -v[82:83]
	v_add_f64 v[72:73], v[72:73], -v[88:89]
	;; [unrolled: 1-line block ×6, first 2 shown]
	v_add_f64 v[84:85], v[72:73], v[68:69]
	v_add_f64 v[70:71], v[70:71], -v[92:93]
	v_add_f64 v[70:71], v[82:83], v[70:71]
	v_add_f64 v[82:83], v[84:85], -v[72:73]
	;; [unrolled: 2-line block ×3, first 2 shown]
	v_add_f64 v[68:69], v[68:69], -v[82:83]
	v_add_f64 v[88:89], v[86:87], v[70:71]
	v_add_f64 v[72:73], v[72:73], -v[84:85]
	v_add_f64 v[82:83], v[88:89], -v[86:87]
	v_add_f64 v[68:69], v[68:69], v[72:73]
	v_add_f64 v[70:71], v[70:71], -v[82:83]
	v_add_f64 v[68:69], v[68:69], v[70:71]
	v_add_f64 v[68:69], v[88:89], v[68:69]
	v_cndmask_b32_e32 v68, 0, v68, vcc_lo
	v_cmp_neq_f64_e32 vcc_lo, -1.0, v[9:10]
	v_cndmask_b32_e64 v69, 0x7ff00000, v69, s16
	v_cndmask_b32_e64 v69, 0x7ff80000, v69, s17
	v_cndmask_b32_e32 v69, 0xfff00000, v69, vcc_lo
	v_add_f64 v[68:69], v[7:8], v[68:69]
.LBB9_105:
	s_or_b32 exec_lo, exec_lo, s41
	v_mov_b32_e32 v7, v68
	v_mov_b32_e32 v9, v68
	;; [unrolled: 1-line block ×4, first 2 shown]
.LBB9_106:
	s_or_b32 exec_lo, exec_lo, s40
	v_cmp_gt_u32_e32 vcc_lo, 30, v77
	v_add_nc_u32_e32 v83, 2, v77
	s_mov_b32 s40, exec_lo
	s_waitcnt lgkmcnt(1)
	v_cndmask_b32_e64 v68, 0, 2, vcc_lo
	v_add_lshl_u32 v82, v68, v77, 2
	ds_bpermute_b32 v68, v82, v9
	s_waitcnt lgkmcnt(1)
	ds_bpermute_b32 v69, v82, v10
	v_cmpx_le_u32_e64 v83, v12
	s_cbranch_execz .LBB9_110
; %bb.107:
	s_waitcnt lgkmcnt(0)
	v_max_f64 v[9:10], v[68:69], v[68:69]
	v_max_f64 v[70:71], v[7:8], v[7:8]
	v_cmp_u_f64_e32 vcc_lo, v[68:69], v[68:69]
	v_cmp_u_f64_e64 s16, v[7:8], v[7:8]
	v_min_f64 v[72:73], v[9:10], v[70:71]
	v_max_f64 v[9:10], v[9:10], v[70:71]
	v_cndmask_b32_e32 v70, v73, v69, vcc_lo
	v_cndmask_b32_e32 v71, v72, v68, vcc_lo
	;; [unrolled: 1-line block ×4, first 2 shown]
	v_cndmask_b32_e64 v10, v70, v8, s16
	v_cndmask_b32_e64 v9, v71, v7, s16
	;; [unrolled: 1-line block ×4, first 2 shown]
	v_cmp_class_f64_e64 s16, v[9:10], 0x1f8
	v_cmp_neq_f64_e32 vcc_lo, v[9:10], v[7:8]
	s_or_b32 s16, vcc_lo, s16
	s_and_saveexec_b32 s41, s16
	s_cbranch_execz .LBB9_109
; %bb.108:
	v_add_f64 v[9:10], v[9:10], -v[7:8]
	s_mov_b32 s16, 0x652b82fe
	s_mov_b32 s17, 0x3ff71547
	;; [unrolled: 1-line block ×10, first 2 shown]
	v_mul_f64 v[68:69], v[9:10], s[16:17]
	s_mov_b32 s16, 0xfca7ab0c
	s_mov_b32 s17, 0x3e928af3
	v_cmp_nlt_f64_e32 vcc_lo, 0x40900000, v[9:10]
	v_rndne_f64_e32 v[68:69], v[68:69]
	v_fma_f64 v[70:71], v[68:69], s[36:37], v[9:10]
	v_cvt_i32_f64_e32 v74, v[68:69]
	s_mov_b32 s37, 0x3fe62e42
	v_fma_f64 v[70:71], v[68:69], s[38:39], v[70:71]
	s_mov_b32 s39, 0x3c7abc9e
	v_fma_f64 v[72:73], v[70:71], s[42:43], s[16:17]
	s_mov_b32 s16, 0x623fde64
	s_mov_b32 s17, 0x3ec71dee
	;; [unrolled: 1-line block ×4, first 2 shown]
	v_fma_f64 v[72:73], v[70:71], v[72:73], s[16:17]
	s_mov_b32 s16, 0x7c89e6b0
	s_mov_b32 s17, 0x3efa0199
	v_fma_f64 v[72:73], v[70:71], v[72:73], s[16:17]
	s_mov_b32 s16, 0x14761f6e
	s_mov_b32 s17, 0x3f2a01a0
	;; [unrolled: 3-line block ×7, first 2 shown]
	v_fma_f64 v[72:73], v[70:71], v[72:73], s[16:17]
	v_cmp_ngt_f64_e64 s16, 0xc090cc00, v[9:10]
	s_mov_b32 s17, 0x3fe55555
	v_fma_f64 v[72:73], v[70:71], v[72:73], 1.0
	v_fma_f64 v[68:69], v[70:71], v[72:73], 1.0
	v_ldexp_f64 v[68:69], v[68:69], v74
	v_cndmask_b32_e32 v69, 0x7ff00000, v69, vcc_lo
	s_and_b32 vcc_lo, s16, vcc_lo
	v_cndmask_b32_e32 v9, 0, v68, vcc_lo
	v_cndmask_b32_e64 v10, 0, v69, s16
	s_mov_b32 s16, 0x55555555
	v_add_f64 v[68:69], v[9:10], 1.0
	v_frexp_mant_f64_e32 v[70:71], v[68:69]
	v_frexp_exp_i32_f64_e32 v74, v[68:69]
	v_add_f64 v[72:73], v[68:69], -1.0
	v_cmp_gt_f64_e32 vcc_lo, s[16:17], v[70:71]
	s_mov_b32 s16, 0x55555780
	v_add_f64 v[70:71], v[72:73], -v[68:69]
	v_add_f64 v[72:73], v[9:10], -v[72:73]
	v_subrev_co_ci_u32_e64 v74, null, 0, v74, vcc_lo
	v_add_f64 v[70:71], v[70:71], 1.0
	v_cmp_nge_f64_e32 vcc_lo, -1.0, v[9:10]
	v_sub_nc_u32_e32 v86, 0, v74
	v_ldexp_f64 v[68:69], v[68:69], v86
	v_add_f64 v[70:71], v[72:73], v[70:71]
	v_add_f64 v[84:85], v[68:69], 1.0
	v_add_f64 v[90:91], v[68:69], -1.0
	v_ldexp_f64 v[70:71], v[70:71], v86
	v_add_f64 v[72:73], v[84:85], -1.0
	v_add_f64 v[92:93], v[90:91], 1.0
	v_add_f64 v[72:73], v[68:69], -v[72:73]
	v_add_f64 v[68:69], v[68:69], -v[92:93]
	v_add_f64 v[72:73], v[70:71], v[72:73]
	v_add_f64 v[68:69], v[70:71], v[68:69]
	;; [unrolled: 1-line block ×4, first 2 shown]
	v_rcp_f64_e32 v[88:89], v[86:87]
	v_add_f64 v[84:85], v[86:87], -v[84:85]
	v_add_f64 v[90:91], v[92:93], -v[90:91]
	;; [unrolled: 1-line block ×3, first 2 shown]
	v_fma_f64 v[94:95], -v[86:87], v[88:89], 1.0
	v_add_f64 v[68:69], v[68:69], -v[90:91]
	v_fma_f64 v[88:89], v[94:95], v[88:89], v[88:89]
	v_fma_f64 v[70:71], -v[86:87], v[88:89], 1.0
	v_fma_f64 v[70:71], v[70:71], v[88:89], v[88:89]
	v_mul_f64 v[88:89], v[92:93], v[70:71]
	v_mul_f64 v[94:95], v[86:87], v[88:89]
	v_fma_f64 v[84:85], v[88:89], v[86:87], -v[94:95]
	v_fma_f64 v[84:85], v[88:89], v[72:73], v[84:85]
	v_add_f64 v[96:97], v[94:95], v[84:85]
	v_add_f64 v[98:99], v[92:93], -v[96:97]
	v_add_f64 v[90:91], v[96:97], -v[94:95]
	;; [unrolled: 1-line block ×5, first 2 shown]
	v_add_f64 v[68:69], v[68:69], v[92:93]
	v_add_f64 v[68:69], v[84:85], v[68:69]
	;; [unrolled: 1-line block ×3, first 2 shown]
	v_mul_f64 v[90:91], v[70:71], v[84:85]
	v_add_f64 v[96:97], v[98:99], -v[84:85]
	v_mul_f64 v[92:93], v[86:87], v[90:91]
	v_add_f64 v[68:69], v[68:69], v[96:97]
	v_fma_f64 v[86:87], v[90:91], v[86:87], -v[92:93]
	v_fma_f64 v[72:73], v[90:91], v[72:73], v[86:87]
	v_add_f64 v[86:87], v[92:93], v[72:73]
	v_add_f64 v[94:95], v[84:85], -v[86:87]
	v_add_f64 v[92:93], v[86:87], -v[92:93]
	;; [unrolled: 1-line block ×5, first 2 shown]
	v_add_f64 v[68:69], v[68:69], v[84:85]
	v_add_f64 v[84:85], v[88:89], v[90:91]
	;; [unrolled: 1-line block ×3, first 2 shown]
	v_add_f64 v[72:73], v[84:85], -v[88:89]
	v_add_f64 v[68:69], v[94:95], v[68:69]
	v_add_f64 v[72:73], v[90:91], -v[72:73]
	v_mul_f64 v[68:69], v[70:71], v[68:69]
	v_add_f64 v[68:69], v[72:73], v[68:69]
	v_add_f64 v[70:71], v[84:85], v[68:69]
	v_mul_f64 v[72:73], v[70:71], v[70:71]
	v_fma_f64 v[86:87], v[72:73], s[44:45], s[42:43]
	s_mov_b32 s42, 0xd7f4df2e
	s_mov_b32 s43, 0x3fc7474d
	v_mul_f64 v[88:89], v[70:71], v[72:73]
	v_fma_f64 v[86:87], v[72:73], v[86:87], s[42:43]
	s_mov_b32 s42, 0x16291751
	s_mov_b32 s43, 0x3fcc71c0
	v_fma_f64 v[86:87], v[72:73], v[86:87], s[42:43]
	s_mov_b32 s42, 0x9b27acf1
	s_mov_b32 s43, 0x3fd24924
	;; [unrolled: 3-line block ×3, first 2 shown]
	v_fma_f64 v[86:87], v[72:73], v[86:87], s[42:43]
	v_fma_f64 v[72:73], v[72:73], v[86:87], s[16:17]
	v_ldexp_f64 v[86:87], v[70:71], 1
	v_add_f64 v[70:71], v[70:71], -v[84:85]
	v_cmp_neq_f64_e64 s16, 0x7ff00000, v[9:10]
	v_cmp_ngt_f64_e64 s17, -1.0, v[9:10]
	v_mul_f64 v[72:73], v[88:89], v[72:73]
	v_cvt_f64_i32_e32 v[88:89], v74
	v_add_f64 v[68:69], v[68:69], -v[70:71]
	s_and_b32 vcc_lo, vcc_lo, s16
	v_add_f64 v[84:85], v[86:87], v[72:73]
	v_mul_f64 v[90:91], v[88:89], s[36:37]
	v_ldexp_f64 v[68:69], v[68:69], 1
	v_add_f64 v[70:71], v[84:85], -v[86:87]
	v_fma_f64 v[86:87], v[88:89], s[36:37], -v[90:91]
	v_add_f64 v[70:71], v[72:73], -v[70:71]
	v_fma_f64 v[72:73], v[88:89], s[38:39], v[86:87]
	v_add_f64 v[68:69], v[68:69], v[70:71]
	v_add_f64 v[70:71], v[90:91], v[72:73]
	;; [unrolled: 1-line block ×3, first 2 shown]
	v_add_f64 v[90:91], v[70:71], -v[90:91]
	v_add_f64 v[88:89], v[70:71], v[86:87]
	v_add_f64 v[84:85], v[86:87], -v[84:85]
	v_add_f64 v[72:73], v[72:73], -v[90:91]
	v_add_f64 v[92:93], v[88:89], -v[70:71]
	v_add_f64 v[68:69], v[68:69], -v[84:85]
	v_add_f64 v[94:95], v[88:89], -v[92:93]
	v_add_f64 v[84:85], v[86:87], -v[92:93]
	v_add_f64 v[86:87], v[72:73], v[68:69]
	v_add_f64 v[70:71], v[70:71], -v[94:95]
	v_add_f64 v[70:71], v[84:85], v[70:71]
	v_add_f64 v[84:85], v[86:87], -v[72:73]
	;; [unrolled: 2-line block ×3, first 2 shown]
	v_add_f64 v[68:69], v[68:69], -v[84:85]
	v_add_f64 v[90:91], v[88:89], v[70:71]
	v_add_f64 v[72:73], v[72:73], -v[86:87]
	v_add_f64 v[84:85], v[90:91], -v[88:89]
	v_add_f64 v[68:69], v[68:69], v[72:73]
	v_add_f64 v[70:71], v[70:71], -v[84:85]
	v_add_f64 v[68:69], v[68:69], v[70:71]
	v_add_f64 v[68:69], v[90:91], v[68:69]
	v_cndmask_b32_e32 v68, 0, v68, vcc_lo
	v_cmp_neq_f64_e32 vcc_lo, -1.0, v[9:10]
	v_cndmask_b32_e64 v69, 0x7ff00000, v69, s16
	v_cndmask_b32_e64 v69, 0x7ff80000, v69, s17
	v_cndmask_b32_e32 v69, 0xfff00000, v69, vcc_lo
	v_add_f64 v[68:69], v[7:8], v[68:69]
.LBB9_109:
	s_or_b32 exec_lo, exec_lo, s41
	v_mov_b32_e32 v7, v68
	v_mov_b32_e32 v9, v68
	;; [unrolled: 1-line block ×4, first 2 shown]
.LBB9_110:
	s_or_b32 exec_lo, exec_lo, s40
	v_cmp_gt_u32_e32 vcc_lo, 28, v77
	v_add_nc_u32_e32 v85, 4, v77
	s_mov_b32 s40, exec_lo
	s_waitcnt lgkmcnt(1)
	v_cndmask_b32_e64 v68, 0, 4, vcc_lo
	v_add_lshl_u32 v84, v68, v77, 2
	ds_bpermute_b32 v68, v84, v9
	s_waitcnt lgkmcnt(1)
	ds_bpermute_b32 v69, v84, v10
	v_cmpx_le_u32_e64 v85, v12
	s_cbranch_execz .LBB9_114
; %bb.111:
	s_waitcnt lgkmcnt(0)
	v_max_f64 v[9:10], v[68:69], v[68:69]
	v_max_f64 v[70:71], v[7:8], v[7:8]
	v_cmp_u_f64_e32 vcc_lo, v[68:69], v[68:69]
	v_cmp_u_f64_e64 s16, v[7:8], v[7:8]
	v_min_f64 v[72:73], v[9:10], v[70:71]
	v_max_f64 v[9:10], v[9:10], v[70:71]
	v_cndmask_b32_e32 v70, v73, v69, vcc_lo
	v_cndmask_b32_e32 v71, v72, v68, vcc_lo
	;; [unrolled: 1-line block ×4, first 2 shown]
	v_cndmask_b32_e64 v10, v70, v8, s16
	v_cndmask_b32_e64 v9, v71, v7, s16
	;; [unrolled: 1-line block ×4, first 2 shown]
	v_cmp_class_f64_e64 s16, v[9:10], 0x1f8
	v_cmp_neq_f64_e32 vcc_lo, v[9:10], v[7:8]
	s_or_b32 s16, vcc_lo, s16
	s_and_saveexec_b32 s41, s16
	s_cbranch_execz .LBB9_113
; %bb.112:
	v_add_f64 v[9:10], v[9:10], -v[7:8]
	s_mov_b32 s16, 0x652b82fe
	s_mov_b32 s17, 0x3ff71547
	;; [unrolled: 1-line block ×10, first 2 shown]
	v_mul_f64 v[68:69], v[9:10], s[16:17]
	s_mov_b32 s16, 0xfca7ab0c
	s_mov_b32 s17, 0x3e928af3
	v_cmp_nlt_f64_e32 vcc_lo, 0x40900000, v[9:10]
	v_rndne_f64_e32 v[68:69], v[68:69]
	v_fma_f64 v[70:71], v[68:69], s[36:37], v[9:10]
	v_cvt_i32_f64_e32 v74, v[68:69]
	s_mov_b32 s37, 0x3fe62e42
	v_fma_f64 v[70:71], v[68:69], s[38:39], v[70:71]
	s_mov_b32 s39, 0x3c7abc9e
	v_fma_f64 v[72:73], v[70:71], s[42:43], s[16:17]
	s_mov_b32 s16, 0x623fde64
	s_mov_b32 s17, 0x3ec71dee
	s_mov_b32 s42, 0x6b47b09a
	s_mov_b32 s43, 0x3fc38538
	v_fma_f64 v[72:73], v[70:71], v[72:73], s[16:17]
	s_mov_b32 s16, 0x7c89e6b0
	s_mov_b32 s17, 0x3efa0199
	v_fma_f64 v[72:73], v[70:71], v[72:73], s[16:17]
	s_mov_b32 s16, 0x14761f6e
	s_mov_b32 s17, 0x3f2a01a0
	;; [unrolled: 3-line block ×7, first 2 shown]
	v_fma_f64 v[72:73], v[70:71], v[72:73], s[16:17]
	v_cmp_ngt_f64_e64 s16, 0xc090cc00, v[9:10]
	s_mov_b32 s17, 0x3fe55555
	v_fma_f64 v[72:73], v[70:71], v[72:73], 1.0
	v_fma_f64 v[68:69], v[70:71], v[72:73], 1.0
	v_ldexp_f64 v[68:69], v[68:69], v74
	v_cndmask_b32_e32 v69, 0x7ff00000, v69, vcc_lo
	s_and_b32 vcc_lo, s16, vcc_lo
	v_cndmask_b32_e32 v9, 0, v68, vcc_lo
	v_cndmask_b32_e64 v10, 0, v69, s16
	s_mov_b32 s16, 0x55555555
	v_add_f64 v[68:69], v[9:10], 1.0
	v_frexp_mant_f64_e32 v[70:71], v[68:69]
	v_frexp_exp_i32_f64_e32 v74, v[68:69]
	v_add_f64 v[72:73], v[68:69], -1.0
	v_cmp_gt_f64_e32 vcc_lo, s[16:17], v[70:71]
	s_mov_b32 s16, 0x55555780
	v_add_f64 v[70:71], v[72:73], -v[68:69]
	v_add_f64 v[72:73], v[9:10], -v[72:73]
	v_subrev_co_ci_u32_e64 v74, null, 0, v74, vcc_lo
	v_add_f64 v[70:71], v[70:71], 1.0
	v_cmp_nge_f64_e32 vcc_lo, -1.0, v[9:10]
	v_sub_nc_u32_e32 v88, 0, v74
	v_ldexp_f64 v[68:69], v[68:69], v88
	v_add_f64 v[70:71], v[72:73], v[70:71]
	v_add_f64 v[86:87], v[68:69], 1.0
	v_add_f64 v[92:93], v[68:69], -1.0
	v_ldexp_f64 v[70:71], v[70:71], v88
	v_add_f64 v[72:73], v[86:87], -1.0
	v_add_f64 v[94:95], v[92:93], 1.0
	v_add_f64 v[72:73], v[68:69], -v[72:73]
	v_add_f64 v[68:69], v[68:69], -v[94:95]
	v_add_f64 v[72:73], v[70:71], v[72:73]
	v_add_f64 v[68:69], v[70:71], v[68:69]
	;; [unrolled: 1-line block ×4, first 2 shown]
	v_rcp_f64_e32 v[90:91], v[88:89]
	v_add_f64 v[86:87], v[88:89], -v[86:87]
	v_add_f64 v[92:93], v[94:95], -v[92:93]
	;; [unrolled: 1-line block ×3, first 2 shown]
	v_fma_f64 v[96:97], -v[88:89], v[90:91], 1.0
	v_add_f64 v[68:69], v[68:69], -v[92:93]
	v_fma_f64 v[90:91], v[96:97], v[90:91], v[90:91]
	v_fma_f64 v[70:71], -v[88:89], v[90:91], 1.0
	v_fma_f64 v[70:71], v[70:71], v[90:91], v[90:91]
	v_mul_f64 v[90:91], v[94:95], v[70:71]
	v_mul_f64 v[96:97], v[88:89], v[90:91]
	v_fma_f64 v[86:87], v[90:91], v[88:89], -v[96:97]
	v_fma_f64 v[86:87], v[90:91], v[72:73], v[86:87]
	v_add_f64 v[98:99], v[96:97], v[86:87]
	v_add_f64 v[100:101], v[94:95], -v[98:99]
	v_add_f64 v[92:93], v[98:99], -v[96:97]
	;; [unrolled: 1-line block ×5, first 2 shown]
	v_add_f64 v[68:69], v[68:69], v[94:95]
	v_add_f64 v[68:69], v[86:87], v[68:69]
	;; [unrolled: 1-line block ×3, first 2 shown]
	v_mul_f64 v[92:93], v[70:71], v[86:87]
	v_add_f64 v[98:99], v[100:101], -v[86:87]
	v_mul_f64 v[94:95], v[88:89], v[92:93]
	v_add_f64 v[68:69], v[68:69], v[98:99]
	v_fma_f64 v[88:89], v[92:93], v[88:89], -v[94:95]
	v_fma_f64 v[72:73], v[92:93], v[72:73], v[88:89]
	v_add_f64 v[88:89], v[94:95], v[72:73]
	v_add_f64 v[96:97], v[86:87], -v[88:89]
	v_add_f64 v[94:95], v[88:89], -v[94:95]
	v_add_f64 v[86:87], v[86:87], -v[96:97]
	v_add_f64 v[72:73], v[94:95], -v[72:73]
	v_add_f64 v[86:87], v[86:87], -v[88:89]
	v_add_f64 v[68:69], v[68:69], v[86:87]
	v_add_f64 v[86:87], v[90:91], v[92:93]
	;; [unrolled: 1-line block ×3, first 2 shown]
	v_add_f64 v[72:73], v[86:87], -v[90:91]
	v_add_f64 v[68:69], v[96:97], v[68:69]
	v_add_f64 v[72:73], v[92:93], -v[72:73]
	v_mul_f64 v[68:69], v[70:71], v[68:69]
	v_add_f64 v[68:69], v[72:73], v[68:69]
	v_add_f64 v[70:71], v[86:87], v[68:69]
	v_mul_f64 v[72:73], v[70:71], v[70:71]
	v_fma_f64 v[88:89], v[72:73], s[44:45], s[42:43]
	s_mov_b32 s42, 0xd7f4df2e
	s_mov_b32 s43, 0x3fc7474d
	v_mul_f64 v[90:91], v[70:71], v[72:73]
	v_fma_f64 v[88:89], v[72:73], v[88:89], s[42:43]
	s_mov_b32 s42, 0x16291751
	s_mov_b32 s43, 0x3fcc71c0
	v_fma_f64 v[88:89], v[72:73], v[88:89], s[42:43]
	s_mov_b32 s42, 0x9b27acf1
	s_mov_b32 s43, 0x3fd24924
	;; [unrolled: 3-line block ×3, first 2 shown]
	v_fma_f64 v[88:89], v[72:73], v[88:89], s[42:43]
	v_fma_f64 v[72:73], v[72:73], v[88:89], s[16:17]
	v_ldexp_f64 v[88:89], v[70:71], 1
	v_add_f64 v[70:71], v[70:71], -v[86:87]
	v_cmp_neq_f64_e64 s16, 0x7ff00000, v[9:10]
	v_cmp_ngt_f64_e64 s17, -1.0, v[9:10]
	v_mul_f64 v[72:73], v[90:91], v[72:73]
	v_cvt_f64_i32_e32 v[90:91], v74
	v_add_f64 v[68:69], v[68:69], -v[70:71]
	s_and_b32 vcc_lo, vcc_lo, s16
	v_add_f64 v[86:87], v[88:89], v[72:73]
	v_mul_f64 v[92:93], v[90:91], s[36:37]
	v_ldexp_f64 v[68:69], v[68:69], 1
	v_add_f64 v[70:71], v[86:87], -v[88:89]
	v_fma_f64 v[88:89], v[90:91], s[36:37], -v[92:93]
	v_add_f64 v[70:71], v[72:73], -v[70:71]
	v_fma_f64 v[72:73], v[90:91], s[38:39], v[88:89]
	v_add_f64 v[68:69], v[68:69], v[70:71]
	v_add_f64 v[70:71], v[92:93], v[72:73]
	;; [unrolled: 1-line block ×3, first 2 shown]
	v_add_f64 v[92:93], v[70:71], -v[92:93]
	v_add_f64 v[90:91], v[70:71], v[88:89]
	v_add_f64 v[86:87], v[88:89], -v[86:87]
	v_add_f64 v[72:73], v[72:73], -v[92:93]
	;; [unrolled: 1-line block ×6, first 2 shown]
	v_add_f64 v[88:89], v[72:73], v[68:69]
	v_add_f64 v[70:71], v[70:71], -v[96:97]
	v_add_f64 v[70:71], v[86:87], v[70:71]
	v_add_f64 v[86:87], v[88:89], -v[72:73]
	;; [unrolled: 2-line block ×3, first 2 shown]
	v_add_f64 v[68:69], v[68:69], -v[86:87]
	v_add_f64 v[92:93], v[90:91], v[70:71]
	v_add_f64 v[72:73], v[72:73], -v[88:89]
	v_add_f64 v[86:87], v[92:93], -v[90:91]
	v_add_f64 v[68:69], v[68:69], v[72:73]
	v_add_f64 v[70:71], v[70:71], -v[86:87]
	v_add_f64 v[68:69], v[68:69], v[70:71]
	v_add_f64 v[68:69], v[92:93], v[68:69]
	v_cndmask_b32_e32 v68, 0, v68, vcc_lo
	v_cmp_neq_f64_e32 vcc_lo, -1.0, v[9:10]
	v_cndmask_b32_e64 v69, 0x7ff00000, v69, s16
	v_cndmask_b32_e64 v69, 0x7ff80000, v69, s17
	v_cndmask_b32_e32 v69, 0xfff00000, v69, vcc_lo
	v_add_f64 v[68:69], v[7:8], v[68:69]
.LBB9_113:
	s_or_b32 exec_lo, exec_lo, s41
	v_mov_b32_e32 v7, v68
	v_mov_b32_e32 v9, v68
	;; [unrolled: 1-line block ×4, first 2 shown]
.LBB9_114:
	s_or_b32 exec_lo, exec_lo, s40
	v_cmp_gt_u32_e32 vcc_lo, 24, v77
	v_add_nc_u32_e32 v87, 8, v77
	s_mov_b32 s40, exec_lo
	s_waitcnt lgkmcnt(1)
	v_cndmask_b32_e64 v68, 0, 8, vcc_lo
	v_add_lshl_u32 v86, v68, v77, 2
	ds_bpermute_b32 v68, v86, v9
	s_waitcnt lgkmcnt(1)
	ds_bpermute_b32 v69, v86, v10
	v_cmpx_le_u32_e64 v87, v12
	s_cbranch_execz .LBB9_118
; %bb.115:
	s_waitcnt lgkmcnt(0)
	v_max_f64 v[9:10], v[68:69], v[68:69]
	v_max_f64 v[70:71], v[7:8], v[7:8]
	v_cmp_u_f64_e32 vcc_lo, v[68:69], v[68:69]
	v_cmp_u_f64_e64 s16, v[7:8], v[7:8]
	v_min_f64 v[72:73], v[9:10], v[70:71]
	v_max_f64 v[9:10], v[9:10], v[70:71]
	v_cndmask_b32_e32 v70, v73, v69, vcc_lo
	v_cndmask_b32_e32 v71, v72, v68, vcc_lo
	;; [unrolled: 1-line block ×4, first 2 shown]
	v_cndmask_b32_e64 v10, v70, v8, s16
	v_cndmask_b32_e64 v9, v71, v7, s16
	;; [unrolled: 1-line block ×4, first 2 shown]
	v_cmp_class_f64_e64 s16, v[9:10], 0x1f8
	v_cmp_neq_f64_e32 vcc_lo, v[9:10], v[7:8]
	s_or_b32 s16, vcc_lo, s16
	s_and_saveexec_b32 s41, s16
	s_cbranch_execz .LBB9_117
; %bb.116:
	v_add_f64 v[9:10], v[9:10], -v[7:8]
	s_mov_b32 s16, 0x652b82fe
	s_mov_b32 s17, 0x3ff71547
	;; [unrolled: 1-line block ×10, first 2 shown]
	v_mul_f64 v[68:69], v[9:10], s[16:17]
	s_mov_b32 s16, 0xfca7ab0c
	s_mov_b32 s17, 0x3e928af3
	v_cmp_nlt_f64_e32 vcc_lo, 0x40900000, v[9:10]
	v_rndne_f64_e32 v[68:69], v[68:69]
	v_fma_f64 v[70:71], v[68:69], s[36:37], v[9:10]
	v_cvt_i32_f64_e32 v74, v[68:69]
	s_mov_b32 s37, 0x3fe62e42
	v_fma_f64 v[70:71], v[68:69], s[38:39], v[70:71]
	s_mov_b32 s39, 0x3c7abc9e
	v_fma_f64 v[72:73], v[70:71], s[42:43], s[16:17]
	s_mov_b32 s16, 0x623fde64
	s_mov_b32 s17, 0x3ec71dee
	;; [unrolled: 1-line block ×4, first 2 shown]
	v_fma_f64 v[72:73], v[70:71], v[72:73], s[16:17]
	s_mov_b32 s16, 0x7c89e6b0
	s_mov_b32 s17, 0x3efa0199
	v_fma_f64 v[72:73], v[70:71], v[72:73], s[16:17]
	s_mov_b32 s16, 0x14761f6e
	s_mov_b32 s17, 0x3f2a01a0
	;; [unrolled: 3-line block ×7, first 2 shown]
	v_fma_f64 v[72:73], v[70:71], v[72:73], s[16:17]
	v_cmp_ngt_f64_e64 s16, 0xc090cc00, v[9:10]
	s_mov_b32 s17, 0x3fe55555
	v_fma_f64 v[72:73], v[70:71], v[72:73], 1.0
	v_fma_f64 v[68:69], v[70:71], v[72:73], 1.0
	v_ldexp_f64 v[68:69], v[68:69], v74
	v_cndmask_b32_e32 v69, 0x7ff00000, v69, vcc_lo
	s_and_b32 vcc_lo, s16, vcc_lo
	v_cndmask_b32_e32 v9, 0, v68, vcc_lo
	v_cndmask_b32_e64 v10, 0, v69, s16
	s_mov_b32 s16, 0x55555555
	v_add_f64 v[68:69], v[9:10], 1.0
	v_frexp_mant_f64_e32 v[70:71], v[68:69]
	v_frexp_exp_i32_f64_e32 v74, v[68:69]
	v_add_f64 v[72:73], v[68:69], -1.0
	v_cmp_gt_f64_e32 vcc_lo, s[16:17], v[70:71]
	s_mov_b32 s16, 0x55555780
	v_add_f64 v[70:71], v[72:73], -v[68:69]
	v_add_f64 v[72:73], v[9:10], -v[72:73]
	v_subrev_co_ci_u32_e64 v74, null, 0, v74, vcc_lo
	v_add_f64 v[70:71], v[70:71], 1.0
	v_cmp_nge_f64_e32 vcc_lo, -1.0, v[9:10]
	v_sub_nc_u32_e32 v90, 0, v74
	v_ldexp_f64 v[68:69], v[68:69], v90
	v_add_f64 v[70:71], v[72:73], v[70:71]
	v_add_f64 v[88:89], v[68:69], 1.0
	v_add_f64 v[94:95], v[68:69], -1.0
	v_ldexp_f64 v[70:71], v[70:71], v90
	v_add_f64 v[72:73], v[88:89], -1.0
	v_add_f64 v[96:97], v[94:95], 1.0
	v_add_f64 v[72:73], v[68:69], -v[72:73]
	v_add_f64 v[68:69], v[68:69], -v[96:97]
	v_add_f64 v[72:73], v[70:71], v[72:73]
	v_add_f64 v[68:69], v[70:71], v[68:69]
	;; [unrolled: 1-line block ×4, first 2 shown]
	v_rcp_f64_e32 v[92:93], v[90:91]
	v_add_f64 v[88:89], v[90:91], -v[88:89]
	v_add_f64 v[94:95], v[96:97], -v[94:95]
	;; [unrolled: 1-line block ×3, first 2 shown]
	v_fma_f64 v[98:99], -v[90:91], v[92:93], 1.0
	v_add_f64 v[68:69], v[68:69], -v[94:95]
	v_fma_f64 v[92:93], v[98:99], v[92:93], v[92:93]
	v_fma_f64 v[70:71], -v[90:91], v[92:93], 1.0
	v_fma_f64 v[70:71], v[70:71], v[92:93], v[92:93]
	v_mul_f64 v[92:93], v[96:97], v[70:71]
	v_mul_f64 v[98:99], v[90:91], v[92:93]
	v_fma_f64 v[88:89], v[92:93], v[90:91], -v[98:99]
	v_fma_f64 v[88:89], v[92:93], v[72:73], v[88:89]
	v_add_f64 v[100:101], v[98:99], v[88:89]
	v_add_f64 v[102:103], v[96:97], -v[100:101]
	v_add_f64 v[94:95], v[100:101], -v[98:99]
	;; [unrolled: 1-line block ×5, first 2 shown]
	v_add_f64 v[68:69], v[68:69], v[96:97]
	v_add_f64 v[68:69], v[88:89], v[68:69]
	v_add_f64 v[88:89], v[102:103], v[68:69]
	v_mul_f64 v[94:95], v[70:71], v[88:89]
	v_add_f64 v[100:101], v[102:103], -v[88:89]
	v_mul_f64 v[96:97], v[90:91], v[94:95]
	v_add_f64 v[68:69], v[68:69], v[100:101]
	v_fma_f64 v[90:91], v[94:95], v[90:91], -v[96:97]
	v_fma_f64 v[72:73], v[94:95], v[72:73], v[90:91]
	v_add_f64 v[90:91], v[96:97], v[72:73]
	v_add_f64 v[98:99], v[88:89], -v[90:91]
	v_add_f64 v[96:97], v[90:91], -v[96:97]
	;; [unrolled: 1-line block ×5, first 2 shown]
	v_add_f64 v[68:69], v[68:69], v[88:89]
	v_add_f64 v[88:89], v[92:93], v[94:95]
	;; [unrolled: 1-line block ×3, first 2 shown]
	v_add_f64 v[72:73], v[88:89], -v[92:93]
	v_add_f64 v[68:69], v[98:99], v[68:69]
	v_add_f64 v[72:73], v[94:95], -v[72:73]
	v_mul_f64 v[68:69], v[70:71], v[68:69]
	v_add_f64 v[68:69], v[72:73], v[68:69]
	v_add_f64 v[70:71], v[88:89], v[68:69]
	v_mul_f64 v[72:73], v[70:71], v[70:71]
	v_fma_f64 v[90:91], v[72:73], s[44:45], s[42:43]
	s_mov_b32 s42, 0xd7f4df2e
	s_mov_b32 s43, 0x3fc7474d
	v_mul_f64 v[92:93], v[70:71], v[72:73]
	v_fma_f64 v[90:91], v[72:73], v[90:91], s[42:43]
	s_mov_b32 s42, 0x16291751
	s_mov_b32 s43, 0x3fcc71c0
	v_fma_f64 v[90:91], v[72:73], v[90:91], s[42:43]
	s_mov_b32 s42, 0x9b27acf1
	s_mov_b32 s43, 0x3fd24924
	;; [unrolled: 3-line block ×3, first 2 shown]
	v_fma_f64 v[90:91], v[72:73], v[90:91], s[42:43]
	v_fma_f64 v[72:73], v[72:73], v[90:91], s[16:17]
	v_ldexp_f64 v[90:91], v[70:71], 1
	v_add_f64 v[70:71], v[70:71], -v[88:89]
	v_cmp_neq_f64_e64 s16, 0x7ff00000, v[9:10]
	v_cmp_ngt_f64_e64 s17, -1.0, v[9:10]
	v_mul_f64 v[72:73], v[92:93], v[72:73]
	v_cvt_f64_i32_e32 v[92:93], v74
	v_add_f64 v[68:69], v[68:69], -v[70:71]
	s_and_b32 vcc_lo, vcc_lo, s16
	v_add_f64 v[88:89], v[90:91], v[72:73]
	v_mul_f64 v[94:95], v[92:93], s[36:37]
	v_ldexp_f64 v[68:69], v[68:69], 1
	v_add_f64 v[70:71], v[88:89], -v[90:91]
	v_fma_f64 v[90:91], v[92:93], s[36:37], -v[94:95]
	v_add_f64 v[70:71], v[72:73], -v[70:71]
	v_fma_f64 v[72:73], v[92:93], s[38:39], v[90:91]
	v_add_f64 v[68:69], v[68:69], v[70:71]
	v_add_f64 v[70:71], v[94:95], v[72:73]
	;; [unrolled: 1-line block ×3, first 2 shown]
	v_add_f64 v[94:95], v[70:71], -v[94:95]
	v_add_f64 v[92:93], v[70:71], v[90:91]
	v_add_f64 v[88:89], v[90:91], -v[88:89]
	v_add_f64 v[72:73], v[72:73], -v[94:95]
	;; [unrolled: 1-line block ×6, first 2 shown]
	v_add_f64 v[90:91], v[72:73], v[68:69]
	v_add_f64 v[70:71], v[70:71], -v[98:99]
	v_add_f64 v[70:71], v[88:89], v[70:71]
	v_add_f64 v[88:89], v[90:91], -v[72:73]
	;; [unrolled: 2-line block ×3, first 2 shown]
	v_add_f64 v[68:69], v[68:69], -v[88:89]
	v_add_f64 v[94:95], v[92:93], v[70:71]
	v_add_f64 v[72:73], v[72:73], -v[90:91]
	v_add_f64 v[88:89], v[94:95], -v[92:93]
	v_add_f64 v[68:69], v[68:69], v[72:73]
	v_add_f64 v[70:71], v[70:71], -v[88:89]
	v_add_f64 v[68:69], v[68:69], v[70:71]
	v_add_f64 v[68:69], v[94:95], v[68:69]
	v_cndmask_b32_e32 v68, 0, v68, vcc_lo
	v_cmp_neq_f64_e32 vcc_lo, -1.0, v[9:10]
	v_cndmask_b32_e64 v69, 0x7ff00000, v69, s16
	v_cndmask_b32_e64 v69, 0x7ff80000, v69, s17
	v_cndmask_b32_e32 v69, 0xfff00000, v69, vcc_lo
	v_add_f64 v[68:69], v[7:8], v[68:69]
.LBB9_117:
	s_or_b32 exec_lo, exec_lo, s41
	v_mov_b32_e32 v7, v68
	v_mov_b32_e32 v9, v68
	;; [unrolled: 1-line block ×4, first 2 shown]
.LBB9_118:
	s_or_b32 exec_lo, exec_lo, s40
	v_lshl_or_b32 v88, v77, 2, 64
	v_add_nc_u32_e32 v89, 16, v77
	s_mov_b32 s40, exec_lo
	ds_bpermute_b32 v9, v88, v9
	ds_bpermute_b32 v10, v88, v10
	v_cmpx_le_u32_e64 v89, v12
	s_cbranch_execz .LBB9_122
; %bb.119:
	s_waitcnt lgkmcnt(0)
	v_max_f64 v[68:69], v[9:10], v[9:10]
	v_max_f64 v[70:71], v[7:8], v[7:8]
	v_cmp_u_f64_e32 vcc_lo, v[9:10], v[9:10]
	v_cmp_u_f64_e64 s16, v[7:8], v[7:8]
	v_min_f64 v[72:73], v[68:69], v[70:71]
	v_max_f64 v[68:69], v[68:69], v[70:71]
	v_cndmask_b32_e32 v12, v73, v10, vcc_lo
	v_cndmask_b32_e32 v70, v72, v9, vcc_lo
	;; [unrolled: 1-line block ×4, first 2 shown]
	v_cndmask_b32_e64 v69, v12, v8, s16
	v_cndmask_b32_e64 v68, v70, v7, s16
	;; [unrolled: 1-line block ×4, first 2 shown]
	v_cmp_class_f64_e64 s16, v[68:69], 0x1f8
	v_cmp_neq_f64_e32 vcc_lo, v[68:69], v[7:8]
	s_or_b32 s16, vcc_lo, s16
	s_and_saveexec_b32 s41, s16
	s_cbranch_execz .LBB9_121
; %bb.120:
	v_add_f64 v[9:10], v[68:69], -v[7:8]
	s_mov_b32 s16, 0x652b82fe
	s_mov_b32 s17, 0x3ff71547
	;; [unrolled: 1-line block ×10, first 2 shown]
	v_mul_f64 v[68:69], v[9:10], s[16:17]
	s_mov_b32 s16, 0xfca7ab0c
	s_mov_b32 s17, 0x3e928af3
	v_cmp_nlt_f64_e32 vcc_lo, 0x40900000, v[9:10]
	v_rndne_f64_e32 v[68:69], v[68:69]
	v_fma_f64 v[70:71], v[68:69], s[36:37], v[9:10]
	v_cvt_i32_f64_e32 v12, v[68:69]
	s_mov_b32 s37, 0x3fe62e42
	v_fma_f64 v[70:71], v[68:69], s[38:39], v[70:71]
	s_mov_b32 s39, 0x3c7abc9e
	v_fma_f64 v[72:73], v[70:71], s[42:43], s[16:17]
	s_mov_b32 s16, 0x623fde64
	s_mov_b32 s17, 0x3ec71dee
	;; [unrolled: 1-line block ×4, first 2 shown]
	v_fma_f64 v[72:73], v[70:71], v[72:73], s[16:17]
	s_mov_b32 s16, 0x7c89e6b0
	s_mov_b32 s17, 0x3efa0199
	v_fma_f64 v[72:73], v[70:71], v[72:73], s[16:17]
	s_mov_b32 s16, 0x14761f6e
	s_mov_b32 s17, 0x3f2a01a0
	;; [unrolled: 3-line block ×7, first 2 shown]
	v_fma_f64 v[72:73], v[70:71], v[72:73], s[16:17]
	v_cmp_ngt_f64_e64 s16, 0xc090cc00, v[9:10]
	s_mov_b32 s17, 0x3fe55555
	v_fma_f64 v[72:73], v[70:71], v[72:73], 1.0
	v_fma_f64 v[68:69], v[70:71], v[72:73], 1.0
	v_ldexp_f64 v[68:69], v[68:69], v12
	v_cndmask_b32_e32 v12, 0x7ff00000, v69, vcc_lo
	s_and_b32 vcc_lo, s16, vcc_lo
	v_cndmask_b32_e32 v9, 0, v68, vcc_lo
	v_cndmask_b32_e64 v10, 0, v12, s16
	s_mov_b32 s16, 0x55555555
	v_add_f64 v[68:69], v[9:10], 1.0
	v_frexp_mant_f64_e32 v[70:71], v[68:69]
	v_frexp_exp_i32_f64_e32 v12, v[68:69]
	v_add_f64 v[72:73], v[68:69], -1.0
	v_cmp_gt_f64_e32 vcc_lo, s[16:17], v[70:71]
	s_mov_b32 s16, 0x55555780
	v_add_f64 v[70:71], v[72:73], -v[68:69]
	v_add_f64 v[72:73], v[9:10], -v[72:73]
	v_subrev_co_ci_u32_e64 v12, null, 0, v12, vcc_lo
	v_add_f64 v[70:71], v[70:71], 1.0
	v_cmp_nge_f64_e32 vcc_lo, -1.0, v[9:10]
	v_sub_nc_u32_e32 v74, 0, v12
	v_ldexp_f64 v[68:69], v[68:69], v74
	v_add_f64 v[70:71], v[72:73], v[70:71]
	v_add_f64 v[90:91], v[68:69], 1.0
	v_add_f64 v[96:97], v[68:69], -1.0
	v_ldexp_f64 v[70:71], v[70:71], v74
	v_add_f64 v[72:73], v[90:91], -1.0
	v_add_f64 v[98:99], v[96:97], 1.0
	v_add_f64 v[72:73], v[68:69], -v[72:73]
	v_add_f64 v[68:69], v[68:69], -v[98:99]
	v_add_f64 v[72:73], v[70:71], v[72:73]
	v_add_f64 v[68:69], v[70:71], v[68:69]
	v_add_f64 v[92:93], v[90:91], v[72:73]
	v_add_f64 v[98:99], v[96:97], v[68:69]
	v_rcp_f64_e32 v[94:95], v[92:93]
	v_add_f64 v[90:91], v[92:93], -v[90:91]
	v_add_f64 v[96:97], v[98:99], -v[96:97]
	;; [unrolled: 1-line block ×3, first 2 shown]
	v_fma_f64 v[100:101], -v[92:93], v[94:95], 1.0
	v_add_f64 v[68:69], v[68:69], -v[96:97]
	v_fma_f64 v[94:95], v[100:101], v[94:95], v[94:95]
	v_fma_f64 v[70:71], -v[92:93], v[94:95], 1.0
	v_fma_f64 v[70:71], v[70:71], v[94:95], v[94:95]
	v_mul_f64 v[94:95], v[98:99], v[70:71]
	v_mul_f64 v[100:101], v[92:93], v[94:95]
	v_fma_f64 v[90:91], v[94:95], v[92:93], -v[100:101]
	v_fma_f64 v[90:91], v[94:95], v[72:73], v[90:91]
	v_add_f64 v[102:103], v[100:101], v[90:91]
	v_add_f64 v[104:105], v[98:99], -v[102:103]
	v_add_f64 v[96:97], v[102:103], -v[100:101]
	;; [unrolled: 1-line block ×5, first 2 shown]
	v_add_f64 v[68:69], v[68:69], v[98:99]
	v_add_f64 v[68:69], v[90:91], v[68:69]
	;; [unrolled: 1-line block ×3, first 2 shown]
	v_mul_f64 v[96:97], v[70:71], v[90:91]
	v_add_f64 v[102:103], v[104:105], -v[90:91]
	v_mul_f64 v[98:99], v[92:93], v[96:97]
	v_add_f64 v[68:69], v[68:69], v[102:103]
	v_fma_f64 v[92:93], v[96:97], v[92:93], -v[98:99]
	v_fma_f64 v[72:73], v[96:97], v[72:73], v[92:93]
	v_add_f64 v[92:93], v[98:99], v[72:73]
	v_add_f64 v[100:101], v[90:91], -v[92:93]
	v_add_f64 v[98:99], v[92:93], -v[98:99]
	;; [unrolled: 1-line block ×5, first 2 shown]
	v_add_f64 v[68:69], v[68:69], v[90:91]
	v_add_f64 v[90:91], v[94:95], v[96:97]
	;; [unrolled: 1-line block ×3, first 2 shown]
	v_add_f64 v[72:73], v[90:91], -v[94:95]
	v_add_f64 v[68:69], v[100:101], v[68:69]
	v_add_f64 v[72:73], v[96:97], -v[72:73]
	v_mul_f64 v[68:69], v[70:71], v[68:69]
	v_add_f64 v[68:69], v[72:73], v[68:69]
	v_add_f64 v[70:71], v[90:91], v[68:69]
	v_mul_f64 v[72:73], v[70:71], v[70:71]
	v_fma_f64 v[92:93], v[72:73], s[44:45], s[42:43]
	s_mov_b32 s42, 0xd7f4df2e
	s_mov_b32 s43, 0x3fc7474d
	v_mul_f64 v[94:95], v[70:71], v[72:73]
	v_fma_f64 v[92:93], v[72:73], v[92:93], s[42:43]
	s_mov_b32 s42, 0x16291751
	s_mov_b32 s43, 0x3fcc71c0
	v_fma_f64 v[92:93], v[72:73], v[92:93], s[42:43]
	s_mov_b32 s42, 0x9b27acf1
	s_mov_b32 s43, 0x3fd24924
	;; [unrolled: 3-line block ×3, first 2 shown]
	v_fma_f64 v[92:93], v[72:73], v[92:93], s[42:43]
	v_fma_f64 v[72:73], v[72:73], v[92:93], s[16:17]
	v_ldexp_f64 v[92:93], v[70:71], 1
	v_add_f64 v[70:71], v[70:71], -v[90:91]
	v_cmp_neq_f64_e64 s16, 0x7ff00000, v[9:10]
	v_cmp_ngt_f64_e64 s17, -1.0, v[9:10]
	v_mul_f64 v[72:73], v[94:95], v[72:73]
	v_cvt_f64_i32_e32 v[94:95], v12
	v_add_f64 v[68:69], v[68:69], -v[70:71]
	s_and_b32 vcc_lo, vcc_lo, s16
	v_add_f64 v[90:91], v[92:93], v[72:73]
	v_mul_f64 v[96:97], v[94:95], s[36:37]
	v_ldexp_f64 v[68:69], v[68:69], 1
	v_add_f64 v[70:71], v[90:91], -v[92:93]
	v_fma_f64 v[92:93], v[94:95], s[36:37], -v[96:97]
	v_add_f64 v[70:71], v[72:73], -v[70:71]
	v_fma_f64 v[72:73], v[94:95], s[38:39], v[92:93]
	v_add_f64 v[68:69], v[68:69], v[70:71]
	v_add_f64 v[70:71], v[96:97], v[72:73]
	;; [unrolled: 1-line block ×3, first 2 shown]
	v_add_f64 v[96:97], v[70:71], -v[96:97]
	v_add_f64 v[94:95], v[70:71], v[92:93]
	v_add_f64 v[90:91], v[92:93], -v[90:91]
	v_add_f64 v[72:73], v[72:73], -v[96:97]
	;; [unrolled: 1-line block ×6, first 2 shown]
	v_add_f64 v[92:93], v[72:73], v[68:69]
	v_add_f64 v[70:71], v[70:71], -v[100:101]
	v_add_f64 v[70:71], v[90:91], v[70:71]
	v_add_f64 v[90:91], v[92:93], -v[72:73]
	;; [unrolled: 2-line block ×3, first 2 shown]
	v_add_f64 v[68:69], v[68:69], -v[90:91]
	v_add_f64 v[96:97], v[94:95], v[70:71]
	v_add_f64 v[72:73], v[72:73], -v[92:93]
	v_add_f64 v[90:91], v[96:97], -v[94:95]
	v_add_f64 v[68:69], v[68:69], v[72:73]
	v_add_f64 v[70:71], v[70:71], -v[90:91]
	v_add_f64 v[68:69], v[68:69], v[70:71]
	v_add_f64 v[68:69], v[96:97], v[68:69]
	v_cndmask_b32_e32 v68, 0, v68, vcc_lo
	v_cmp_neq_f64_e32 vcc_lo, -1.0, v[9:10]
	v_cndmask_b32_e64 v12, 0x7ff00000, v69, s16
	v_cndmask_b32_e64 v12, 0x7ff80000, v12, s17
	v_cndmask_b32_e32 v69, 0xfff00000, v12, vcc_lo
	v_add_f64 v[9:10], v[7:8], v[68:69]
.LBB9_121:
	s_or_b32 exec_lo, exec_lo, s41
	v_mov_b32_e32 v7, v9
	v_mov_b32_e32 v8, v10
.LBB9_122:
	s_or_b32 exec_lo, exec_lo, s40
	s_waitcnt lgkmcnt(3)
	v_mov_b32_e32 v68, 0
	v_mov_b32_e32 v90, 2
	s_mov_b32 s36, 0x652b82fe
	s_mov_b32 s38, 0xfefa39ef
	;; [unrolled: 1-line block ×43, first 2 shown]
	s_branch .LBB9_125
.LBB9_123:                              ;   in Loop: Header=BB9_125 Depth=1
	s_or_b32 exec_lo, exec_lo, s85
	v_subrev_nc_u32_e32 v67, 32, v67
	s_mov_b32 s16, 0
.LBB9_124:                              ;   in Loop: Header=BB9_125 Depth=1
	s_and_b32 vcc_lo, exec_lo, s16
	s_cbranch_vccnz .LBB9_153
.LBB9_125:                              ; =>This Loop Header: Depth=1
                                        ;     Child Loop BB9_128 Depth 2
	v_cmp_ne_u16_sdwa s16, v11, v90 src0_sel:BYTE_0 src1_sel:DWORD
	s_waitcnt lgkmcnt(2)
	v_mov_b32_e32 v70, v8
	v_mov_b32_e32 v69, v7
                                        ; implicit-def: $vgpr7_vgpr8
                                        ; implicit-def: $vgpr11
	s_cmp_lg_u32 s16, exec_lo
	s_mov_b32 s16, -1
	s_cbranch_scc1 .LBB9_124
; %bb.126:                              ;   in Loop: Header=BB9_125 Depth=1
	v_lshlrev_b64 v[7:8], 4, v[67:68]
	v_add_co_u32 v7, vcc_lo, s34, v7
	v_add_co_ci_u32_e64 v8, null, s35, v8, vcc_lo
	s_waitcnt lgkmcnt(0)
	;;#ASMSTART
	global_load_dwordx4 v[9:12], v[7:8] off glc dlc	
s_waitcnt vmcnt(0)
	;;#ASMEND
	v_cmp_eq_u16_sdwa s17, v11, v68 src0_sel:BYTE_0 src1_sel:DWORD
	s_and_saveexec_b32 s16, s17
	s_cbranch_execz .LBB9_130
; %bb.127:                              ;   in Loop: Header=BB9_125 Depth=1
	s_mov_b32 s17, 0
.LBB9_128:                              ;   Parent Loop BB9_125 Depth=1
                                        ; =>  This Inner Loop Header: Depth=2
	;;#ASMSTART
	global_load_dwordx4 v[9:12], v[7:8] off glc dlc	
s_waitcnt vmcnt(0)
	;;#ASMEND
	v_cmp_ne_u16_sdwa s77, v11, v68 src0_sel:BYTE_0 src1_sel:DWORD
	s_or_b32 s17, s77, s17
	s_andn2_b32 exec_lo, exec_lo, s17
	s_cbranch_execnz .LBB9_128
; %bb.129:                              ;   in Loop: Header=BB9_125 Depth=1
	s_or_b32 exec_lo, exec_lo, s17
.LBB9_130:                              ;   in Loop: Header=BB9_125 Depth=1
	s_or_b32 exec_lo, exec_lo, s16
	ds_bpermute_b32 v71, v80, v9
	ds_bpermute_b32 v72, v80, v10
	v_cmp_eq_u16_sdwa s16, v11, v90 src0_sel:BYTE_0 src1_sel:DWORD
	s_mov_b32 s85, exec_lo
	v_and_or_b32 v7, s16, v81, 0x80000000
	v_ffbl_b32_e32 v12, v7
	v_mov_b32_e32 v7, v9
	v_mov_b32_e32 v8, v10
	v_cmpx_lt_u32_e64 v77, v12
	s_cbranch_execz .LBB9_134
; %bb.131:                              ;   in Loop: Header=BB9_125 Depth=1
	s_waitcnt lgkmcnt(0)
	v_max_f64 v[7:8], v[71:72], v[71:72]
	v_max_f64 v[73:74], v[9:10], v[9:10]
	v_cmp_u_f64_e32 vcc_lo, v[71:72], v[71:72]
	v_cmp_u_f64_e64 s16, v[9:10], v[9:10]
	v_min_f64 v[91:92], v[7:8], v[73:74]
	v_max_f64 v[7:8], v[7:8], v[73:74]
	v_cndmask_b32_e32 v73, v92, v72, vcc_lo
	v_cndmask_b32_e32 v91, v91, v71, vcc_lo
	;; [unrolled: 1-line block ×4, first 2 shown]
	v_cndmask_b32_e64 v74, v73, v10, s16
	v_cndmask_b32_e64 v73, v91, v9, s16
	;; [unrolled: 1-line block ×4, first 2 shown]
	v_cmp_class_f64_e64 s16, v[73:74], 0x1f8
	v_cmp_neq_f64_e32 vcc_lo, v[73:74], v[7:8]
	s_or_b32 s16, vcc_lo, s16
	s_and_saveexec_b32 s86, s16
	s_cbranch_execz .LBB9_133
; %bb.132:                              ;   in Loop: Header=BB9_125 Depth=1
	v_add_f64 v[9:10], v[73:74], -v[7:8]
	s_mov_b32 s77, s63
	s_mov_b32 s78, s38
	;; [unrolled: 1-line block ×3, first 2 shown]
	v_mul_f64 v[71:72], v[9:10], s[36:37]
	v_cmp_nlt_f64_e32 vcc_lo, 0x40900000, v[9:10]
	v_cmp_ngt_f64_e64 s16, 0xc090cc00, v[9:10]
	v_rndne_f64_e32 v[71:72], v[71:72]
	v_fma_f64 v[73:74], v[71:72], s[38:39], v[9:10]
	v_cvt_i32_f64_e32 v93, v[71:72]
	v_fma_f64 v[73:74], v[71:72], s[40:41], v[73:74]
	v_fma_f64 v[91:92], v[73:74], s[44:45], s[42:43]
	;; [unrolled: 1-line block ×10, first 2 shown]
	v_fma_f64 v[91:92], v[73:74], v[91:92], 1.0
	v_fma_f64 v[71:72], v[73:74], v[91:92], 1.0
	v_ldexp_f64 v[71:72], v[71:72], v93
	v_cndmask_b32_e32 v72, 0x7ff00000, v72, vcc_lo
	s_and_b32 vcc_lo, s16, vcc_lo
	v_cndmask_b32_e32 v9, 0, v71, vcc_lo
	v_cndmask_b32_e64 v10, 0, v72, s16
	v_add_f64 v[71:72], v[9:10], 1.0
	v_cmp_neq_f64_e64 s16, 0x7ff00000, v[9:10]
	v_cmp_ngt_f64_e64 s17, -1.0, v[9:10]
	v_frexp_mant_f64_e32 v[73:74], v[71:72]
	v_frexp_exp_i32_f64_e32 v93, v[71:72]
	v_add_f64 v[91:92], v[71:72], -1.0
	v_cmp_gt_f64_e32 vcc_lo, s[62:63], v[73:74]
	v_add_f64 v[73:74], v[91:92], -v[71:72]
	v_add_f64 v[91:92], v[9:10], -v[91:92]
	v_subrev_co_ci_u32_e64 v109, null, 0, v93, vcc_lo
	v_add_f64 v[73:74], v[73:74], 1.0
	v_cmp_nge_f64_e32 vcc_lo, -1.0, v[9:10]
	v_sub_nc_u32_e32 v95, 0, v109
	v_ldexp_f64 v[71:72], v[71:72], v95
	v_add_f64 v[73:74], v[91:92], v[73:74]
	s_and_b32 vcc_lo, vcc_lo, s16
	v_add_f64 v[93:94], v[71:72], 1.0
	v_add_f64 v[99:100], v[71:72], -1.0
	v_ldexp_f64 v[73:74], v[73:74], v95
	v_add_f64 v[91:92], v[93:94], -1.0
	v_add_f64 v[101:102], v[99:100], 1.0
	v_add_f64 v[91:92], v[71:72], -v[91:92]
	v_add_f64 v[71:72], v[71:72], -v[101:102]
	v_add_f64 v[91:92], v[73:74], v[91:92]
	v_add_f64 v[71:72], v[73:74], v[71:72]
	;; [unrolled: 1-line block ×4, first 2 shown]
	v_rcp_f64_e32 v[97:98], v[95:96]
	v_add_f64 v[93:94], v[95:96], -v[93:94]
	v_add_f64 v[99:100], v[101:102], -v[99:100]
	;; [unrolled: 1-line block ×3, first 2 shown]
	v_fma_f64 v[103:104], -v[95:96], v[97:98], 1.0
	v_add_f64 v[71:72], v[71:72], -v[99:100]
	v_fma_f64 v[97:98], v[103:104], v[97:98], v[97:98]
	v_fma_f64 v[73:74], -v[95:96], v[97:98], 1.0
	v_fma_f64 v[73:74], v[73:74], v[97:98], v[97:98]
	v_mul_f64 v[97:98], v[101:102], v[73:74]
	v_mul_f64 v[103:104], v[95:96], v[97:98]
	v_fma_f64 v[93:94], v[97:98], v[95:96], -v[103:104]
	v_fma_f64 v[93:94], v[97:98], v[91:92], v[93:94]
	v_add_f64 v[105:106], v[103:104], v[93:94]
	v_add_f64 v[107:108], v[101:102], -v[105:106]
	v_add_f64 v[99:100], v[105:106], -v[103:104]
	;; [unrolled: 1-line block ×5, first 2 shown]
	v_add_f64 v[71:72], v[71:72], v[101:102]
	v_add_f64 v[71:72], v[93:94], v[71:72]
	;; [unrolled: 1-line block ×3, first 2 shown]
	v_mul_f64 v[99:100], v[73:74], v[93:94]
	v_add_f64 v[105:106], v[107:108], -v[93:94]
	v_mul_f64 v[101:102], v[95:96], v[99:100]
	v_add_f64 v[71:72], v[71:72], v[105:106]
	v_fma_f64 v[95:96], v[99:100], v[95:96], -v[101:102]
	v_fma_f64 v[91:92], v[99:100], v[91:92], v[95:96]
	v_add_f64 v[95:96], v[101:102], v[91:92]
	v_add_f64 v[103:104], v[93:94], -v[95:96]
	v_add_f64 v[101:102], v[95:96], -v[101:102]
	;; [unrolled: 1-line block ×5, first 2 shown]
	v_add_f64 v[71:72], v[71:72], v[93:94]
	v_add_f64 v[93:94], v[97:98], v[99:100]
	;; [unrolled: 1-line block ×3, first 2 shown]
	v_add_f64 v[91:92], v[93:94], -v[97:98]
	v_add_f64 v[71:72], v[103:104], v[71:72]
	v_add_f64 v[91:92], v[99:100], -v[91:92]
	v_mul_f64 v[71:72], v[73:74], v[71:72]
	v_add_f64 v[71:72], v[91:92], v[71:72]
	v_add_f64 v[73:74], v[93:94], v[71:72]
	v_mul_f64 v[91:92], v[73:74], v[73:74]
	v_fma_f64 v[95:96], v[91:92], s[66:67], s[64:65]
	v_mul_f64 v[97:98], v[73:74], v[91:92]
	v_fma_f64 v[95:96], v[91:92], v[95:96], s[68:69]
	v_fma_f64 v[95:96], v[91:92], v[95:96], s[70:71]
	;; [unrolled: 1-line block ×5, first 2 shown]
	v_ldexp_f64 v[95:96], v[73:74], 1
	v_add_f64 v[73:74], v[73:74], -v[93:94]
	v_mul_f64 v[91:92], v[97:98], v[91:92]
	v_cvt_f64_i32_e32 v[97:98], v109
	v_add_f64 v[71:72], v[71:72], -v[73:74]
	v_add_f64 v[93:94], v[95:96], v[91:92]
	v_mul_f64 v[99:100], v[97:98], s[78:79]
	v_ldexp_f64 v[71:72], v[71:72], 1
	v_add_f64 v[73:74], v[93:94], -v[95:96]
	v_fma_f64 v[95:96], v[97:98], s[78:79], -v[99:100]
	v_add_f64 v[73:74], v[91:92], -v[73:74]
	v_fma_f64 v[91:92], v[97:98], s[80:81], v[95:96]
	v_add_f64 v[71:72], v[71:72], v[73:74]
	v_add_f64 v[73:74], v[99:100], v[91:92]
	;; [unrolled: 1-line block ×3, first 2 shown]
	v_add_f64 v[99:100], v[73:74], -v[99:100]
	v_add_f64 v[97:98], v[73:74], v[95:96]
	v_add_f64 v[93:94], v[95:96], -v[93:94]
	v_add_f64 v[91:92], v[91:92], -v[99:100]
	;; [unrolled: 1-line block ×6, first 2 shown]
	v_add_f64 v[95:96], v[91:92], v[71:72]
	v_add_f64 v[73:74], v[73:74], -v[103:104]
	v_add_f64 v[73:74], v[93:94], v[73:74]
	v_add_f64 v[93:94], v[95:96], -v[91:92]
	;; [unrolled: 2-line block ×3, first 2 shown]
	v_add_f64 v[71:72], v[71:72], -v[93:94]
	v_add_f64 v[99:100], v[97:98], v[73:74]
	v_add_f64 v[91:92], v[91:92], -v[95:96]
	v_add_f64 v[93:94], v[99:100], -v[97:98]
	v_add_f64 v[71:72], v[71:72], v[91:92]
	v_add_f64 v[73:74], v[73:74], -v[93:94]
	v_add_f64 v[71:72], v[71:72], v[73:74]
	v_add_f64 v[71:72], v[99:100], v[71:72]
	v_cndmask_b32_e32 v71, 0, v71, vcc_lo
	v_cmp_neq_f64_e32 vcc_lo, -1.0, v[9:10]
	v_cndmask_b32_e64 v72, 0x7ff00000, v72, s16
	v_cndmask_b32_e64 v72, 0x7ff80000, v72, s17
	v_cndmask_b32_e32 v72, 0xfff00000, v72, vcc_lo
	v_add_f64 v[71:72], v[7:8], v[71:72]
.LBB9_133:                              ;   in Loop: Header=BB9_125 Depth=1
	s_or_b32 exec_lo, exec_lo, s86
	v_mov_b32_e32 v7, v71
	v_mov_b32_e32 v9, v71
	;; [unrolled: 1-line block ×4, first 2 shown]
.LBB9_134:                              ;   in Loop: Header=BB9_125 Depth=1
	s_or_b32 exec_lo, exec_lo, s85
	s_waitcnt lgkmcnt(1)
	ds_bpermute_b32 v71, v82, v9
	s_waitcnt lgkmcnt(1)
	ds_bpermute_b32 v72, v82, v10
	s_mov_b32 s85, exec_lo
	v_cmpx_le_u32_e64 v83, v12
	s_cbranch_execz .LBB9_138
; %bb.135:                              ;   in Loop: Header=BB9_125 Depth=1
	s_waitcnt lgkmcnt(0)
	v_max_f64 v[9:10], v[71:72], v[71:72]
	v_max_f64 v[73:74], v[7:8], v[7:8]
	v_cmp_u_f64_e32 vcc_lo, v[71:72], v[71:72]
	v_cmp_u_f64_e64 s16, v[7:8], v[7:8]
	v_min_f64 v[91:92], v[9:10], v[73:74]
	v_max_f64 v[9:10], v[9:10], v[73:74]
	v_cndmask_b32_e32 v73, v92, v72, vcc_lo
	v_cndmask_b32_e32 v74, v91, v71, vcc_lo
	;; [unrolled: 1-line block ×4, first 2 shown]
	v_cndmask_b32_e64 v10, v73, v8, s16
	v_cndmask_b32_e64 v9, v74, v7, s16
	;; [unrolled: 1-line block ×4, first 2 shown]
	v_cmp_class_f64_e64 s16, v[9:10], 0x1f8
	v_cmp_neq_f64_e32 vcc_lo, v[9:10], v[7:8]
	s_or_b32 s16, vcc_lo, s16
	s_and_saveexec_b32 s86, s16
	s_cbranch_execz .LBB9_137
; %bb.136:                              ;   in Loop: Header=BB9_125 Depth=1
	v_add_f64 v[9:10], v[9:10], -v[7:8]
	s_mov_b32 s77, s63
	s_mov_b32 s78, s38
	s_mov_b32 s80, s40
	v_mul_f64 v[71:72], v[9:10], s[36:37]
	v_cmp_nlt_f64_e32 vcc_lo, 0x40900000, v[9:10]
	v_cmp_ngt_f64_e64 s16, 0xc090cc00, v[9:10]
	v_rndne_f64_e32 v[71:72], v[71:72]
	v_fma_f64 v[73:74], v[71:72], s[38:39], v[9:10]
	v_cvt_i32_f64_e32 v93, v[71:72]
	v_fma_f64 v[73:74], v[71:72], s[40:41], v[73:74]
	v_fma_f64 v[91:92], v[73:74], s[44:45], s[42:43]
	;; [unrolled: 1-line block ×10, first 2 shown]
	v_fma_f64 v[91:92], v[73:74], v[91:92], 1.0
	v_fma_f64 v[71:72], v[73:74], v[91:92], 1.0
	v_ldexp_f64 v[71:72], v[71:72], v93
	v_cndmask_b32_e32 v72, 0x7ff00000, v72, vcc_lo
	s_and_b32 vcc_lo, s16, vcc_lo
	v_cndmask_b32_e32 v9, 0, v71, vcc_lo
	v_cndmask_b32_e64 v10, 0, v72, s16
	v_add_f64 v[71:72], v[9:10], 1.0
	v_cmp_neq_f64_e64 s16, 0x7ff00000, v[9:10]
	v_cmp_ngt_f64_e64 s17, -1.0, v[9:10]
	v_frexp_mant_f64_e32 v[73:74], v[71:72]
	v_frexp_exp_i32_f64_e32 v93, v[71:72]
	v_add_f64 v[91:92], v[71:72], -1.0
	v_cmp_gt_f64_e32 vcc_lo, s[62:63], v[73:74]
	v_add_f64 v[73:74], v[91:92], -v[71:72]
	v_add_f64 v[91:92], v[9:10], -v[91:92]
	v_subrev_co_ci_u32_e64 v109, null, 0, v93, vcc_lo
	v_add_f64 v[73:74], v[73:74], 1.0
	v_cmp_nge_f64_e32 vcc_lo, -1.0, v[9:10]
	v_sub_nc_u32_e32 v95, 0, v109
	v_ldexp_f64 v[71:72], v[71:72], v95
	v_add_f64 v[73:74], v[91:92], v[73:74]
	s_and_b32 vcc_lo, vcc_lo, s16
	v_add_f64 v[93:94], v[71:72], 1.0
	v_add_f64 v[99:100], v[71:72], -1.0
	v_ldexp_f64 v[73:74], v[73:74], v95
	v_add_f64 v[91:92], v[93:94], -1.0
	v_add_f64 v[101:102], v[99:100], 1.0
	v_add_f64 v[91:92], v[71:72], -v[91:92]
	v_add_f64 v[71:72], v[71:72], -v[101:102]
	v_add_f64 v[91:92], v[73:74], v[91:92]
	v_add_f64 v[71:72], v[73:74], v[71:72]
	;; [unrolled: 1-line block ×4, first 2 shown]
	v_rcp_f64_e32 v[97:98], v[95:96]
	v_add_f64 v[93:94], v[95:96], -v[93:94]
	v_add_f64 v[99:100], v[101:102], -v[99:100]
	;; [unrolled: 1-line block ×3, first 2 shown]
	v_fma_f64 v[103:104], -v[95:96], v[97:98], 1.0
	v_add_f64 v[71:72], v[71:72], -v[99:100]
	v_fma_f64 v[97:98], v[103:104], v[97:98], v[97:98]
	v_fma_f64 v[73:74], -v[95:96], v[97:98], 1.0
	v_fma_f64 v[73:74], v[73:74], v[97:98], v[97:98]
	v_mul_f64 v[97:98], v[101:102], v[73:74]
	v_mul_f64 v[103:104], v[95:96], v[97:98]
	v_fma_f64 v[93:94], v[97:98], v[95:96], -v[103:104]
	v_fma_f64 v[93:94], v[97:98], v[91:92], v[93:94]
	v_add_f64 v[105:106], v[103:104], v[93:94]
	v_add_f64 v[107:108], v[101:102], -v[105:106]
	v_add_f64 v[99:100], v[105:106], -v[103:104]
	;; [unrolled: 1-line block ×5, first 2 shown]
	v_add_f64 v[71:72], v[71:72], v[101:102]
	v_add_f64 v[71:72], v[93:94], v[71:72]
	v_add_f64 v[93:94], v[107:108], v[71:72]
	v_mul_f64 v[99:100], v[73:74], v[93:94]
	v_add_f64 v[105:106], v[107:108], -v[93:94]
	v_mul_f64 v[101:102], v[95:96], v[99:100]
	v_add_f64 v[71:72], v[71:72], v[105:106]
	v_fma_f64 v[95:96], v[99:100], v[95:96], -v[101:102]
	v_fma_f64 v[91:92], v[99:100], v[91:92], v[95:96]
	v_add_f64 v[95:96], v[101:102], v[91:92]
	v_add_f64 v[103:104], v[93:94], -v[95:96]
	v_add_f64 v[101:102], v[95:96], -v[101:102]
	;; [unrolled: 1-line block ×5, first 2 shown]
	v_add_f64 v[71:72], v[71:72], v[93:94]
	v_add_f64 v[93:94], v[97:98], v[99:100]
	;; [unrolled: 1-line block ×3, first 2 shown]
	v_add_f64 v[91:92], v[93:94], -v[97:98]
	v_add_f64 v[71:72], v[103:104], v[71:72]
	v_add_f64 v[91:92], v[99:100], -v[91:92]
	v_mul_f64 v[71:72], v[73:74], v[71:72]
	v_add_f64 v[71:72], v[91:92], v[71:72]
	v_add_f64 v[73:74], v[93:94], v[71:72]
	v_mul_f64 v[91:92], v[73:74], v[73:74]
	v_fma_f64 v[95:96], v[91:92], s[66:67], s[64:65]
	v_mul_f64 v[97:98], v[73:74], v[91:92]
	v_fma_f64 v[95:96], v[91:92], v[95:96], s[68:69]
	v_fma_f64 v[95:96], v[91:92], v[95:96], s[70:71]
	;; [unrolled: 1-line block ×5, first 2 shown]
	v_ldexp_f64 v[95:96], v[73:74], 1
	v_add_f64 v[73:74], v[73:74], -v[93:94]
	v_mul_f64 v[91:92], v[97:98], v[91:92]
	v_cvt_f64_i32_e32 v[97:98], v109
	v_add_f64 v[71:72], v[71:72], -v[73:74]
	v_add_f64 v[93:94], v[95:96], v[91:92]
	v_mul_f64 v[99:100], v[97:98], s[78:79]
	v_ldexp_f64 v[71:72], v[71:72], 1
	v_add_f64 v[73:74], v[93:94], -v[95:96]
	v_fma_f64 v[95:96], v[97:98], s[78:79], -v[99:100]
	v_add_f64 v[73:74], v[91:92], -v[73:74]
	v_fma_f64 v[91:92], v[97:98], s[80:81], v[95:96]
	v_add_f64 v[71:72], v[71:72], v[73:74]
	v_add_f64 v[73:74], v[99:100], v[91:92]
	;; [unrolled: 1-line block ×3, first 2 shown]
	v_add_f64 v[99:100], v[73:74], -v[99:100]
	v_add_f64 v[97:98], v[73:74], v[95:96]
	v_add_f64 v[93:94], v[95:96], -v[93:94]
	v_add_f64 v[91:92], v[91:92], -v[99:100]
	;; [unrolled: 1-line block ×6, first 2 shown]
	v_add_f64 v[95:96], v[91:92], v[71:72]
	v_add_f64 v[73:74], v[73:74], -v[103:104]
	v_add_f64 v[73:74], v[93:94], v[73:74]
	v_add_f64 v[93:94], v[95:96], -v[91:92]
	;; [unrolled: 2-line block ×3, first 2 shown]
	v_add_f64 v[71:72], v[71:72], -v[93:94]
	v_add_f64 v[99:100], v[97:98], v[73:74]
	v_add_f64 v[91:92], v[91:92], -v[95:96]
	v_add_f64 v[93:94], v[99:100], -v[97:98]
	v_add_f64 v[71:72], v[71:72], v[91:92]
	v_add_f64 v[73:74], v[73:74], -v[93:94]
	v_add_f64 v[71:72], v[71:72], v[73:74]
	v_add_f64 v[71:72], v[99:100], v[71:72]
	v_cndmask_b32_e32 v71, 0, v71, vcc_lo
	v_cmp_neq_f64_e32 vcc_lo, -1.0, v[9:10]
	v_cndmask_b32_e64 v72, 0x7ff00000, v72, s16
	v_cndmask_b32_e64 v72, 0x7ff80000, v72, s17
	v_cndmask_b32_e32 v72, 0xfff00000, v72, vcc_lo
	v_add_f64 v[71:72], v[7:8], v[71:72]
.LBB9_137:                              ;   in Loop: Header=BB9_125 Depth=1
	s_or_b32 exec_lo, exec_lo, s86
	v_mov_b32_e32 v7, v71
	v_mov_b32_e32 v9, v71
	;; [unrolled: 1-line block ×4, first 2 shown]
.LBB9_138:                              ;   in Loop: Header=BB9_125 Depth=1
	s_or_b32 exec_lo, exec_lo, s85
	s_waitcnt lgkmcnt(1)
	ds_bpermute_b32 v71, v84, v9
	s_waitcnt lgkmcnt(1)
	ds_bpermute_b32 v72, v84, v10
	s_mov_b32 s85, exec_lo
	v_cmpx_le_u32_e64 v85, v12
	s_cbranch_execz .LBB9_142
; %bb.139:                              ;   in Loop: Header=BB9_125 Depth=1
	s_waitcnt lgkmcnt(0)
	v_max_f64 v[9:10], v[71:72], v[71:72]
	v_max_f64 v[73:74], v[7:8], v[7:8]
	v_cmp_u_f64_e32 vcc_lo, v[71:72], v[71:72]
	v_cmp_u_f64_e64 s16, v[7:8], v[7:8]
	v_min_f64 v[91:92], v[9:10], v[73:74]
	v_max_f64 v[9:10], v[9:10], v[73:74]
	v_cndmask_b32_e32 v73, v92, v72, vcc_lo
	v_cndmask_b32_e32 v74, v91, v71, vcc_lo
	;; [unrolled: 1-line block ×4, first 2 shown]
	v_cndmask_b32_e64 v10, v73, v8, s16
	v_cndmask_b32_e64 v9, v74, v7, s16
	;; [unrolled: 1-line block ×4, first 2 shown]
	v_cmp_class_f64_e64 s16, v[9:10], 0x1f8
	v_cmp_neq_f64_e32 vcc_lo, v[9:10], v[7:8]
	s_or_b32 s16, vcc_lo, s16
	s_and_saveexec_b32 s86, s16
	s_cbranch_execz .LBB9_141
; %bb.140:                              ;   in Loop: Header=BB9_125 Depth=1
	v_add_f64 v[9:10], v[9:10], -v[7:8]
	s_mov_b32 s77, s63
	s_mov_b32 s78, s38
	;; [unrolled: 1-line block ×3, first 2 shown]
	v_mul_f64 v[71:72], v[9:10], s[36:37]
	v_cmp_nlt_f64_e32 vcc_lo, 0x40900000, v[9:10]
	v_cmp_ngt_f64_e64 s16, 0xc090cc00, v[9:10]
	v_rndne_f64_e32 v[71:72], v[71:72]
	v_fma_f64 v[73:74], v[71:72], s[38:39], v[9:10]
	v_cvt_i32_f64_e32 v93, v[71:72]
	v_fma_f64 v[73:74], v[71:72], s[40:41], v[73:74]
	v_fma_f64 v[91:92], v[73:74], s[44:45], s[42:43]
	v_fma_f64 v[91:92], v[73:74], v[91:92], s[46:47]
	v_fma_f64 v[91:92], v[73:74], v[91:92], s[48:49]
	v_fma_f64 v[91:92], v[73:74], v[91:92], s[50:51]
	v_fma_f64 v[91:92], v[73:74], v[91:92], s[52:53]
	v_fma_f64 v[91:92], v[73:74], v[91:92], s[54:55]
	v_fma_f64 v[91:92], v[73:74], v[91:92], s[56:57]
	v_fma_f64 v[91:92], v[73:74], v[91:92], s[58:59]
	v_fma_f64 v[91:92], v[73:74], v[91:92], s[60:61]
	v_fma_f64 v[91:92], v[73:74], v[91:92], 1.0
	v_fma_f64 v[71:72], v[73:74], v[91:92], 1.0
	v_ldexp_f64 v[71:72], v[71:72], v93
	v_cndmask_b32_e32 v72, 0x7ff00000, v72, vcc_lo
	s_and_b32 vcc_lo, s16, vcc_lo
	v_cndmask_b32_e32 v9, 0, v71, vcc_lo
	v_cndmask_b32_e64 v10, 0, v72, s16
	v_add_f64 v[71:72], v[9:10], 1.0
	v_cmp_neq_f64_e64 s16, 0x7ff00000, v[9:10]
	v_cmp_ngt_f64_e64 s17, -1.0, v[9:10]
	v_frexp_mant_f64_e32 v[73:74], v[71:72]
	v_frexp_exp_i32_f64_e32 v93, v[71:72]
	v_add_f64 v[91:92], v[71:72], -1.0
	v_cmp_gt_f64_e32 vcc_lo, s[62:63], v[73:74]
	v_add_f64 v[73:74], v[91:92], -v[71:72]
	v_add_f64 v[91:92], v[9:10], -v[91:92]
	v_subrev_co_ci_u32_e64 v109, null, 0, v93, vcc_lo
	v_add_f64 v[73:74], v[73:74], 1.0
	v_cmp_nge_f64_e32 vcc_lo, -1.0, v[9:10]
	v_sub_nc_u32_e32 v95, 0, v109
	v_ldexp_f64 v[71:72], v[71:72], v95
	v_add_f64 v[73:74], v[91:92], v[73:74]
	s_and_b32 vcc_lo, vcc_lo, s16
	v_add_f64 v[93:94], v[71:72], 1.0
	v_add_f64 v[99:100], v[71:72], -1.0
	v_ldexp_f64 v[73:74], v[73:74], v95
	v_add_f64 v[91:92], v[93:94], -1.0
	v_add_f64 v[101:102], v[99:100], 1.0
	v_add_f64 v[91:92], v[71:72], -v[91:92]
	v_add_f64 v[71:72], v[71:72], -v[101:102]
	v_add_f64 v[91:92], v[73:74], v[91:92]
	v_add_f64 v[71:72], v[73:74], v[71:72]
	;; [unrolled: 1-line block ×4, first 2 shown]
	v_rcp_f64_e32 v[97:98], v[95:96]
	v_add_f64 v[93:94], v[95:96], -v[93:94]
	v_add_f64 v[99:100], v[101:102], -v[99:100]
	;; [unrolled: 1-line block ×3, first 2 shown]
	v_fma_f64 v[103:104], -v[95:96], v[97:98], 1.0
	v_add_f64 v[71:72], v[71:72], -v[99:100]
	v_fma_f64 v[97:98], v[103:104], v[97:98], v[97:98]
	v_fma_f64 v[73:74], -v[95:96], v[97:98], 1.0
	v_fma_f64 v[73:74], v[73:74], v[97:98], v[97:98]
	v_mul_f64 v[97:98], v[101:102], v[73:74]
	v_mul_f64 v[103:104], v[95:96], v[97:98]
	v_fma_f64 v[93:94], v[97:98], v[95:96], -v[103:104]
	v_fma_f64 v[93:94], v[97:98], v[91:92], v[93:94]
	v_add_f64 v[105:106], v[103:104], v[93:94]
	v_add_f64 v[107:108], v[101:102], -v[105:106]
	v_add_f64 v[99:100], v[105:106], -v[103:104]
	;; [unrolled: 1-line block ×5, first 2 shown]
	v_add_f64 v[71:72], v[71:72], v[101:102]
	v_add_f64 v[71:72], v[93:94], v[71:72]
	;; [unrolled: 1-line block ×3, first 2 shown]
	v_mul_f64 v[99:100], v[73:74], v[93:94]
	v_add_f64 v[105:106], v[107:108], -v[93:94]
	v_mul_f64 v[101:102], v[95:96], v[99:100]
	v_add_f64 v[71:72], v[71:72], v[105:106]
	v_fma_f64 v[95:96], v[99:100], v[95:96], -v[101:102]
	v_fma_f64 v[91:92], v[99:100], v[91:92], v[95:96]
	v_add_f64 v[95:96], v[101:102], v[91:92]
	v_add_f64 v[103:104], v[93:94], -v[95:96]
	v_add_f64 v[101:102], v[95:96], -v[101:102]
	;; [unrolled: 1-line block ×5, first 2 shown]
	v_add_f64 v[71:72], v[71:72], v[93:94]
	v_add_f64 v[93:94], v[97:98], v[99:100]
	;; [unrolled: 1-line block ×3, first 2 shown]
	v_add_f64 v[91:92], v[93:94], -v[97:98]
	v_add_f64 v[71:72], v[103:104], v[71:72]
	v_add_f64 v[91:92], v[99:100], -v[91:92]
	v_mul_f64 v[71:72], v[73:74], v[71:72]
	v_add_f64 v[71:72], v[91:92], v[71:72]
	v_add_f64 v[73:74], v[93:94], v[71:72]
	v_mul_f64 v[91:92], v[73:74], v[73:74]
	v_fma_f64 v[95:96], v[91:92], s[66:67], s[64:65]
	v_mul_f64 v[97:98], v[73:74], v[91:92]
	v_fma_f64 v[95:96], v[91:92], v[95:96], s[68:69]
	v_fma_f64 v[95:96], v[91:92], v[95:96], s[70:71]
	;; [unrolled: 1-line block ×5, first 2 shown]
	v_ldexp_f64 v[95:96], v[73:74], 1
	v_add_f64 v[73:74], v[73:74], -v[93:94]
	v_mul_f64 v[91:92], v[97:98], v[91:92]
	v_cvt_f64_i32_e32 v[97:98], v109
	v_add_f64 v[71:72], v[71:72], -v[73:74]
	v_add_f64 v[93:94], v[95:96], v[91:92]
	v_mul_f64 v[99:100], v[97:98], s[78:79]
	v_ldexp_f64 v[71:72], v[71:72], 1
	v_add_f64 v[73:74], v[93:94], -v[95:96]
	v_fma_f64 v[95:96], v[97:98], s[78:79], -v[99:100]
	v_add_f64 v[73:74], v[91:92], -v[73:74]
	v_fma_f64 v[91:92], v[97:98], s[80:81], v[95:96]
	v_add_f64 v[71:72], v[71:72], v[73:74]
	v_add_f64 v[73:74], v[99:100], v[91:92]
	;; [unrolled: 1-line block ×3, first 2 shown]
	v_add_f64 v[99:100], v[73:74], -v[99:100]
	v_add_f64 v[97:98], v[73:74], v[95:96]
	v_add_f64 v[93:94], v[95:96], -v[93:94]
	v_add_f64 v[91:92], v[91:92], -v[99:100]
	;; [unrolled: 1-line block ×6, first 2 shown]
	v_add_f64 v[95:96], v[91:92], v[71:72]
	v_add_f64 v[73:74], v[73:74], -v[103:104]
	v_add_f64 v[73:74], v[93:94], v[73:74]
	v_add_f64 v[93:94], v[95:96], -v[91:92]
	;; [unrolled: 2-line block ×3, first 2 shown]
	v_add_f64 v[71:72], v[71:72], -v[93:94]
	v_add_f64 v[99:100], v[97:98], v[73:74]
	v_add_f64 v[91:92], v[91:92], -v[95:96]
	v_add_f64 v[93:94], v[99:100], -v[97:98]
	v_add_f64 v[71:72], v[71:72], v[91:92]
	v_add_f64 v[73:74], v[73:74], -v[93:94]
	v_add_f64 v[71:72], v[71:72], v[73:74]
	v_add_f64 v[71:72], v[99:100], v[71:72]
	v_cndmask_b32_e32 v71, 0, v71, vcc_lo
	v_cmp_neq_f64_e32 vcc_lo, -1.0, v[9:10]
	v_cndmask_b32_e64 v72, 0x7ff00000, v72, s16
	v_cndmask_b32_e64 v72, 0x7ff80000, v72, s17
	v_cndmask_b32_e32 v72, 0xfff00000, v72, vcc_lo
	v_add_f64 v[71:72], v[7:8], v[71:72]
.LBB9_141:                              ;   in Loop: Header=BB9_125 Depth=1
	s_or_b32 exec_lo, exec_lo, s86
	v_mov_b32_e32 v7, v71
	v_mov_b32_e32 v9, v71
	;; [unrolled: 1-line block ×4, first 2 shown]
.LBB9_142:                              ;   in Loop: Header=BB9_125 Depth=1
	s_or_b32 exec_lo, exec_lo, s85
	s_waitcnt lgkmcnt(1)
	ds_bpermute_b32 v71, v86, v9
	s_waitcnt lgkmcnt(1)
	ds_bpermute_b32 v72, v86, v10
	s_mov_b32 s85, exec_lo
	v_cmpx_le_u32_e64 v87, v12
	s_cbranch_execz .LBB9_146
; %bb.143:                              ;   in Loop: Header=BB9_125 Depth=1
	s_waitcnt lgkmcnt(0)
	v_max_f64 v[9:10], v[71:72], v[71:72]
	v_max_f64 v[73:74], v[7:8], v[7:8]
	v_cmp_u_f64_e32 vcc_lo, v[71:72], v[71:72]
	v_cmp_u_f64_e64 s16, v[7:8], v[7:8]
	v_min_f64 v[91:92], v[9:10], v[73:74]
	v_max_f64 v[9:10], v[9:10], v[73:74]
	v_cndmask_b32_e32 v73, v92, v72, vcc_lo
	v_cndmask_b32_e32 v74, v91, v71, vcc_lo
	;; [unrolled: 1-line block ×4, first 2 shown]
	v_cndmask_b32_e64 v10, v73, v8, s16
	v_cndmask_b32_e64 v9, v74, v7, s16
	;; [unrolled: 1-line block ×4, first 2 shown]
	v_cmp_class_f64_e64 s16, v[9:10], 0x1f8
	v_cmp_neq_f64_e32 vcc_lo, v[9:10], v[7:8]
	s_or_b32 s16, vcc_lo, s16
	s_and_saveexec_b32 s86, s16
	s_cbranch_execz .LBB9_145
; %bb.144:                              ;   in Loop: Header=BB9_125 Depth=1
	v_add_f64 v[9:10], v[9:10], -v[7:8]
	s_mov_b32 s77, s63
	s_mov_b32 s78, s38
	;; [unrolled: 1-line block ×3, first 2 shown]
	v_mul_f64 v[71:72], v[9:10], s[36:37]
	v_cmp_nlt_f64_e32 vcc_lo, 0x40900000, v[9:10]
	v_cmp_ngt_f64_e64 s16, 0xc090cc00, v[9:10]
	v_rndne_f64_e32 v[71:72], v[71:72]
	v_fma_f64 v[73:74], v[71:72], s[38:39], v[9:10]
	v_cvt_i32_f64_e32 v93, v[71:72]
	v_fma_f64 v[73:74], v[71:72], s[40:41], v[73:74]
	v_fma_f64 v[91:92], v[73:74], s[44:45], s[42:43]
	;; [unrolled: 1-line block ×10, first 2 shown]
	v_fma_f64 v[91:92], v[73:74], v[91:92], 1.0
	v_fma_f64 v[71:72], v[73:74], v[91:92], 1.0
	v_ldexp_f64 v[71:72], v[71:72], v93
	v_cndmask_b32_e32 v72, 0x7ff00000, v72, vcc_lo
	s_and_b32 vcc_lo, s16, vcc_lo
	v_cndmask_b32_e32 v9, 0, v71, vcc_lo
	v_cndmask_b32_e64 v10, 0, v72, s16
	v_add_f64 v[71:72], v[9:10], 1.0
	v_cmp_neq_f64_e64 s16, 0x7ff00000, v[9:10]
	v_cmp_ngt_f64_e64 s17, -1.0, v[9:10]
	v_frexp_mant_f64_e32 v[73:74], v[71:72]
	v_frexp_exp_i32_f64_e32 v93, v[71:72]
	v_add_f64 v[91:92], v[71:72], -1.0
	v_cmp_gt_f64_e32 vcc_lo, s[62:63], v[73:74]
	v_add_f64 v[73:74], v[91:92], -v[71:72]
	v_add_f64 v[91:92], v[9:10], -v[91:92]
	v_subrev_co_ci_u32_e64 v109, null, 0, v93, vcc_lo
	v_add_f64 v[73:74], v[73:74], 1.0
	v_cmp_nge_f64_e32 vcc_lo, -1.0, v[9:10]
	v_sub_nc_u32_e32 v95, 0, v109
	v_ldexp_f64 v[71:72], v[71:72], v95
	v_add_f64 v[73:74], v[91:92], v[73:74]
	s_and_b32 vcc_lo, vcc_lo, s16
	v_add_f64 v[93:94], v[71:72], 1.0
	v_add_f64 v[99:100], v[71:72], -1.0
	v_ldexp_f64 v[73:74], v[73:74], v95
	v_add_f64 v[91:92], v[93:94], -1.0
	v_add_f64 v[101:102], v[99:100], 1.0
	v_add_f64 v[91:92], v[71:72], -v[91:92]
	v_add_f64 v[71:72], v[71:72], -v[101:102]
	v_add_f64 v[91:92], v[73:74], v[91:92]
	v_add_f64 v[71:72], v[73:74], v[71:72]
	;; [unrolled: 1-line block ×4, first 2 shown]
	v_rcp_f64_e32 v[97:98], v[95:96]
	v_add_f64 v[93:94], v[95:96], -v[93:94]
	v_add_f64 v[99:100], v[101:102], -v[99:100]
	;; [unrolled: 1-line block ×3, first 2 shown]
	v_fma_f64 v[103:104], -v[95:96], v[97:98], 1.0
	v_add_f64 v[71:72], v[71:72], -v[99:100]
	v_fma_f64 v[97:98], v[103:104], v[97:98], v[97:98]
	v_fma_f64 v[73:74], -v[95:96], v[97:98], 1.0
	v_fma_f64 v[73:74], v[73:74], v[97:98], v[97:98]
	v_mul_f64 v[97:98], v[101:102], v[73:74]
	v_mul_f64 v[103:104], v[95:96], v[97:98]
	v_fma_f64 v[93:94], v[97:98], v[95:96], -v[103:104]
	v_fma_f64 v[93:94], v[97:98], v[91:92], v[93:94]
	v_add_f64 v[105:106], v[103:104], v[93:94]
	v_add_f64 v[107:108], v[101:102], -v[105:106]
	v_add_f64 v[99:100], v[105:106], -v[103:104]
	;; [unrolled: 1-line block ×5, first 2 shown]
	v_add_f64 v[71:72], v[71:72], v[101:102]
	v_add_f64 v[71:72], v[93:94], v[71:72]
	;; [unrolled: 1-line block ×3, first 2 shown]
	v_mul_f64 v[99:100], v[73:74], v[93:94]
	v_add_f64 v[105:106], v[107:108], -v[93:94]
	v_mul_f64 v[101:102], v[95:96], v[99:100]
	v_add_f64 v[71:72], v[71:72], v[105:106]
	v_fma_f64 v[95:96], v[99:100], v[95:96], -v[101:102]
	v_fma_f64 v[91:92], v[99:100], v[91:92], v[95:96]
	v_add_f64 v[95:96], v[101:102], v[91:92]
	v_add_f64 v[103:104], v[93:94], -v[95:96]
	v_add_f64 v[101:102], v[95:96], -v[101:102]
	;; [unrolled: 1-line block ×5, first 2 shown]
	v_add_f64 v[71:72], v[71:72], v[93:94]
	v_add_f64 v[93:94], v[97:98], v[99:100]
	;; [unrolled: 1-line block ×3, first 2 shown]
	v_add_f64 v[91:92], v[93:94], -v[97:98]
	v_add_f64 v[71:72], v[103:104], v[71:72]
	v_add_f64 v[91:92], v[99:100], -v[91:92]
	v_mul_f64 v[71:72], v[73:74], v[71:72]
	v_add_f64 v[71:72], v[91:92], v[71:72]
	v_add_f64 v[73:74], v[93:94], v[71:72]
	v_mul_f64 v[91:92], v[73:74], v[73:74]
	v_fma_f64 v[95:96], v[91:92], s[66:67], s[64:65]
	v_mul_f64 v[97:98], v[73:74], v[91:92]
	v_fma_f64 v[95:96], v[91:92], v[95:96], s[68:69]
	v_fma_f64 v[95:96], v[91:92], v[95:96], s[70:71]
	;; [unrolled: 1-line block ×5, first 2 shown]
	v_ldexp_f64 v[95:96], v[73:74], 1
	v_add_f64 v[73:74], v[73:74], -v[93:94]
	v_mul_f64 v[91:92], v[97:98], v[91:92]
	v_cvt_f64_i32_e32 v[97:98], v109
	v_add_f64 v[71:72], v[71:72], -v[73:74]
	v_add_f64 v[93:94], v[95:96], v[91:92]
	v_mul_f64 v[99:100], v[97:98], s[78:79]
	v_ldexp_f64 v[71:72], v[71:72], 1
	v_add_f64 v[73:74], v[93:94], -v[95:96]
	v_fma_f64 v[95:96], v[97:98], s[78:79], -v[99:100]
	v_add_f64 v[73:74], v[91:92], -v[73:74]
	v_fma_f64 v[91:92], v[97:98], s[80:81], v[95:96]
	v_add_f64 v[71:72], v[71:72], v[73:74]
	v_add_f64 v[73:74], v[99:100], v[91:92]
	;; [unrolled: 1-line block ×3, first 2 shown]
	v_add_f64 v[99:100], v[73:74], -v[99:100]
	v_add_f64 v[97:98], v[73:74], v[95:96]
	v_add_f64 v[93:94], v[95:96], -v[93:94]
	v_add_f64 v[91:92], v[91:92], -v[99:100]
	;; [unrolled: 1-line block ×6, first 2 shown]
	v_add_f64 v[95:96], v[91:92], v[71:72]
	v_add_f64 v[73:74], v[73:74], -v[103:104]
	v_add_f64 v[73:74], v[93:94], v[73:74]
	v_add_f64 v[93:94], v[95:96], -v[91:92]
	;; [unrolled: 2-line block ×3, first 2 shown]
	v_add_f64 v[71:72], v[71:72], -v[93:94]
	v_add_f64 v[99:100], v[97:98], v[73:74]
	v_add_f64 v[91:92], v[91:92], -v[95:96]
	v_add_f64 v[93:94], v[99:100], -v[97:98]
	v_add_f64 v[71:72], v[71:72], v[91:92]
	v_add_f64 v[73:74], v[73:74], -v[93:94]
	v_add_f64 v[71:72], v[71:72], v[73:74]
	v_add_f64 v[71:72], v[99:100], v[71:72]
	v_cndmask_b32_e32 v71, 0, v71, vcc_lo
	v_cmp_neq_f64_e32 vcc_lo, -1.0, v[9:10]
	v_cndmask_b32_e64 v72, 0x7ff00000, v72, s16
	v_cndmask_b32_e64 v72, 0x7ff80000, v72, s17
	v_cndmask_b32_e32 v72, 0xfff00000, v72, vcc_lo
	v_add_f64 v[71:72], v[7:8], v[71:72]
.LBB9_145:                              ;   in Loop: Header=BB9_125 Depth=1
	s_or_b32 exec_lo, exec_lo, s86
	v_mov_b32_e32 v7, v71
	v_mov_b32_e32 v9, v71
	;; [unrolled: 1-line block ×4, first 2 shown]
.LBB9_146:                              ;   in Loop: Header=BB9_125 Depth=1
	s_or_b32 exec_lo, exec_lo, s85
	ds_bpermute_b32 v9, v88, v9
	ds_bpermute_b32 v10, v88, v10
	s_mov_b32 s85, exec_lo
	v_cmpx_le_u32_e64 v89, v12
	s_cbranch_execz .LBB9_150
; %bb.147:                              ;   in Loop: Header=BB9_125 Depth=1
	s_waitcnt lgkmcnt(0)
	v_max_f64 v[71:72], v[9:10], v[9:10]
	v_max_f64 v[73:74], v[7:8], v[7:8]
	v_cmp_u_f64_e32 vcc_lo, v[9:10], v[9:10]
	v_cmp_u_f64_e64 s16, v[7:8], v[7:8]
	v_min_f64 v[91:92], v[71:72], v[73:74]
	v_max_f64 v[71:72], v[71:72], v[73:74]
	v_cndmask_b32_e32 v12, v92, v10, vcc_lo
	v_cndmask_b32_e32 v73, v91, v9, vcc_lo
	;; [unrolled: 1-line block ×4, first 2 shown]
	v_cndmask_b32_e64 v72, v12, v8, s16
	v_cndmask_b32_e64 v71, v73, v7, s16
	;; [unrolled: 1-line block ×4, first 2 shown]
	v_cmp_class_f64_e64 s16, v[71:72], 0x1f8
	v_cmp_neq_f64_e32 vcc_lo, v[71:72], v[7:8]
	s_or_b32 s16, vcc_lo, s16
	s_and_saveexec_b32 s86, s16
	s_cbranch_execz .LBB9_149
; %bb.148:                              ;   in Loop: Header=BB9_125 Depth=1
	v_add_f64 v[9:10], v[71:72], -v[7:8]
	s_mov_b32 s77, s63
	s_mov_b32 s78, s38
	;; [unrolled: 1-line block ×3, first 2 shown]
	v_mul_f64 v[71:72], v[9:10], s[36:37]
	v_cmp_nlt_f64_e32 vcc_lo, 0x40900000, v[9:10]
	v_cmp_ngt_f64_e64 s16, 0xc090cc00, v[9:10]
	v_rndne_f64_e32 v[71:72], v[71:72]
	v_fma_f64 v[73:74], v[71:72], s[38:39], v[9:10]
	v_cvt_i32_f64_e32 v12, v[71:72]
	v_fma_f64 v[73:74], v[71:72], s[40:41], v[73:74]
	v_fma_f64 v[91:92], v[73:74], s[44:45], s[42:43]
	;; [unrolled: 1-line block ×10, first 2 shown]
	v_fma_f64 v[91:92], v[73:74], v[91:92], 1.0
	v_fma_f64 v[71:72], v[73:74], v[91:92], 1.0
	v_ldexp_f64 v[71:72], v[71:72], v12
	v_cndmask_b32_e32 v12, 0x7ff00000, v72, vcc_lo
	s_and_b32 vcc_lo, s16, vcc_lo
	v_cndmask_b32_e32 v9, 0, v71, vcc_lo
	v_cndmask_b32_e64 v10, 0, v12, s16
	v_add_f64 v[71:72], v[9:10], 1.0
	v_cmp_neq_f64_e64 s16, 0x7ff00000, v[9:10]
	v_cmp_ngt_f64_e64 s17, -1.0, v[9:10]
	v_frexp_mant_f64_e32 v[73:74], v[71:72]
	v_frexp_exp_i32_f64_e32 v12, v[71:72]
	v_add_f64 v[91:92], v[71:72], -1.0
	v_cmp_gt_f64_e32 vcc_lo, s[62:63], v[73:74]
	v_add_f64 v[73:74], v[91:92], -v[71:72]
	v_add_f64 v[91:92], v[9:10], -v[91:92]
	v_subrev_co_ci_u32_e64 v12, null, 0, v12, vcc_lo
	v_add_f64 v[73:74], v[73:74], 1.0
	v_cmp_nge_f64_e32 vcc_lo, -1.0, v[9:10]
	v_sub_nc_u32_e32 v95, 0, v12
	v_ldexp_f64 v[71:72], v[71:72], v95
	v_add_f64 v[73:74], v[91:92], v[73:74]
	s_and_b32 vcc_lo, vcc_lo, s16
	v_add_f64 v[93:94], v[71:72], 1.0
	v_add_f64 v[99:100], v[71:72], -1.0
	v_ldexp_f64 v[73:74], v[73:74], v95
	v_add_f64 v[91:92], v[93:94], -1.0
	v_add_f64 v[101:102], v[99:100], 1.0
	v_add_f64 v[91:92], v[71:72], -v[91:92]
	v_add_f64 v[71:72], v[71:72], -v[101:102]
	v_add_f64 v[91:92], v[73:74], v[91:92]
	v_add_f64 v[71:72], v[73:74], v[71:72]
	;; [unrolled: 1-line block ×4, first 2 shown]
	v_rcp_f64_e32 v[97:98], v[95:96]
	v_add_f64 v[93:94], v[95:96], -v[93:94]
	v_add_f64 v[99:100], v[101:102], -v[99:100]
	;; [unrolled: 1-line block ×3, first 2 shown]
	v_fma_f64 v[103:104], -v[95:96], v[97:98], 1.0
	v_add_f64 v[71:72], v[71:72], -v[99:100]
	v_fma_f64 v[97:98], v[103:104], v[97:98], v[97:98]
	v_fma_f64 v[73:74], -v[95:96], v[97:98], 1.0
	v_fma_f64 v[73:74], v[73:74], v[97:98], v[97:98]
	v_mul_f64 v[97:98], v[101:102], v[73:74]
	v_mul_f64 v[103:104], v[95:96], v[97:98]
	v_fma_f64 v[93:94], v[97:98], v[95:96], -v[103:104]
	v_fma_f64 v[93:94], v[97:98], v[91:92], v[93:94]
	v_add_f64 v[105:106], v[103:104], v[93:94]
	v_add_f64 v[107:108], v[101:102], -v[105:106]
	v_add_f64 v[99:100], v[105:106], -v[103:104]
	;; [unrolled: 1-line block ×5, first 2 shown]
	v_add_f64 v[71:72], v[71:72], v[101:102]
	v_add_f64 v[71:72], v[93:94], v[71:72]
	;; [unrolled: 1-line block ×3, first 2 shown]
	v_mul_f64 v[99:100], v[73:74], v[93:94]
	v_add_f64 v[105:106], v[107:108], -v[93:94]
	v_mul_f64 v[101:102], v[95:96], v[99:100]
	v_add_f64 v[71:72], v[71:72], v[105:106]
	v_fma_f64 v[95:96], v[99:100], v[95:96], -v[101:102]
	v_fma_f64 v[91:92], v[99:100], v[91:92], v[95:96]
	v_add_f64 v[95:96], v[101:102], v[91:92]
	v_add_f64 v[103:104], v[93:94], -v[95:96]
	v_add_f64 v[101:102], v[95:96], -v[101:102]
	;; [unrolled: 1-line block ×5, first 2 shown]
	v_add_f64 v[71:72], v[71:72], v[93:94]
	v_add_f64 v[93:94], v[97:98], v[99:100]
	;; [unrolled: 1-line block ×3, first 2 shown]
	v_add_f64 v[91:92], v[93:94], -v[97:98]
	v_add_f64 v[71:72], v[103:104], v[71:72]
	v_add_f64 v[91:92], v[99:100], -v[91:92]
	v_mul_f64 v[71:72], v[73:74], v[71:72]
	v_add_f64 v[71:72], v[91:92], v[71:72]
	v_add_f64 v[73:74], v[93:94], v[71:72]
	v_mul_f64 v[91:92], v[73:74], v[73:74]
	v_fma_f64 v[95:96], v[91:92], s[66:67], s[64:65]
	v_mul_f64 v[97:98], v[73:74], v[91:92]
	v_fma_f64 v[95:96], v[91:92], v[95:96], s[68:69]
	v_fma_f64 v[95:96], v[91:92], v[95:96], s[70:71]
	;; [unrolled: 1-line block ×5, first 2 shown]
	v_ldexp_f64 v[95:96], v[73:74], 1
	v_add_f64 v[73:74], v[73:74], -v[93:94]
	v_mul_f64 v[91:92], v[97:98], v[91:92]
	v_cvt_f64_i32_e32 v[97:98], v12
	v_add_f64 v[71:72], v[71:72], -v[73:74]
	v_add_f64 v[93:94], v[95:96], v[91:92]
	v_mul_f64 v[99:100], v[97:98], s[78:79]
	v_ldexp_f64 v[71:72], v[71:72], 1
	v_add_f64 v[73:74], v[93:94], -v[95:96]
	v_fma_f64 v[95:96], v[97:98], s[78:79], -v[99:100]
	v_add_f64 v[73:74], v[91:92], -v[73:74]
	v_fma_f64 v[91:92], v[97:98], s[80:81], v[95:96]
	v_add_f64 v[71:72], v[71:72], v[73:74]
	v_add_f64 v[73:74], v[99:100], v[91:92]
	;; [unrolled: 1-line block ×3, first 2 shown]
	v_add_f64 v[99:100], v[73:74], -v[99:100]
	v_add_f64 v[97:98], v[73:74], v[95:96]
	v_add_f64 v[93:94], v[95:96], -v[93:94]
	v_add_f64 v[91:92], v[91:92], -v[99:100]
	;; [unrolled: 1-line block ×6, first 2 shown]
	v_add_f64 v[95:96], v[91:92], v[71:72]
	v_add_f64 v[73:74], v[73:74], -v[103:104]
	v_add_f64 v[73:74], v[93:94], v[73:74]
	v_add_f64 v[93:94], v[95:96], -v[91:92]
	;; [unrolled: 2-line block ×3, first 2 shown]
	v_add_f64 v[71:72], v[71:72], -v[93:94]
	v_add_f64 v[99:100], v[97:98], v[73:74]
	v_add_f64 v[91:92], v[91:92], -v[95:96]
	v_add_f64 v[93:94], v[99:100], -v[97:98]
	v_add_f64 v[71:72], v[71:72], v[91:92]
	v_add_f64 v[73:74], v[73:74], -v[93:94]
	v_add_f64 v[71:72], v[71:72], v[73:74]
	v_add_f64 v[71:72], v[99:100], v[71:72]
	v_cndmask_b32_e32 v71, 0, v71, vcc_lo
	v_cmp_neq_f64_e32 vcc_lo, -1.0, v[9:10]
	v_cndmask_b32_e64 v12, 0x7ff00000, v72, s16
	v_cndmask_b32_e64 v12, 0x7ff80000, v12, s17
	v_cndmask_b32_e32 v72, 0xfff00000, v12, vcc_lo
	v_add_f64 v[9:10], v[7:8], v[71:72]
.LBB9_149:                              ;   in Loop: Header=BB9_125 Depth=1
	s_or_b32 exec_lo, exec_lo, s86
	v_mov_b32_e32 v7, v9
	v_mov_b32_e32 v8, v10
.LBB9_150:                              ;   in Loop: Header=BB9_125 Depth=1
	s_or_b32 exec_lo, exec_lo, s85
	s_waitcnt lgkmcnt(0)
	v_max_f64 v[9:10], v[69:70], v[69:70]
	v_max_f64 v[71:72], v[7:8], v[7:8]
	v_cmp_u_f64_e32 vcc_lo, v[7:8], v[7:8]
	v_cmp_u_f64_e64 s16, v[69:70], v[69:70]
	v_min_f64 v[73:74], v[71:72], v[9:10]
	v_max_f64 v[9:10], v[71:72], v[9:10]
	v_cndmask_b32_e32 v12, v73, v7, vcc_lo
	v_cndmask_b32_e32 v71, v74, v8, vcc_lo
	;; [unrolled: 1-line block ×4, first 2 shown]
	v_cndmask_b32_e64 v72, v71, v70, s16
	v_cndmask_b32_e64 v71, v12, v69, s16
	;; [unrolled: 1-line block ×4, first 2 shown]
	v_cmp_class_f64_e64 s16, v[71:72], 0x1f8
	v_cmp_neq_f64_e32 vcc_lo, v[71:72], v[9:10]
	s_or_b32 s16, vcc_lo, s16
	s_and_saveexec_b32 s17, s16
	s_xor_b32 s85, exec_lo, s17
	s_cbranch_execz .LBB9_123
; %bb.151:                              ;   in Loop: Header=BB9_125 Depth=1
	v_add_f64 v[7:8], v[71:72], -v[9:10]
	s_mov_b32 s77, s63
	s_mov_b32 s78, s38
	;; [unrolled: 1-line block ×3, first 2 shown]
	v_mul_f64 v[71:72], v[7:8], s[36:37]
	v_cmp_nlt_f64_e32 vcc_lo, 0x40900000, v[7:8]
	v_cmp_ngt_f64_e64 s16, 0xc090cc00, v[7:8]
	v_rndne_f64_e32 v[71:72], v[71:72]
	v_fma_f64 v[73:74], v[71:72], s[38:39], v[7:8]
	v_cvt_i32_f64_e32 v12, v[71:72]
	v_fma_f64 v[73:74], v[71:72], s[40:41], v[73:74]
	v_fma_f64 v[91:92], v[73:74], s[44:45], s[42:43]
	;; [unrolled: 1-line block ×10, first 2 shown]
	v_fma_f64 v[91:92], v[73:74], v[91:92], 1.0
	v_fma_f64 v[71:72], v[73:74], v[91:92], 1.0
	v_ldexp_f64 v[71:72], v[71:72], v12
	v_cndmask_b32_e32 v12, 0x7ff00000, v72, vcc_lo
	s_and_b32 vcc_lo, s16, vcc_lo
	v_cndmask_b32_e32 v7, 0, v71, vcc_lo
	v_cndmask_b32_e64 v8, 0, v12, s16
	v_add_f64 v[71:72], v[7:8], 1.0
	v_cmp_neq_f64_e64 s16, 0x7ff00000, v[7:8]
	v_cmp_ngt_f64_e64 s17, -1.0, v[7:8]
	v_frexp_mant_f64_e32 v[73:74], v[71:72]
	v_frexp_exp_i32_f64_e32 v12, v[71:72]
	v_add_f64 v[91:92], v[71:72], -1.0
	v_cmp_gt_f64_e32 vcc_lo, s[62:63], v[73:74]
	v_add_f64 v[73:74], v[91:92], -v[71:72]
	v_add_f64 v[91:92], v[7:8], -v[91:92]
	v_subrev_co_ci_u32_e64 v12, null, 0, v12, vcc_lo
	v_add_f64 v[73:74], v[73:74], 1.0
	v_cmp_nge_f64_e32 vcc_lo, -1.0, v[7:8]
	v_sub_nc_u32_e32 v95, 0, v12
	v_ldexp_f64 v[71:72], v[71:72], v95
	v_add_f64 v[73:74], v[91:92], v[73:74]
	s_and_b32 vcc_lo, vcc_lo, s16
	v_add_f64 v[93:94], v[71:72], 1.0
	v_add_f64 v[99:100], v[71:72], -1.0
	v_ldexp_f64 v[73:74], v[73:74], v95
	v_add_f64 v[91:92], v[93:94], -1.0
	v_add_f64 v[101:102], v[99:100], 1.0
	v_add_f64 v[91:92], v[71:72], -v[91:92]
	v_add_f64 v[71:72], v[71:72], -v[101:102]
	v_add_f64 v[91:92], v[73:74], v[91:92]
	v_add_f64 v[71:72], v[73:74], v[71:72]
	;; [unrolled: 1-line block ×4, first 2 shown]
	v_rcp_f64_e32 v[97:98], v[95:96]
	v_add_f64 v[93:94], v[95:96], -v[93:94]
	v_add_f64 v[99:100], v[101:102], -v[99:100]
	v_add_f64 v[91:92], v[91:92], -v[93:94]
	v_fma_f64 v[103:104], -v[95:96], v[97:98], 1.0
	v_add_f64 v[71:72], v[71:72], -v[99:100]
	v_fma_f64 v[97:98], v[103:104], v[97:98], v[97:98]
	v_fma_f64 v[73:74], -v[95:96], v[97:98], 1.0
	v_fma_f64 v[73:74], v[73:74], v[97:98], v[97:98]
	v_mul_f64 v[97:98], v[101:102], v[73:74]
	v_mul_f64 v[103:104], v[95:96], v[97:98]
	v_fma_f64 v[93:94], v[97:98], v[95:96], -v[103:104]
	v_fma_f64 v[93:94], v[97:98], v[91:92], v[93:94]
	v_add_f64 v[105:106], v[103:104], v[93:94]
	v_add_f64 v[107:108], v[101:102], -v[105:106]
	v_add_f64 v[99:100], v[105:106], -v[103:104]
	;; [unrolled: 1-line block ×5, first 2 shown]
	v_add_f64 v[71:72], v[71:72], v[101:102]
	v_add_f64 v[71:72], v[93:94], v[71:72]
	;; [unrolled: 1-line block ×3, first 2 shown]
	v_mul_f64 v[99:100], v[73:74], v[93:94]
	v_add_f64 v[105:106], v[107:108], -v[93:94]
	v_mul_f64 v[101:102], v[95:96], v[99:100]
	v_add_f64 v[71:72], v[71:72], v[105:106]
	v_fma_f64 v[95:96], v[99:100], v[95:96], -v[101:102]
	v_fma_f64 v[91:92], v[99:100], v[91:92], v[95:96]
	v_add_f64 v[95:96], v[101:102], v[91:92]
	v_add_f64 v[103:104], v[93:94], -v[95:96]
	v_add_f64 v[101:102], v[95:96], -v[101:102]
	;; [unrolled: 1-line block ×5, first 2 shown]
	v_add_f64 v[71:72], v[71:72], v[93:94]
	v_add_f64 v[93:94], v[97:98], v[99:100]
	;; [unrolled: 1-line block ×3, first 2 shown]
	v_add_f64 v[91:92], v[93:94], -v[97:98]
	v_add_f64 v[71:72], v[103:104], v[71:72]
	v_add_f64 v[91:92], v[99:100], -v[91:92]
	v_mul_f64 v[71:72], v[73:74], v[71:72]
	v_add_f64 v[71:72], v[91:92], v[71:72]
	v_add_f64 v[73:74], v[93:94], v[71:72]
	v_mul_f64 v[91:92], v[73:74], v[73:74]
	v_fma_f64 v[95:96], v[91:92], s[66:67], s[64:65]
	v_mul_f64 v[97:98], v[73:74], v[91:92]
	v_fma_f64 v[95:96], v[91:92], v[95:96], s[68:69]
	v_fma_f64 v[95:96], v[91:92], v[95:96], s[70:71]
	;; [unrolled: 1-line block ×5, first 2 shown]
	v_ldexp_f64 v[95:96], v[73:74], 1
	v_add_f64 v[73:74], v[73:74], -v[93:94]
	v_mul_f64 v[91:92], v[97:98], v[91:92]
	v_cvt_f64_i32_e32 v[97:98], v12
	v_add_f64 v[71:72], v[71:72], -v[73:74]
	v_add_f64 v[93:94], v[95:96], v[91:92]
	v_mul_f64 v[99:100], v[97:98], s[78:79]
	v_ldexp_f64 v[71:72], v[71:72], 1
	v_add_f64 v[73:74], v[93:94], -v[95:96]
	v_fma_f64 v[95:96], v[97:98], s[78:79], -v[99:100]
	v_add_f64 v[73:74], v[91:92], -v[73:74]
	v_fma_f64 v[91:92], v[97:98], s[80:81], v[95:96]
	v_add_f64 v[71:72], v[71:72], v[73:74]
	v_add_f64 v[73:74], v[99:100], v[91:92]
	;; [unrolled: 1-line block ×3, first 2 shown]
	v_add_f64 v[99:100], v[73:74], -v[99:100]
	v_add_f64 v[97:98], v[73:74], v[95:96]
	v_add_f64 v[93:94], v[95:96], -v[93:94]
	v_add_f64 v[91:92], v[91:92], -v[99:100]
	;; [unrolled: 1-line block ×6, first 2 shown]
	v_add_f64 v[95:96], v[91:92], v[71:72]
	v_add_f64 v[73:74], v[73:74], -v[103:104]
	v_add_f64 v[73:74], v[93:94], v[73:74]
	v_add_f64 v[93:94], v[95:96], -v[91:92]
	;; [unrolled: 2-line block ×3, first 2 shown]
	v_add_f64 v[71:72], v[71:72], -v[93:94]
	v_add_f64 v[99:100], v[97:98], v[73:74]
	v_add_f64 v[91:92], v[91:92], -v[95:96]
	v_add_f64 v[93:94], v[99:100], -v[97:98]
	v_add_f64 v[71:72], v[71:72], v[91:92]
	v_add_f64 v[73:74], v[73:74], -v[93:94]
	v_add_f64 v[71:72], v[71:72], v[73:74]
	v_add_f64 v[71:72], v[99:100], v[71:72]
	v_cndmask_b32_e32 v71, 0, v71, vcc_lo
	v_cmp_neq_f64_e32 vcc_lo, -1.0, v[7:8]
	v_cndmask_b32_e64 v12, 0x7ff00000, v72, s16
	v_cndmask_b32_e64 v12, 0x7ff80000, v12, s17
	v_cndmask_b32_e32 v72, 0xfff00000, v12, vcc_lo
	v_add_f64 v[7:8], v[9:10], v[71:72]
	s_branch .LBB9_123
.LBB9_152:
                                        ; implicit-def: $vgpr5_vgpr6_vgpr7_vgpr8_vgpr9_vgpr10_vgpr11_vgpr12_vgpr13_vgpr14_vgpr15_vgpr16_vgpr17_vgpr18_vgpr19_vgpr20_vgpr21_vgpr22_vgpr23_vgpr24_vgpr25_vgpr26_vgpr27_vgpr28_vgpr29_vgpr30_vgpr31_vgpr32_vgpr33_vgpr34_vgpr35_vgpr36
	s_cbranch_execnz .LBB9_192
	s_branch .LBB9_291
.LBB9_153:
	s_and_saveexec_b32 s40, s15
	s_cbranch_execz .LBB9_157
; %bb.154:
	v_max_f64 v[7:8], v[5:6], v[5:6]
	s_waitcnt lgkmcnt(0)
	v_max_f64 v[9:10], v[69:70], v[69:70]
	v_cmp_u_f64_e32 vcc_lo, v[69:70], v[69:70]
	v_cmp_u_f64_e64 s16, v[5:6], v[5:6]
	v_min_f64 v[11:12], v[9:10], v[7:8]
	v_max_f64 v[7:8], v[9:10], v[7:8]
	v_cndmask_b32_e32 v9, v11, v69, vcc_lo
	v_cndmask_b32_e32 v10, v12, v70, vcc_lo
	;; [unrolled: 1-line block ×4, first 2 shown]
	v_cndmask_b32_e64 v9, v9, v5, s16
	v_cndmask_b32_e64 v10, v10, v6, s16
	;; [unrolled: 1-line block ×4, first 2 shown]
	v_mov_b32_e32 v5, v69
	v_mov_b32_e32 v6, v70
	v_cmp_class_f64_e64 s16, v[9:10], 0x1f8
	v_cmp_neq_f64_e32 vcc_lo, v[9:10], v[7:8]
	s_or_b32 s16, vcc_lo, s16
	s_and_saveexec_b32 s41, s16
	s_cbranch_execz .LBB9_156
; %bb.155:
	v_add_f64 v[5:6], v[9:10], -v[7:8]
	s_mov_b32 s16, 0x652b82fe
	s_mov_b32 s17, 0x3ff71547
	;; [unrolled: 1-line block ×10, first 2 shown]
	v_mul_f64 v[9:10], v[5:6], s[16:17]
	s_mov_b32 s16, 0xfca7ab0c
	s_mov_b32 s17, 0x3e928af3
	v_cmp_nlt_f64_e32 vcc_lo, 0x40900000, v[5:6]
	v_rndne_f64_e32 v[9:10], v[9:10]
	v_fma_f64 v[11:12], v[9:10], s[36:37], v[5:6]
	v_cvt_i32_f64_e32 v71, v[9:10]
	s_mov_b32 s37, 0x3fe62e42
	v_fma_f64 v[11:12], v[9:10], s[38:39], v[11:12]
	s_mov_b32 s39, 0x3c7abc9e
	v_fma_f64 v[67:68], v[11:12], s[42:43], s[16:17]
	s_mov_b32 s16, 0x623fde64
	s_mov_b32 s17, 0x3ec71dee
	;; [unrolled: 1-line block ×4, first 2 shown]
	v_fma_f64 v[67:68], v[11:12], v[67:68], s[16:17]
	s_mov_b32 s16, 0x7c89e6b0
	s_mov_b32 s17, 0x3efa0199
	v_fma_f64 v[67:68], v[11:12], v[67:68], s[16:17]
	s_mov_b32 s16, 0x14761f6e
	s_mov_b32 s17, 0x3f2a01a0
	;; [unrolled: 3-line block ×7, first 2 shown]
	v_fma_f64 v[67:68], v[11:12], v[67:68], s[16:17]
	v_cmp_ngt_f64_e64 s16, 0xc090cc00, v[5:6]
	s_mov_b32 s17, 0x3fe55555
	v_fma_f64 v[67:68], v[11:12], v[67:68], 1.0
	v_fma_f64 v[9:10], v[11:12], v[67:68], 1.0
	v_ldexp_f64 v[9:10], v[9:10], v71
	v_cndmask_b32_e32 v10, 0x7ff00000, v10, vcc_lo
	s_and_b32 vcc_lo, s16, vcc_lo
	v_cndmask_b32_e32 v5, 0, v9, vcc_lo
	v_cndmask_b32_e64 v6, 0, v10, s16
	s_mov_b32 s16, 0x55555555
	v_add_f64 v[9:10], v[5:6], 1.0
	v_frexp_mant_f64_e32 v[11:12], v[9:10]
	v_frexp_exp_i32_f64_e32 v71, v[9:10]
	v_add_f64 v[67:68], v[9:10], -1.0
	v_cmp_gt_f64_e32 vcc_lo, s[16:17], v[11:12]
	s_mov_b32 s16, 0x55555780
	v_add_f64 v[11:12], v[67:68], -v[9:10]
	v_add_f64 v[67:68], v[5:6], -v[67:68]
	v_subrev_co_ci_u32_e64 v77, null, 0, v71, vcc_lo
	v_add_f64 v[11:12], v[11:12], 1.0
	v_cmp_nge_f64_e32 vcc_lo, -1.0, v[5:6]
	v_sub_nc_u32_e32 v73, 0, v77
	v_ldexp_f64 v[9:10], v[9:10], v73
	v_add_f64 v[11:12], v[67:68], v[11:12]
	v_add_f64 v[71:72], v[9:10], 1.0
	v_add_f64 v[82:83], v[9:10], -1.0
	v_ldexp_f64 v[11:12], v[11:12], v73
	v_add_f64 v[67:68], v[71:72], -1.0
	v_add_f64 v[84:85], v[82:83], 1.0
	v_add_f64 v[67:68], v[9:10], -v[67:68]
	v_add_f64 v[9:10], v[9:10], -v[84:85]
	v_add_f64 v[67:68], v[11:12], v[67:68]
	v_add_f64 v[9:10], v[11:12], v[9:10]
	;; [unrolled: 1-line block ×4, first 2 shown]
	v_rcp_f64_e32 v[80:81], v[73:74]
	v_add_f64 v[71:72], v[73:74], -v[71:72]
	v_add_f64 v[82:83], v[84:85], -v[82:83]
	;; [unrolled: 1-line block ×3, first 2 shown]
	v_fma_f64 v[86:87], -v[73:74], v[80:81], 1.0
	v_add_f64 v[9:10], v[9:10], -v[82:83]
	v_fma_f64 v[80:81], v[86:87], v[80:81], v[80:81]
	v_fma_f64 v[11:12], -v[73:74], v[80:81], 1.0
	v_fma_f64 v[11:12], v[11:12], v[80:81], v[80:81]
	v_mul_f64 v[80:81], v[84:85], v[11:12]
	v_mul_f64 v[86:87], v[73:74], v[80:81]
	v_fma_f64 v[71:72], v[80:81], v[73:74], -v[86:87]
	v_fma_f64 v[71:72], v[80:81], v[67:68], v[71:72]
	v_add_f64 v[88:89], v[86:87], v[71:72]
	v_add_f64 v[90:91], v[84:85], -v[88:89]
	v_add_f64 v[82:83], v[88:89], -v[86:87]
	;; [unrolled: 1-line block ×5, first 2 shown]
	v_add_f64 v[9:10], v[9:10], v[84:85]
	v_add_f64 v[9:10], v[71:72], v[9:10]
	;; [unrolled: 1-line block ×3, first 2 shown]
	v_mul_f64 v[82:83], v[11:12], v[71:72]
	v_add_f64 v[88:89], v[90:91], -v[71:72]
	v_mul_f64 v[84:85], v[73:74], v[82:83]
	v_add_f64 v[9:10], v[9:10], v[88:89]
	v_fma_f64 v[73:74], v[82:83], v[73:74], -v[84:85]
	v_fma_f64 v[67:68], v[82:83], v[67:68], v[73:74]
	v_add_f64 v[73:74], v[84:85], v[67:68]
	v_add_f64 v[86:87], v[71:72], -v[73:74]
	v_add_f64 v[84:85], v[73:74], -v[84:85]
	;; [unrolled: 1-line block ×5, first 2 shown]
	v_add_f64 v[9:10], v[9:10], v[71:72]
	v_add_f64 v[71:72], v[80:81], v[82:83]
	;; [unrolled: 1-line block ×3, first 2 shown]
	v_add_f64 v[67:68], v[71:72], -v[80:81]
	v_add_f64 v[9:10], v[86:87], v[9:10]
	v_add_f64 v[67:68], v[82:83], -v[67:68]
	v_mul_f64 v[9:10], v[11:12], v[9:10]
	v_add_f64 v[9:10], v[67:68], v[9:10]
	v_add_f64 v[11:12], v[71:72], v[9:10]
	v_mul_f64 v[67:68], v[11:12], v[11:12]
	v_fma_f64 v[73:74], v[67:68], s[44:45], s[42:43]
	s_mov_b32 s42, 0xd7f4df2e
	s_mov_b32 s43, 0x3fc7474d
	v_mul_f64 v[80:81], v[11:12], v[67:68]
	v_fma_f64 v[73:74], v[67:68], v[73:74], s[42:43]
	s_mov_b32 s42, 0x16291751
	s_mov_b32 s43, 0x3fcc71c0
	v_fma_f64 v[73:74], v[67:68], v[73:74], s[42:43]
	s_mov_b32 s42, 0x9b27acf1
	s_mov_b32 s43, 0x3fd24924
	;; [unrolled: 3-line block ×3, first 2 shown]
	v_fma_f64 v[73:74], v[67:68], v[73:74], s[42:43]
	v_fma_f64 v[67:68], v[67:68], v[73:74], s[16:17]
	v_ldexp_f64 v[73:74], v[11:12], 1
	v_add_f64 v[11:12], v[11:12], -v[71:72]
	v_cmp_neq_f64_e64 s16, 0x7ff00000, v[5:6]
	v_cmp_ngt_f64_e64 s17, -1.0, v[5:6]
	v_mul_f64 v[67:68], v[80:81], v[67:68]
	v_cvt_f64_i32_e32 v[80:81], v77
	v_add_f64 v[9:10], v[9:10], -v[11:12]
	s_and_b32 vcc_lo, vcc_lo, s16
	v_add_f64 v[71:72], v[73:74], v[67:68]
	v_mul_f64 v[82:83], v[80:81], s[36:37]
	v_ldexp_f64 v[9:10], v[9:10], 1
	v_add_f64 v[11:12], v[71:72], -v[73:74]
	v_fma_f64 v[73:74], v[80:81], s[36:37], -v[82:83]
	v_add_f64 v[11:12], v[67:68], -v[11:12]
	v_fma_f64 v[67:68], v[80:81], s[38:39], v[73:74]
	v_add_f64 v[9:10], v[9:10], v[11:12]
	v_add_f64 v[11:12], v[82:83], v[67:68]
	;; [unrolled: 1-line block ×3, first 2 shown]
	v_add_f64 v[82:83], v[11:12], -v[82:83]
	v_add_f64 v[80:81], v[11:12], v[73:74]
	v_add_f64 v[71:72], v[73:74], -v[71:72]
	v_add_f64 v[67:68], v[67:68], -v[82:83]
	;; [unrolled: 1-line block ×6, first 2 shown]
	v_add_f64 v[73:74], v[67:68], v[9:10]
	v_add_f64 v[11:12], v[11:12], -v[86:87]
	v_add_f64 v[11:12], v[71:72], v[11:12]
	v_add_f64 v[71:72], v[73:74], -v[67:68]
	v_add_f64 v[11:12], v[73:74], v[11:12]
	v_add_f64 v[73:74], v[73:74], -v[71:72]
	v_add_f64 v[9:10], v[9:10], -v[71:72]
	v_add_f64 v[82:83], v[80:81], v[11:12]
	v_add_f64 v[67:68], v[67:68], -v[73:74]
	v_add_f64 v[71:72], v[82:83], -v[80:81]
	v_add_f64 v[9:10], v[9:10], v[67:68]
	v_add_f64 v[11:12], v[11:12], -v[71:72]
	v_add_f64 v[9:10], v[9:10], v[11:12]
	v_add_f64 v[9:10], v[82:83], v[9:10]
	v_cndmask_b32_e32 v9, 0, v9, vcc_lo
	v_cmp_neq_f64_e32 vcc_lo, -1.0, v[5:6]
	v_cndmask_b32_e64 v10, 0x7ff00000, v10, s16
	v_cndmask_b32_e64 v10, 0x7ff80000, v10, s17
	v_cndmask_b32_e32 v10, 0xfff00000, v10, vcc_lo
	v_add_f64 v[5:6], v[7:8], v[9:10]
.LBB9_156:
	s_or_b32 exec_lo, exec_lo, s41
	s_add_i32 s16, s6, 32
	s_mov_b32 s17, 0
	v_mov_b32_e32 v7, 2
	s_lshl_b64 s[16:17], s[16:17], 4
	v_mov_b32_e32 v8, 0
	s_add_u32 s16, s34, s16
	s_addc_u32 s17, s35, s17
	v_mov_b32_e32 v9, s16
	v_mov_b32_e32 v10, s17
	;;#ASMSTART
	global_store_dwordx4 v[9:10], v[5:8] off	
s_waitcnt vmcnt(0)
	;;#ASMEND
.LBB9_157:
	s_or_b32 exec_lo, exec_lo, s40
	v_cmp_eq_u32_e32 vcc_lo, 0, v0
	s_and_b32 exec_lo, exec_lo, vcc_lo
; %bb.158:
	v_mov_b32_e32 v5, 0
	ds_write_b64 v5, v[69:70] offset:24
.LBB9_159:
	s_or_b32 exec_lo, exec_lo, s84
	v_mov_b32_e32 v5, 0
	s_waitcnt lgkmcnt(0)
	s_barrier
	buffer_gl0_inv
	v_mov_b32_e32 v10, v2
	ds_read_b64 v[5:6], v5 offset:24
	v_mov_b32_e32 v9, v1
	s_mov_b32 s38, exec_lo
	v_cmpx_ne_u32_e32 0, v0
	s_cbranch_execz .LBB9_163
; %bb.160:
	v_cndmask_b32_e64 v9, v78, v65, s15
	v_cndmask_b32_e64 v10, v79, v66, s15
	v_max_f64 v[7:8], v[9:10], v[9:10]
	v_cmp_u_f64_e32 vcc_lo, v[9:10], v[9:10]
	v_min_f64 v[11:12], v[7:8], v[63:64]
	v_max_f64 v[7:8], v[7:8], v[63:64]
	v_cndmask_b32_e32 v11, v11, v9, vcc_lo
	v_cndmask_b32_e32 v12, v12, v10, vcc_lo
	;; [unrolled: 1-line block ×4, first 2 shown]
	v_cndmask_b32_e64 v11, v11, v1, s14
	v_cndmask_b32_e64 v12, v12, v2, s14
	v_cndmask_b32_e64 v7, v7, v1, s14
	v_cndmask_b32_e64 v8, v8, v2, s14
	v_cmp_class_f64_e64 s6, v[11:12], 0x1f8
	v_cmp_neq_f64_e32 vcc_lo, v[11:12], v[7:8]
	s_or_b32 s6, vcc_lo, s6
	s_and_saveexec_b32 s39, s6
	s_cbranch_execz .LBB9_162
; %bb.161:
	v_add_f64 v[9:10], v[11:12], -v[7:8]
	s_mov_b32 s14, 0x652b82fe
	s_mov_b32 s15, 0x3ff71547
	;; [unrolled: 1-line block ×10, first 2 shown]
	v_mul_f64 v[11:12], v[9:10], s[14:15]
	s_mov_b32 s15, 0xbfe62e42
	s_mov_b32 s14, 0xfefa39ef
	v_cmp_nlt_f64_e32 vcc_lo, 0x40900000, v[9:10]
	v_cmp_ngt_f64_e64 s6, 0xc090cc00, v[9:10]
	v_rndne_f64_e32 v[11:12], v[11:12]
	v_fma_f64 v[63:64], v[11:12], s[14:15], v[9:10]
	v_cvt_i32_f64_e32 v67, v[11:12]
	s_mov_b32 s15, 0x3fe62e42
	v_fma_f64 v[63:64], v[11:12], s[16:17], v[63:64]
	s_mov_b32 s17, 0x3c7abc9e
	v_fma_f64 v[65:66], v[63:64], s[40:41], s[36:37]
	s_mov_b32 s36, 0x623fde64
	s_mov_b32 s37, 0x3ec71dee
	;; [unrolled: 1-line block ×4, first 2 shown]
	v_fma_f64 v[65:66], v[63:64], v[65:66], s[36:37]
	s_mov_b32 s36, 0x7c89e6b0
	s_mov_b32 s37, 0x3efa0199
	v_fma_f64 v[65:66], v[63:64], v[65:66], s[36:37]
	s_mov_b32 s36, 0x14761f6e
	s_mov_b32 s37, 0x3f2a01a0
	;; [unrolled: 3-line block ×8, first 2 shown]
	v_fma_f64 v[65:66], v[63:64], v[65:66], 1.0
	v_fma_f64 v[11:12], v[63:64], v[65:66], 1.0
	v_ldexp_f64 v[11:12], v[11:12], v67
	v_cndmask_b32_e32 v12, 0x7ff00000, v12, vcc_lo
	s_and_b32 vcc_lo, s6, vcc_lo
	v_cndmask_b32_e32 v9, 0, v11, vcc_lo
	v_cndmask_b32_e64 v10, 0, v12, s6
	v_add_f64 v[11:12], v[9:10], 1.0
	v_cmp_neq_f64_e64 s6, 0x7ff00000, v[9:10]
	v_frexp_mant_f64_e32 v[63:64], v[11:12]
	v_frexp_exp_i32_f64_e32 v67, v[11:12]
	v_add_f64 v[65:66], v[11:12], -1.0
	v_cmp_gt_f64_e32 vcc_lo, s[36:37], v[63:64]
	s_mov_b32 s36, 0x55555780
	v_add_f64 v[63:64], v[65:66], -v[11:12]
	v_add_f64 v[65:66], v[9:10], -v[65:66]
	v_subrev_co_ci_u32_e64 v85, null, 0, v67, vcc_lo
	v_add_f64 v[63:64], v[63:64], 1.0
	v_cmp_nge_f64_e32 vcc_lo, -1.0, v[9:10]
	v_sub_nc_u32_e32 v69, 0, v85
	v_ldexp_f64 v[11:12], v[11:12], v69
	v_add_f64 v[63:64], v[65:66], v[63:64]
	s_and_b32 vcc_lo, vcc_lo, s6
	v_add_f64 v[67:68], v[11:12], 1.0
	v_add_f64 v[73:74], v[11:12], -1.0
	v_ldexp_f64 v[63:64], v[63:64], v69
	v_add_f64 v[65:66], v[67:68], -1.0
	v_add_f64 v[77:78], v[73:74], 1.0
	v_add_f64 v[65:66], v[11:12], -v[65:66]
	v_add_f64 v[11:12], v[11:12], -v[77:78]
	v_add_f64 v[65:66], v[63:64], v[65:66]
	v_add_f64 v[11:12], v[63:64], v[11:12]
	;; [unrolled: 1-line block ×4, first 2 shown]
	v_rcp_f64_e32 v[71:72], v[69:70]
	v_add_f64 v[67:68], v[69:70], -v[67:68]
	v_add_f64 v[73:74], v[77:78], -v[73:74]
	;; [unrolled: 1-line block ×3, first 2 shown]
	v_fma_f64 v[79:80], -v[69:70], v[71:72], 1.0
	v_add_f64 v[11:12], v[11:12], -v[73:74]
	v_fma_f64 v[71:72], v[79:80], v[71:72], v[71:72]
	v_fma_f64 v[63:64], -v[69:70], v[71:72], 1.0
	v_fma_f64 v[63:64], v[63:64], v[71:72], v[71:72]
	v_mul_f64 v[71:72], v[77:78], v[63:64]
	v_mul_f64 v[79:80], v[69:70], v[71:72]
	v_fma_f64 v[67:68], v[71:72], v[69:70], -v[79:80]
	v_fma_f64 v[67:68], v[71:72], v[65:66], v[67:68]
	v_add_f64 v[81:82], v[79:80], v[67:68]
	v_add_f64 v[83:84], v[77:78], -v[81:82]
	v_add_f64 v[73:74], v[81:82], -v[79:80]
	;; [unrolled: 1-line block ×5, first 2 shown]
	v_add_f64 v[11:12], v[11:12], v[77:78]
	v_add_f64 v[11:12], v[67:68], v[11:12]
	;; [unrolled: 1-line block ×3, first 2 shown]
	v_mul_f64 v[73:74], v[63:64], v[67:68]
	v_add_f64 v[81:82], v[83:84], -v[67:68]
	v_mul_f64 v[77:78], v[69:70], v[73:74]
	v_add_f64 v[11:12], v[11:12], v[81:82]
	v_fma_f64 v[69:70], v[73:74], v[69:70], -v[77:78]
	v_fma_f64 v[65:66], v[73:74], v[65:66], v[69:70]
	v_add_f64 v[69:70], v[77:78], v[65:66]
	v_add_f64 v[79:80], v[67:68], -v[69:70]
	v_add_f64 v[77:78], v[69:70], -v[77:78]
	;; [unrolled: 1-line block ×5, first 2 shown]
	v_add_f64 v[11:12], v[11:12], v[67:68]
	v_add_f64 v[67:68], v[71:72], v[73:74]
	;; [unrolled: 1-line block ×3, first 2 shown]
	v_add_f64 v[65:66], v[67:68], -v[71:72]
	v_add_f64 v[11:12], v[79:80], v[11:12]
	v_add_f64 v[65:66], v[73:74], -v[65:66]
	v_mul_f64 v[11:12], v[63:64], v[11:12]
	v_add_f64 v[11:12], v[65:66], v[11:12]
	v_add_f64 v[63:64], v[67:68], v[11:12]
	v_mul_f64 v[65:66], v[63:64], v[63:64]
	v_fma_f64 v[69:70], v[65:66], s[42:43], s[40:41]
	s_mov_b32 s40, 0xd7f4df2e
	s_mov_b32 s41, 0x3fc7474d
	v_mul_f64 v[71:72], v[63:64], v[65:66]
	v_fma_f64 v[69:70], v[65:66], v[69:70], s[40:41]
	s_mov_b32 s40, 0x16291751
	s_mov_b32 s41, 0x3fcc71c0
	v_fma_f64 v[69:70], v[65:66], v[69:70], s[40:41]
	s_mov_b32 s40, 0x9b27acf1
	s_mov_b32 s41, 0x3fd24924
	;; [unrolled: 3-line block ×3, first 2 shown]
	v_fma_f64 v[69:70], v[65:66], v[69:70], s[40:41]
	v_fma_f64 v[65:66], v[65:66], v[69:70], s[36:37]
	v_ldexp_f64 v[69:70], v[63:64], 1
	v_add_f64 v[63:64], v[63:64], -v[67:68]
	v_mul_f64 v[65:66], v[71:72], v[65:66]
	v_cvt_f64_i32_e32 v[71:72], v85
	v_add_f64 v[11:12], v[11:12], -v[63:64]
	v_add_f64 v[67:68], v[69:70], v[65:66]
	v_mul_f64 v[73:74], v[71:72], s[14:15]
	v_ldexp_f64 v[11:12], v[11:12], 1
	v_add_f64 v[63:64], v[67:68], -v[69:70]
	v_fma_f64 v[69:70], v[71:72], s[14:15], -v[73:74]
	v_cmp_ngt_f64_e64 s14, -1.0, v[9:10]
	v_add_f64 v[63:64], v[65:66], -v[63:64]
	v_fma_f64 v[65:66], v[71:72], s[16:17], v[69:70]
	v_add_f64 v[11:12], v[11:12], v[63:64]
	v_add_f64 v[63:64], v[73:74], v[65:66]
	;; [unrolled: 1-line block ×3, first 2 shown]
	v_add_f64 v[73:74], v[63:64], -v[73:74]
	v_add_f64 v[71:72], v[63:64], v[69:70]
	v_add_f64 v[67:68], v[69:70], -v[67:68]
	v_add_f64 v[65:66], v[65:66], -v[73:74]
	v_add_f64 v[77:78], v[71:72], -v[63:64]
	v_add_f64 v[11:12], v[11:12], -v[67:68]
	v_add_f64 v[79:80], v[71:72], -v[77:78]
	v_add_f64 v[67:68], v[69:70], -v[77:78]
	v_add_f64 v[69:70], v[65:66], v[11:12]
	v_add_f64 v[63:64], v[63:64], -v[79:80]
	v_add_f64 v[63:64], v[67:68], v[63:64]
	v_add_f64 v[67:68], v[69:70], -v[65:66]
	;; [unrolled: 2-line block ×3, first 2 shown]
	v_add_f64 v[11:12], v[11:12], -v[67:68]
	v_add_f64 v[73:74], v[71:72], v[63:64]
	v_add_f64 v[65:66], v[65:66], -v[69:70]
	v_add_f64 v[67:68], v[73:74], -v[71:72]
	v_add_f64 v[11:12], v[11:12], v[65:66]
	v_add_f64 v[63:64], v[63:64], -v[67:68]
	v_add_f64 v[11:12], v[11:12], v[63:64]
	v_add_f64 v[11:12], v[73:74], v[11:12]
	v_cndmask_b32_e32 v11, 0, v11, vcc_lo
	v_cmp_neq_f64_e32 vcc_lo, -1.0, v[9:10]
	v_cndmask_b32_e64 v12, 0x7ff00000, v12, s6
	v_cndmask_b32_e64 v12, 0x7ff80000, v12, s14
	v_cndmask_b32_e32 v12, 0xfff00000, v12, vcc_lo
	v_add_f64 v[9:10], v[7:8], v[11:12]
.LBB9_162:
	s_or_b32 exec_lo, exec_lo, s39
.LBB9_163:
	s_or_b32 exec_lo, exec_lo, s38
	v_max_f64 v[7:8], v[9:10], v[9:10]
	s_waitcnt lgkmcnt(0)
	v_max_f64 v[11:12], v[5:6], v[5:6]
	v_cmp_u_f64_e32 vcc_lo, v[5:6], v[5:6]
	v_cmp_u_f64_e64 s6, v[9:10], v[9:10]
	v_min_f64 v[63:64], v[11:12], v[7:8]
	v_max_f64 v[7:8], v[11:12], v[7:8]
	v_cndmask_b32_e32 v11, v63, v5, vcc_lo
	v_cndmask_b32_e32 v12, v64, v6, vcc_lo
	;; [unrolled: 1-line block ×4, first 2 shown]
	v_cndmask_b32_e64 v11, v11, v9, s6
	v_cndmask_b32_e64 v12, v12, v10, s6
	;; [unrolled: 1-line block ×4, first 2 shown]
	v_cmp_class_f64_e64 s6, v[11:12], 0x1f8
	v_cmp_neq_f64_e32 vcc_lo, v[11:12], v[7:8]
	s_or_b32 s6, vcc_lo, s6
	s_and_saveexec_b32 s38, s6
	s_cbranch_execz .LBB9_165
; %bb.164:
	v_add_f64 v[5:6], v[11:12], -v[7:8]
	s_mov_b32 s14, 0x652b82fe
	s_mov_b32 s15, 0x3ff71547
	;; [unrolled: 1-line block ×10, first 2 shown]
	v_mul_f64 v[9:10], v[5:6], s[14:15]
	s_mov_b32 s15, 0xbfe62e42
	s_mov_b32 s14, 0xfefa39ef
	v_cmp_nlt_f64_e32 vcc_lo, 0x40900000, v[5:6]
	v_cmp_ngt_f64_e64 s6, 0xc090cc00, v[5:6]
	v_rndne_f64_e32 v[9:10], v[9:10]
	v_fma_f64 v[11:12], v[9:10], s[14:15], v[5:6]
	v_cvt_i32_f64_e32 v65, v[9:10]
	s_mov_b32 s15, 0x3fe62e42
	v_fma_f64 v[11:12], v[9:10], s[16:17], v[11:12]
	s_mov_b32 s17, 0x3c7abc9e
	v_fma_f64 v[63:64], v[11:12], s[40:41], s[36:37]
	s_mov_b32 s36, 0x623fde64
	s_mov_b32 s37, 0x3ec71dee
	;; [unrolled: 1-line block ×4, first 2 shown]
	v_fma_f64 v[63:64], v[11:12], v[63:64], s[36:37]
	s_mov_b32 s36, 0x7c89e6b0
	s_mov_b32 s37, 0x3efa0199
	v_fma_f64 v[63:64], v[11:12], v[63:64], s[36:37]
	s_mov_b32 s36, 0x14761f6e
	s_mov_b32 s37, 0x3f2a01a0
	;; [unrolled: 3-line block ×8, first 2 shown]
	v_fma_f64 v[63:64], v[11:12], v[63:64], 1.0
	v_fma_f64 v[9:10], v[11:12], v[63:64], 1.0
	v_ldexp_f64 v[9:10], v[9:10], v65
	v_cndmask_b32_e32 v10, 0x7ff00000, v10, vcc_lo
	s_and_b32 vcc_lo, s6, vcc_lo
	v_cndmask_b32_e32 v5, 0, v9, vcc_lo
	v_cndmask_b32_e64 v6, 0, v10, s6
	v_add_f64 v[9:10], v[5:6], 1.0
	v_cmp_neq_f64_e64 s6, 0x7ff00000, v[5:6]
	v_frexp_mant_f64_e32 v[11:12], v[9:10]
	v_frexp_exp_i32_f64_e32 v65, v[9:10]
	v_add_f64 v[63:64], v[9:10], -1.0
	v_cmp_gt_f64_e32 vcc_lo, s[36:37], v[11:12]
	s_mov_b32 s36, 0x55555780
	v_add_f64 v[11:12], v[63:64], -v[9:10]
	v_add_f64 v[63:64], v[5:6], -v[63:64]
	v_subrev_co_ci_u32_e64 v83, null, 0, v65, vcc_lo
	v_add_f64 v[11:12], v[11:12], 1.0
	v_cmp_nge_f64_e32 vcc_lo, -1.0, v[5:6]
	v_sub_nc_u32_e32 v67, 0, v83
	v_ldexp_f64 v[9:10], v[9:10], v67
	v_add_f64 v[11:12], v[63:64], v[11:12]
	s_and_b32 vcc_lo, vcc_lo, s6
	v_add_f64 v[65:66], v[9:10], 1.0
	v_add_f64 v[71:72], v[9:10], -1.0
	v_ldexp_f64 v[11:12], v[11:12], v67
	v_add_f64 v[63:64], v[65:66], -1.0
	v_add_f64 v[73:74], v[71:72], 1.0
	v_add_f64 v[63:64], v[9:10], -v[63:64]
	v_add_f64 v[9:10], v[9:10], -v[73:74]
	v_add_f64 v[63:64], v[11:12], v[63:64]
	v_add_f64 v[9:10], v[11:12], v[9:10]
	;; [unrolled: 1-line block ×4, first 2 shown]
	v_rcp_f64_e32 v[69:70], v[67:68]
	v_add_f64 v[65:66], v[67:68], -v[65:66]
	v_add_f64 v[71:72], v[73:74], -v[71:72]
	v_add_f64 v[63:64], v[63:64], -v[65:66]
	v_fma_f64 v[77:78], -v[67:68], v[69:70], 1.0
	v_add_f64 v[9:10], v[9:10], -v[71:72]
	v_fma_f64 v[69:70], v[77:78], v[69:70], v[69:70]
	v_fma_f64 v[11:12], -v[67:68], v[69:70], 1.0
	v_fma_f64 v[11:12], v[11:12], v[69:70], v[69:70]
	v_mul_f64 v[69:70], v[73:74], v[11:12]
	v_mul_f64 v[77:78], v[67:68], v[69:70]
	v_fma_f64 v[65:66], v[69:70], v[67:68], -v[77:78]
	v_fma_f64 v[65:66], v[69:70], v[63:64], v[65:66]
	v_add_f64 v[79:80], v[77:78], v[65:66]
	v_add_f64 v[81:82], v[73:74], -v[79:80]
	v_add_f64 v[71:72], v[79:80], -v[77:78]
	;; [unrolled: 1-line block ×5, first 2 shown]
	v_add_f64 v[9:10], v[9:10], v[73:74]
	v_add_f64 v[9:10], v[65:66], v[9:10]
	;; [unrolled: 1-line block ×3, first 2 shown]
	v_mul_f64 v[71:72], v[11:12], v[65:66]
	v_add_f64 v[79:80], v[81:82], -v[65:66]
	v_mul_f64 v[73:74], v[67:68], v[71:72]
	v_add_f64 v[9:10], v[9:10], v[79:80]
	v_fma_f64 v[67:68], v[71:72], v[67:68], -v[73:74]
	v_fma_f64 v[63:64], v[71:72], v[63:64], v[67:68]
	v_add_f64 v[67:68], v[73:74], v[63:64]
	v_add_f64 v[77:78], v[65:66], -v[67:68]
	v_add_f64 v[73:74], v[67:68], -v[73:74]
	;; [unrolled: 1-line block ×5, first 2 shown]
	v_add_f64 v[9:10], v[9:10], v[65:66]
	v_add_f64 v[65:66], v[69:70], v[71:72]
	;; [unrolled: 1-line block ×3, first 2 shown]
	v_add_f64 v[63:64], v[65:66], -v[69:70]
	v_add_f64 v[9:10], v[77:78], v[9:10]
	v_add_f64 v[63:64], v[71:72], -v[63:64]
	v_mul_f64 v[9:10], v[11:12], v[9:10]
	v_add_f64 v[9:10], v[63:64], v[9:10]
	v_add_f64 v[11:12], v[65:66], v[9:10]
	v_mul_f64 v[63:64], v[11:12], v[11:12]
	v_fma_f64 v[67:68], v[63:64], s[42:43], s[40:41]
	s_mov_b32 s40, 0xd7f4df2e
	s_mov_b32 s41, 0x3fc7474d
	v_mul_f64 v[69:70], v[11:12], v[63:64]
	v_fma_f64 v[67:68], v[63:64], v[67:68], s[40:41]
	s_mov_b32 s40, 0x16291751
	s_mov_b32 s41, 0x3fcc71c0
	v_fma_f64 v[67:68], v[63:64], v[67:68], s[40:41]
	s_mov_b32 s40, 0x9b27acf1
	s_mov_b32 s41, 0x3fd24924
	;; [unrolled: 3-line block ×3, first 2 shown]
	v_fma_f64 v[67:68], v[63:64], v[67:68], s[40:41]
	v_fma_f64 v[63:64], v[63:64], v[67:68], s[36:37]
	v_ldexp_f64 v[67:68], v[11:12], 1
	v_add_f64 v[11:12], v[11:12], -v[65:66]
	v_mul_f64 v[63:64], v[69:70], v[63:64]
	v_cvt_f64_i32_e32 v[69:70], v83
	v_add_f64 v[9:10], v[9:10], -v[11:12]
	v_add_f64 v[65:66], v[67:68], v[63:64]
	v_mul_f64 v[71:72], v[69:70], s[14:15]
	v_ldexp_f64 v[9:10], v[9:10], 1
	v_add_f64 v[11:12], v[65:66], -v[67:68]
	v_fma_f64 v[67:68], v[69:70], s[14:15], -v[71:72]
	v_cmp_ngt_f64_e64 s14, -1.0, v[5:6]
	v_add_f64 v[11:12], v[63:64], -v[11:12]
	v_fma_f64 v[63:64], v[69:70], s[16:17], v[67:68]
	v_add_f64 v[9:10], v[9:10], v[11:12]
	v_add_f64 v[11:12], v[71:72], v[63:64]
	;; [unrolled: 1-line block ×3, first 2 shown]
	v_add_f64 v[71:72], v[11:12], -v[71:72]
	v_add_f64 v[69:70], v[11:12], v[67:68]
	v_add_f64 v[65:66], v[67:68], -v[65:66]
	v_add_f64 v[63:64], v[63:64], -v[71:72]
	;; [unrolled: 1-line block ×6, first 2 shown]
	v_add_f64 v[67:68], v[63:64], v[9:10]
	v_add_f64 v[11:12], v[11:12], -v[77:78]
	v_add_f64 v[11:12], v[65:66], v[11:12]
	v_add_f64 v[65:66], v[67:68], -v[63:64]
	;; [unrolled: 2-line block ×3, first 2 shown]
	v_add_f64 v[9:10], v[9:10], -v[65:66]
	v_add_f64 v[71:72], v[69:70], v[11:12]
	v_add_f64 v[63:64], v[63:64], -v[67:68]
	v_add_f64 v[65:66], v[71:72], -v[69:70]
	v_add_f64 v[9:10], v[9:10], v[63:64]
	v_add_f64 v[11:12], v[11:12], -v[65:66]
	v_add_f64 v[9:10], v[9:10], v[11:12]
	v_add_f64 v[9:10], v[71:72], v[9:10]
	v_cndmask_b32_e32 v9, 0, v9, vcc_lo
	v_cmp_neq_f64_e32 vcc_lo, -1.0, v[5:6]
	v_cndmask_b32_e64 v10, 0x7ff00000, v10, s6
	v_cndmask_b32_e64 v10, 0x7ff80000, v10, s14
	v_cndmask_b32_e32 v10, 0xfff00000, v10, vcc_lo
	v_add_f64 v[5:6], v[7:8], v[9:10]
.LBB9_165:
	s_or_b32 exec_lo, exec_lo, s38
	v_max_f64 v[7:8], v[5:6], v[5:6]
	v_cmp_u_f64_e32 vcc_lo, v[5:6], v[5:6]
	v_min_f64 v[9:10], v[7:8], v[61:62]
	v_max_f64 v[7:8], v[7:8], v[61:62]
	v_cndmask_b32_e32 v9, v9, v5, vcc_lo
	v_cndmask_b32_e32 v10, v10, v6, vcc_lo
	;; [unrolled: 1-line block ×4, first 2 shown]
	v_cndmask_b32_e64 v11, v9, v3, s0
	v_cndmask_b32_e64 v12, v10, v4, s0
	;; [unrolled: 1-line block ×4, first 2 shown]
	v_mov_b32_e32 v8, v6
	v_mov_b32_e32 v7, v5
	v_cmp_class_f64_e64 s0, v[11:12], 0x1f8
	v_cmp_neq_f64_e32 vcc_lo, v[11:12], v[9:10]
	s_or_b32 s0, vcc_lo, s0
	s_and_saveexec_b32 s38, s0
	s_cbranch_execz .LBB9_167
; %bb.166:
	v_add_f64 v[7:8], v[11:12], -v[9:10]
	s_mov_b32 s14, 0x652b82fe
	s_mov_b32 s15, 0x3ff71547
	;; [unrolled: 1-line block ×10, first 2 shown]
	v_mul_f64 v[11:12], v[7:8], s[14:15]
	s_mov_b32 s15, 0xbfe62e42
	s_mov_b32 s14, 0xfefa39ef
	v_cmp_nlt_f64_e32 vcc_lo, 0x40900000, v[7:8]
	v_cmp_ngt_f64_e64 s0, 0xc090cc00, v[7:8]
	v_rndne_f64_e32 v[11:12], v[11:12]
	v_fma_f64 v[63:64], v[11:12], s[14:15], v[7:8]
	v_cvt_i32_f64_e32 v67, v[11:12]
	s_mov_b32 s15, 0x3fe62e42
	v_fma_f64 v[63:64], v[11:12], s[16:17], v[63:64]
	s_mov_b32 s17, 0x3c7abc9e
	v_fma_f64 v[65:66], v[63:64], s[40:41], s[36:37]
	s_mov_b32 s36, 0x623fde64
	s_mov_b32 s37, 0x3ec71dee
	;; [unrolled: 1-line block ×4, first 2 shown]
	v_fma_f64 v[65:66], v[63:64], v[65:66], s[36:37]
	s_mov_b32 s36, 0x7c89e6b0
	s_mov_b32 s37, 0x3efa0199
	v_fma_f64 v[65:66], v[63:64], v[65:66], s[36:37]
	s_mov_b32 s36, 0x14761f6e
	s_mov_b32 s37, 0x3f2a01a0
	v_fma_f64 v[65:66], v[63:64], v[65:66], s[36:37]
	s_mov_b32 s36, 0x1852b7b0
	s_mov_b32 s37, 0x3f56c16c
	v_fma_f64 v[65:66], v[63:64], v[65:66], s[36:37]
	s_mov_b32 s36, 0x11122322
	s_mov_b32 s37, 0x3f811111
	v_fma_f64 v[65:66], v[63:64], v[65:66], s[36:37]
	s_mov_b32 s36, 0x555502a1
	s_mov_b32 s37, 0x3fa55555
	v_fma_f64 v[65:66], v[63:64], v[65:66], s[36:37]
	s_mov_b32 s36, 0x55555511
	s_mov_b32 s37, 0x3fc55555
	v_fma_f64 v[65:66], v[63:64], v[65:66], s[36:37]
	s_mov_b32 s36, 11
	s_mov_b32 s37, 0x3fe00000
	v_fma_f64 v[65:66], v[63:64], v[65:66], s[36:37]
	s_mov_b32 s37, 0x3fe55555
	s_mov_b32 s36, 0x55555555
	v_fma_f64 v[65:66], v[63:64], v[65:66], 1.0
	v_fma_f64 v[11:12], v[63:64], v[65:66], 1.0
	v_ldexp_f64 v[11:12], v[11:12], v67
	v_cndmask_b32_e32 v12, 0x7ff00000, v12, vcc_lo
	s_and_b32 vcc_lo, s0, vcc_lo
	v_cndmask_b32_e32 v7, 0, v11, vcc_lo
	v_cndmask_b32_e64 v8, 0, v12, s0
	v_add_f64 v[11:12], v[7:8], 1.0
	v_cmp_neq_f64_e64 s0, 0x7ff00000, v[7:8]
	v_cmp_ngt_f64_e64 s6, -1.0, v[7:8]
	v_frexp_mant_f64_e32 v[63:64], v[11:12]
	v_frexp_exp_i32_f64_e32 v67, v[11:12]
	v_add_f64 v[65:66], v[11:12], -1.0
	v_cmp_gt_f64_e32 vcc_lo, s[36:37], v[63:64]
	s_mov_b32 s36, 0x55555780
	v_add_f64 v[63:64], v[65:66], -v[11:12]
	v_add_f64 v[65:66], v[7:8], -v[65:66]
	v_subrev_co_ci_u32_e64 v85, null, 0, v67, vcc_lo
	v_add_f64 v[63:64], v[63:64], 1.0
	v_cmp_nge_f64_e32 vcc_lo, -1.0, v[7:8]
	v_sub_nc_u32_e32 v69, 0, v85
	v_ldexp_f64 v[11:12], v[11:12], v69
	v_add_f64 v[63:64], v[65:66], v[63:64]
	s_and_b32 vcc_lo, vcc_lo, s0
	v_add_f64 v[67:68], v[11:12], 1.0
	v_add_f64 v[73:74], v[11:12], -1.0
	v_ldexp_f64 v[63:64], v[63:64], v69
	v_add_f64 v[65:66], v[67:68], -1.0
	v_add_f64 v[77:78], v[73:74], 1.0
	v_add_f64 v[65:66], v[11:12], -v[65:66]
	v_add_f64 v[11:12], v[11:12], -v[77:78]
	v_add_f64 v[65:66], v[63:64], v[65:66]
	v_add_f64 v[11:12], v[63:64], v[11:12]
	;; [unrolled: 1-line block ×4, first 2 shown]
	v_rcp_f64_e32 v[71:72], v[69:70]
	v_add_f64 v[67:68], v[69:70], -v[67:68]
	v_add_f64 v[73:74], v[77:78], -v[73:74]
	;; [unrolled: 1-line block ×3, first 2 shown]
	v_fma_f64 v[79:80], -v[69:70], v[71:72], 1.0
	v_add_f64 v[11:12], v[11:12], -v[73:74]
	v_fma_f64 v[71:72], v[79:80], v[71:72], v[71:72]
	v_fma_f64 v[63:64], -v[69:70], v[71:72], 1.0
	v_fma_f64 v[63:64], v[63:64], v[71:72], v[71:72]
	v_mul_f64 v[71:72], v[77:78], v[63:64]
	v_mul_f64 v[79:80], v[69:70], v[71:72]
	v_fma_f64 v[67:68], v[71:72], v[69:70], -v[79:80]
	v_fma_f64 v[67:68], v[71:72], v[65:66], v[67:68]
	v_add_f64 v[81:82], v[79:80], v[67:68]
	v_add_f64 v[83:84], v[77:78], -v[81:82]
	v_add_f64 v[73:74], v[81:82], -v[79:80]
	;; [unrolled: 1-line block ×5, first 2 shown]
	v_add_f64 v[11:12], v[11:12], v[77:78]
	v_add_f64 v[11:12], v[67:68], v[11:12]
	;; [unrolled: 1-line block ×3, first 2 shown]
	v_mul_f64 v[73:74], v[63:64], v[67:68]
	v_add_f64 v[81:82], v[83:84], -v[67:68]
	v_mul_f64 v[77:78], v[69:70], v[73:74]
	v_add_f64 v[11:12], v[11:12], v[81:82]
	v_fma_f64 v[69:70], v[73:74], v[69:70], -v[77:78]
	v_fma_f64 v[65:66], v[73:74], v[65:66], v[69:70]
	v_add_f64 v[69:70], v[77:78], v[65:66]
	v_add_f64 v[79:80], v[67:68], -v[69:70]
	v_add_f64 v[77:78], v[69:70], -v[77:78]
	;; [unrolled: 1-line block ×5, first 2 shown]
	v_add_f64 v[11:12], v[11:12], v[67:68]
	v_add_f64 v[67:68], v[71:72], v[73:74]
	;; [unrolled: 1-line block ×3, first 2 shown]
	v_add_f64 v[65:66], v[67:68], -v[71:72]
	v_add_f64 v[11:12], v[79:80], v[11:12]
	v_add_f64 v[65:66], v[73:74], -v[65:66]
	v_mul_f64 v[11:12], v[63:64], v[11:12]
	v_add_f64 v[11:12], v[65:66], v[11:12]
	v_add_f64 v[63:64], v[67:68], v[11:12]
	v_mul_f64 v[65:66], v[63:64], v[63:64]
	v_fma_f64 v[69:70], v[65:66], s[42:43], s[40:41]
	s_mov_b32 s40, 0xd7f4df2e
	s_mov_b32 s41, 0x3fc7474d
	v_mul_f64 v[71:72], v[63:64], v[65:66]
	v_fma_f64 v[69:70], v[65:66], v[69:70], s[40:41]
	s_mov_b32 s40, 0x16291751
	s_mov_b32 s41, 0x3fcc71c0
	v_fma_f64 v[69:70], v[65:66], v[69:70], s[40:41]
	s_mov_b32 s40, 0x9b27acf1
	s_mov_b32 s41, 0x3fd24924
	;; [unrolled: 3-line block ×3, first 2 shown]
	v_fma_f64 v[69:70], v[65:66], v[69:70], s[40:41]
	v_fma_f64 v[65:66], v[65:66], v[69:70], s[36:37]
	v_ldexp_f64 v[69:70], v[63:64], 1
	v_add_f64 v[63:64], v[63:64], -v[67:68]
	v_mul_f64 v[65:66], v[71:72], v[65:66]
	v_cvt_f64_i32_e32 v[71:72], v85
	v_add_f64 v[11:12], v[11:12], -v[63:64]
	v_add_f64 v[67:68], v[69:70], v[65:66]
	v_mul_f64 v[73:74], v[71:72], s[14:15]
	v_ldexp_f64 v[11:12], v[11:12], 1
	v_add_f64 v[63:64], v[67:68], -v[69:70]
	v_fma_f64 v[69:70], v[71:72], s[14:15], -v[73:74]
	v_add_f64 v[63:64], v[65:66], -v[63:64]
	v_fma_f64 v[65:66], v[71:72], s[16:17], v[69:70]
	v_add_f64 v[11:12], v[11:12], v[63:64]
	v_add_f64 v[63:64], v[73:74], v[65:66]
	;; [unrolled: 1-line block ×3, first 2 shown]
	v_add_f64 v[73:74], v[63:64], -v[73:74]
	v_add_f64 v[71:72], v[63:64], v[69:70]
	v_add_f64 v[67:68], v[69:70], -v[67:68]
	v_add_f64 v[65:66], v[65:66], -v[73:74]
	;; [unrolled: 1-line block ×6, first 2 shown]
	v_add_f64 v[69:70], v[65:66], v[11:12]
	v_add_f64 v[63:64], v[63:64], -v[79:80]
	v_add_f64 v[63:64], v[67:68], v[63:64]
	v_add_f64 v[67:68], v[69:70], -v[65:66]
	;; [unrolled: 2-line block ×3, first 2 shown]
	v_add_f64 v[11:12], v[11:12], -v[67:68]
	v_add_f64 v[73:74], v[71:72], v[63:64]
	v_add_f64 v[65:66], v[65:66], -v[69:70]
	v_add_f64 v[67:68], v[73:74], -v[71:72]
	v_add_f64 v[11:12], v[11:12], v[65:66]
	v_add_f64 v[63:64], v[63:64], -v[67:68]
	v_add_f64 v[11:12], v[11:12], v[63:64]
	v_add_f64 v[11:12], v[73:74], v[11:12]
	v_cndmask_b32_e32 v11, 0, v11, vcc_lo
	v_cmp_neq_f64_e32 vcc_lo, -1.0, v[7:8]
	v_cndmask_b32_e64 v12, 0x7ff00000, v12, s0
	v_cndmask_b32_e64 v12, 0x7ff80000, v12, s6
	v_cndmask_b32_e32 v12, 0xfff00000, v12, vcc_lo
	v_add_f64 v[7:8], v[9:10], v[11:12]
.LBB9_167:
	s_or_b32 exec_lo, exec_lo, s38
	v_max_f64 v[9:10], v[7:8], v[7:8]
	v_cmp_u_f64_e32 vcc_lo, v[7:8], v[7:8]
	v_min_f64 v[11:12], v[9:10], v[13:14]
	v_max_f64 v[9:10], v[9:10], v[13:14]
	v_cndmask_b32_e32 v11, v11, v7, vcc_lo
	v_cndmask_b32_e32 v12, v12, v8, vcc_lo
	;; [unrolled: 1-line block ×4, first 2 shown]
	v_cndmask_b32_e64 v13, v11, v57, s1
	v_cndmask_b32_e64 v14, v12, v58, s1
	;; [unrolled: 1-line block ×4, first 2 shown]
	v_mov_b32_e32 v10, v8
	v_mov_b32_e32 v9, v7
	v_cmp_class_f64_e64 s0, v[13:14], 0x1f8
	v_cmp_neq_f64_e32 vcc_lo, v[13:14], v[11:12]
	s_or_b32 s0, vcc_lo, s0
	s_and_saveexec_b32 s6, s0
	s_cbranch_execz .LBB9_169
; %bb.168:
	v_add_f64 v[9:10], v[13:14], -v[11:12]
	s_mov_b32 s0, 0x652b82fe
	s_mov_b32 s1, 0x3ff71547
	;; [unrolled: 1-line block ×10, first 2 shown]
	v_mul_f64 v[13:14], v[9:10], s[0:1]
	s_mov_b32 s0, 0xfca7ab0c
	s_mov_b32 s1, 0x3e928af3
	v_cmp_nlt_f64_e32 vcc_lo, 0x40900000, v[9:10]
	v_rndne_f64_e32 v[13:14], v[13:14]
	v_fma_f64 v[63:64], v[13:14], s[14:15], v[9:10]
	v_cvt_i32_f64_e32 v67, v[13:14]
	s_mov_b32 s15, 0x3fe62e42
	v_fma_f64 v[63:64], v[13:14], s[16:17], v[63:64]
	s_mov_b32 s17, 0x3c7abc9e
	v_fma_f64 v[65:66], v[63:64], s[36:37], s[0:1]
	s_mov_b32 s0, 0x623fde64
	s_mov_b32 s1, 0x3ec71dee
	;; [unrolled: 1-line block ×4, first 2 shown]
	v_fma_f64 v[65:66], v[63:64], v[65:66], s[0:1]
	s_mov_b32 s0, 0x7c89e6b0
	s_mov_b32 s1, 0x3efa0199
	v_fma_f64 v[65:66], v[63:64], v[65:66], s[0:1]
	s_mov_b32 s0, 0x14761f6e
	s_mov_b32 s1, 0x3f2a01a0
	;; [unrolled: 3-line block ×7, first 2 shown]
	v_fma_f64 v[65:66], v[63:64], v[65:66], s[0:1]
	v_cmp_ngt_f64_e64 s0, 0xc090cc00, v[9:10]
	s_mov_b32 s1, 0x3fe55555
	v_fma_f64 v[65:66], v[63:64], v[65:66], 1.0
	v_fma_f64 v[13:14], v[63:64], v[65:66], 1.0
	v_ldexp_f64 v[13:14], v[13:14], v67
	v_cndmask_b32_e32 v14, 0x7ff00000, v14, vcc_lo
	s_and_b32 vcc_lo, s0, vcc_lo
	v_cndmask_b32_e32 v9, 0, v13, vcc_lo
	v_cndmask_b32_e64 v10, 0, v14, s0
	s_mov_b32 s0, 0x55555555
	v_add_f64 v[13:14], v[9:10], 1.0
	v_frexp_mant_f64_e32 v[63:64], v[13:14]
	v_frexp_exp_i32_f64_e32 v67, v[13:14]
	v_add_f64 v[65:66], v[13:14], -1.0
	v_cmp_gt_f64_e32 vcc_lo, s[0:1], v[63:64]
	s_mov_b32 s0, 0x55555780
	v_add_f64 v[63:64], v[65:66], -v[13:14]
	v_add_f64 v[65:66], v[9:10], -v[65:66]
	v_subrev_co_ci_u32_e64 v85, null, 0, v67, vcc_lo
	v_add_f64 v[63:64], v[63:64], 1.0
	v_cmp_nge_f64_e32 vcc_lo, -1.0, v[9:10]
	v_sub_nc_u32_e32 v69, 0, v85
	v_ldexp_f64 v[13:14], v[13:14], v69
	v_add_f64 v[63:64], v[65:66], v[63:64]
	v_add_f64 v[67:68], v[13:14], 1.0
	v_add_f64 v[73:74], v[13:14], -1.0
	v_ldexp_f64 v[63:64], v[63:64], v69
	v_add_f64 v[65:66], v[67:68], -1.0
	v_add_f64 v[77:78], v[73:74], 1.0
	v_add_f64 v[65:66], v[13:14], -v[65:66]
	v_add_f64 v[13:14], v[13:14], -v[77:78]
	v_add_f64 v[65:66], v[63:64], v[65:66]
	v_add_f64 v[13:14], v[63:64], v[13:14]
	;; [unrolled: 1-line block ×4, first 2 shown]
	v_rcp_f64_e32 v[71:72], v[69:70]
	v_add_f64 v[67:68], v[69:70], -v[67:68]
	v_add_f64 v[73:74], v[77:78], -v[73:74]
	;; [unrolled: 1-line block ×3, first 2 shown]
	v_fma_f64 v[79:80], -v[69:70], v[71:72], 1.0
	v_add_f64 v[13:14], v[13:14], -v[73:74]
	v_fma_f64 v[71:72], v[79:80], v[71:72], v[71:72]
	v_fma_f64 v[63:64], -v[69:70], v[71:72], 1.0
	v_fma_f64 v[63:64], v[63:64], v[71:72], v[71:72]
	v_mul_f64 v[71:72], v[77:78], v[63:64]
	v_mul_f64 v[79:80], v[69:70], v[71:72]
	v_fma_f64 v[67:68], v[71:72], v[69:70], -v[79:80]
	v_fma_f64 v[67:68], v[71:72], v[65:66], v[67:68]
	v_add_f64 v[81:82], v[79:80], v[67:68]
	v_add_f64 v[83:84], v[77:78], -v[81:82]
	v_add_f64 v[73:74], v[81:82], -v[79:80]
	;; [unrolled: 1-line block ×5, first 2 shown]
	v_add_f64 v[13:14], v[13:14], v[77:78]
	v_add_f64 v[13:14], v[67:68], v[13:14]
	;; [unrolled: 1-line block ×3, first 2 shown]
	v_mul_f64 v[73:74], v[63:64], v[67:68]
	v_add_f64 v[81:82], v[83:84], -v[67:68]
	v_mul_f64 v[77:78], v[69:70], v[73:74]
	v_add_f64 v[13:14], v[13:14], v[81:82]
	v_fma_f64 v[69:70], v[73:74], v[69:70], -v[77:78]
	v_fma_f64 v[65:66], v[73:74], v[65:66], v[69:70]
	v_add_f64 v[69:70], v[77:78], v[65:66]
	v_add_f64 v[79:80], v[67:68], -v[69:70]
	v_add_f64 v[77:78], v[69:70], -v[77:78]
	;; [unrolled: 1-line block ×5, first 2 shown]
	v_add_f64 v[13:14], v[13:14], v[67:68]
	v_add_f64 v[67:68], v[71:72], v[73:74]
	;; [unrolled: 1-line block ×3, first 2 shown]
	v_add_f64 v[65:66], v[67:68], -v[71:72]
	v_add_f64 v[13:14], v[79:80], v[13:14]
	v_add_f64 v[65:66], v[73:74], -v[65:66]
	v_mul_f64 v[13:14], v[63:64], v[13:14]
	v_add_f64 v[13:14], v[65:66], v[13:14]
	v_add_f64 v[63:64], v[67:68], v[13:14]
	v_mul_f64 v[65:66], v[63:64], v[63:64]
	v_fma_f64 v[69:70], v[65:66], s[38:39], s[36:37]
	s_mov_b32 s36, 0xd7f4df2e
	s_mov_b32 s37, 0x3fc7474d
	v_mul_f64 v[71:72], v[63:64], v[65:66]
	v_fma_f64 v[69:70], v[65:66], v[69:70], s[36:37]
	s_mov_b32 s36, 0x16291751
	s_mov_b32 s37, 0x3fcc71c0
	v_fma_f64 v[69:70], v[65:66], v[69:70], s[36:37]
	s_mov_b32 s36, 0x9b27acf1
	s_mov_b32 s37, 0x3fd24924
	;; [unrolled: 3-line block ×3, first 2 shown]
	v_fma_f64 v[69:70], v[65:66], v[69:70], s[36:37]
	v_fma_f64 v[65:66], v[65:66], v[69:70], s[0:1]
	v_ldexp_f64 v[69:70], v[63:64], 1
	v_add_f64 v[63:64], v[63:64], -v[67:68]
	v_cmp_neq_f64_e64 s0, 0x7ff00000, v[9:10]
	v_cmp_ngt_f64_e64 s1, -1.0, v[9:10]
	v_mul_f64 v[65:66], v[71:72], v[65:66]
	v_cvt_f64_i32_e32 v[71:72], v85
	v_add_f64 v[13:14], v[13:14], -v[63:64]
	s_and_b32 vcc_lo, vcc_lo, s0
	v_add_f64 v[67:68], v[69:70], v[65:66]
	v_mul_f64 v[73:74], v[71:72], s[14:15]
	v_ldexp_f64 v[13:14], v[13:14], 1
	v_add_f64 v[63:64], v[67:68], -v[69:70]
	v_fma_f64 v[69:70], v[71:72], s[14:15], -v[73:74]
	v_add_f64 v[63:64], v[65:66], -v[63:64]
	v_fma_f64 v[65:66], v[71:72], s[16:17], v[69:70]
	v_add_f64 v[13:14], v[13:14], v[63:64]
	v_add_f64 v[63:64], v[73:74], v[65:66]
	;; [unrolled: 1-line block ×3, first 2 shown]
	v_add_f64 v[73:74], v[63:64], -v[73:74]
	v_add_f64 v[71:72], v[63:64], v[69:70]
	v_add_f64 v[67:68], v[69:70], -v[67:68]
	v_add_f64 v[65:66], v[65:66], -v[73:74]
	;; [unrolled: 1-line block ×6, first 2 shown]
	v_add_f64 v[69:70], v[65:66], v[13:14]
	v_add_f64 v[63:64], v[63:64], -v[79:80]
	v_add_f64 v[63:64], v[67:68], v[63:64]
	v_add_f64 v[67:68], v[69:70], -v[65:66]
	;; [unrolled: 2-line block ×3, first 2 shown]
	v_add_f64 v[13:14], v[13:14], -v[67:68]
	v_add_f64 v[73:74], v[71:72], v[63:64]
	v_add_f64 v[65:66], v[65:66], -v[69:70]
	v_add_f64 v[67:68], v[73:74], -v[71:72]
	v_add_f64 v[13:14], v[13:14], v[65:66]
	v_add_f64 v[63:64], v[63:64], -v[67:68]
	v_add_f64 v[13:14], v[13:14], v[63:64]
	v_add_f64 v[13:14], v[73:74], v[13:14]
	v_cndmask_b32_e32 v13, 0, v13, vcc_lo
	v_cmp_neq_f64_e32 vcc_lo, -1.0, v[9:10]
	v_cndmask_b32_e64 v14, 0x7ff00000, v14, s0
	v_cndmask_b32_e64 v14, 0x7ff80000, v14, s1
	v_cndmask_b32_e32 v14, 0xfff00000, v14, vcc_lo
	v_add_f64 v[9:10], v[11:12], v[13:14]
.LBB9_169:
	s_or_b32 exec_lo, exec_lo, s6
	v_max_f64 v[11:12], v[9:10], v[9:10]
	v_cmp_u_f64_e32 vcc_lo, v[9:10], v[9:10]
	v_min_f64 v[13:14], v[11:12], v[15:16]
	v_max_f64 v[11:12], v[11:12], v[15:16]
	v_cndmask_b32_e32 v13, v13, v9, vcc_lo
	v_cndmask_b32_e32 v14, v14, v10, vcc_lo
	;; [unrolled: 1-line block ×4, first 2 shown]
	v_cndmask_b32_e64 v15, v13, v59, s2
	v_cndmask_b32_e64 v16, v14, v60, s2
	;; [unrolled: 1-line block ×4, first 2 shown]
	v_mov_b32_e32 v12, v10
	v_mov_b32_e32 v11, v9
	v_cmp_class_f64_e64 s0, v[15:16], 0x1f8
	v_cmp_neq_f64_e32 vcc_lo, v[15:16], v[13:14]
	s_or_b32 s0, vcc_lo, s0
	s_and_saveexec_b32 s2, s0
	s_cbranch_execz .LBB9_171
; %bb.170:
	v_add_f64 v[11:12], v[15:16], -v[13:14]
	s_mov_b32 s0, 0x652b82fe
	s_mov_b32 s1, 0x3ff71547
	;; [unrolled: 1-line block ×10, first 2 shown]
	v_mul_f64 v[15:16], v[11:12], s[0:1]
	s_mov_b32 s0, 0xfca7ab0c
	s_mov_b32 s1, 0x3e928af3
	v_cmp_nlt_f64_e32 vcc_lo, 0x40900000, v[11:12]
	v_rndne_f64_e32 v[15:16], v[15:16]
	v_fma_f64 v[63:64], v[15:16], s[14:15], v[11:12]
	v_cvt_i32_f64_e32 v67, v[15:16]
	s_mov_b32 s15, 0x3fe62e42
	v_fma_f64 v[63:64], v[15:16], s[16:17], v[63:64]
	s_mov_b32 s17, 0x3c7abc9e
	v_fma_f64 v[65:66], v[63:64], s[36:37], s[0:1]
	s_mov_b32 s0, 0x623fde64
	s_mov_b32 s1, 0x3ec71dee
	;; [unrolled: 1-line block ×4, first 2 shown]
	v_fma_f64 v[65:66], v[63:64], v[65:66], s[0:1]
	s_mov_b32 s0, 0x7c89e6b0
	s_mov_b32 s1, 0x3efa0199
	v_fma_f64 v[65:66], v[63:64], v[65:66], s[0:1]
	s_mov_b32 s0, 0x14761f6e
	s_mov_b32 s1, 0x3f2a01a0
	;; [unrolled: 3-line block ×7, first 2 shown]
	v_fma_f64 v[65:66], v[63:64], v[65:66], s[0:1]
	v_cmp_ngt_f64_e64 s0, 0xc090cc00, v[11:12]
	s_mov_b32 s1, 0x3fe55555
	v_fma_f64 v[65:66], v[63:64], v[65:66], 1.0
	v_fma_f64 v[15:16], v[63:64], v[65:66], 1.0
	v_ldexp_f64 v[15:16], v[15:16], v67
	v_cndmask_b32_e32 v16, 0x7ff00000, v16, vcc_lo
	s_and_b32 vcc_lo, s0, vcc_lo
	v_cndmask_b32_e32 v11, 0, v15, vcc_lo
	v_cndmask_b32_e64 v12, 0, v16, s0
	s_mov_b32 s0, 0x55555555
	v_add_f64 v[15:16], v[11:12], 1.0
	v_frexp_mant_f64_e32 v[63:64], v[15:16]
	v_frexp_exp_i32_f64_e32 v67, v[15:16]
	v_add_f64 v[65:66], v[15:16], -1.0
	v_cmp_gt_f64_e32 vcc_lo, s[0:1], v[63:64]
	s_mov_b32 s0, 0x55555780
	v_add_f64 v[63:64], v[65:66], -v[15:16]
	v_add_f64 v[65:66], v[11:12], -v[65:66]
	v_subrev_co_ci_u32_e64 v85, null, 0, v67, vcc_lo
	v_add_f64 v[63:64], v[63:64], 1.0
	v_cmp_nge_f64_e32 vcc_lo, -1.0, v[11:12]
	v_sub_nc_u32_e32 v69, 0, v85
	v_ldexp_f64 v[15:16], v[15:16], v69
	v_add_f64 v[63:64], v[65:66], v[63:64]
	v_add_f64 v[67:68], v[15:16], 1.0
	v_add_f64 v[73:74], v[15:16], -1.0
	v_ldexp_f64 v[63:64], v[63:64], v69
	v_add_f64 v[65:66], v[67:68], -1.0
	v_add_f64 v[77:78], v[73:74], 1.0
	v_add_f64 v[65:66], v[15:16], -v[65:66]
	v_add_f64 v[15:16], v[15:16], -v[77:78]
	v_add_f64 v[65:66], v[63:64], v[65:66]
	v_add_f64 v[15:16], v[63:64], v[15:16]
	v_add_f64 v[69:70], v[67:68], v[65:66]
	v_add_f64 v[77:78], v[73:74], v[15:16]
	v_rcp_f64_e32 v[71:72], v[69:70]
	v_add_f64 v[67:68], v[69:70], -v[67:68]
	v_add_f64 v[73:74], v[77:78], -v[73:74]
	;; [unrolled: 1-line block ×3, first 2 shown]
	v_fma_f64 v[79:80], -v[69:70], v[71:72], 1.0
	v_add_f64 v[15:16], v[15:16], -v[73:74]
	v_fma_f64 v[71:72], v[79:80], v[71:72], v[71:72]
	v_fma_f64 v[63:64], -v[69:70], v[71:72], 1.0
	v_fma_f64 v[63:64], v[63:64], v[71:72], v[71:72]
	v_mul_f64 v[71:72], v[77:78], v[63:64]
	v_mul_f64 v[79:80], v[69:70], v[71:72]
	v_fma_f64 v[67:68], v[71:72], v[69:70], -v[79:80]
	v_fma_f64 v[67:68], v[71:72], v[65:66], v[67:68]
	v_add_f64 v[81:82], v[79:80], v[67:68]
	v_add_f64 v[83:84], v[77:78], -v[81:82]
	v_add_f64 v[73:74], v[81:82], -v[79:80]
	;; [unrolled: 1-line block ×5, first 2 shown]
	v_add_f64 v[15:16], v[15:16], v[77:78]
	v_add_f64 v[15:16], v[67:68], v[15:16]
	;; [unrolled: 1-line block ×3, first 2 shown]
	v_mul_f64 v[73:74], v[63:64], v[67:68]
	v_add_f64 v[81:82], v[83:84], -v[67:68]
	v_mul_f64 v[77:78], v[69:70], v[73:74]
	v_add_f64 v[15:16], v[15:16], v[81:82]
	v_fma_f64 v[69:70], v[73:74], v[69:70], -v[77:78]
	v_fma_f64 v[65:66], v[73:74], v[65:66], v[69:70]
	v_add_f64 v[69:70], v[77:78], v[65:66]
	v_add_f64 v[79:80], v[67:68], -v[69:70]
	v_add_f64 v[77:78], v[69:70], -v[77:78]
	;; [unrolled: 1-line block ×5, first 2 shown]
	v_add_f64 v[15:16], v[15:16], v[67:68]
	v_add_f64 v[67:68], v[71:72], v[73:74]
	;; [unrolled: 1-line block ×3, first 2 shown]
	v_add_f64 v[65:66], v[67:68], -v[71:72]
	v_add_f64 v[15:16], v[79:80], v[15:16]
	v_add_f64 v[65:66], v[73:74], -v[65:66]
	v_mul_f64 v[15:16], v[63:64], v[15:16]
	v_add_f64 v[15:16], v[65:66], v[15:16]
	v_add_f64 v[63:64], v[67:68], v[15:16]
	v_mul_f64 v[65:66], v[63:64], v[63:64]
	v_fma_f64 v[69:70], v[65:66], s[38:39], s[36:37]
	s_mov_b32 s36, 0xd7f4df2e
	s_mov_b32 s37, 0x3fc7474d
	v_mul_f64 v[71:72], v[63:64], v[65:66]
	v_fma_f64 v[69:70], v[65:66], v[69:70], s[36:37]
	s_mov_b32 s36, 0x16291751
	s_mov_b32 s37, 0x3fcc71c0
	v_fma_f64 v[69:70], v[65:66], v[69:70], s[36:37]
	s_mov_b32 s36, 0x9b27acf1
	s_mov_b32 s37, 0x3fd24924
	;; [unrolled: 3-line block ×3, first 2 shown]
	v_fma_f64 v[69:70], v[65:66], v[69:70], s[36:37]
	v_fma_f64 v[65:66], v[65:66], v[69:70], s[0:1]
	v_ldexp_f64 v[69:70], v[63:64], 1
	v_add_f64 v[63:64], v[63:64], -v[67:68]
	v_cmp_neq_f64_e64 s0, 0x7ff00000, v[11:12]
	v_cmp_ngt_f64_e64 s1, -1.0, v[11:12]
	v_mul_f64 v[65:66], v[71:72], v[65:66]
	v_cvt_f64_i32_e32 v[71:72], v85
	v_add_f64 v[15:16], v[15:16], -v[63:64]
	s_and_b32 vcc_lo, vcc_lo, s0
	v_add_f64 v[67:68], v[69:70], v[65:66]
	v_mul_f64 v[73:74], v[71:72], s[14:15]
	v_ldexp_f64 v[15:16], v[15:16], 1
	v_add_f64 v[63:64], v[67:68], -v[69:70]
	v_fma_f64 v[69:70], v[71:72], s[14:15], -v[73:74]
	v_add_f64 v[63:64], v[65:66], -v[63:64]
	v_fma_f64 v[65:66], v[71:72], s[16:17], v[69:70]
	v_add_f64 v[15:16], v[15:16], v[63:64]
	v_add_f64 v[63:64], v[73:74], v[65:66]
	;; [unrolled: 1-line block ×3, first 2 shown]
	v_add_f64 v[73:74], v[63:64], -v[73:74]
	v_add_f64 v[71:72], v[63:64], v[69:70]
	v_add_f64 v[67:68], v[69:70], -v[67:68]
	v_add_f64 v[65:66], v[65:66], -v[73:74]
	;; [unrolled: 1-line block ×6, first 2 shown]
	v_add_f64 v[69:70], v[65:66], v[15:16]
	v_add_f64 v[63:64], v[63:64], -v[79:80]
	v_add_f64 v[63:64], v[67:68], v[63:64]
	v_add_f64 v[67:68], v[69:70], -v[65:66]
	;; [unrolled: 2-line block ×3, first 2 shown]
	v_add_f64 v[15:16], v[15:16], -v[67:68]
	v_add_f64 v[73:74], v[71:72], v[63:64]
	v_add_f64 v[65:66], v[65:66], -v[69:70]
	v_add_f64 v[67:68], v[73:74], -v[71:72]
	v_add_f64 v[15:16], v[15:16], v[65:66]
	v_add_f64 v[63:64], v[63:64], -v[67:68]
	v_add_f64 v[15:16], v[15:16], v[63:64]
	v_add_f64 v[15:16], v[73:74], v[15:16]
	v_cndmask_b32_e32 v15, 0, v15, vcc_lo
	v_cmp_neq_f64_e32 vcc_lo, -1.0, v[11:12]
	v_cndmask_b32_e64 v16, 0x7ff00000, v16, s0
	v_cndmask_b32_e64 v16, 0x7ff80000, v16, s1
	v_cndmask_b32_e32 v16, 0xfff00000, v16, vcc_lo
	v_add_f64 v[11:12], v[13:14], v[15:16]
.LBB9_171:
	s_or_b32 exec_lo, exec_lo, s2
	v_max_f64 v[13:14], v[11:12], v[11:12]
	v_cmp_u_f64_e32 vcc_lo, v[11:12], v[11:12]
	v_min_f64 v[15:16], v[13:14], v[17:18]
	v_max_f64 v[13:14], v[13:14], v[17:18]
	v_cndmask_b32_e32 v15, v15, v11, vcc_lo
	v_cndmask_b32_e32 v16, v16, v12, vcc_lo
	v_cndmask_b32_e32 v14, v14, v12, vcc_lo
	v_cndmask_b32_e32 v13, v13, v11, vcc_lo
	v_cndmask_b32_e64 v17, v15, v53, s3
	v_cndmask_b32_e64 v18, v16, v54, s3
	;; [unrolled: 1-line block ×4, first 2 shown]
	v_mov_b32_e32 v14, v12
	v_mov_b32_e32 v13, v11
	v_cmp_class_f64_e64 s0, v[17:18], 0x1f8
	v_cmp_neq_f64_e32 vcc_lo, v[17:18], v[15:16]
	s_or_b32 s0, vcc_lo, s0
	s_and_saveexec_b32 s6, s0
	s_cbranch_execz .LBB9_173
; %bb.172:
	v_add_f64 v[13:14], v[17:18], -v[15:16]
	s_mov_b32 s0, 0x652b82fe
	s_mov_b32 s1, 0x3ff71547
	;; [unrolled: 1-line block ×10, first 2 shown]
	v_mul_f64 v[17:18], v[13:14], s[0:1]
	s_mov_b32 s0, 0xfca7ab0c
	s_mov_b32 s1, 0x3e928af3
	v_cmp_nlt_f64_e32 vcc_lo, 0x40900000, v[13:14]
	v_rndne_f64_e32 v[17:18], v[17:18]
	v_fma_f64 v[63:64], v[17:18], s[2:3], v[13:14]
	v_cvt_i32_f64_e32 v67, v[17:18]
	s_mov_b32 s3, 0x3fe62e42
	v_fma_f64 v[63:64], v[17:18], s[14:15], v[63:64]
	s_mov_b32 s15, 0x3c7abc9e
	v_fma_f64 v[65:66], v[63:64], s[16:17], s[0:1]
	s_mov_b32 s0, 0x623fde64
	s_mov_b32 s1, 0x3ec71dee
	;; [unrolled: 1-line block ×4, first 2 shown]
	v_fma_f64 v[65:66], v[63:64], v[65:66], s[0:1]
	s_mov_b32 s0, 0x7c89e6b0
	s_mov_b32 s1, 0x3efa0199
	v_fma_f64 v[65:66], v[63:64], v[65:66], s[0:1]
	s_mov_b32 s0, 0x14761f6e
	s_mov_b32 s1, 0x3f2a01a0
	;; [unrolled: 3-line block ×7, first 2 shown]
	v_fma_f64 v[65:66], v[63:64], v[65:66], s[0:1]
	v_cmp_ngt_f64_e64 s0, 0xc090cc00, v[13:14]
	s_mov_b32 s1, 0x3fe55555
	v_fma_f64 v[65:66], v[63:64], v[65:66], 1.0
	v_fma_f64 v[17:18], v[63:64], v[65:66], 1.0
	v_ldexp_f64 v[17:18], v[17:18], v67
	v_cndmask_b32_e32 v18, 0x7ff00000, v18, vcc_lo
	s_and_b32 vcc_lo, s0, vcc_lo
	v_cndmask_b32_e32 v13, 0, v17, vcc_lo
	v_cndmask_b32_e64 v14, 0, v18, s0
	s_mov_b32 s0, 0x55555555
	v_add_f64 v[17:18], v[13:14], 1.0
	v_frexp_mant_f64_e32 v[63:64], v[17:18]
	v_frexp_exp_i32_f64_e32 v67, v[17:18]
	v_add_f64 v[65:66], v[17:18], -1.0
	v_cmp_gt_f64_e32 vcc_lo, s[0:1], v[63:64]
	s_mov_b32 s0, 0x55555780
	v_add_f64 v[63:64], v[65:66], -v[17:18]
	v_add_f64 v[65:66], v[13:14], -v[65:66]
	v_subrev_co_ci_u32_e64 v85, null, 0, v67, vcc_lo
	v_add_f64 v[63:64], v[63:64], 1.0
	v_cmp_nge_f64_e32 vcc_lo, -1.0, v[13:14]
	v_sub_nc_u32_e32 v69, 0, v85
	v_ldexp_f64 v[17:18], v[17:18], v69
	v_add_f64 v[63:64], v[65:66], v[63:64]
	v_add_f64 v[67:68], v[17:18], 1.0
	v_add_f64 v[73:74], v[17:18], -1.0
	v_ldexp_f64 v[63:64], v[63:64], v69
	v_add_f64 v[65:66], v[67:68], -1.0
	v_add_f64 v[77:78], v[73:74], 1.0
	v_add_f64 v[65:66], v[17:18], -v[65:66]
	v_add_f64 v[17:18], v[17:18], -v[77:78]
	v_add_f64 v[65:66], v[63:64], v[65:66]
	v_add_f64 v[17:18], v[63:64], v[17:18]
	;; [unrolled: 1-line block ×4, first 2 shown]
	v_rcp_f64_e32 v[71:72], v[69:70]
	v_add_f64 v[67:68], v[69:70], -v[67:68]
	v_add_f64 v[73:74], v[77:78], -v[73:74]
	;; [unrolled: 1-line block ×3, first 2 shown]
	v_fma_f64 v[79:80], -v[69:70], v[71:72], 1.0
	v_add_f64 v[17:18], v[17:18], -v[73:74]
	v_fma_f64 v[71:72], v[79:80], v[71:72], v[71:72]
	v_fma_f64 v[63:64], -v[69:70], v[71:72], 1.0
	v_fma_f64 v[63:64], v[63:64], v[71:72], v[71:72]
	v_mul_f64 v[71:72], v[77:78], v[63:64]
	v_mul_f64 v[79:80], v[69:70], v[71:72]
	v_fma_f64 v[67:68], v[71:72], v[69:70], -v[79:80]
	v_fma_f64 v[67:68], v[71:72], v[65:66], v[67:68]
	v_add_f64 v[81:82], v[79:80], v[67:68]
	v_add_f64 v[83:84], v[77:78], -v[81:82]
	v_add_f64 v[73:74], v[81:82], -v[79:80]
	v_add_f64 v[77:78], v[77:78], -v[83:84]
	v_add_f64 v[67:68], v[73:74], -v[67:68]
	v_add_f64 v[77:78], v[77:78], -v[81:82]
	v_add_f64 v[17:18], v[17:18], v[77:78]
	v_add_f64 v[17:18], v[67:68], v[17:18]
	;; [unrolled: 1-line block ×3, first 2 shown]
	v_mul_f64 v[73:74], v[63:64], v[67:68]
	v_add_f64 v[81:82], v[83:84], -v[67:68]
	v_mul_f64 v[77:78], v[69:70], v[73:74]
	v_add_f64 v[17:18], v[17:18], v[81:82]
	v_fma_f64 v[69:70], v[73:74], v[69:70], -v[77:78]
	v_fma_f64 v[65:66], v[73:74], v[65:66], v[69:70]
	v_add_f64 v[69:70], v[77:78], v[65:66]
	v_add_f64 v[79:80], v[67:68], -v[69:70]
	v_add_f64 v[77:78], v[69:70], -v[77:78]
	;; [unrolled: 1-line block ×5, first 2 shown]
	v_add_f64 v[17:18], v[17:18], v[67:68]
	v_add_f64 v[67:68], v[71:72], v[73:74]
	;; [unrolled: 1-line block ×3, first 2 shown]
	v_add_f64 v[65:66], v[67:68], -v[71:72]
	v_add_f64 v[17:18], v[79:80], v[17:18]
	v_add_f64 v[65:66], v[73:74], -v[65:66]
	v_mul_f64 v[17:18], v[63:64], v[17:18]
	v_add_f64 v[17:18], v[65:66], v[17:18]
	v_add_f64 v[63:64], v[67:68], v[17:18]
	v_mul_f64 v[65:66], v[63:64], v[63:64]
	v_fma_f64 v[69:70], v[65:66], s[36:37], s[16:17]
	s_mov_b32 s16, 0xd7f4df2e
	s_mov_b32 s17, 0x3fc7474d
	v_mul_f64 v[71:72], v[63:64], v[65:66]
	v_fma_f64 v[69:70], v[65:66], v[69:70], s[16:17]
	s_mov_b32 s16, 0x16291751
	s_mov_b32 s17, 0x3fcc71c0
	v_fma_f64 v[69:70], v[65:66], v[69:70], s[16:17]
	s_mov_b32 s16, 0x9b27acf1
	s_mov_b32 s17, 0x3fd24924
	v_fma_f64 v[69:70], v[65:66], v[69:70], s[16:17]
	s_mov_b32 s16, 0x998ef7b6
	s_mov_b32 s17, 0x3fd99999
	v_fma_f64 v[69:70], v[65:66], v[69:70], s[16:17]
	v_fma_f64 v[65:66], v[65:66], v[69:70], s[0:1]
	v_ldexp_f64 v[69:70], v[63:64], 1
	v_add_f64 v[63:64], v[63:64], -v[67:68]
	v_cmp_neq_f64_e64 s0, 0x7ff00000, v[13:14]
	v_cmp_ngt_f64_e64 s1, -1.0, v[13:14]
	v_mul_f64 v[65:66], v[71:72], v[65:66]
	v_cvt_f64_i32_e32 v[71:72], v85
	v_add_f64 v[17:18], v[17:18], -v[63:64]
	s_and_b32 vcc_lo, vcc_lo, s0
	v_add_f64 v[67:68], v[69:70], v[65:66]
	v_mul_f64 v[73:74], v[71:72], s[2:3]
	v_ldexp_f64 v[17:18], v[17:18], 1
	v_add_f64 v[63:64], v[67:68], -v[69:70]
	v_fma_f64 v[69:70], v[71:72], s[2:3], -v[73:74]
	v_add_f64 v[63:64], v[65:66], -v[63:64]
	v_fma_f64 v[65:66], v[71:72], s[14:15], v[69:70]
	v_add_f64 v[17:18], v[17:18], v[63:64]
	v_add_f64 v[63:64], v[73:74], v[65:66]
	;; [unrolled: 1-line block ×3, first 2 shown]
	v_add_f64 v[73:74], v[63:64], -v[73:74]
	v_add_f64 v[71:72], v[63:64], v[69:70]
	v_add_f64 v[67:68], v[69:70], -v[67:68]
	v_add_f64 v[65:66], v[65:66], -v[73:74]
	;; [unrolled: 1-line block ×6, first 2 shown]
	v_add_f64 v[69:70], v[65:66], v[17:18]
	v_add_f64 v[63:64], v[63:64], -v[79:80]
	v_add_f64 v[63:64], v[67:68], v[63:64]
	v_add_f64 v[67:68], v[69:70], -v[65:66]
	;; [unrolled: 2-line block ×3, first 2 shown]
	v_add_f64 v[17:18], v[17:18], -v[67:68]
	v_add_f64 v[73:74], v[71:72], v[63:64]
	v_add_f64 v[65:66], v[65:66], -v[69:70]
	v_add_f64 v[67:68], v[73:74], -v[71:72]
	v_add_f64 v[17:18], v[17:18], v[65:66]
	v_add_f64 v[63:64], v[63:64], -v[67:68]
	v_add_f64 v[17:18], v[17:18], v[63:64]
	v_add_f64 v[17:18], v[73:74], v[17:18]
	v_cndmask_b32_e32 v17, 0, v17, vcc_lo
	v_cmp_neq_f64_e32 vcc_lo, -1.0, v[13:14]
	v_cndmask_b32_e64 v18, 0x7ff00000, v18, s0
	v_cndmask_b32_e64 v18, 0x7ff80000, v18, s1
	v_cndmask_b32_e32 v18, 0xfff00000, v18, vcc_lo
	v_add_f64 v[13:14], v[15:16], v[17:18]
.LBB9_173:
	s_or_b32 exec_lo, exec_lo, s6
	v_max_f64 v[15:16], v[13:14], v[13:14]
	v_cmp_u_f64_e32 vcc_lo, v[13:14], v[13:14]
	v_min_f64 v[17:18], v[15:16], v[19:20]
	v_max_f64 v[15:16], v[15:16], v[19:20]
	v_cndmask_b32_e32 v17, v17, v13, vcc_lo
	v_cndmask_b32_e32 v18, v18, v14, vcc_lo
	;; [unrolled: 1-line block ×4, first 2 shown]
	v_cndmask_b32_e64 v19, v17, v55, s4
	v_cndmask_b32_e64 v20, v18, v56, s4
	;; [unrolled: 1-line block ×4, first 2 shown]
	v_mov_b32_e32 v16, v14
	v_mov_b32_e32 v15, v13
	v_cmp_class_f64_e64 s0, v[19:20], 0x1f8
	v_cmp_neq_f64_e32 vcc_lo, v[19:20], v[17:18]
	s_or_b32 s0, vcc_lo, s0
	s_and_saveexec_b32 s4, s0
	s_cbranch_execz .LBB9_175
; %bb.174:
	v_add_f64 v[15:16], v[19:20], -v[17:18]
	s_mov_b32 s0, 0x652b82fe
	s_mov_b32 s1, 0x3ff71547
	;; [unrolled: 1-line block ×10, first 2 shown]
	v_mul_f64 v[19:20], v[15:16], s[0:1]
	s_mov_b32 s0, 0xfca7ab0c
	s_mov_b32 s1, 0x3e928af3
	v_cmp_nlt_f64_e32 vcc_lo, 0x40900000, v[15:16]
	v_rndne_f64_e32 v[19:20], v[19:20]
	v_fma_f64 v[63:64], v[19:20], s[2:3], v[15:16]
	v_cvt_i32_f64_e32 v67, v[19:20]
	s_mov_b32 s3, 0x3fe62e42
	v_fma_f64 v[63:64], v[19:20], s[14:15], v[63:64]
	s_mov_b32 s15, 0x3c7abc9e
	v_fma_f64 v[65:66], v[63:64], s[16:17], s[0:1]
	s_mov_b32 s0, 0x623fde64
	s_mov_b32 s1, 0x3ec71dee
	;; [unrolled: 1-line block ×4, first 2 shown]
	v_fma_f64 v[65:66], v[63:64], v[65:66], s[0:1]
	s_mov_b32 s0, 0x7c89e6b0
	s_mov_b32 s1, 0x3efa0199
	v_fma_f64 v[65:66], v[63:64], v[65:66], s[0:1]
	s_mov_b32 s0, 0x14761f6e
	s_mov_b32 s1, 0x3f2a01a0
	;; [unrolled: 3-line block ×7, first 2 shown]
	v_fma_f64 v[65:66], v[63:64], v[65:66], s[0:1]
	v_cmp_ngt_f64_e64 s0, 0xc090cc00, v[15:16]
	s_mov_b32 s1, 0x3fe55555
	v_fma_f64 v[65:66], v[63:64], v[65:66], 1.0
	v_fma_f64 v[19:20], v[63:64], v[65:66], 1.0
	v_ldexp_f64 v[19:20], v[19:20], v67
	v_cndmask_b32_e32 v20, 0x7ff00000, v20, vcc_lo
	s_and_b32 vcc_lo, s0, vcc_lo
	v_cndmask_b32_e32 v15, 0, v19, vcc_lo
	v_cndmask_b32_e64 v16, 0, v20, s0
	s_mov_b32 s0, 0x55555555
	v_add_f64 v[19:20], v[15:16], 1.0
	v_frexp_mant_f64_e32 v[63:64], v[19:20]
	v_frexp_exp_i32_f64_e32 v67, v[19:20]
	v_add_f64 v[65:66], v[19:20], -1.0
	v_cmp_gt_f64_e32 vcc_lo, s[0:1], v[63:64]
	s_mov_b32 s0, 0x55555780
	v_add_f64 v[63:64], v[65:66], -v[19:20]
	v_add_f64 v[65:66], v[15:16], -v[65:66]
	v_subrev_co_ci_u32_e64 v85, null, 0, v67, vcc_lo
	v_add_f64 v[63:64], v[63:64], 1.0
	v_cmp_nge_f64_e32 vcc_lo, -1.0, v[15:16]
	v_sub_nc_u32_e32 v69, 0, v85
	v_ldexp_f64 v[19:20], v[19:20], v69
	v_add_f64 v[63:64], v[65:66], v[63:64]
	v_add_f64 v[67:68], v[19:20], 1.0
	v_add_f64 v[73:74], v[19:20], -1.0
	v_ldexp_f64 v[63:64], v[63:64], v69
	v_add_f64 v[65:66], v[67:68], -1.0
	v_add_f64 v[77:78], v[73:74], 1.0
	v_add_f64 v[65:66], v[19:20], -v[65:66]
	v_add_f64 v[19:20], v[19:20], -v[77:78]
	v_add_f64 v[65:66], v[63:64], v[65:66]
	v_add_f64 v[19:20], v[63:64], v[19:20]
	;; [unrolled: 1-line block ×4, first 2 shown]
	v_rcp_f64_e32 v[71:72], v[69:70]
	v_add_f64 v[67:68], v[69:70], -v[67:68]
	v_add_f64 v[73:74], v[77:78], -v[73:74]
	;; [unrolled: 1-line block ×3, first 2 shown]
	v_fma_f64 v[79:80], -v[69:70], v[71:72], 1.0
	v_add_f64 v[19:20], v[19:20], -v[73:74]
	v_fma_f64 v[71:72], v[79:80], v[71:72], v[71:72]
	v_fma_f64 v[63:64], -v[69:70], v[71:72], 1.0
	v_fma_f64 v[63:64], v[63:64], v[71:72], v[71:72]
	v_mul_f64 v[71:72], v[77:78], v[63:64]
	v_mul_f64 v[79:80], v[69:70], v[71:72]
	v_fma_f64 v[67:68], v[71:72], v[69:70], -v[79:80]
	v_fma_f64 v[67:68], v[71:72], v[65:66], v[67:68]
	v_add_f64 v[81:82], v[79:80], v[67:68]
	v_add_f64 v[83:84], v[77:78], -v[81:82]
	v_add_f64 v[73:74], v[81:82], -v[79:80]
	;; [unrolled: 1-line block ×5, first 2 shown]
	v_add_f64 v[19:20], v[19:20], v[77:78]
	v_add_f64 v[19:20], v[67:68], v[19:20]
	v_add_f64 v[67:68], v[83:84], v[19:20]
	v_mul_f64 v[73:74], v[63:64], v[67:68]
	v_add_f64 v[81:82], v[83:84], -v[67:68]
	v_mul_f64 v[77:78], v[69:70], v[73:74]
	v_add_f64 v[19:20], v[19:20], v[81:82]
	v_fma_f64 v[69:70], v[73:74], v[69:70], -v[77:78]
	v_fma_f64 v[65:66], v[73:74], v[65:66], v[69:70]
	v_add_f64 v[69:70], v[77:78], v[65:66]
	v_add_f64 v[79:80], v[67:68], -v[69:70]
	v_add_f64 v[77:78], v[69:70], -v[77:78]
	;; [unrolled: 1-line block ×5, first 2 shown]
	v_add_f64 v[19:20], v[19:20], v[67:68]
	v_add_f64 v[67:68], v[71:72], v[73:74]
	;; [unrolled: 1-line block ×3, first 2 shown]
	v_add_f64 v[65:66], v[67:68], -v[71:72]
	v_add_f64 v[19:20], v[79:80], v[19:20]
	v_add_f64 v[65:66], v[73:74], -v[65:66]
	v_mul_f64 v[19:20], v[63:64], v[19:20]
	v_add_f64 v[19:20], v[65:66], v[19:20]
	v_add_f64 v[63:64], v[67:68], v[19:20]
	v_mul_f64 v[65:66], v[63:64], v[63:64]
	v_fma_f64 v[69:70], v[65:66], s[36:37], s[16:17]
	s_mov_b32 s16, 0xd7f4df2e
	s_mov_b32 s17, 0x3fc7474d
	v_mul_f64 v[71:72], v[63:64], v[65:66]
	v_fma_f64 v[69:70], v[65:66], v[69:70], s[16:17]
	s_mov_b32 s16, 0x16291751
	s_mov_b32 s17, 0x3fcc71c0
	v_fma_f64 v[69:70], v[65:66], v[69:70], s[16:17]
	s_mov_b32 s16, 0x9b27acf1
	s_mov_b32 s17, 0x3fd24924
	;; [unrolled: 3-line block ×3, first 2 shown]
	v_fma_f64 v[69:70], v[65:66], v[69:70], s[16:17]
	v_fma_f64 v[65:66], v[65:66], v[69:70], s[0:1]
	v_ldexp_f64 v[69:70], v[63:64], 1
	v_add_f64 v[63:64], v[63:64], -v[67:68]
	v_cmp_neq_f64_e64 s0, 0x7ff00000, v[15:16]
	v_cmp_ngt_f64_e64 s1, -1.0, v[15:16]
	v_mul_f64 v[65:66], v[71:72], v[65:66]
	v_cvt_f64_i32_e32 v[71:72], v85
	v_add_f64 v[19:20], v[19:20], -v[63:64]
	s_and_b32 vcc_lo, vcc_lo, s0
	v_add_f64 v[67:68], v[69:70], v[65:66]
	v_mul_f64 v[73:74], v[71:72], s[2:3]
	v_ldexp_f64 v[19:20], v[19:20], 1
	v_add_f64 v[63:64], v[67:68], -v[69:70]
	v_fma_f64 v[69:70], v[71:72], s[2:3], -v[73:74]
	v_add_f64 v[63:64], v[65:66], -v[63:64]
	v_fma_f64 v[65:66], v[71:72], s[14:15], v[69:70]
	v_add_f64 v[19:20], v[19:20], v[63:64]
	v_add_f64 v[63:64], v[73:74], v[65:66]
	;; [unrolled: 1-line block ×3, first 2 shown]
	v_add_f64 v[73:74], v[63:64], -v[73:74]
	v_add_f64 v[71:72], v[63:64], v[69:70]
	v_add_f64 v[67:68], v[69:70], -v[67:68]
	v_add_f64 v[65:66], v[65:66], -v[73:74]
	;; [unrolled: 1-line block ×6, first 2 shown]
	v_add_f64 v[69:70], v[65:66], v[19:20]
	v_add_f64 v[63:64], v[63:64], -v[79:80]
	v_add_f64 v[63:64], v[67:68], v[63:64]
	v_add_f64 v[67:68], v[69:70], -v[65:66]
	;; [unrolled: 2-line block ×3, first 2 shown]
	v_add_f64 v[19:20], v[19:20], -v[67:68]
	v_add_f64 v[73:74], v[71:72], v[63:64]
	v_add_f64 v[65:66], v[65:66], -v[69:70]
	v_add_f64 v[67:68], v[73:74], -v[71:72]
	v_add_f64 v[19:20], v[19:20], v[65:66]
	v_add_f64 v[63:64], v[63:64], -v[67:68]
	v_add_f64 v[19:20], v[19:20], v[63:64]
	v_add_f64 v[19:20], v[73:74], v[19:20]
	v_cndmask_b32_e32 v19, 0, v19, vcc_lo
	v_cmp_neq_f64_e32 vcc_lo, -1.0, v[15:16]
	v_cndmask_b32_e64 v20, 0x7ff00000, v20, s0
	v_cndmask_b32_e64 v20, 0x7ff80000, v20, s1
	v_cndmask_b32_e32 v20, 0xfff00000, v20, vcc_lo
	v_add_f64 v[15:16], v[17:18], v[19:20]
.LBB9_175:
	s_or_b32 exec_lo, exec_lo, s4
	v_max_f64 v[17:18], v[15:16], v[15:16]
	v_cmp_u_f64_e32 vcc_lo, v[15:16], v[15:16]
	v_min_f64 v[19:20], v[17:18], v[21:22]
	v_max_f64 v[17:18], v[17:18], v[21:22]
	v_cndmask_b32_e32 v19, v19, v15, vcc_lo
	v_cndmask_b32_e32 v20, v20, v16, vcc_lo
	;; [unrolled: 1-line block ×4, first 2 shown]
	v_cndmask_b32_e64 v21, v19, v49, s5
	v_cndmask_b32_e64 v22, v20, v50, s5
	v_cndmask_b32_e64 v20, v18, v50, s5
	v_cndmask_b32_e64 v19, v17, v49, s5
	v_mov_b32_e32 v18, v16
	v_mov_b32_e32 v17, v15
	v_cmp_class_f64_e64 s0, v[21:22], 0x1f8
	v_cmp_neq_f64_e32 vcc_lo, v[21:22], v[19:20]
	s_or_b32 s0, vcc_lo, s0
	s_and_saveexec_b32 s6, s0
	s_cbranch_execz .LBB9_177
; %bb.176:
	v_add_f64 v[17:18], v[21:22], -v[19:20]
	s_mov_b32 s0, 0x652b82fe
	s_mov_b32 s1, 0x3ff71547
	;; [unrolled: 1-line block ×10, first 2 shown]
	v_mul_f64 v[21:22], v[17:18], s[0:1]
	s_mov_b32 s0, 0xfca7ab0c
	s_mov_b32 s1, 0x3e928af3
	v_cmp_nlt_f64_e32 vcc_lo, 0x40900000, v[17:18]
	v_rndne_f64_e32 v[21:22], v[21:22]
	v_fma_f64 v[63:64], v[21:22], s[2:3], v[17:18]
	v_cvt_i32_f64_e32 v67, v[21:22]
	s_mov_b32 s3, 0x3fe62e42
	v_fma_f64 v[63:64], v[21:22], s[4:5], v[63:64]
	s_mov_b32 s5, 0x3c7abc9e
	v_fma_f64 v[65:66], v[63:64], s[14:15], s[0:1]
	s_mov_b32 s0, 0x623fde64
	s_mov_b32 s1, 0x3ec71dee
	;; [unrolled: 1-line block ×4, first 2 shown]
	v_fma_f64 v[65:66], v[63:64], v[65:66], s[0:1]
	s_mov_b32 s0, 0x7c89e6b0
	s_mov_b32 s1, 0x3efa0199
	v_fma_f64 v[65:66], v[63:64], v[65:66], s[0:1]
	s_mov_b32 s0, 0x14761f6e
	s_mov_b32 s1, 0x3f2a01a0
	;; [unrolled: 3-line block ×7, first 2 shown]
	v_fma_f64 v[65:66], v[63:64], v[65:66], s[0:1]
	v_cmp_ngt_f64_e64 s0, 0xc090cc00, v[17:18]
	s_mov_b32 s1, 0x3fe55555
	v_fma_f64 v[65:66], v[63:64], v[65:66], 1.0
	v_fma_f64 v[21:22], v[63:64], v[65:66], 1.0
	v_ldexp_f64 v[21:22], v[21:22], v67
	v_cndmask_b32_e32 v22, 0x7ff00000, v22, vcc_lo
	s_and_b32 vcc_lo, s0, vcc_lo
	v_cndmask_b32_e32 v17, 0, v21, vcc_lo
	v_cndmask_b32_e64 v18, 0, v22, s0
	s_mov_b32 s0, 0x55555555
	v_add_f64 v[21:22], v[17:18], 1.0
	v_frexp_mant_f64_e32 v[63:64], v[21:22]
	v_frexp_exp_i32_f64_e32 v67, v[21:22]
	v_add_f64 v[65:66], v[21:22], -1.0
	v_cmp_gt_f64_e32 vcc_lo, s[0:1], v[63:64]
	s_mov_b32 s0, 0x55555780
	v_add_f64 v[63:64], v[65:66], -v[21:22]
	v_add_f64 v[65:66], v[17:18], -v[65:66]
	v_subrev_co_ci_u32_e64 v85, null, 0, v67, vcc_lo
	v_add_f64 v[63:64], v[63:64], 1.0
	v_cmp_nge_f64_e32 vcc_lo, -1.0, v[17:18]
	v_sub_nc_u32_e32 v69, 0, v85
	v_ldexp_f64 v[21:22], v[21:22], v69
	v_add_f64 v[63:64], v[65:66], v[63:64]
	v_add_f64 v[67:68], v[21:22], 1.0
	v_add_f64 v[73:74], v[21:22], -1.0
	v_ldexp_f64 v[63:64], v[63:64], v69
	v_add_f64 v[65:66], v[67:68], -1.0
	v_add_f64 v[77:78], v[73:74], 1.0
	v_add_f64 v[65:66], v[21:22], -v[65:66]
	v_add_f64 v[21:22], v[21:22], -v[77:78]
	v_add_f64 v[65:66], v[63:64], v[65:66]
	v_add_f64 v[21:22], v[63:64], v[21:22]
	;; [unrolled: 1-line block ×4, first 2 shown]
	v_rcp_f64_e32 v[71:72], v[69:70]
	v_add_f64 v[67:68], v[69:70], -v[67:68]
	v_add_f64 v[73:74], v[77:78], -v[73:74]
	;; [unrolled: 1-line block ×3, first 2 shown]
	v_fma_f64 v[79:80], -v[69:70], v[71:72], 1.0
	v_add_f64 v[21:22], v[21:22], -v[73:74]
	v_fma_f64 v[71:72], v[79:80], v[71:72], v[71:72]
	v_fma_f64 v[63:64], -v[69:70], v[71:72], 1.0
	v_fma_f64 v[63:64], v[63:64], v[71:72], v[71:72]
	v_mul_f64 v[71:72], v[77:78], v[63:64]
	v_mul_f64 v[79:80], v[69:70], v[71:72]
	v_fma_f64 v[67:68], v[71:72], v[69:70], -v[79:80]
	v_fma_f64 v[67:68], v[71:72], v[65:66], v[67:68]
	v_add_f64 v[81:82], v[79:80], v[67:68]
	v_add_f64 v[83:84], v[77:78], -v[81:82]
	v_add_f64 v[73:74], v[81:82], -v[79:80]
	;; [unrolled: 1-line block ×5, first 2 shown]
	v_add_f64 v[21:22], v[21:22], v[77:78]
	v_add_f64 v[21:22], v[67:68], v[21:22]
	;; [unrolled: 1-line block ×3, first 2 shown]
	v_mul_f64 v[73:74], v[63:64], v[67:68]
	v_add_f64 v[81:82], v[83:84], -v[67:68]
	v_mul_f64 v[77:78], v[69:70], v[73:74]
	v_add_f64 v[21:22], v[21:22], v[81:82]
	v_fma_f64 v[69:70], v[73:74], v[69:70], -v[77:78]
	v_fma_f64 v[65:66], v[73:74], v[65:66], v[69:70]
	v_add_f64 v[69:70], v[77:78], v[65:66]
	v_add_f64 v[79:80], v[67:68], -v[69:70]
	v_add_f64 v[77:78], v[69:70], -v[77:78]
	;; [unrolled: 1-line block ×5, first 2 shown]
	v_add_f64 v[21:22], v[21:22], v[67:68]
	v_add_f64 v[67:68], v[71:72], v[73:74]
	;; [unrolled: 1-line block ×3, first 2 shown]
	v_add_f64 v[65:66], v[67:68], -v[71:72]
	v_add_f64 v[21:22], v[79:80], v[21:22]
	v_add_f64 v[65:66], v[73:74], -v[65:66]
	v_mul_f64 v[21:22], v[63:64], v[21:22]
	v_add_f64 v[21:22], v[65:66], v[21:22]
	v_add_f64 v[63:64], v[67:68], v[21:22]
	v_mul_f64 v[65:66], v[63:64], v[63:64]
	v_fma_f64 v[69:70], v[65:66], s[16:17], s[14:15]
	s_mov_b32 s14, 0xd7f4df2e
	s_mov_b32 s15, 0x3fc7474d
	v_mul_f64 v[71:72], v[63:64], v[65:66]
	v_fma_f64 v[69:70], v[65:66], v[69:70], s[14:15]
	s_mov_b32 s14, 0x16291751
	s_mov_b32 s15, 0x3fcc71c0
	v_fma_f64 v[69:70], v[65:66], v[69:70], s[14:15]
	s_mov_b32 s14, 0x9b27acf1
	s_mov_b32 s15, 0x3fd24924
	;; [unrolled: 3-line block ×3, first 2 shown]
	v_fma_f64 v[69:70], v[65:66], v[69:70], s[14:15]
	v_fma_f64 v[65:66], v[65:66], v[69:70], s[0:1]
	v_ldexp_f64 v[69:70], v[63:64], 1
	v_add_f64 v[63:64], v[63:64], -v[67:68]
	v_cmp_neq_f64_e64 s0, 0x7ff00000, v[17:18]
	v_cmp_ngt_f64_e64 s1, -1.0, v[17:18]
	v_mul_f64 v[65:66], v[71:72], v[65:66]
	v_cvt_f64_i32_e32 v[71:72], v85
	v_add_f64 v[21:22], v[21:22], -v[63:64]
	s_and_b32 vcc_lo, vcc_lo, s0
	v_add_f64 v[67:68], v[69:70], v[65:66]
	v_mul_f64 v[73:74], v[71:72], s[2:3]
	v_ldexp_f64 v[21:22], v[21:22], 1
	v_add_f64 v[63:64], v[67:68], -v[69:70]
	v_fma_f64 v[69:70], v[71:72], s[2:3], -v[73:74]
	v_add_f64 v[63:64], v[65:66], -v[63:64]
	v_fma_f64 v[65:66], v[71:72], s[4:5], v[69:70]
	v_add_f64 v[21:22], v[21:22], v[63:64]
	v_add_f64 v[63:64], v[73:74], v[65:66]
	;; [unrolled: 1-line block ×3, first 2 shown]
	v_add_f64 v[73:74], v[63:64], -v[73:74]
	v_add_f64 v[71:72], v[63:64], v[69:70]
	v_add_f64 v[67:68], v[69:70], -v[67:68]
	v_add_f64 v[65:66], v[65:66], -v[73:74]
	;; [unrolled: 1-line block ×6, first 2 shown]
	v_add_f64 v[69:70], v[65:66], v[21:22]
	v_add_f64 v[63:64], v[63:64], -v[79:80]
	v_add_f64 v[63:64], v[67:68], v[63:64]
	v_add_f64 v[67:68], v[69:70], -v[65:66]
	;; [unrolled: 2-line block ×3, first 2 shown]
	v_add_f64 v[21:22], v[21:22], -v[67:68]
	v_add_f64 v[73:74], v[71:72], v[63:64]
	v_add_f64 v[65:66], v[65:66], -v[69:70]
	v_add_f64 v[67:68], v[73:74], -v[71:72]
	v_add_f64 v[21:22], v[21:22], v[65:66]
	v_add_f64 v[63:64], v[63:64], -v[67:68]
	v_add_f64 v[21:22], v[21:22], v[63:64]
	v_add_f64 v[21:22], v[73:74], v[21:22]
	v_cndmask_b32_e32 v21, 0, v21, vcc_lo
	v_cmp_neq_f64_e32 vcc_lo, -1.0, v[17:18]
	v_cndmask_b32_e64 v22, 0x7ff00000, v22, s0
	v_cndmask_b32_e64 v22, 0x7ff80000, v22, s1
	v_cndmask_b32_e32 v22, 0xfff00000, v22, vcc_lo
	v_add_f64 v[17:18], v[19:20], v[21:22]
.LBB9_177:
	s_or_b32 exec_lo, exec_lo, s6
	v_max_f64 v[19:20], v[17:18], v[17:18]
	v_cmp_u_f64_e32 vcc_lo, v[17:18], v[17:18]
	v_min_f64 v[21:22], v[19:20], v[23:24]
	v_max_f64 v[19:20], v[19:20], v[23:24]
	v_cndmask_b32_e32 v21, v21, v17, vcc_lo
	v_cndmask_b32_e32 v22, v22, v18, vcc_lo
	;; [unrolled: 1-line block ×4, first 2 shown]
	v_cndmask_b32_e64 v23, v21, v51, s7
	v_cndmask_b32_e64 v24, v22, v52, s7
	;; [unrolled: 1-line block ×4, first 2 shown]
	v_mov_b32_e32 v20, v18
	v_mov_b32_e32 v19, v17
	v_cmp_class_f64_e64 s0, v[23:24], 0x1f8
	v_cmp_neq_f64_e32 vcc_lo, v[23:24], v[21:22]
	s_or_b32 s0, vcc_lo, s0
	s_and_saveexec_b32 s6, s0
	s_cbranch_execz .LBB9_179
; %bb.178:
	v_add_f64 v[19:20], v[23:24], -v[21:22]
	s_mov_b32 s0, 0x652b82fe
	s_mov_b32 s1, 0x3ff71547
	;; [unrolled: 1-line block ×10, first 2 shown]
	v_mul_f64 v[23:24], v[19:20], s[0:1]
	s_mov_b32 s0, 0xfca7ab0c
	s_mov_b32 s1, 0x3e928af3
	v_cmp_nlt_f64_e32 vcc_lo, 0x40900000, v[19:20]
	v_rndne_f64_e32 v[23:24], v[23:24]
	v_fma_f64 v[63:64], v[23:24], s[2:3], v[19:20]
	v_cvt_i32_f64_e32 v67, v[23:24]
	s_mov_b32 s3, 0x3fe62e42
	v_fma_f64 v[63:64], v[23:24], s[4:5], v[63:64]
	s_mov_b32 s5, 0x3c7abc9e
	v_fma_f64 v[65:66], v[63:64], s[14:15], s[0:1]
	s_mov_b32 s0, 0x623fde64
	s_mov_b32 s1, 0x3ec71dee
	;; [unrolled: 1-line block ×4, first 2 shown]
	v_fma_f64 v[65:66], v[63:64], v[65:66], s[0:1]
	s_mov_b32 s0, 0x7c89e6b0
	s_mov_b32 s1, 0x3efa0199
	v_fma_f64 v[65:66], v[63:64], v[65:66], s[0:1]
	s_mov_b32 s0, 0x14761f6e
	s_mov_b32 s1, 0x3f2a01a0
	;; [unrolled: 3-line block ×7, first 2 shown]
	v_fma_f64 v[65:66], v[63:64], v[65:66], s[0:1]
	v_cmp_ngt_f64_e64 s0, 0xc090cc00, v[19:20]
	s_mov_b32 s1, 0x3fe55555
	v_fma_f64 v[65:66], v[63:64], v[65:66], 1.0
	v_fma_f64 v[23:24], v[63:64], v[65:66], 1.0
	v_ldexp_f64 v[23:24], v[23:24], v67
	v_cndmask_b32_e32 v24, 0x7ff00000, v24, vcc_lo
	s_and_b32 vcc_lo, s0, vcc_lo
	v_cndmask_b32_e32 v19, 0, v23, vcc_lo
	v_cndmask_b32_e64 v20, 0, v24, s0
	s_mov_b32 s0, 0x55555555
	v_add_f64 v[23:24], v[19:20], 1.0
	v_frexp_mant_f64_e32 v[63:64], v[23:24]
	v_frexp_exp_i32_f64_e32 v67, v[23:24]
	v_add_f64 v[65:66], v[23:24], -1.0
	v_cmp_gt_f64_e32 vcc_lo, s[0:1], v[63:64]
	s_mov_b32 s0, 0x55555780
	v_add_f64 v[63:64], v[65:66], -v[23:24]
	v_add_f64 v[65:66], v[19:20], -v[65:66]
	v_subrev_co_ci_u32_e64 v85, null, 0, v67, vcc_lo
	v_add_f64 v[63:64], v[63:64], 1.0
	v_cmp_nge_f64_e32 vcc_lo, -1.0, v[19:20]
	v_sub_nc_u32_e32 v69, 0, v85
	v_ldexp_f64 v[23:24], v[23:24], v69
	v_add_f64 v[63:64], v[65:66], v[63:64]
	v_add_f64 v[67:68], v[23:24], 1.0
	v_add_f64 v[73:74], v[23:24], -1.0
	v_ldexp_f64 v[63:64], v[63:64], v69
	v_add_f64 v[65:66], v[67:68], -1.0
	v_add_f64 v[77:78], v[73:74], 1.0
	v_add_f64 v[65:66], v[23:24], -v[65:66]
	v_add_f64 v[23:24], v[23:24], -v[77:78]
	v_add_f64 v[65:66], v[63:64], v[65:66]
	v_add_f64 v[23:24], v[63:64], v[23:24]
	;; [unrolled: 1-line block ×4, first 2 shown]
	v_rcp_f64_e32 v[71:72], v[69:70]
	v_add_f64 v[67:68], v[69:70], -v[67:68]
	v_add_f64 v[73:74], v[77:78], -v[73:74]
	;; [unrolled: 1-line block ×3, first 2 shown]
	v_fma_f64 v[79:80], -v[69:70], v[71:72], 1.0
	v_add_f64 v[23:24], v[23:24], -v[73:74]
	v_fma_f64 v[71:72], v[79:80], v[71:72], v[71:72]
	v_fma_f64 v[63:64], -v[69:70], v[71:72], 1.0
	v_fma_f64 v[63:64], v[63:64], v[71:72], v[71:72]
	v_mul_f64 v[71:72], v[77:78], v[63:64]
	v_mul_f64 v[79:80], v[69:70], v[71:72]
	v_fma_f64 v[67:68], v[71:72], v[69:70], -v[79:80]
	v_fma_f64 v[67:68], v[71:72], v[65:66], v[67:68]
	v_add_f64 v[81:82], v[79:80], v[67:68]
	v_add_f64 v[83:84], v[77:78], -v[81:82]
	v_add_f64 v[73:74], v[81:82], -v[79:80]
	;; [unrolled: 1-line block ×5, first 2 shown]
	v_add_f64 v[23:24], v[23:24], v[77:78]
	v_add_f64 v[23:24], v[67:68], v[23:24]
	;; [unrolled: 1-line block ×3, first 2 shown]
	v_mul_f64 v[73:74], v[63:64], v[67:68]
	v_add_f64 v[81:82], v[83:84], -v[67:68]
	v_mul_f64 v[77:78], v[69:70], v[73:74]
	v_add_f64 v[23:24], v[23:24], v[81:82]
	v_fma_f64 v[69:70], v[73:74], v[69:70], -v[77:78]
	v_fma_f64 v[65:66], v[73:74], v[65:66], v[69:70]
	v_add_f64 v[69:70], v[77:78], v[65:66]
	v_add_f64 v[79:80], v[67:68], -v[69:70]
	v_add_f64 v[77:78], v[69:70], -v[77:78]
	;; [unrolled: 1-line block ×5, first 2 shown]
	v_add_f64 v[23:24], v[23:24], v[67:68]
	v_add_f64 v[67:68], v[71:72], v[73:74]
	;; [unrolled: 1-line block ×3, first 2 shown]
	v_add_f64 v[65:66], v[67:68], -v[71:72]
	v_add_f64 v[23:24], v[79:80], v[23:24]
	v_add_f64 v[65:66], v[73:74], -v[65:66]
	v_mul_f64 v[23:24], v[63:64], v[23:24]
	v_add_f64 v[23:24], v[65:66], v[23:24]
	v_add_f64 v[63:64], v[67:68], v[23:24]
	v_mul_f64 v[65:66], v[63:64], v[63:64]
	v_fma_f64 v[69:70], v[65:66], s[16:17], s[14:15]
	s_mov_b32 s14, 0xd7f4df2e
	s_mov_b32 s15, 0x3fc7474d
	v_mul_f64 v[71:72], v[63:64], v[65:66]
	v_fma_f64 v[69:70], v[65:66], v[69:70], s[14:15]
	s_mov_b32 s14, 0x16291751
	s_mov_b32 s15, 0x3fcc71c0
	v_fma_f64 v[69:70], v[65:66], v[69:70], s[14:15]
	s_mov_b32 s14, 0x9b27acf1
	s_mov_b32 s15, 0x3fd24924
	;; [unrolled: 3-line block ×3, first 2 shown]
	v_fma_f64 v[69:70], v[65:66], v[69:70], s[14:15]
	v_fma_f64 v[65:66], v[65:66], v[69:70], s[0:1]
	v_ldexp_f64 v[69:70], v[63:64], 1
	v_add_f64 v[63:64], v[63:64], -v[67:68]
	v_cmp_neq_f64_e64 s0, 0x7ff00000, v[19:20]
	v_cmp_ngt_f64_e64 s1, -1.0, v[19:20]
	v_mul_f64 v[65:66], v[71:72], v[65:66]
	v_cvt_f64_i32_e32 v[71:72], v85
	v_add_f64 v[23:24], v[23:24], -v[63:64]
	s_and_b32 vcc_lo, vcc_lo, s0
	v_add_f64 v[67:68], v[69:70], v[65:66]
	v_mul_f64 v[73:74], v[71:72], s[2:3]
	v_ldexp_f64 v[23:24], v[23:24], 1
	v_add_f64 v[63:64], v[67:68], -v[69:70]
	v_fma_f64 v[69:70], v[71:72], s[2:3], -v[73:74]
	v_add_f64 v[63:64], v[65:66], -v[63:64]
	v_fma_f64 v[65:66], v[71:72], s[4:5], v[69:70]
	v_add_f64 v[23:24], v[23:24], v[63:64]
	v_add_f64 v[63:64], v[73:74], v[65:66]
	;; [unrolled: 1-line block ×3, first 2 shown]
	v_add_f64 v[73:74], v[63:64], -v[73:74]
	v_add_f64 v[71:72], v[63:64], v[69:70]
	v_add_f64 v[67:68], v[69:70], -v[67:68]
	v_add_f64 v[65:66], v[65:66], -v[73:74]
	;; [unrolled: 1-line block ×6, first 2 shown]
	v_add_f64 v[69:70], v[65:66], v[23:24]
	v_add_f64 v[63:64], v[63:64], -v[79:80]
	v_add_f64 v[63:64], v[67:68], v[63:64]
	v_add_f64 v[67:68], v[69:70], -v[65:66]
	v_add_f64 v[63:64], v[69:70], v[63:64]
	v_add_f64 v[69:70], v[69:70], -v[67:68]
	v_add_f64 v[23:24], v[23:24], -v[67:68]
	v_add_f64 v[73:74], v[71:72], v[63:64]
	v_add_f64 v[65:66], v[65:66], -v[69:70]
	v_add_f64 v[67:68], v[73:74], -v[71:72]
	v_add_f64 v[23:24], v[23:24], v[65:66]
	v_add_f64 v[63:64], v[63:64], -v[67:68]
	v_add_f64 v[23:24], v[23:24], v[63:64]
	v_add_f64 v[23:24], v[73:74], v[23:24]
	v_cndmask_b32_e32 v23, 0, v23, vcc_lo
	v_cmp_neq_f64_e32 vcc_lo, -1.0, v[19:20]
	v_cndmask_b32_e64 v24, 0x7ff00000, v24, s0
	v_cndmask_b32_e64 v24, 0x7ff80000, v24, s1
	v_cndmask_b32_e32 v24, 0xfff00000, v24, vcc_lo
	v_add_f64 v[19:20], v[21:22], v[23:24]
.LBB9_179:
	s_or_b32 exec_lo, exec_lo, s6
	v_max_f64 v[21:22], v[19:20], v[19:20]
	v_cmp_u_f64_e32 vcc_lo, v[19:20], v[19:20]
	v_min_f64 v[23:24], v[21:22], v[25:26]
	v_max_f64 v[21:22], v[21:22], v[25:26]
	v_cndmask_b32_e32 v23, v23, v19, vcc_lo
	v_cndmask_b32_e32 v24, v24, v20, vcc_lo
	;; [unrolled: 1-line block ×4, first 2 shown]
	v_cndmask_b32_e64 v25, v23, v45, s8
	v_cndmask_b32_e64 v26, v24, v46, s8
	;; [unrolled: 1-line block ×4, first 2 shown]
	v_mov_b32_e32 v22, v20
	v_mov_b32_e32 v21, v19
	v_cmp_class_f64_e64 s0, v[25:26], 0x1f8
	v_cmp_neq_f64_e32 vcc_lo, v[25:26], v[23:24]
	s_or_b32 s0, vcc_lo, s0
	s_and_saveexec_b32 s6, s0
	s_cbranch_execz .LBB9_181
; %bb.180:
	v_add_f64 v[21:22], v[25:26], -v[23:24]
	s_mov_b32 s0, 0x652b82fe
	s_mov_b32 s1, 0x3ff71547
	;; [unrolled: 1-line block ×10, first 2 shown]
	v_mul_f64 v[25:26], v[21:22], s[0:1]
	s_mov_b32 s0, 0xfca7ab0c
	s_mov_b32 s1, 0x3e928af3
	v_cmp_nlt_f64_e32 vcc_lo, 0x40900000, v[21:22]
	v_rndne_f64_e32 v[25:26], v[25:26]
	v_fma_f64 v[63:64], v[25:26], s[2:3], v[21:22]
	v_cvt_i32_f64_e32 v67, v[25:26]
	s_mov_b32 s3, 0x3fe62e42
	v_fma_f64 v[63:64], v[25:26], s[4:5], v[63:64]
	s_mov_b32 s5, 0x3c7abc9e
	v_fma_f64 v[65:66], v[63:64], s[14:15], s[0:1]
	s_mov_b32 s0, 0x623fde64
	s_mov_b32 s1, 0x3ec71dee
	;; [unrolled: 1-line block ×4, first 2 shown]
	v_fma_f64 v[65:66], v[63:64], v[65:66], s[0:1]
	s_mov_b32 s0, 0x7c89e6b0
	s_mov_b32 s1, 0x3efa0199
	v_fma_f64 v[65:66], v[63:64], v[65:66], s[0:1]
	s_mov_b32 s0, 0x14761f6e
	s_mov_b32 s1, 0x3f2a01a0
	;; [unrolled: 3-line block ×7, first 2 shown]
	v_fma_f64 v[65:66], v[63:64], v[65:66], s[0:1]
	v_cmp_ngt_f64_e64 s0, 0xc090cc00, v[21:22]
	s_mov_b32 s1, 0x3fe55555
	v_fma_f64 v[65:66], v[63:64], v[65:66], 1.0
	v_fma_f64 v[25:26], v[63:64], v[65:66], 1.0
	v_ldexp_f64 v[25:26], v[25:26], v67
	v_cndmask_b32_e32 v26, 0x7ff00000, v26, vcc_lo
	s_and_b32 vcc_lo, s0, vcc_lo
	v_cndmask_b32_e32 v21, 0, v25, vcc_lo
	v_cndmask_b32_e64 v22, 0, v26, s0
	s_mov_b32 s0, 0x55555555
	v_add_f64 v[25:26], v[21:22], 1.0
	v_frexp_mant_f64_e32 v[63:64], v[25:26]
	v_frexp_exp_i32_f64_e32 v67, v[25:26]
	v_add_f64 v[65:66], v[25:26], -1.0
	v_cmp_gt_f64_e32 vcc_lo, s[0:1], v[63:64]
	s_mov_b32 s0, 0x55555780
	v_add_f64 v[63:64], v[65:66], -v[25:26]
	v_add_f64 v[65:66], v[21:22], -v[65:66]
	v_subrev_co_ci_u32_e64 v85, null, 0, v67, vcc_lo
	v_add_f64 v[63:64], v[63:64], 1.0
	v_cmp_nge_f64_e32 vcc_lo, -1.0, v[21:22]
	v_sub_nc_u32_e32 v69, 0, v85
	v_ldexp_f64 v[25:26], v[25:26], v69
	v_add_f64 v[63:64], v[65:66], v[63:64]
	v_add_f64 v[67:68], v[25:26], 1.0
	v_add_f64 v[73:74], v[25:26], -1.0
	v_ldexp_f64 v[63:64], v[63:64], v69
	v_add_f64 v[65:66], v[67:68], -1.0
	v_add_f64 v[77:78], v[73:74], 1.0
	v_add_f64 v[65:66], v[25:26], -v[65:66]
	v_add_f64 v[25:26], v[25:26], -v[77:78]
	v_add_f64 v[65:66], v[63:64], v[65:66]
	v_add_f64 v[25:26], v[63:64], v[25:26]
	;; [unrolled: 1-line block ×4, first 2 shown]
	v_rcp_f64_e32 v[71:72], v[69:70]
	v_add_f64 v[67:68], v[69:70], -v[67:68]
	v_add_f64 v[73:74], v[77:78], -v[73:74]
	;; [unrolled: 1-line block ×3, first 2 shown]
	v_fma_f64 v[79:80], -v[69:70], v[71:72], 1.0
	v_add_f64 v[25:26], v[25:26], -v[73:74]
	v_fma_f64 v[71:72], v[79:80], v[71:72], v[71:72]
	v_fma_f64 v[63:64], -v[69:70], v[71:72], 1.0
	v_fma_f64 v[63:64], v[63:64], v[71:72], v[71:72]
	v_mul_f64 v[71:72], v[77:78], v[63:64]
	v_mul_f64 v[79:80], v[69:70], v[71:72]
	v_fma_f64 v[67:68], v[71:72], v[69:70], -v[79:80]
	v_fma_f64 v[67:68], v[71:72], v[65:66], v[67:68]
	v_add_f64 v[81:82], v[79:80], v[67:68]
	v_add_f64 v[83:84], v[77:78], -v[81:82]
	v_add_f64 v[73:74], v[81:82], -v[79:80]
	;; [unrolled: 1-line block ×5, first 2 shown]
	v_add_f64 v[25:26], v[25:26], v[77:78]
	v_add_f64 v[25:26], v[67:68], v[25:26]
	;; [unrolled: 1-line block ×3, first 2 shown]
	v_mul_f64 v[73:74], v[63:64], v[67:68]
	v_add_f64 v[81:82], v[83:84], -v[67:68]
	v_mul_f64 v[77:78], v[69:70], v[73:74]
	v_add_f64 v[25:26], v[25:26], v[81:82]
	v_fma_f64 v[69:70], v[73:74], v[69:70], -v[77:78]
	v_fma_f64 v[65:66], v[73:74], v[65:66], v[69:70]
	v_add_f64 v[69:70], v[77:78], v[65:66]
	v_add_f64 v[79:80], v[67:68], -v[69:70]
	v_add_f64 v[77:78], v[69:70], -v[77:78]
	;; [unrolled: 1-line block ×5, first 2 shown]
	v_add_f64 v[25:26], v[25:26], v[67:68]
	v_add_f64 v[67:68], v[71:72], v[73:74]
	v_add_f64 v[25:26], v[65:66], v[25:26]
	v_add_f64 v[65:66], v[67:68], -v[71:72]
	v_add_f64 v[25:26], v[79:80], v[25:26]
	v_add_f64 v[65:66], v[73:74], -v[65:66]
	v_mul_f64 v[25:26], v[63:64], v[25:26]
	v_add_f64 v[25:26], v[65:66], v[25:26]
	v_add_f64 v[63:64], v[67:68], v[25:26]
	v_mul_f64 v[65:66], v[63:64], v[63:64]
	v_fma_f64 v[69:70], v[65:66], s[16:17], s[14:15]
	s_mov_b32 s14, 0xd7f4df2e
	s_mov_b32 s15, 0x3fc7474d
	v_mul_f64 v[71:72], v[63:64], v[65:66]
	v_fma_f64 v[69:70], v[65:66], v[69:70], s[14:15]
	s_mov_b32 s14, 0x16291751
	s_mov_b32 s15, 0x3fcc71c0
	v_fma_f64 v[69:70], v[65:66], v[69:70], s[14:15]
	s_mov_b32 s14, 0x9b27acf1
	s_mov_b32 s15, 0x3fd24924
	;; [unrolled: 3-line block ×3, first 2 shown]
	v_fma_f64 v[69:70], v[65:66], v[69:70], s[14:15]
	v_fma_f64 v[65:66], v[65:66], v[69:70], s[0:1]
	v_ldexp_f64 v[69:70], v[63:64], 1
	v_add_f64 v[63:64], v[63:64], -v[67:68]
	v_cmp_neq_f64_e64 s0, 0x7ff00000, v[21:22]
	v_cmp_ngt_f64_e64 s1, -1.0, v[21:22]
	v_mul_f64 v[65:66], v[71:72], v[65:66]
	v_cvt_f64_i32_e32 v[71:72], v85
	v_add_f64 v[25:26], v[25:26], -v[63:64]
	s_and_b32 vcc_lo, vcc_lo, s0
	v_add_f64 v[67:68], v[69:70], v[65:66]
	v_mul_f64 v[73:74], v[71:72], s[2:3]
	v_ldexp_f64 v[25:26], v[25:26], 1
	v_add_f64 v[63:64], v[67:68], -v[69:70]
	v_fma_f64 v[69:70], v[71:72], s[2:3], -v[73:74]
	v_add_f64 v[63:64], v[65:66], -v[63:64]
	v_fma_f64 v[65:66], v[71:72], s[4:5], v[69:70]
	v_add_f64 v[25:26], v[25:26], v[63:64]
	v_add_f64 v[63:64], v[73:74], v[65:66]
	;; [unrolled: 1-line block ×3, first 2 shown]
	v_add_f64 v[73:74], v[63:64], -v[73:74]
	v_add_f64 v[71:72], v[63:64], v[69:70]
	v_add_f64 v[67:68], v[69:70], -v[67:68]
	v_add_f64 v[65:66], v[65:66], -v[73:74]
	;; [unrolled: 1-line block ×6, first 2 shown]
	v_add_f64 v[69:70], v[65:66], v[25:26]
	v_add_f64 v[63:64], v[63:64], -v[79:80]
	v_add_f64 v[63:64], v[67:68], v[63:64]
	v_add_f64 v[67:68], v[69:70], -v[65:66]
	;; [unrolled: 2-line block ×3, first 2 shown]
	v_add_f64 v[25:26], v[25:26], -v[67:68]
	v_add_f64 v[73:74], v[71:72], v[63:64]
	v_add_f64 v[65:66], v[65:66], -v[69:70]
	v_add_f64 v[67:68], v[73:74], -v[71:72]
	v_add_f64 v[25:26], v[25:26], v[65:66]
	v_add_f64 v[63:64], v[63:64], -v[67:68]
	v_add_f64 v[25:26], v[25:26], v[63:64]
	v_add_f64 v[25:26], v[73:74], v[25:26]
	v_cndmask_b32_e32 v25, 0, v25, vcc_lo
	v_cmp_neq_f64_e32 vcc_lo, -1.0, v[21:22]
	v_cndmask_b32_e64 v26, 0x7ff00000, v26, s0
	v_cndmask_b32_e64 v26, 0x7ff80000, v26, s1
	v_cndmask_b32_e32 v26, 0xfff00000, v26, vcc_lo
	v_add_f64 v[21:22], v[23:24], v[25:26]
.LBB9_181:
	s_or_b32 exec_lo, exec_lo, s6
	v_max_f64 v[23:24], v[21:22], v[21:22]
	v_cmp_u_f64_e32 vcc_lo, v[21:22], v[21:22]
	v_min_f64 v[25:26], v[23:24], v[27:28]
	v_max_f64 v[23:24], v[23:24], v[27:28]
	v_cndmask_b32_e32 v25, v25, v21, vcc_lo
	v_cndmask_b32_e32 v26, v26, v22, vcc_lo
	;; [unrolled: 1-line block ×4, first 2 shown]
	v_cndmask_b32_e64 v27, v25, v47, s9
	v_cndmask_b32_e64 v28, v26, v48, s9
	;; [unrolled: 1-line block ×4, first 2 shown]
	v_mov_b32_e32 v24, v22
	v_mov_b32_e32 v23, v21
	v_cmp_class_f64_e64 s0, v[27:28], 0x1f8
	v_cmp_neq_f64_e32 vcc_lo, v[27:28], v[25:26]
	s_or_b32 s0, vcc_lo, s0
	s_and_saveexec_b32 s6, s0
	s_cbranch_execz .LBB9_183
; %bb.182:
	v_add_f64 v[23:24], v[27:28], -v[25:26]
	s_mov_b32 s0, 0x652b82fe
	s_mov_b32 s1, 0x3ff71547
	;; [unrolled: 1-line block ×10, first 2 shown]
	v_mul_f64 v[27:28], v[23:24], s[0:1]
	s_mov_b32 s0, 0xfca7ab0c
	s_mov_b32 s1, 0x3e928af3
	v_cmp_nlt_f64_e32 vcc_lo, 0x40900000, v[23:24]
	v_rndne_f64_e32 v[27:28], v[27:28]
	v_fma_f64 v[63:64], v[27:28], s[2:3], v[23:24]
	v_cvt_i32_f64_e32 v67, v[27:28]
	s_mov_b32 s3, 0x3fe62e42
	v_fma_f64 v[63:64], v[27:28], s[4:5], v[63:64]
	s_mov_b32 s5, 0x3c7abc9e
	v_fma_f64 v[65:66], v[63:64], s[8:9], s[0:1]
	s_mov_b32 s0, 0x623fde64
	s_mov_b32 s1, 0x3ec71dee
	;; [unrolled: 1-line block ×4, first 2 shown]
	v_fma_f64 v[65:66], v[63:64], v[65:66], s[0:1]
	s_mov_b32 s0, 0x7c89e6b0
	s_mov_b32 s1, 0x3efa0199
	v_fma_f64 v[65:66], v[63:64], v[65:66], s[0:1]
	s_mov_b32 s0, 0x14761f6e
	s_mov_b32 s1, 0x3f2a01a0
	;; [unrolled: 3-line block ×7, first 2 shown]
	v_fma_f64 v[65:66], v[63:64], v[65:66], s[0:1]
	v_cmp_ngt_f64_e64 s0, 0xc090cc00, v[23:24]
	s_mov_b32 s1, 0x3fe55555
	v_fma_f64 v[65:66], v[63:64], v[65:66], 1.0
	v_fma_f64 v[27:28], v[63:64], v[65:66], 1.0
	v_ldexp_f64 v[27:28], v[27:28], v67
	v_cndmask_b32_e32 v28, 0x7ff00000, v28, vcc_lo
	s_and_b32 vcc_lo, s0, vcc_lo
	v_cndmask_b32_e32 v23, 0, v27, vcc_lo
	v_cndmask_b32_e64 v24, 0, v28, s0
	s_mov_b32 s0, 0x55555555
	v_add_f64 v[27:28], v[23:24], 1.0
	v_frexp_mant_f64_e32 v[63:64], v[27:28]
	v_frexp_exp_i32_f64_e32 v67, v[27:28]
	v_add_f64 v[65:66], v[27:28], -1.0
	v_cmp_gt_f64_e32 vcc_lo, s[0:1], v[63:64]
	s_mov_b32 s0, 0x55555780
	v_add_f64 v[63:64], v[65:66], -v[27:28]
	v_add_f64 v[65:66], v[23:24], -v[65:66]
	v_subrev_co_ci_u32_e64 v85, null, 0, v67, vcc_lo
	v_add_f64 v[63:64], v[63:64], 1.0
	v_cmp_nge_f64_e32 vcc_lo, -1.0, v[23:24]
	v_sub_nc_u32_e32 v69, 0, v85
	v_ldexp_f64 v[27:28], v[27:28], v69
	v_add_f64 v[63:64], v[65:66], v[63:64]
	v_add_f64 v[67:68], v[27:28], 1.0
	v_add_f64 v[73:74], v[27:28], -1.0
	v_ldexp_f64 v[63:64], v[63:64], v69
	v_add_f64 v[65:66], v[67:68], -1.0
	v_add_f64 v[77:78], v[73:74], 1.0
	v_add_f64 v[65:66], v[27:28], -v[65:66]
	v_add_f64 v[27:28], v[27:28], -v[77:78]
	v_add_f64 v[65:66], v[63:64], v[65:66]
	v_add_f64 v[27:28], v[63:64], v[27:28]
	;; [unrolled: 1-line block ×4, first 2 shown]
	v_rcp_f64_e32 v[71:72], v[69:70]
	v_add_f64 v[67:68], v[69:70], -v[67:68]
	v_add_f64 v[73:74], v[77:78], -v[73:74]
	;; [unrolled: 1-line block ×3, first 2 shown]
	v_fma_f64 v[79:80], -v[69:70], v[71:72], 1.0
	v_add_f64 v[27:28], v[27:28], -v[73:74]
	v_fma_f64 v[71:72], v[79:80], v[71:72], v[71:72]
	v_fma_f64 v[63:64], -v[69:70], v[71:72], 1.0
	v_fma_f64 v[63:64], v[63:64], v[71:72], v[71:72]
	v_mul_f64 v[71:72], v[77:78], v[63:64]
	v_mul_f64 v[79:80], v[69:70], v[71:72]
	v_fma_f64 v[67:68], v[71:72], v[69:70], -v[79:80]
	v_fma_f64 v[67:68], v[71:72], v[65:66], v[67:68]
	v_add_f64 v[81:82], v[79:80], v[67:68]
	v_add_f64 v[83:84], v[77:78], -v[81:82]
	v_add_f64 v[73:74], v[81:82], -v[79:80]
	;; [unrolled: 1-line block ×5, first 2 shown]
	v_add_f64 v[27:28], v[27:28], v[77:78]
	v_add_f64 v[27:28], v[67:68], v[27:28]
	;; [unrolled: 1-line block ×3, first 2 shown]
	v_mul_f64 v[73:74], v[63:64], v[67:68]
	v_add_f64 v[81:82], v[83:84], -v[67:68]
	v_mul_f64 v[77:78], v[69:70], v[73:74]
	v_add_f64 v[27:28], v[27:28], v[81:82]
	v_fma_f64 v[69:70], v[73:74], v[69:70], -v[77:78]
	v_fma_f64 v[65:66], v[73:74], v[65:66], v[69:70]
	v_add_f64 v[69:70], v[77:78], v[65:66]
	v_add_f64 v[79:80], v[67:68], -v[69:70]
	v_add_f64 v[77:78], v[69:70], -v[77:78]
	v_add_f64 v[67:68], v[67:68], -v[79:80]
	v_add_f64 v[65:66], v[77:78], -v[65:66]
	v_add_f64 v[67:68], v[67:68], -v[69:70]
	v_add_f64 v[27:28], v[27:28], v[67:68]
	v_add_f64 v[67:68], v[71:72], v[73:74]
	;; [unrolled: 1-line block ×3, first 2 shown]
	v_add_f64 v[65:66], v[67:68], -v[71:72]
	v_add_f64 v[27:28], v[79:80], v[27:28]
	v_add_f64 v[65:66], v[73:74], -v[65:66]
	v_mul_f64 v[27:28], v[63:64], v[27:28]
	v_add_f64 v[27:28], v[65:66], v[27:28]
	v_add_f64 v[63:64], v[67:68], v[27:28]
	v_mul_f64 v[65:66], v[63:64], v[63:64]
	v_fma_f64 v[69:70], v[65:66], s[14:15], s[8:9]
	s_mov_b32 s8, 0xd7f4df2e
	s_mov_b32 s9, 0x3fc7474d
	v_mul_f64 v[71:72], v[63:64], v[65:66]
	v_fma_f64 v[69:70], v[65:66], v[69:70], s[8:9]
	s_mov_b32 s8, 0x16291751
	s_mov_b32 s9, 0x3fcc71c0
	v_fma_f64 v[69:70], v[65:66], v[69:70], s[8:9]
	s_mov_b32 s8, 0x9b27acf1
	s_mov_b32 s9, 0x3fd24924
	;; [unrolled: 3-line block ×3, first 2 shown]
	v_fma_f64 v[69:70], v[65:66], v[69:70], s[8:9]
	v_fma_f64 v[65:66], v[65:66], v[69:70], s[0:1]
	v_ldexp_f64 v[69:70], v[63:64], 1
	v_add_f64 v[63:64], v[63:64], -v[67:68]
	v_cmp_neq_f64_e64 s0, 0x7ff00000, v[23:24]
	v_cmp_ngt_f64_e64 s1, -1.0, v[23:24]
	v_mul_f64 v[65:66], v[71:72], v[65:66]
	v_cvt_f64_i32_e32 v[71:72], v85
	v_add_f64 v[27:28], v[27:28], -v[63:64]
	s_and_b32 vcc_lo, vcc_lo, s0
	v_add_f64 v[67:68], v[69:70], v[65:66]
	v_mul_f64 v[73:74], v[71:72], s[2:3]
	v_ldexp_f64 v[27:28], v[27:28], 1
	v_add_f64 v[63:64], v[67:68], -v[69:70]
	v_fma_f64 v[69:70], v[71:72], s[2:3], -v[73:74]
	v_add_f64 v[63:64], v[65:66], -v[63:64]
	v_fma_f64 v[65:66], v[71:72], s[4:5], v[69:70]
	v_add_f64 v[27:28], v[27:28], v[63:64]
	v_add_f64 v[63:64], v[73:74], v[65:66]
	;; [unrolled: 1-line block ×3, first 2 shown]
	v_add_f64 v[73:74], v[63:64], -v[73:74]
	v_add_f64 v[71:72], v[63:64], v[69:70]
	v_add_f64 v[67:68], v[69:70], -v[67:68]
	v_add_f64 v[65:66], v[65:66], -v[73:74]
	;; [unrolled: 1-line block ×6, first 2 shown]
	v_add_f64 v[69:70], v[65:66], v[27:28]
	v_add_f64 v[63:64], v[63:64], -v[79:80]
	v_add_f64 v[63:64], v[67:68], v[63:64]
	v_add_f64 v[67:68], v[69:70], -v[65:66]
	;; [unrolled: 2-line block ×3, first 2 shown]
	v_add_f64 v[27:28], v[27:28], -v[67:68]
	v_add_f64 v[73:74], v[71:72], v[63:64]
	v_add_f64 v[65:66], v[65:66], -v[69:70]
	v_add_f64 v[67:68], v[73:74], -v[71:72]
	v_add_f64 v[27:28], v[27:28], v[65:66]
	v_add_f64 v[63:64], v[63:64], -v[67:68]
	v_add_f64 v[27:28], v[27:28], v[63:64]
	v_add_f64 v[27:28], v[73:74], v[27:28]
	v_cndmask_b32_e32 v27, 0, v27, vcc_lo
	v_cmp_neq_f64_e32 vcc_lo, -1.0, v[23:24]
	v_cndmask_b32_e64 v28, 0x7ff00000, v28, s0
	v_cndmask_b32_e64 v28, 0x7ff80000, v28, s1
	v_cndmask_b32_e32 v28, 0xfff00000, v28, vcc_lo
	v_add_f64 v[23:24], v[25:26], v[27:28]
.LBB9_183:
	s_or_b32 exec_lo, exec_lo, s6
	v_max_f64 v[25:26], v[23:24], v[23:24]
	v_cmp_u_f64_e32 vcc_lo, v[23:24], v[23:24]
	v_min_f64 v[27:28], v[25:26], v[29:30]
	v_max_f64 v[25:26], v[25:26], v[29:30]
	v_cndmask_b32_e32 v27, v27, v23, vcc_lo
	v_cndmask_b32_e32 v28, v28, v24, vcc_lo
	;; [unrolled: 1-line block ×4, first 2 shown]
	v_cndmask_b32_e64 v29, v27, v41, s10
	v_cndmask_b32_e64 v30, v28, v42, s10
	;; [unrolled: 1-line block ×4, first 2 shown]
	v_mov_b32_e32 v26, v24
	v_mov_b32_e32 v25, v23
	v_cmp_class_f64_e64 s0, v[29:30], 0x1f8
	v_cmp_neq_f64_e32 vcc_lo, v[29:30], v[27:28]
	s_or_b32 s0, vcc_lo, s0
	s_and_saveexec_b32 s6, s0
	s_cbranch_execz .LBB9_185
; %bb.184:
	v_add_f64 v[25:26], v[29:30], -v[27:28]
	s_mov_b32 s0, 0x652b82fe
	s_mov_b32 s1, 0x3ff71547
	;; [unrolled: 1-line block ×10, first 2 shown]
	v_mul_f64 v[29:30], v[25:26], s[0:1]
	s_mov_b32 s0, 0xfca7ab0c
	s_mov_b32 s1, 0x3e928af3
	v_cmp_nlt_f64_e32 vcc_lo, 0x40900000, v[25:26]
	v_rndne_f64_e32 v[29:30], v[29:30]
	v_fma_f64 v[63:64], v[29:30], s[2:3], v[25:26]
	v_cvt_i32_f64_e32 v67, v[29:30]
	s_mov_b32 s3, 0x3fe62e42
	v_fma_f64 v[63:64], v[29:30], s[4:5], v[63:64]
	s_mov_b32 s5, 0x3c7abc9e
	v_fma_f64 v[65:66], v[63:64], s[8:9], s[0:1]
	s_mov_b32 s0, 0x623fde64
	s_mov_b32 s1, 0x3ec71dee
	;; [unrolled: 1-line block ×4, first 2 shown]
	v_fma_f64 v[65:66], v[63:64], v[65:66], s[0:1]
	s_mov_b32 s0, 0x7c89e6b0
	s_mov_b32 s1, 0x3efa0199
	v_fma_f64 v[65:66], v[63:64], v[65:66], s[0:1]
	s_mov_b32 s0, 0x14761f6e
	s_mov_b32 s1, 0x3f2a01a0
	;; [unrolled: 3-line block ×7, first 2 shown]
	v_fma_f64 v[65:66], v[63:64], v[65:66], s[0:1]
	v_cmp_ngt_f64_e64 s0, 0xc090cc00, v[25:26]
	s_mov_b32 s1, 0x3fe55555
	v_fma_f64 v[65:66], v[63:64], v[65:66], 1.0
	v_fma_f64 v[29:30], v[63:64], v[65:66], 1.0
	v_ldexp_f64 v[29:30], v[29:30], v67
	v_cndmask_b32_e32 v30, 0x7ff00000, v30, vcc_lo
	s_and_b32 vcc_lo, s0, vcc_lo
	v_cndmask_b32_e32 v25, 0, v29, vcc_lo
	v_cndmask_b32_e64 v26, 0, v30, s0
	s_mov_b32 s0, 0x55555555
	v_add_f64 v[29:30], v[25:26], 1.0
	v_frexp_mant_f64_e32 v[63:64], v[29:30]
	v_frexp_exp_i32_f64_e32 v67, v[29:30]
	v_add_f64 v[65:66], v[29:30], -1.0
	v_cmp_gt_f64_e32 vcc_lo, s[0:1], v[63:64]
	s_mov_b32 s0, 0x55555780
	v_add_f64 v[63:64], v[65:66], -v[29:30]
	v_add_f64 v[65:66], v[25:26], -v[65:66]
	v_subrev_co_ci_u32_e64 v85, null, 0, v67, vcc_lo
	v_add_f64 v[63:64], v[63:64], 1.0
	v_cmp_nge_f64_e32 vcc_lo, -1.0, v[25:26]
	v_sub_nc_u32_e32 v69, 0, v85
	v_ldexp_f64 v[29:30], v[29:30], v69
	v_add_f64 v[63:64], v[65:66], v[63:64]
	v_add_f64 v[67:68], v[29:30], 1.0
	v_add_f64 v[73:74], v[29:30], -1.0
	v_ldexp_f64 v[63:64], v[63:64], v69
	v_add_f64 v[65:66], v[67:68], -1.0
	v_add_f64 v[77:78], v[73:74], 1.0
	v_add_f64 v[65:66], v[29:30], -v[65:66]
	v_add_f64 v[29:30], v[29:30], -v[77:78]
	v_add_f64 v[65:66], v[63:64], v[65:66]
	v_add_f64 v[29:30], v[63:64], v[29:30]
	;; [unrolled: 1-line block ×4, first 2 shown]
	v_rcp_f64_e32 v[71:72], v[69:70]
	v_add_f64 v[67:68], v[69:70], -v[67:68]
	v_add_f64 v[73:74], v[77:78], -v[73:74]
	;; [unrolled: 1-line block ×3, first 2 shown]
	v_fma_f64 v[79:80], -v[69:70], v[71:72], 1.0
	v_add_f64 v[29:30], v[29:30], -v[73:74]
	v_fma_f64 v[71:72], v[79:80], v[71:72], v[71:72]
	v_fma_f64 v[63:64], -v[69:70], v[71:72], 1.0
	v_fma_f64 v[63:64], v[63:64], v[71:72], v[71:72]
	v_mul_f64 v[71:72], v[77:78], v[63:64]
	v_mul_f64 v[79:80], v[69:70], v[71:72]
	v_fma_f64 v[67:68], v[71:72], v[69:70], -v[79:80]
	v_fma_f64 v[67:68], v[71:72], v[65:66], v[67:68]
	v_add_f64 v[81:82], v[79:80], v[67:68]
	v_add_f64 v[83:84], v[77:78], -v[81:82]
	v_add_f64 v[73:74], v[81:82], -v[79:80]
	;; [unrolled: 1-line block ×5, first 2 shown]
	v_add_f64 v[29:30], v[29:30], v[77:78]
	v_add_f64 v[29:30], v[67:68], v[29:30]
	;; [unrolled: 1-line block ×3, first 2 shown]
	v_mul_f64 v[73:74], v[63:64], v[67:68]
	v_add_f64 v[81:82], v[83:84], -v[67:68]
	v_mul_f64 v[77:78], v[69:70], v[73:74]
	v_add_f64 v[29:30], v[29:30], v[81:82]
	v_fma_f64 v[69:70], v[73:74], v[69:70], -v[77:78]
	v_fma_f64 v[65:66], v[73:74], v[65:66], v[69:70]
	v_add_f64 v[69:70], v[77:78], v[65:66]
	v_add_f64 v[79:80], v[67:68], -v[69:70]
	v_add_f64 v[77:78], v[69:70], -v[77:78]
	;; [unrolled: 1-line block ×5, first 2 shown]
	v_add_f64 v[29:30], v[29:30], v[67:68]
	v_add_f64 v[67:68], v[71:72], v[73:74]
	;; [unrolled: 1-line block ×3, first 2 shown]
	v_add_f64 v[65:66], v[67:68], -v[71:72]
	v_add_f64 v[29:30], v[79:80], v[29:30]
	v_add_f64 v[65:66], v[73:74], -v[65:66]
	v_mul_f64 v[29:30], v[63:64], v[29:30]
	v_add_f64 v[29:30], v[65:66], v[29:30]
	v_add_f64 v[63:64], v[67:68], v[29:30]
	v_mul_f64 v[65:66], v[63:64], v[63:64]
	v_fma_f64 v[69:70], v[65:66], s[14:15], s[8:9]
	s_mov_b32 s8, 0xd7f4df2e
	s_mov_b32 s9, 0x3fc7474d
	v_mul_f64 v[71:72], v[63:64], v[65:66]
	v_fma_f64 v[69:70], v[65:66], v[69:70], s[8:9]
	s_mov_b32 s8, 0x16291751
	s_mov_b32 s9, 0x3fcc71c0
	v_fma_f64 v[69:70], v[65:66], v[69:70], s[8:9]
	s_mov_b32 s8, 0x9b27acf1
	s_mov_b32 s9, 0x3fd24924
	;; [unrolled: 3-line block ×3, first 2 shown]
	v_fma_f64 v[69:70], v[65:66], v[69:70], s[8:9]
	v_fma_f64 v[65:66], v[65:66], v[69:70], s[0:1]
	v_ldexp_f64 v[69:70], v[63:64], 1
	v_add_f64 v[63:64], v[63:64], -v[67:68]
	v_cmp_neq_f64_e64 s0, 0x7ff00000, v[25:26]
	v_cmp_ngt_f64_e64 s1, -1.0, v[25:26]
	v_mul_f64 v[65:66], v[71:72], v[65:66]
	v_cvt_f64_i32_e32 v[71:72], v85
	v_add_f64 v[29:30], v[29:30], -v[63:64]
	s_and_b32 vcc_lo, vcc_lo, s0
	v_add_f64 v[67:68], v[69:70], v[65:66]
	v_mul_f64 v[73:74], v[71:72], s[2:3]
	v_ldexp_f64 v[29:30], v[29:30], 1
	v_add_f64 v[63:64], v[67:68], -v[69:70]
	v_fma_f64 v[69:70], v[71:72], s[2:3], -v[73:74]
	v_add_f64 v[63:64], v[65:66], -v[63:64]
	v_fma_f64 v[65:66], v[71:72], s[4:5], v[69:70]
	v_add_f64 v[29:30], v[29:30], v[63:64]
	v_add_f64 v[63:64], v[73:74], v[65:66]
	v_add_f64 v[69:70], v[67:68], v[29:30]
	v_add_f64 v[73:74], v[63:64], -v[73:74]
	v_add_f64 v[71:72], v[63:64], v[69:70]
	v_add_f64 v[67:68], v[69:70], -v[67:68]
	v_add_f64 v[65:66], v[65:66], -v[73:74]
	;; [unrolled: 1-line block ×6, first 2 shown]
	v_add_f64 v[69:70], v[65:66], v[29:30]
	v_add_f64 v[63:64], v[63:64], -v[79:80]
	v_add_f64 v[63:64], v[67:68], v[63:64]
	v_add_f64 v[67:68], v[69:70], -v[65:66]
	;; [unrolled: 2-line block ×3, first 2 shown]
	v_add_f64 v[29:30], v[29:30], -v[67:68]
	v_add_f64 v[73:74], v[71:72], v[63:64]
	v_add_f64 v[65:66], v[65:66], -v[69:70]
	v_add_f64 v[67:68], v[73:74], -v[71:72]
	v_add_f64 v[29:30], v[29:30], v[65:66]
	v_add_f64 v[63:64], v[63:64], -v[67:68]
	v_add_f64 v[29:30], v[29:30], v[63:64]
	v_add_f64 v[29:30], v[73:74], v[29:30]
	v_cndmask_b32_e32 v29, 0, v29, vcc_lo
	v_cmp_neq_f64_e32 vcc_lo, -1.0, v[25:26]
	v_cndmask_b32_e64 v30, 0x7ff00000, v30, s0
	v_cndmask_b32_e64 v30, 0x7ff80000, v30, s1
	v_cndmask_b32_e32 v30, 0xfff00000, v30, vcc_lo
	v_add_f64 v[25:26], v[27:28], v[29:30]
.LBB9_185:
	s_or_b32 exec_lo, exec_lo, s6
	v_max_f64 v[27:28], v[25:26], v[25:26]
	v_cmp_u_f64_e32 vcc_lo, v[25:26], v[25:26]
	v_min_f64 v[29:30], v[27:28], v[31:32]
	v_max_f64 v[27:28], v[27:28], v[31:32]
	v_cndmask_b32_e32 v29, v29, v25, vcc_lo
	v_cndmask_b32_e32 v30, v30, v26, vcc_lo
	;; [unrolled: 1-line block ×4, first 2 shown]
	v_cndmask_b32_e64 v31, v29, v43, s11
	v_cndmask_b32_e64 v32, v30, v44, s11
	;; [unrolled: 1-line block ×4, first 2 shown]
	v_mov_b32_e32 v28, v26
	v_mov_b32_e32 v27, v25
	v_cmp_class_f64_e64 s0, v[31:32], 0x1f8
	v_cmp_neq_f64_e32 vcc_lo, v[31:32], v[29:30]
	s_or_b32 s0, vcc_lo, s0
	s_and_saveexec_b32 s6, s0
	s_cbranch_execz .LBB9_187
; %bb.186:
	v_add_f64 v[27:28], v[31:32], -v[29:30]
	s_mov_b32 s0, 0x652b82fe
	s_mov_b32 s1, 0x3ff71547
	;; [unrolled: 1-line block ×10, first 2 shown]
	v_mul_f64 v[31:32], v[27:28], s[0:1]
	s_mov_b32 s0, 0xfca7ab0c
	s_mov_b32 s1, 0x3e928af3
	v_cmp_nlt_f64_e32 vcc_lo, 0x40900000, v[27:28]
	v_rndne_f64_e32 v[31:32], v[31:32]
	v_fma_f64 v[63:64], v[31:32], s[2:3], v[27:28]
	v_cvt_i32_f64_e32 v67, v[31:32]
	s_mov_b32 s3, 0x3fe62e42
	v_fma_f64 v[63:64], v[31:32], s[4:5], v[63:64]
	s_mov_b32 s5, 0x3c7abc9e
	v_fma_f64 v[65:66], v[63:64], s[8:9], s[0:1]
	s_mov_b32 s0, 0x623fde64
	s_mov_b32 s1, 0x3ec71dee
	;; [unrolled: 1-line block ×4, first 2 shown]
	v_fma_f64 v[65:66], v[63:64], v[65:66], s[0:1]
	s_mov_b32 s0, 0x7c89e6b0
	s_mov_b32 s1, 0x3efa0199
	v_fma_f64 v[65:66], v[63:64], v[65:66], s[0:1]
	s_mov_b32 s0, 0x14761f6e
	s_mov_b32 s1, 0x3f2a01a0
	;; [unrolled: 3-line block ×7, first 2 shown]
	v_fma_f64 v[65:66], v[63:64], v[65:66], s[0:1]
	v_cmp_ngt_f64_e64 s0, 0xc090cc00, v[27:28]
	s_mov_b32 s1, 0x3fe55555
	v_fma_f64 v[65:66], v[63:64], v[65:66], 1.0
	v_fma_f64 v[31:32], v[63:64], v[65:66], 1.0
	v_ldexp_f64 v[31:32], v[31:32], v67
	v_cndmask_b32_e32 v32, 0x7ff00000, v32, vcc_lo
	s_and_b32 vcc_lo, s0, vcc_lo
	v_cndmask_b32_e32 v27, 0, v31, vcc_lo
	v_cndmask_b32_e64 v28, 0, v32, s0
	s_mov_b32 s0, 0x55555555
	v_add_f64 v[31:32], v[27:28], 1.0
	v_frexp_mant_f64_e32 v[63:64], v[31:32]
	v_frexp_exp_i32_f64_e32 v67, v[31:32]
	v_add_f64 v[65:66], v[31:32], -1.0
	v_cmp_gt_f64_e32 vcc_lo, s[0:1], v[63:64]
	s_mov_b32 s0, 0x55555780
	v_add_f64 v[63:64], v[65:66], -v[31:32]
	v_add_f64 v[65:66], v[27:28], -v[65:66]
	v_subrev_co_ci_u32_e64 v85, null, 0, v67, vcc_lo
	v_add_f64 v[63:64], v[63:64], 1.0
	v_cmp_nge_f64_e32 vcc_lo, -1.0, v[27:28]
	v_sub_nc_u32_e32 v69, 0, v85
	v_ldexp_f64 v[31:32], v[31:32], v69
	v_add_f64 v[63:64], v[65:66], v[63:64]
	v_add_f64 v[67:68], v[31:32], 1.0
	v_add_f64 v[73:74], v[31:32], -1.0
	v_ldexp_f64 v[63:64], v[63:64], v69
	v_add_f64 v[65:66], v[67:68], -1.0
	v_add_f64 v[77:78], v[73:74], 1.0
	v_add_f64 v[65:66], v[31:32], -v[65:66]
	v_add_f64 v[31:32], v[31:32], -v[77:78]
	v_add_f64 v[65:66], v[63:64], v[65:66]
	v_add_f64 v[31:32], v[63:64], v[31:32]
	;; [unrolled: 1-line block ×4, first 2 shown]
	v_rcp_f64_e32 v[71:72], v[69:70]
	v_add_f64 v[67:68], v[69:70], -v[67:68]
	v_add_f64 v[73:74], v[77:78], -v[73:74]
	;; [unrolled: 1-line block ×3, first 2 shown]
	v_fma_f64 v[79:80], -v[69:70], v[71:72], 1.0
	v_add_f64 v[31:32], v[31:32], -v[73:74]
	v_fma_f64 v[71:72], v[79:80], v[71:72], v[71:72]
	v_fma_f64 v[63:64], -v[69:70], v[71:72], 1.0
	v_fma_f64 v[63:64], v[63:64], v[71:72], v[71:72]
	v_mul_f64 v[71:72], v[77:78], v[63:64]
	v_mul_f64 v[79:80], v[69:70], v[71:72]
	v_fma_f64 v[67:68], v[71:72], v[69:70], -v[79:80]
	v_fma_f64 v[67:68], v[71:72], v[65:66], v[67:68]
	v_add_f64 v[81:82], v[79:80], v[67:68]
	v_add_f64 v[83:84], v[77:78], -v[81:82]
	v_add_f64 v[73:74], v[81:82], -v[79:80]
	;; [unrolled: 1-line block ×5, first 2 shown]
	v_add_f64 v[31:32], v[31:32], v[77:78]
	v_add_f64 v[31:32], v[67:68], v[31:32]
	;; [unrolled: 1-line block ×3, first 2 shown]
	v_mul_f64 v[73:74], v[63:64], v[67:68]
	v_add_f64 v[81:82], v[83:84], -v[67:68]
	v_mul_f64 v[77:78], v[69:70], v[73:74]
	v_add_f64 v[31:32], v[31:32], v[81:82]
	v_fma_f64 v[69:70], v[73:74], v[69:70], -v[77:78]
	v_fma_f64 v[65:66], v[73:74], v[65:66], v[69:70]
	v_add_f64 v[69:70], v[77:78], v[65:66]
	v_add_f64 v[79:80], v[67:68], -v[69:70]
	v_add_f64 v[77:78], v[69:70], -v[77:78]
	;; [unrolled: 1-line block ×5, first 2 shown]
	v_add_f64 v[31:32], v[31:32], v[67:68]
	v_add_f64 v[67:68], v[71:72], v[73:74]
	;; [unrolled: 1-line block ×3, first 2 shown]
	v_add_f64 v[65:66], v[67:68], -v[71:72]
	v_add_f64 v[31:32], v[79:80], v[31:32]
	v_add_f64 v[65:66], v[73:74], -v[65:66]
	v_mul_f64 v[31:32], v[63:64], v[31:32]
	v_add_f64 v[31:32], v[65:66], v[31:32]
	v_add_f64 v[63:64], v[67:68], v[31:32]
	v_mul_f64 v[65:66], v[63:64], v[63:64]
	v_fma_f64 v[69:70], v[65:66], s[10:11], s[8:9]
	s_mov_b32 s8, 0xd7f4df2e
	s_mov_b32 s9, 0x3fc7474d
	v_mul_f64 v[71:72], v[63:64], v[65:66]
	v_fma_f64 v[69:70], v[65:66], v[69:70], s[8:9]
	s_mov_b32 s8, 0x16291751
	s_mov_b32 s9, 0x3fcc71c0
	v_fma_f64 v[69:70], v[65:66], v[69:70], s[8:9]
	s_mov_b32 s8, 0x9b27acf1
	s_mov_b32 s9, 0x3fd24924
	;; [unrolled: 3-line block ×3, first 2 shown]
	v_fma_f64 v[69:70], v[65:66], v[69:70], s[8:9]
	v_fma_f64 v[65:66], v[65:66], v[69:70], s[0:1]
	v_ldexp_f64 v[69:70], v[63:64], 1
	v_add_f64 v[63:64], v[63:64], -v[67:68]
	v_cmp_neq_f64_e64 s0, 0x7ff00000, v[27:28]
	v_cmp_ngt_f64_e64 s1, -1.0, v[27:28]
	v_mul_f64 v[65:66], v[71:72], v[65:66]
	v_cvt_f64_i32_e32 v[71:72], v85
	v_add_f64 v[31:32], v[31:32], -v[63:64]
	s_and_b32 vcc_lo, vcc_lo, s0
	v_add_f64 v[67:68], v[69:70], v[65:66]
	v_mul_f64 v[73:74], v[71:72], s[2:3]
	v_ldexp_f64 v[31:32], v[31:32], 1
	v_add_f64 v[63:64], v[67:68], -v[69:70]
	v_fma_f64 v[69:70], v[71:72], s[2:3], -v[73:74]
	v_add_f64 v[63:64], v[65:66], -v[63:64]
	v_fma_f64 v[65:66], v[71:72], s[4:5], v[69:70]
	v_add_f64 v[31:32], v[31:32], v[63:64]
	v_add_f64 v[63:64], v[73:74], v[65:66]
	;; [unrolled: 1-line block ×3, first 2 shown]
	v_add_f64 v[73:74], v[63:64], -v[73:74]
	v_add_f64 v[71:72], v[63:64], v[69:70]
	v_add_f64 v[67:68], v[69:70], -v[67:68]
	v_add_f64 v[65:66], v[65:66], -v[73:74]
	;; [unrolled: 1-line block ×6, first 2 shown]
	v_add_f64 v[69:70], v[65:66], v[31:32]
	v_add_f64 v[63:64], v[63:64], -v[79:80]
	v_add_f64 v[63:64], v[67:68], v[63:64]
	v_add_f64 v[67:68], v[69:70], -v[65:66]
	;; [unrolled: 2-line block ×3, first 2 shown]
	v_add_f64 v[31:32], v[31:32], -v[67:68]
	v_add_f64 v[73:74], v[71:72], v[63:64]
	v_add_f64 v[65:66], v[65:66], -v[69:70]
	v_add_f64 v[67:68], v[73:74], -v[71:72]
	v_add_f64 v[31:32], v[31:32], v[65:66]
	v_add_f64 v[63:64], v[63:64], -v[67:68]
	v_add_f64 v[31:32], v[31:32], v[63:64]
	v_add_f64 v[31:32], v[73:74], v[31:32]
	v_cndmask_b32_e32 v31, 0, v31, vcc_lo
	v_cmp_neq_f64_e32 vcc_lo, -1.0, v[27:28]
	v_cndmask_b32_e64 v32, 0x7ff00000, v32, s0
	v_cndmask_b32_e64 v32, 0x7ff80000, v32, s1
	v_cndmask_b32_e32 v32, 0xfff00000, v32, vcc_lo
	v_add_f64 v[27:28], v[29:30], v[31:32]
.LBB9_187:
	s_or_b32 exec_lo, exec_lo, s6
	v_max_f64 v[29:30], v[27:28], v[27:28]
	v_cmp_u_f64_e32 vcc_lo, v[27:28], v[27:28]
	v_min_f64 v[31:32], v[29:30], v[33:34]
	v_max_f64 v[29:30], v[29:30], v[33:34]
	v_cndmask_b32_e32 v31, v31, v27, vcc_lo
	v_cndmask_b32_e32 v32, v32, v28, vcc_lo
	;; [unrolled: 1-line block ×4, first 2 shown]
	v_cndmask_b32_e64 v33, v31, v37, s12
	v_cndmask_b32_e64 v34, v32, v38, s12
	;; [unrolled: 1-line block ×4, first 2 shown]
	v_mov_b32_e32 v30, v28
	v_mov_b32_e32 v29, v27
	v_cmp_class_f64_e64 s0, v[33:34], 0x1f8
	v_cmp_neq_f64_e32 vcc_lo, v[33:34], v[31:32]
	s_or_b32 s0, vcc_lo, s0
	s_and_saveexec_b32 s6, s0
	s_cbranch_execz .LBB9_189
; %bb.188:
	v_add_f64 v[29:30], v[33:34], -v[31:32]
	s_mov_b32 s0, 0x652b82fe
	s_mov_b32 s1, 0x3ff71547
	;; [unrolled: 1-line block ×10, first 2 shown]
	v_mul_f64 v[33:34], v[29:30], s[0:1]
	s_mov_b32 s0, 0xfca7ab0c
	s_mov_b32 s1, 0x3e928af3
	v_cmp_nlt_f64_e32 vcc_lo, 0x40900000, v[29:30]
	v_rndne_f64_e32 v[33:34], v[33:34]
	v_fma_f64 v[63:64], v[33:34], s[2:3], v[29:30]
	v_cvt_i32_f64_e32 v67, v[33:34]
	s_mov_b32 s3, 0x3fe62e42
	v_fma_f64 v[63:64], v[33:34], s[4:5], v[63:64]
	s_mov_b32 s5, 0x3c7abc9e
	v_fma_f64 v[65:66], v[63:64], s[8:9], s[0:1]
	s_mov_b32 s0, 0x623fde64
	s_mov_b32 s1, 0x3ec71dee
	;; [unrolled: 1-line block ×4, first 2 shown]
	v_fma_f64 v[65:66], v[63:64], v[65:66], s[0:1]
	s_mov_b32 s0, 0x7c89e6b0
	s_mov_b32 s1, 0x3efa0199
	v_fma_f64 v[65:66], v[63:64], v[65:66], s[0:1]
	s_mov_b32 s0, 0x14761f6e
	s_mov_b32 s1, 0x3f2a01a0
	;; [unrolled: 3-line block ×7, first 2 shown]
	v_fma_f64 v[65:66], v[63:64], v[65:66], s[0:1]
	v_cmp_ngt_f64_e64 s0, 0xc090cc00, v[29:30]
	s_mov_b32 s1, 0x3fe55555
	v_fma_f64 v[65:66], v[63:64], v[65:66], 1.0
	v_fma_f64 v[33:34], v[63:64], v[65:66], 1.0
	v_ldexp_f64 v[33:34], v[33:34], v67
	v_cndmask_b32_e32 v34, 0x7ff00000, v34, vcc_lo
	s_and_b32 vcc_lo, s0, vcc_lo
	v_cndmask_b32_e32 v29, 0, v33, vcc_lo
	v_cndmask_b32_e64 v30, 0, v34, s0
	s_mov_b32 s0, 0x55555555
	v_add_f64 v[33:34], v[29:30], 1.0
	v_frexp_mant_f64_e32 v[63:64], v[33:34]
	v_frexp_exp_i32_f64_e32 v67, v[33:34]
	v_add_f64 v[65:66], v[33:34], -1.0
	v_cmp_gt_f64_e32 vcc_lo, s[0:1], v[63:64]
	s_mov_b32 s0, 0x55555780
	v_add_f64 v[63:64], v[65:66], -v[33:34]
	v_add_f64 v[65:66], v[29:30], -v[65:66]
	v_subrev_co_ci_u32_e64 v85, null, 0, v67, vcc_lo
	v_add_f64 v[63:64], v[63:64], 1.0
	v_cmp_nge_f64_e32 vcc_lo, -1.0, v[29:30]
	v_sub_nc_u32_e32 v69, 0, v85
	v_ldexp_f64 v[33:34], v[33:34], v69
	v_add_f64 v[63:64], v[65:66], v[63:64]
	v_add_f64 v[67:68], v[33:34], 1.0
	v_add_f64 v[73:74], v[33:34], -1.0
	v_ldexp_f64 v[63:64], v[63:64], v69
	v_add_f64 v[65:66], v[67:68], -1.0
	v_add_f64 v[77:78], v[73:74], 1.0
	v_add_f64 v[65:66], v[33:34], -v[65:66]
	v_add_f64 v[33:34], v[33:34], -v[77:78]
	v_add_f64 v[65:66], v[63:64], v[65:66]
	v_add_f64 v[33:34], v[63:64], v[33:34]
	;; [unrolled: 1-line block ×4, first 2 shown]
	v_rcp_f64_e32 v[71:72], v[69:70]
	v_add_f64 v[67:68], v[69:70], -v[67:68]
	v_add_f64 v[73:74], v[77:78], -v[73:74]
	;; [unrolled: 1-line block ×3, first 2 shown]
	v_fma_f64 v[79:80], -v[69:70], v[71:72], 1.0
	v_add_f64 v[33:34], v[33:34], -v[73:74]
	v_fma_f64 v[71:72], v[79:80], v[71:72], v[71:72]
	v_fma_f64 v[63:64], -v[69:70], v[71:72], 1.0
	v_fma_f64 v[63:64], v[63:64], v[71:72], v[71:72]
	v_mul_f64 v[71:72], v[77:78], v[63:64]
	v_mul_f64 v[79:80], v[69:70], v[71:72]
	v_fma_f64 v[67:68], v[71:72], v[69:70], -v[79:80]
	v_fma_f64 v[67:68], v[71:72], v[65:66], v[67:68]
	v_add_f64 v[81:82], v[79:80], v[67:68]
	v_add_f64 v[83:84], v[77:78], -v[81:82]
	v_add_f64 v[73:74], v[81:82], -v[79:80]
	;; [unrolled: 1-line block ×5, first 2 shown]
	v_add_f64 v[33:34], v[33:34], v[77:78]
	v_add_f64 v[33:34], v[67:68], v[33:34]
	;; [unrolled: 1-line block ×3, first 2 shown]
	v_mul_f64 v[73:74], v[63:64], v[67:68]
	v_add_f64 v[81:82], v[83:84], -v[67:68]
	v_mul_f64 v[77:78], v[69:70], v[73:74]
	v_add_f64 v[33:34], v[33:34], v[81:82]
	v_fma_f64 v[69:70], v[73:74], v[69:70], -v[77:78]
	v_fma_f64 v[65:66], v[73:74], v[65:66], v[69:70]
	v_add_f64 v[69:70], v[77:78], v[65:66]
	v_add_f64 v[79:80], v[67:68], -v[69:70]
	v_add_f64 v[77:78], v[69:70], -v[77:78]
	;; [unrolled: 1-line block ×5, first 2 shown]
	v_add_f64 v[33:34], v[33:34], v[67:68]
	v_add_f64 v[67:68], v[71:72], v[73:74]
	;; [unrolled: 1-line block ×3, first 2 shown]
	v_add_f64 v[65:66], v[67:68], -v[71:72]
	v_add_f64 v[33:34], v[79:80], v[33:34]
	v_add_f64 v[65:66], v[73:74], -v[65:66]
	v_mul_f64 v[33:34], v[63:64], v[33:34]
	v_add_f64 v[33:34], v[65:66], v[33:34]
	v_add_f64 v[63:64], v[67:68], v[33:34]
	v_mul_f64 v[65:66], v[63:64], v[63:64]
	v_fma_f64 v[69:70], v[65:66], s[10:11], s[8:9]
	s_mov_b32 s8, 0xd7f4df2e
	s_mov_b32 s9, 0x3fc7474d
	v_mul_f64 v[71:72], v[63:64], v[65:66]
	v_fma_f64 v[69:70], v[65:66], v[69:70], s[8:9]
	s_mov_b32 s8, 0x16291751
	s_mov_b32 s9, 0x3fcc71c0
	v_fma_f64 v[69:70], v[65:66], v[69:70], s[8:9]
	s_mov_b32 s8, 0x9b27acf1
	s_mov_b32 s9, 0x3fd24924
	v_fma_f64 v[69:70], v[65:66], v[69:70], s[8:9]
	s_mov_b32 s8, 0x998ef7b6
	s_mov_b32 s9, 0x3fd99999
	v_fma_f64 v[69:70], v[65:66], v[69:70], s[8:9]
	v_fma_f64 v[65:66], v[65:66], v[69:70], s[0:1]
	v_ldexp_f64 v[69:70], v[63:64], 1
	v_add_f64 v[63:64], v[63:64], -v[67:68]
	v_cmp_neq_f64_e64 s0, 0x7ff00000, v[29:30]
	v_cmp_ngt_f64_e64 s1, -1.0, v[29:30]
	v_mul_f64 v[65:66], v[71:72], v[65:66]
	v_cvt_f64_i32_e32 v[71:72], v85
	v_add_f64 v[33:34], v[33:34], -v[63:64]
	s_and_b32 vcc_lo, vcc_lo, s0
	v_add_f64 v[67:68], v[69:70], v[65:66]
	v_mul_f64 v[73:74], v[71:72], s[2:3]
	v_ldexp_f64 v[33:34], v[33:34], 1
	v_add_f64 v[63:64], v[67:68], -v[69:70]
	v_fma_f64 v[69:70], v[71:72], s[2:3], -v[73:74]
	v_add_f64 v[63:64], v[65:66], -v[63:64]
	v_fma_f64 v[65:66], v[71:72], s[4:5], v[69:70]
	v_add_f64 v[33:34], v[33:34], v[63:64]
	v_add_f64 v[63:64], v[73:74], v[65:66]
	;; [unrolled: 1-line block ×3, first 2 shown]
	v_add_f64 v[73:74], v[63:64], -v[73:74]
	v_add_f64 v[71:72], v[63:64], v[69:70]
	v_add_f64 v[67:68], v[69:70], -v[67:68]
	v_add_f64 v[65:66], v[65:66], -v[73:74]
	;; [unrolled: 1-line block ×6, first 2 shown]
	v_add_f64 v[69:70], v[65:66], v[33:34]
	v_add_f64 v[63:64], v[63:64], -v[79:80]
	v_add_f64 v[63:64], v[67:68], v[63:64]
	v_add_f64 v[67:68], v[69:70], -v[65:66]
	;; [unrolled: 2-line block ×3, first 2 shown]
	v_add_f64 v[33:34], v[33:34], -v[67:68]
	v_add_f64 v[73:74], v[71:72], v[63:64]
	v_add_f64 v[65:66], v[65:66], -v[69:70]
	v_add_f64 v[67:68], v[73:74], -v[71:72]
	v_add_f64 v[33:34], v[33:34], v[65:66]
	v_add_f64 v[63:64], v[63:64], -v[67:68]
	v_add_f64 v[33:34], v[33:34], v[63:64]
	v_add_f64 v[33:34], v[73:74], v[33:34]
	v_cndmask_b32_e32 v33, 0, v33, vcc_lo
	v_cmp_neq_f64_e32 vcc_lo, -1.0, v[29:30]
	v_cndmask_b32_e64 v34, 0x7ff00000, v34, s0
	v_cndmask_b32_e64 v34, 0x7ff80000, v34, s1
	v_cndmask_b32_e32 v34, 0xfff00000, v34, vcc_lo
	v_add_f64 v[29:30], v[31:32], v[33:34]
.LBB9_189:
	s_or_b32 exec_lo, exec_lo, s6
	v_max_f64 v[31:32], v[29:30], v[29:30]
	v_cmp_u_f64_e32 vcc_lo, v[29:30], v[29:30]
	v_min_f64 v[33:34], v[31:32], v[35:36]
	v_max_f64 v[31:32], v[31:32], v[35:36]
	v_cndmask_b32_e32 v33, v33, v29, vcc_lo
	v_cndmask_b32_e32 v34, v34, v30, vcc_lo
	;; [unrolled: 1-line block ×4, first 2 shown]
	v_cndmask_b32_e64 v35, v33, v39, s13
	v_cndmask_b32_e64 v36, v34, v40, s13
	v_cndmask_b32_e64 v34, v32, v40, s13
	v_cndmask_b32_e64 v33, v31, v39, s13
	v_mov_b32_e32 v32, v30
	v_mov_b32_e32 v31, v29
	v_cmp_class_f64_e64 s0, v[35:36], 0x1f8
	v_cmp_neq_f64_e32 vcc_lo, v[35:36], v[33:34]
	s_or_b32 s0, vcc_lo, s0
	s_and_saveexec_b32 s6, s0
	s_cbranch_execz .LBB9_191
; %bb.190:
	v_add_f64 v[31:32], v[35:36], -v[33:34]
	s_mov_b32 s0, 0x652b82fe
	s_mov_b32 s1, 0x3ff71547
	;; [unrolled: 1-line block ×10, first 2 shown]
	v_mul_f64 v[35:36], v[31:32], s[0:1]
	s_mov_b32 s0, 0xfca7ab0c
	s_mov_b32 s1, 0x3e928af3
	v_cmp_nlt_f64_e32 vcc_lo, 0x40900000, v[31:32]
	v_rndne_f64_e32 v[35:36], v[35:36]
	v_fma_f64 v[63:64], v[35:36], s[2:3], v[31:32]
	v_cvt_i32_f64_e32 v67, v[35:36]
	s_mov_b32 s3, 0x3fe62e42
	v_fma_f64 v[63:64], v[35:36], s[4:5], v[63:64]
	s_mov_b32 s5, 0x3c7abc9e
	v_fma_f64 v[65:66], v[63:64], s[8:9], s[0:1]
	s_mov_b32 s0, 0x623fde64
	s_mov_b32 s1, 0x3ec71dee
	;; [unrolled: 1-line block ×4, first 2 shown]
	v_fma_f64 v[65:66], v[63:64], v[65:66], s[0:1]
	s_mov_b32 s0, 0x7c89e6b0
	s_mov_b32 s1, 0x3efa0199
	v_fma_f64 v[65:66], v[63:64], v[65:66], s[0:1]
	s_mov_b32 s0, 0x14761f6e
	s_mov_b32 s1, 0x3f2a01a0
	;; [unrolled: 3-line block ×7, first 2 shown]
	v_fma_f64 v[65:66], v[63:64], v[65:66], s[0:1]
	v_cmp_ngt_f64_e64 s0, 0xc090cc00, v[31:32]
	s_mov_b32 s1, 0x3fe55555
	v_fma_f64 v[65:66], v[63:64], v[65:66], 1.0
	v_fma_f64 v[35:36], v[63:64], v[65:66], 1.0
	v_ldexp_f64 v[35:36], v[35:36], v67
	v_cndmask_b32_e32 v36, 0x7ff00000, v36, vcc_lo
	s_and_b32 vcc_lo, s0, vcc_lo
	v_cndmask_b32_e32 v31, 0, v35, vcc_lo
	v_cndmask_b32_e64 v32, 0, v36, s0
	s_mov_b32 s0, 0x55555555
	v_add_f64 v[35:36], v[31:32], 1.0
	v_frexp_mant_f64_e32 v[63:64], v[35:36]
	v_frexp_exp_i32_f64_e32 v67, v[35:36]
	v_add_f64 v[65:66], v[35:36], -1.0
	v_cmp_gt_f64_e32 vcc_lo, s[0:1], v[63:64]
	s_mov_b32 s0, 0x55555780
	v_add_f64 v[63:64], v[65:66], -v[35:36]
	v_add_f64 v[65:66], v[31:32], -v[65:66]
	v_subrev_co_ci_u32_e64 v85, null, 0, v67, vcc_lo
	v_add_f64 v[63:64], v[63:64], 1.0
	v_cmp_nge_f64_e32 vcc_lo, -1.0, v[31:32]
	v_sub_nc_u32_e32 v69, 0, v85
	v_ldexp_f64 v[35:36], v[35:36], v69
	v_add_f64 v[63:64], v[65:66], v[63:64]
	v_add_f64 v[67:68], v[35:36], 1.0
	v_add_f64 v[73:74], v[35:36], -1.0
	v_ldexp_f64 v[63:64], v[63:64], v69
	v_add_f64 v[65:66], v[67:68], -1.0
	v_add_f64 v[77:78], v[73:74], 1.0
	v_add_f64 v[65:66], v[35:36], -v[65:66]
	v_add_f64 v[35:36], v[35:36], -v[77:78]
	v_add_f64 v[65:66], v[63:64], v[65:66]
	v_add_f64 v[35:36], v[63:64], v[35:36]
	;; [unrolled: 1-line block ×4, first 2 shown]
	v_rcp_f64_e32 v[71:72], v[69:70]
	v_add_f64 v[67:68], v[69:70], -v[67:68]
	v_add_f64 v[73:74], v[77:78], -v[73:74]
	;; [unrolled: 1-line block ×3, first 2 shown]
	v_fma_f64 v[79:80], -v[69:70], v[71:72], 1.0
	v_add_f64 v[35:36], v[35:36], -v[73:74]
	v_fma_f64 v[71:72], v[79:80], v[71:72], v[71:72]
	v_fma_f64 v[63:64], -v[69:70], v[71:72], 1.0
	v_fma_f64 v[63:64], v[63:64], v[71:72], v[71:72]
	v_mul_f64 v[71:72], v[77:78], v[63:64]
	v_mul_f64 v[79:80], v[69:70], v[71:72]
	v_fma_f64 v[67:68], v[71:72], v[69:70], -v[79:80]
	v_fma_f64 v[67:68], v[71:72], v[65:66], v[67:68]
	v_add_f64 v[81:82], v[79:80], v[67:68]
	v_add_f64 v[83:84], v[77:78], -v[81:82]
	v_add_f64 v[73:74], v[81:82], -v[79:80]
	;; [unrolled: 1-line block ×5, first 2 shown]
	v_add_f64 v[35:36], v[35:36], v[77:78]
	v_add_f64 v[35:36], v[67:68], v[35:36]
	;; [unrolled: 1-line block ×3, first 2 shown]
	v_mul_f64 v[73:74], v[63:64], v[67:68]
	v_add_f64 v[81:82], v[83:84], -v[67:68]
	v_mul_f64 v[77:78], v[69:70], v[73:74]
	v_add_f64 v[35:36], v[35:36], v[81:82]
	v_fma_f64 v[69:70], v[73:74], v[69:70], -v[77:78]
	v_fma_f64 v[65:66], v[73:74], v[65:66], v[69:70]
	v_add_f64 v[69:70], v[77:78], v[65:66]
	v_add_f64 v[79:80], v[67:68], -v[69:70]
	v_add_f64 v[77:78], v[69:70], -v[77:78]
	v_add_f64 v[67:68], v[67:68], -v[79:80]
	v_add_f64 v[65:66], v[77:78], -v[65:66]
	v_add_f64 v[67:68], v[67:68], -v[69:70]
	v_add_f64 v[35:36], v[35:36], v[67:68]
	v_add_f64 v[67:68], v[71:72], v[73:74]
	;; [unrolled: 1-line block ×3, first 2 shown]
	v_add_f64 v[65:66], v[67:68], -v[71:72]
	v_add_f64 v[35:36], v[79:80], v[35:36]
	v_add_f64 v[65:66], v[73:74], -v[65:66]
	v_mul_f64 v[35:36], v[63:64], v[35:36]
	v_add_f64 v[35:36], v[65:66], v[35:36]
	v_add_f64 v[63:64], v[67:68], v[35:36]
	v_mul_f64 v[65:66], v[63:64], v[63:64]
	v_fma_f64 v[69:70], v[65:66], s[10:11], s[8:9]
	s_mov_b32 s8, 0xd7f4df2e
	s_mov_b32 s9, 0x3fc7474d
	v_mul_f64 v[71:72], v[63:64], v[65:66]
	v_fma_f64 v[69:70], v[65:66], v[69:70], s[8:9]
	s_mov_b32 s8, 0x16291751
	s_mov_b32 s9, 0x3fcc71c0
	v_fma_f64 v[69:70], v[65:66], v[69:70], s[8:9]
	s_mov_b32 s8, 0x9b27acf1
	s_mov_b32 s9, 0x3fd24924
	;; [unrolled: 3-line block ×3, first 2 shown]
	v_fma_f64 v[69:70], v[65:66], v[69:70], s[8:9]
	v_fma_f64 v[65:66], v[65:66], v[69:70], s[0:1]
	v_ldexp_f64 v[69:70], v[63:64], 1
	v_add_f64 v[63:64], v[63:64], -v[67:68]
	v_cmp_neq_f64_e64 s0, 0x7ff00000, v[31:32]
	v_cmp_ngt_f64_e64 s1, -1.0, v[31:32]
	v_mul_f64 v[65:66], v[71:72], v[65:66]
	v_cvt_f64_i32_e32 v[71:72], v85
	v_add_f64 v[35:36], v[35:36], -v[63:64]
	s_and_b32 vcc_lo, vcc_lo, s0
	v_add_f64 v[67:68], v[69:70], v[65:66]
	v_mul_f64 v[73:74], v[71:72], s[2:3]
	v_ldexp_f64 v[35:36], v[35:36], 1
	v_add_f64 v[63:64], v[67:68], -v[69:70]
	v_fma_f64 v[69:70], v[71:72], s[2:3], -v[73:74]
	v_add_f64 v[63:64], v[65:66], -v[63:64]
	v_fma_f64 v[65:66], v[71:72], s[4:5], v[69:70]
	v_add_f64 v[35:36], v[35:36], v[63:64]
	v_add_f64 v[63:64], v[73:74], v[65:66]
	;; [unrolled: 1-line block ×3, first 2 shown]
	v_add_f64 v[73:74], v[63:64], -v[73:74]
	v_add_f64 v[71:72], v[63:64], v[69:70]
	v_add_f64 v[67:68], v[69:70], -v[67:68]
	v_add_f64 v[65:66], v[65:66], -v[73:74]
	;; [unrolled: 1-line block ×6, first 2 shown]
	v_add_f64 v[69:70], v[65:66], v[35:36]
	v_add_f64 v[63:64], v[63:64], -v[79:80]
	v_add_f64 v[63:64], v[67:68], v[63:64]
	v_add_f64 v[67:68], v[69:70], -v[65:66]
	;; [unrolled: 2-line block ×3, first 2 shown]
	v_add_f64 v[35:36], v[35:36], -v[67:68]
	v_add_f64 v[73:74], v[71:72], v[63:64]
	v_add_f64 v[65:66], v[65:66], -v[69:70]
	v_add_f64 v[67:68], v[73:74], -v[71:72]
	v_add_f64 v[35:36], v[35:36], v[65:66]
	v_add_f64 v[63:64], v[63:64], -v[67:68]
	v_add_f64 v[35:36], v[35:36], v[63:64]
	v_add_f64 v[35:36], v[73:74], v[35:36]
	v_cndmask_b32_e32 v35, 0, v35, vcc_lo
	v_cmp_neq_f64_e32 vcc_lo, -1.0, v[31:32]
	v_cndmask_b32_e64 v36, 0x7ff00000, v36, s0
	v_cndmask_b32_e64 v36, 0x7ff80000, v36, s1
	v_cndmask_b32_e32 v36, 0xfff00000, v36, vcc_lo
	v_add_f64 v[31:32], v[33:34], v[35:36]
.LBB9_191:
	s_or_b32 exec_lo, exec_lo, s6
	s_branch .LBB9_291
.LBB9_192:
	v_cmp_eq_u32_e64 s0, 0, v0
	s_cmp_lg_u64 s[28:29], 0
	v_cmp_ne_u32_e32 vcc_lo, 0, v0
	s_cselect_b32 s1, -1, 0
	s_and_b32 s0, s0, s1
	s_and_saveexec_b32 s6, s0
	s_cbranch_execz .LBB9_196
; %bb.193:
	v_mov_b32_e32 v5, 0
	v_max_f64 v[7:8], v[1:2], v[1:2]
	v_cmp_u_f64_e64 s1, v[1:2], v[1:2]
	global_load_dwordx2 v[5:6], v5, s[24:25]
	s_waitcnt vmcnt(0)
	v_max_f64 v[9:10], v[5:6], v[5:6]
	v_cmp_u_f64_e64 s0, v[5:6], v[5:6]
	v_min_f64 v[11:12], v[9:10], v[7:8]
	v_max_f64 v[7:8], v[9:10], v[7:8]
	v_cndmask_b32_e64 v9, v11, v5, s0
	v_cndmask_b32_e64 v10, v12, v6, s0
	;; [unrolled: 1-line block ×8, first 2 shown]
	v_cmp_class_f64_e64 s1, v[7:8], 0x1f8
	v_cmp_neq_f64_e64 s0, v[7:8], v[1:2]
	s_or_b32 s0, s0, s1
	s_and_saveexec_b32 s7, s0
	s_cbranch_execz .LBB9_195
; %bb.194:
	v_add_f64 v[5:6], v[7:8], -v[1:2]
	s_mov_b32 s0, 0x652b82fe
	s_mov_b32 s1, 0x3ff71547
	;; [unrolled: 1-line block ×10, first 2 shown]
	v_mul_f64 v[7:8], v[5:6], s[0:1]
	s_mov_b32 s0, 0xfca7ab0c
	s_mov_b32 s1, 0x3e928af3
	v_rndne_f64_e32 v[7:8], v[7:8]
	v_fma_f64 v[9:10], v[7:8], s[2:3], v[5:6]
	v_cvt_i32_f64_e32 v13, v[7:8]
	s_mov_b32 s3, 0x3fe62e42
	v_fma_f64 v[9:10], v[7:8], s[4:5], v[9:10]
	s_mov_b32 s5, 0x3c7abc9e
	v_fma_f64 v[11:12], v[9:10], s[8:9], s[0:1]
	s_mov_b32 s0, 0x623fde64
	s_mov_b32 s1, 0x3ec71dee
	;; [unrolled: 1-line block ×4, first 2 shown]
	v_fma_f64 v[11:12], v[9:10], v[11:12], s[0:1]
	s_mov_b32 s0, 0x7c89e6b0
	s_mov_b32 s1, 0x3efa0199
	v_fma_f64 v[11:12], v[9:10], v[11:12], s[0:1]
	s_mov_b32 s0, 0x14761f6e
	s_mov_b32 s1, 0x3f2a01a0
	;; [unrolled: 3-line block ×7, first 2 shown]
	v_fma_f64 v[11:12], v[9:10], v[11:12], s[0:1]
	v_cmp_nlt_f64_e64 s0, 0x40900000, v[5:6]
	v_cmp_ngt_f64_e64 s1, 0xc090cc00, v[5:6]
	v_fma_f64 v[11:12], v[9:10], v[11:12], 1.0
	v_fma_f64 v[7:8], v[9:10], v[11:12], 1.0
	v_ldexp_f64 v[7:8], v[7:8], v13
	v_cndmask_b32_e64 v8, 0x7ff00000, v8, s0
	s_and_b32 s0, s1, s0
	v_cndmask_b32_e64 v5, 0, v7, s0
	s_mov_b32 s0, 0x55555555
	v_cndmask_b32_e64 v6, 0, v8, s1
	s_mov_b32 s1, 0x3fe55555
	v_add_f64 v[7:8], v[5:6], 1.0
	v_frexp_mant_f64_e32 v[9:10], v[7:8]
	v_frexp_exp_i32_f64_e32 v13, v[7:8]
	v_add_f64 v[11:12], v[7:8], -1.0
	v_cmp_gt_f64_e64 s0, s[0:1], v[9:10]
	v_add_f64 v[9:10], v[11:12], -v[7:8]
	v_add_f64 v[11:12], v[5:6], -v[11:12]
	v_subrev_co_ci_u32_e64 v29, null, 0, v13, s0
	v_add_f64 v[9:10], v[9:10], 1.0
	s_mov_b32 s0, 0x55555780
	v_sub_nc_u32_e32 v15, 0, v29
	v_ldexp_f64 v[7:8], v[7:8], v15
	v_add_f64 v[9:10], v[11:12], v[9:10]
	v_add_f64 v[13:14], v[7:8], 1.0
	v_add_f64 v[19:20], v[7:8], -1.0
	v_ldexp_f64 v[9:10], v[9:10], v15
	v_add_f64 v[11:12], v[13:14], -1.0
	v_add_f64 v[21:22], v[19:20], 1.0
	v_add_f64 v[11:12], v[7:8], -v[11:12]
	v_add_f64 v[7:8], v[7:8], -v[21:22]
	v_add_f64 v[11:12], v[9:10], v[11:12]
	v_add_f64 v[7:8], v[9:10], v[7:8]
	;; [unrolled: 1-line block ×4, first 2 shown]
	v_rcp_f64_e32 v[17:18], v[15:16]
	v_add_f64 v[13:14], v[15:16], -v[13:14]
	v_add_f64 v[19:20], v[21:22], -v[19:20]
	;; [unrolled: 1-line block ×3, first 2 shown]
	v_fma_f64 v[23:24], -v[15:16], v[17:18], 1.0
	v_add_f64 v[7:8], v[7:8], -v[19:20]
	v_fma_f64 v[17:18], v[23:24], v[17:18], v[17:18]
	v_fma_f64 v[9:10], -v[15:16], v[17:18], 1.0
	v_fma_f64 v[9:10], v[9:10], v[17:18], v[17:18]
	v_mul_f64 v[17:18], v[21:22], v[9:10]
	v_mul_f64 v[23:24], v[15:16], v[17:18]
	v_fma_f64 v[13:14], v[17:18], v[15:16], -v[23:24]
	v_fma_f64 v[13:14], v[17:18], v[11:12], v[13:14]
	v_add_f64 v[25:26], v[23:24], v[13:14]
	v_add_f64 v[27:28], v[21:22], -v[25:26]
	v_add_f64 v[19:20], v[25:26], -v[23:24]
	;; [unrolled: 1-line block ×5, first 2 shown]
	v_add_f64 v[7:8], v[7:8], v[21:22]
	v_add_f64 v[7:8], v[13:14], v[7:8]
	;; [unrolled: 1-line block ×3, first 2 shown]
	v_mul_f64 v[19:20], v[9:10], v[13:14]
	v_add_f64 v[25:26], v[27:28], -v[13:14]
	v_mul_f64 v[21:22], v[15:16], v[19:20]
	v_add_f64 v[7:8], v[7:8], v[25:26]
	v_fma_f64 v[15:16], v[19:20], v[15:16], -v[21:22]
	v_fma_f64 v[11:12], v[19:20], v[11:12], v[15:16]
	v_add_f64 v[15:16], v[21:22], v[11:12]
	v_add_f64 v[23:24], v[13:14], -v[15:16]
	v_add_f64 v[21:22], v[15:16], -v[21:22]
	;; [unrolled: 1-line block ×5, first 2 shown]
	v_add_f64 v[7:8], v[7:8], v[13:14]
	v_add_f64 v[13:14], v[17:18], v[19:20]
	;; [unrolled: 1-line block ×3, first 2 shown]
	v_add_f64 v[11:12], v[13:14], -v[17:18]
	v_add_f64 v[7:8], v[23:24], v[7:8]
	v_add_f64 v[11:12], v[19:20], -v[11:12]
	v_mul_f64 v[7:8], v[9:10], v[7:8]
	v_add_f64 v[7:8], v[11:12], v[7:8]
	v_add_f64 v[9:10], v[13:14], v[7:8]
	v_mul_f64 v[11:12], v[9:10], v[9:10]
	v_fma_f64 v[15:16], v[11:12], s[10:11], s[8:9]
	s_mov_b32 s8, 0xd7f4df2e
	s_mov_b32 s9, 0x3fc7474d
	v_mul_f64 v[17:18], v[9:10], v[11:12]
	v_fma_f64 v[15:16], v[11:12], v[15:16], s[8:9]
	s_mov_b32 s8, 0x16291751
	s_mov_b32 s9, 0x3fcc71c0
	v_fma_f64 v[15:16], v[11:12], v[15:16], s[8:9]
	s_mov_b32 s8, 0x9b27acf1
	s_mov_b32 s9, 0x3fd24924
	;; [unrolled: 3-line block ×3, first 2 shown]
	v_fma_f64 v[15:16], v[11:12], v[15:16], s[8:9]
	v_fma_f64 v[11:12], v[11:12], v[15:16], s[0:1]
	v_ldexp_f64 v[15:16], v[9:10], 1
	v_add_f64 v[9:10], v[9:10], -v[13:14]
	v_cmp_nge_f64_e64 s0, -1.0, v[5:6]
	v_cmp_neq_f64_e64 s1, 0x7ff00000, v[5:6]
	v_mul_f64 v[11:12], v[17:18], v[11:12]
	v_cvt_f64_i32_e32 v[17:18], v29
	v_add_f64 v[7:8], v[7:8], -v[9:10]
	s_and_b32 s0, s0, s1
	v_add_f64 v[13:14], v[15:16], v[11:12]
	v_mul_f64 v[19:20], v[17:18], s[2:3]
	v_ldexp_f64 v[7:8], v[7:8], 1
	v_add_f64 v[9:10], v[13:14], -v[15:16]
	v_fma_f64 v[15:16], v[17:18], s[2:3], -v[19:20]
	v_cmp_ngt_f64_e64 s2, -1.0, v[5:6]
	v_add_f64 v[9:10], v[11:12], -v[9:10]
	v_fma_f64 v[11:12], v[17:18], s[4:5], v[15:16]
	v_add_f64 v[7:8], v[7:8], v[9:10]
	v_add_f64 v[9:10], v[19:20], v[11:12]
	;; [unrolled: 1-line block ×3, first 2 shown]
	v_add_f64 v[19:20], v[9:10], -v[19:20]
	v_add_f64 v[17:18], v[9:10], v[15:16]
	v_add_f64 v[13:14], v[15:16], -v[13:14]
	v_add_f64 v[11:12], v[11:12], -v[19:20]
	;; [unrolled: 1-line block ×6, first 2 shown]
	v_add_f64 v[15:16], v[11:12], v[7:8]
	v_add_f64 v[9:10], v[9:10], -v[23:24]
	v_add_f64 v[9:10], v[13:14], v[9:10]
	v_add_f64 v[13:14], v[15:16], -v[11:12]
	v_add_f64 v[9:10], v[15:16], v[9:10]
	v_add_f64 v[15:16], v[15:16], -v[13:14]
	v_add_f64 v[7:8], v[7:8], -v[13:14]
	v_add_f64 v[19:20], v[17:18], v[9:10]
	v_add_f64 v[11:12], v[11:12], -v[15:16]
	v_add_f64 v[13:14], v[19:20], -v[17:18]
	v_add_f64 v[7:8], v[7:8], v[11:12]
	v_add_f64 v[9:10], v[9:10], -v[13:14]
	v_add_f64 v[7:8], v[7:8], v[9:10]
	v_add_f64 v[7:8], v[19:20], v[7:8]
	v_cndmask_b32_e64 v7, 0, v7, s0
	v_cmp_neq_f64_e64 s0, -1.0, v[5:6]
	v_cndmask_b32_e64 v8, 0x7ff00000, v8, s1
	v_cndmask_b32_e64 v8, 0x7ff80000, v8, s2
	;; [unrolled: 1-line block ×3, first 2 shown]
	v_add_f64 v[5:6], v[1:2], v[7:8]
.LBB9_195:
	s_or_b32 exec_lo, exec_lo, s7
	v_mov_b32_e32 v1, v5
	v_mov_b32_e32 v2, v6
.LBB9_196:
	s_or_b32 exec_lo, exec_lo, s6
	v_max_f64 v[29:30], v[1:2], v[1:2]
	v_cmp_u_f64_e64 s13, v[1:2], v[1:2]
	v_cmp_u_f64_e64 s0, v[3:4], v[3:4]
	v_mov_b32_e32 v36, v2
	v_mov_b32_e32 v35, v1
	v_min_f64 v[31:32], v[29:30], v[61:62]
	v_max_f64 v[33:34], v[29:30], v[61:62]
	v_cndmask_b32_e64 v5, v31, v1, s13
	v_cndmask_b32_e64 v6, v32, v2, s13
	;; [unrolled: 1-line block ×8, first 2 shown]
	v_cmp_class_f64_e64 s2, v[7:8], 0x1f8
	v_cmp_neq_f64_e64 s1, v[7:8], v[5:6]
	s_or_b32 s1, s1, s2
	s_and_saveexec_b32 s8, s1
	s_cbranch_execz .LBB9_198
; %bb.197:
	v_add_f64 v[7:8], v[7:8], -v[5:6]
	s_mov_b32 s2, 0x652b82fe
	s_mov_b32 s3, 0x3ff71547
	;; [unrolled: 1-line block ×10, first 2 shown]
	v_mul_f64 v[9:10], v[7:8], s[2:3]
	s_mov_b32 s2, 0xfca7ab0c
	s_mov_b32 s3, 0x3e928af3
	v_cmp_nlt_f64_e64 s1, 0x40900000, v[7:8]
	v_rndne_f64_e32 v[9:10], v[9:10]
	v_fma_f64 v[11:12], v[9:10], s[4:5], v[7:8]
	v_cvt_i32_f64_e32 v15, v[9:10]
	s_mov_b32 s5, 0x3fe62e42
	v_fma_f64 v[11:12], v[9:10], s[6:7], v[11:12]
	s_mov_b32 s7, 0x3c7abc9e
	v_fma_f64 v[13:14], v[11:12], s[10:11], s[2:3]
	s_mov_b32 s2, 0x623fde64
	s_mov_b32 s3, 0x3ec71dee
	;; [unrolled: 1-line block ×4, first 2 shown]
	v_fma_f64 v[13:14], v[11:12], v[13:14], s[2:3]
	s_mov_b32 s2, 0x7c89e6b0
	s_mov_b32 s3, 0x3efa0199
	v_fma_f64 v[13:14], v[11:12], v[13:14], s[2:3]
	s_mov_b32 s2, 0x14761f6e
	s_mov_b32 s3, 0x3f2a01a0
	;; [unrolled: 3-line block ×7, first 2 shown]
	v_fma_f64 v[13:14], v[11:12], v[13:14], s[2:3]
	v_cmp_ngt_f64_e64 s2, 0xc090cc00, v[7:8]
	s_mov_b32 s3, 0x3fe55555
	v_fma_f64 v[13:14], v[11:12], v[13:14], 1.0
	v_fma_f64 v[9:10], v[11:12], v[13:14], 1.0
	v_ldexp_f64 v[9:10], v[9:10], v15
	v_cndmask_b32_e64 v10, 0x7ff00000, v10, s1
	s_and_b32 s1, s2, s1
	v_cndmask_b32_e64 v7, 0, v9, s1
	v_cndmask_b32_e64 v8, 0, v10, s2
	s_mov_b32 s2, 0x55555555
	v_add_f64 v[9:10], v[7:8], 1.0
	v_frexp_mant_f64_e32 v[11:12], v[9:10]
	v_frexp_exp_i32_f64_e32 v15, v[9:10]
	v_add_f64 v[13:14], v[9:10], -1.0
	v_cmp_gt_f64_e64 s1, s[2:3], v[11:12]
	s_mov_b32 s2, 0x55555780
	v_add_f64 v[11:12], v[13:14], -v[9:10]
	v_add_f64 v[13:14], v[7:8], -v[13:14]
	v_subrev_co_ci_u32_e64 v63, null, 0, v15, s1
	v_add_f64 v[11:12], v[11:12], 1.0
	v_cmp_nge_f64_e64 s1, -1.0, v[7:8]
	v_sub_nc_u32_e32 v17, 0, v63
	v_ldexp_f64 v[9:10], v[9:10], v17
	v_add_f64 v[11:12], v[13:14], v[11:12]
	v_add_f64 v[15:16], v[9:10], 1.0
	v_add_f64 v[21:22], v[9:10], -1.0
	v_ldexp_f64 v[11:12], v[11:12], v17
	v_add_f64 v[13:14], v[15:16], -1.0
	v_add_f64 v[23:24], v[21:22], 1.0
	v_add_f64 v[13:14], v[9:10], -v[13:14]
	v_add_f64 v[9:10], v[9:10], -v[23:24]
	v_add_f64 v[13:14], v[11:12], v[13:14]
	v_add_f64 v[9:10], v[11:12], v[9:10]
	;; [unrolled: 1-line block ×4, first 2 shown]
	v_rcp_f64_e32 v[19:20], v[17:18]
	v_add_f64 v[15:16], v[17:18], -v[15:16]
	v_add_f64 v[21:22], v[23:24], -v[21:22]
	;; [unrolled: 1-line block ×3, first 2 shown]
	v_fma_f64 v[25:26], -v[17:18], v[19:20], 1.0
	v_add_f64 v[9:10], v[9:10], -v[21:22]
	v_fma_f64 v[19:20], v[25:26], v[19:20], v[19:20]
	v_fma_f64 v[11:12], -v[17:18], v[19:20], 1.0
	v_fma_f64 v[11:12], v[11:12], v[19:20], v[19:20]
	v_mul_f64 v[19:20], v[23:24], v[11:12]
	v_mul_f64 v[25:26], v[17:18], v[19:20]
	v_fma_f64 v[15:16], v[19:20], v[17:18], -v[25:26]
	v_fma_f64 v[15:16], v[19:20], v[13:14], v[15:16]
	v_add_f64 v[27:28], v[25:26], v[15:16]
	v_add_f64 v[35:36], v[23:24], -v[27:28]
	v_add_f64 v[21:22], v[27:28], -v[25:26]
	v_add_f64 v[23:24], v[23:24], -v[35:36]
	v_add_f64 v[15:16], v[21:22], -v[15:16]
	v_add_f64 v[23:24], v[23:24], -v[27:28]
	v_add_f64 v[9:10], v[9:10], v[23:24]
	v_add_f64 v[9:10], v[15:16], v[9:10]
	;; [unrolled: 1-line block ×3, first 2 shown]
	v_mul_f64 v[21:22], v[11:12], v[15:16]
	v_add_f64 v[27:28], v[35:36], -v[15:16]
	v_mul_f64 v[23:24], v[17:18], v[21:22]
	v_add_f64 v[9:10], v[9:10], v[27:28]
	v_fma_f64 v[17:18], v[21:22], v[17:18], -v[23:24]
	v_fma_f64 v[13:14], v[21:22], v[13:14], v[17:18]
	v_add_f64 v[17:18], v[23:24], v[13:14]
	v_add_f64 v[25:26], v[15:16], -v[17:18]
	v_add_f64 v[23:24], v[17:18], -v[23:24]
	;; [unrolled: 1-line block ×5, first 2 shown]
	v_add_f64 v[9:10], v[9:10], v[15:16]
	v_add_f64 v[15:16], v[19:20], v[21:22]
	;; [unrolled: 1-line block ×3, first 2 shown]
	v_add_f64 v[13:14], v[15:16], -v[19:20]
	v_add_f64 v[9:10], v[25:26], v[9:10]
	v_add_f64 v[13:14], v[21:22], -v[13:14]
	v_mul_f64 v[9:10], v[11:12], v[9:10]
	v_add_f64 v[9:10], v[13:14], v[9:10]
	v_add_f64 v[11:12], v[15:16], v[9:10]
	v_mul_f64 v[13:14], v[11:12], v[11:12]
	v_fma_f64 v[17:18], v[13:14], s[14:15], s[10:11]
	s_mov_b32 s10, 0xd7f4df2e
	s_mov_b32 s11, 0x3fc7474d
	v_mul_f64 v[19:20], v[11:12], v[13:14]
	v_fma_f64 v[17:18], v[13:14], v[17:18], s[10:11]
	s_mov_b32 s10, 0x16291751
	s_mov_b32 s11, 0x3fcc71c0
	v_fma_f64 v[17:18], v[13:14], v[17:18], s[10:11]
	s_mov_b32 s10, 0x9b27acf1
	s_mov_b32 s11, 0x3fd24924
	;; [unrolled: 3-line block ×3, first 2 shown]
	v_fma_f64 v[17:18], v[13:14], v[17:18], s[10:11]
	v_fma_f64 v[13:14], v[13:14], v[17:18], s[2:3]
	v_ldexp_f64 v[17:18], v[11:12], 1
	v_add_f64 v[11:12], v[11:12], -v[15:16]
	v_cmp_neq_f64_e64 s2, 0x7ff00000, v[7:8]
	v_cmp_ngt_f64_e64 s3, -1.0, v[7:8]
	v_mul_f64 v[13:14], v[19:20], v[13:14]
	v_cvt_f64_i32_e32 v[19:20], v63
	v_add_f64 v[9:10], v[9:10], -v[11:12]
	s_and_b32 s1, s1, s2
	v_add_f64 v[15:16], v[17:18], v[13:14]
	v_mul_f64 v[21:22], v[19:20], s[4:5]
	v_ldexp_f64 v[9:10], v[9:10], 1
	v_add_f64 v[11:12], v[15:16], -v[17:18]
	v_fma_f64 v[17:18], v[19:20], s[4:5], -v[21:22]
	v_add_f64 v[11:12], v[13:14], -v[11:12]
	v_fma_f64 v[13:14], v[19:20], s[6:7], v[17:18]
	v_add_f64 v[9:10], v[9:10], v[11:12]
	v_add_f64 v[11:12], v[21:22], v[13:14]
	;; [unrolled: 1-line block ×3, first 2 shown]
	v_add_f64 v[21:22], v[11:12], -v[21:22]
	v_add_f64 v[19:20], v[11:12], v[17:18]
	v_add_f64 v[15:16], v[17:18], -v[15:16]
	v_add_f64 v[13:14], v[13:14], -v[21:22]
	;; [unrolled: 1-line block ×6, first 2 shown]
	v_add_f64 v[17:18], v[13:14], v[9:10]
	v_add_f64 v[11:12], v[11:12], -v[25:26]
	v_add_f64 v[11:12], v[15:16], v[11:12]
	v_add_f64 v[15:16], v[17:18], -v[13:14]
	;; [unrolled: 2-line block ×3, first 2 shown]
	v_add_f64 v[9:10], v[9:10], -v[15:16]
	v_add_f64 v[21:22], v[19:20], v[11:12]
	v_add_f64 v[13:14], v[13:14], -v[17:18]
	v_add_f64 v[15:16], v[21:22], -v[19:20]
	v_add_f64 v[9:10], v[9:10], v[13:14]
	v_add_f64 v[11:12], v[11:12], -v[15:16]
	v_add_f64 v[9:10], v[9:10], v[11:12]
	v_add_f64 v[9:10], v[21:22], v[9:10]
	v_cndmask_b32_e64 v9, 0, v9, s1
	v_cmp_neq_f64_e64 s1, -1.0, v[7:8]
	v_cndmask_b32_e64 v10, 0x7ff00000, v10, s2
	v_cndmask_b32_e64 v10, 0x7ff80000, v10, s3
	;; [unrolled: 1-line block ×3, first 2 shown]
	v_add_f64 v[35:36], v[5:6], v[9:10]
.LBB9_198:
	s_or_b32 exec_lo, exec_lo, s8
	v_max_f64 v[5:6], v[57:58], v[57:58]
	v_max_f64 v[7:8], v[35:36], v[35:36]
	v_cmp_u_f64_e64 s2, v[35:36], v[35:36]
	v_cmp_u_f64_e64 s1, v[57:58], v[57:58]
	v_min_f64 v[9:10], v[7:8], v[5:6]
	v_max_f64 v[7:8], v[7:8], v[5:6]
	v_cndmask_b32_e64 v9, v9, v35, s2
	v_cndmask_b32_e64 v10, v10, v36, s2
	;; [unrolled: 1-line block ×8, first 2 shown]
	v_cmp_class_f64_e64 s3, v[9:10], 0x1f8
	v_cmp_neq_f64_e64 s2, v[9:10], v[7:8]
	s_or_b32 s2, s2, s3
	s_and_saveexec_b32 s8, s2
	s_cbranch_execz .LBB9_200
; %bb.199:
	v_add_f64 v[9:10], v[9:10], -v[7:8]
	s_mov_b32 s2, 0x652b82fe
	s_mov_b32 s3, 0x3ff71547
	;; [unrolled: 1-line block ×10, first 2 shown]
	v_mul_f64 v[11:12], v[9:10], s[2:3]
	s_mov_b32 s2, 0xfca7ab0c
	s_mov_b32 s3, 0x3e928af3
	v_rndne_f64_e32 v[11:12], v[11:12]
	v_fma_f64 v[13:14], v[11:12], s[4:5], v[9:10]
	v_cvt_i32_f64_e32 v17, v[11:12]
	s_mov_b32 s5, 0x3fe62e42
	v_fma_f64 v[13:14], v[11:12], s[6:7], v[13:14]
	s_mov_b32 s7, 0x3c7abc9e
	v_fma_f64 v[15:16], v[13:14], s[10:11], s[2:3]
	s_mov_b32 s2, 0x623fde64
	s_mov_b32 s3, 0x3ec71dee
	;; [unrolled: 1-line block ×4, first 2 shown]
	v_fma_f64 v[15:16], v[13:14], v[15:16], s[2:3]
	s_mov_b32 s2, 0x7c89e6b0
	s_mov_b32 s3, 0x3efa0199
	v_fma_f64 v[15:16], v[13:14], v[15:16], s[2:3]
	s_mov_b32 s2, 0x14761f6e
	s_mov_b32 s3, 0x3f2a01a0
	v_fma_f64 v[15:16], v[13:14], v[15:16], s[2:3]
	s_mov_b32 s2, 0x1852b7b0
	s_mov_b32 s3, 0x3f56c16c
	v_fma_f64 v[15:16], v[13:14], v[15:16], s[2:3]
	s_mov_b32 s2, 0x11122322
	s_mov_b32 s3, 0x3f811111
	v_fma_f64 v[15:16], v[13:14], v[15:16], s[2:3]
	s_mov_b32 s2, 0x555502a1
	s_mov_b32 s3, 0x3fa55555
	v_fma_f64 v[15:16], v[13:14], v[15:16], s[2:3]
	s_mov_b32 s2, 0x55555511
	s_mov_b32 s3, 0x3fc55555
	v_fma_f64 v[15:16], v[13:14], v[15:16], s[2:3]
	s_mov_b32 s2, 11
	s_mov_b32 s3, 0x3fe00000
	v_fma_f64 v[15:16], v[13:14], v[15:16], s[2:3]
	v_cmp_nlt_f64_e64 s2, 0x40900000, v[9:10]
	v_cmp_ngt_f64_e64 s3, 0xc090cc00, v[9:10]
	v_fma_f64 v[15:16], v[13:14], v[15:16], 1.0
	v_fma_f64 v[11:12], v[13:14], v[15:16], 1.0
	v_ldexp_f64 v[11:12], v[11:12], v17
	v_cndmask_b32_e64 v12, 0x7ff00000, v12, s2
	s_and_b32 s2, s3, s2
	v_cndmask_b32_e64 v9, 0, v11, s2
	s_mov_b32 s2, 0x55555555
	v_cndmask_b32_e64 v10, 0, v12, s3
	s_mov_b32 s3, 0x3fe55555
	v_add_f64 v[11:12], v[9:10], 1.0
	v_frexp_mant_f64_e32 v[13:14], v[11:12]
	v_frexp_exp_i32_f64_e32 v17, v[11:12]
	v_add_f64 v[15:16], v[11:12], -1.0
	v_cmp_gt_f64_e64 s2, s[2:3], v[13:14]
	v_add_f64 v[13:14], v[15:16], -v[11:12]
	v_add_f64 v[15:16], v[9:10], -v[15:16]
	v_subrev_co_ci_u32_e64 v65, null, 0, v17, s2
	v_add_f64 v[13:14], v[13:14], 1.0
	s_mov_b32 s2, 0x55555780
	v_sub_nc_u32_e32 v19, 0, v65
	v_ldexp_f64 v[11:12], v[11:12], v19
	v_add_f64 v[13:14], v[15:16], v[13:14]
	v_add_f64 v[17:18], v[11:12], 1.0
	v_add_f64 v[23:24], v[11:12], -1.0
	v_ldexp_f64 v[13:14], v[13:14], v19
	v_add_f64 v[15:16], v[17:18], -1.0
	v_add_f64 v[25:26], v[23:24], 1.0
	v_add_f64 v[15:16], v[11:12], -v[15:16]
	v_add_f64 v[11:12], v[11:12], -v[25:26]
	v_add_f64 v[15:16], v[13:14], v[15:16]
	v_add_f64 v[11:12], v[13:14], v[11:12]
	;; [unrolled: 1-line block ×4, first 2 shown]
	v_rcp_f64_e32 v[21:22], v[19:20]
	v_add_f64 v[17:18], v[19:20], -v[17:18]
	v_add_f64 v[23:24], v[25:26], -v[23:24]
	;; [unrolled: 1-line block ×3, first 2 shown]
	v_fma_f64 v[27:28], -v[19:20], v[21:22], 1.0
	v_add_f64 v[11:12], v[11:12], -v[23:24]
	v_fma_f64 v[21:22], v[27:28], v[21:22], v[21:22]
	v_fma_f64 v[13:14], -v[19:20], v[21:22], 1.0
	v_fma_f64 v[13:14], v[13:14], v[21:22], v[21:22]
	v_mul_f64 v[21:22], v[25:26], v[13:14]
	v_mul_f64 v[27:28], v[19:20], v[21:22]
	v_fma_f64 v[17:18], v[21:22], v[19:20], -v[27:28]
	v_fma_f64 v[17:18], v[21:22], v[15:16], v[17:18]
	v_add_f64 v[35:36], v[27:28], v[17:18]
	v_add_f64 v[63:64], v[25:26], -v[35:36]
	v_add_f64 v[23:24], v[35:36], -v[27:28]
	v_add_f64 v[25:26], v[25:26], -v[63:64]
	v_add_f64 v[17:18], v[23:24], -v[17:18]
	v_add_f64 v[25:26], v[25:26], -v[35:36]
	v_add_f64 v[11:12], v[11:12], v[25:26]
	v_add_f64 v[11:12], v[17:18], v[11:12]
	;; [unrolled: 1-line block ×3, first 2 shown]
	v_mul_f64 v[23:24], v[13:14], v[17:18]
	v_add_f64 v[35:36], v[63:64], -v[17:18]
	v_mul_f64 v[25:26], v[19:20], v[23:24]
	v_add_f64 v[11:12], v[11:12], v[35:36]
	v_fma_f64 v[19:20], v[23:24], v[19:20], -v[25:26]
	v_fma_f64 v[15:16], v[23:24], v[15:16], v[19:20]
	v_add_f64 v[19:20], v[25:26], v[15:16]
	v_add_f64 v[27:28], v[17:18], -v[19:20]
	v_add_f64 v[25:26], v[19:20], -v[25:26]
	;; [unrolled: 1-line block ×5, first 2 shown]
	v_add_f64 v[11:12], v[11:12], v[17:18]
	v_add_f64 v[17:18], v[21:22], v[23:24]
	;; [unrolled: 1-line block ×3, first 2 shown]
	v_add_f64 v[15:16], v[17:18], -v[21:22]
	v_add_f64 v[11:12], v[27:28], v[11:12]
	v_add_f64 v[15:16], v[23:24], -v[15:16]
	v_mul_f64 v[11:12], v[13:14], v[11:12]
	v_add_f64 v[11:12], v[15:16], v[11:12]
	v_add_f64 v[13:14], v[17:18], v[11:12]
	v_mul_f64 v[15:16], v[13:14], v[13:14]
	v_fma_f64 v[19:20], v[15:16], s[14:15], s[10:11]
	s_mov_b32 s10, 0xd7f4df2e
	s_mov_b32 s11, 0x3fc7474d
	v_mul_f64 v[21:22], v[13:14], v[15:16]
	v_fma_f64 v[19:20], v[15:16], v[19:20], s[10:11]
	s_mov_b32 s10, 0x16291751
	s_mov_b32 s11, 0x3fcc71c0
	v_fma_f64 v[19:20], v[15:16], v[19:20], s[10:11]
	s_mov_b32 s10, 0x9b27acf1
	s_mov_b32 s11, 0x3fd24924
	;; [unrolled: 3-line block ×3, first 2 shown]
	v_fma_f64 v[19:20], v[15:16], v[19:20], s[10:11]
	v_fma_f64 v[15:16], v[15:16], v[19:20], s[2:3]
	v_ldexp_f64 v[19:20], v[13:14], 1
	v_add_f64 v[13:14], v[13:14], -v[17:18]
	v_cmp_nge_f64_e64 s2, -1.0, v[9:10]
	v_cmp_neq_f64_e64 s3, 0x7ff00000, v[9:10]
	v_mul_f64 v[15:16], v[21:22], v[15:16]
	v_cvt_f64_i32_e32 v[21:22], v65
	v_add_f64 v[11:12], v[11:12], -v[13:14]
	s_and_b32 s2, s2, s3
	v_add_f64 v[17:18], v[19:20], v[15:16]
	v_mul_f64 v[23:24], v[21:22], s[4:5]
	v_ldexp_f64 v[11:12], v[11:12], 1
	v_add_f64 v[13:14], v[17:18], -v[19:20]
	v_fma_f64 v[19:20], v[21:22], s[4:5], -v[23:24]
	v_cmp_ngt_f64_e64 s4, -1.0, v[9:10]
	v_add_f64 v[13:14], v[15:16], -v[13:14]
	v_fma_f64 v[15:16], v[21:22], s[6:7], v[19:20]
	v_add_f64 v[11:12], v[11:12], v[13:14]
	v_add_f64 v[13:14], v[23:24], v[15:16]
	;; [unrolled: 1-line block ×3, first 2 shown]
	v_add_f64 v[23:24], v[13:14], -v[23:24]
	v_add_f64 v[21:22], v[13:14], v[19:20]
	v_add_f64 v[17:18], v[19:20], -v[17:18]
	v_add_f64 v[15:16], v[15:16], -v[23:24]
	;; [unrolled: 1-line block ×6, first 2 shown]
	v_add_f64 v[19:20], v[15:16], v[11:12]
	v_add_f64 v[13:14], v[13:14], -v[27:28]
	v_add_f64 v[13:14], v[17:18], v[13:14]
	v_add_f64 v[17:18], v[19:20], -v[15:16]
	;; [unrolled: 2-line block ×3, first 2 shown]
	v_add_f64 v[11:12], v[11:12], -v[17:18]
	v_add_f64 v[23:24], v[21:22], v[13:14]
	v_add_f64 v[15:16], v[15:16], -v[19:20]
	v_add_f64 v[17:18], v[23:24], -v[21:22]
	v_add_f64 v[11:12], v[11:12], v[15:16]
	v_add_f64 v[13:14], v[13:14], -v[17:18]
	v_add_f64 v[11:12], v[11:12], v[13:14]
	v_add_f64 v[11:12], v[23:24], v[11:12]
	v_cndmask_b32_e64 v11, 0, v11, s2
	v_cmp_neq_f64_e64 s2, -1.0, v[9:10]
	v_cndmask_b32_e64 v12, 0x7ff00000, v12, s3
	v_cndmask_b32_e64 v12, 0x7ff80000, v12, s4
	v_cndmask_b32_e64 v12, 0xfff00000, v12, s2
	v_add_f64 v[35:36], v[7:8], v[11:12]
.LBB9_200:
	s_or_b32 exec_lo, exec_lo, s8
	v_max_f64 v[7:8], v[59:60], v[59:60]
	v_max_f64 v[9:10], v[35:36], v[35:36]
	v_cmp_u_f64_e64 s3, v[35:36], v[35:36]
	v_cmp_u_f64_e64 s2, v[59:60], v[59:60]
	v_min_f64 v[11:12], v[9:10], v[7:8]
	v_max_f64 v[9:10], v[9:10], v[7:8]
	v_cndmask_b32_e64 v11, v11, v35, s3
	v_cndmask_b32_e64 v12, v12, v36, s3
	;; [unrolled: 1-line block ×8, first 2 shown]
	v_cmp_class_f64_e64 s4, v[11:12], 0x1f8
	v_cmp_neq_f64_e64 s3, v[11:12], v[9:10]
	s_or_b32 s3, s3, s4
	s_and_saveexec_b32 s10, s3
	s_cbranch_execz .LBB9_202
; %bb.201:
	v_add_f64 v[11:12], v[11:12], -v[9:10]
	s_mov_b32 s4, 0x652b82fe
	s_mov_b32 s5, 0x3ff71547
	;; [unrolled: 1-line block ×10, first 2 shown]
	v_mul_f64 v[13:14], v[11:12], s[4:5]
	s_mov_b32 s4, 0xfca7ab0c
	s_mov_b32 s5, 0x3e928af3
	v_cmp_nlt_f64_e64 s3, 0x40900000, v[11:12]
	v_rndne_f64_e32 v[13:14], v[13:14]
	v_fma_f64 v[15:16], v[13:14], s[6:7], v[11:12]
	v_cvt_i32_f64_e32 v19, v[13:14]
	s_mov_b32 s7, 0x3fe62e42
	v_fma_f64 v[15:16], v[13:14], s[8:9], v[15:16]
	s_mov_b32 s9, 0x3c7abc9e
	v_fma_f64 v[17:18], v[15:16], s[14:15], s[4:5]
	s_mov_b32 s4, 0x623fde64
	s_mov_b32 s5, 0x3ec71dee
	;; [unrolled: 1-line block ×4, first 2 shown]
	v_fma_f64 v[17:18], v[15:16], v[17:18], s[4:5]
	s_mov_b32 s4, 0x7c89e6b0
	s_mov_b32 s5, 0x3efa0199
	v_fma_f64 v[17:18], v[15:16], v[17:18], s[4:5]
	s_mov_b32 s4, 0x14761f6e
	s_mov_b32 s5, 0x3f2a01a0
	;; [unrolled: 3-line block ×7, first 2 shown]
	v_fma_f64 v[17:18], v[15:16], v[17:18], s[4:5]
	v_cmp_ngt_f64_e64 s4, 0xc090cc00, v[11:12]
	s_mov_b32 s5, 0x3fe55555
	v_fma_f64 v[17:18], v[15:16], v[17:18], 1.0
	v_fma_f64 v[13:14], v[15:16], v[17:18], 1.0
	v_ldexp_f64 v[13:14], v[13:14], v19
	v_cndmask_b32_e64 v14, 0x7ff00000, v14, s3
	s_and_b32 s3, s4, s3
	v_cndmask_b32_e64 v11, 0, v13, s3
	v_cndmask_b32_e64 v12, 0, v14, s4
	s_mov_b32 s4, 0x55555555
	v_add_f64 v[13:14], v[11:12], 1.0
	v_frexp_mant_f64_e32 v[15:16], v[13:14]
	v_frexp_exp_i32_f64_e32 v19, v[13:14]
	v_add_f64 v[17:18], v[13:14], -1.0
	v_cmp_gt_f64_e64 s3, s[4:5], v[15:16]
	s_mov_b32 s4, 0x55555780
	v_add_f64 v[15:16], v[17:18], -v[13:14]
	v_add_f64 v[17:18], v[11:12], -v[17:18]
	v_subrev_co_ci_u32_e64 v67, null, 0, v19, s3
	v_add_f64 v[15:16], v[15:16], 1.0
	v_cmp_nge_f64_e64 s3, -1.0, v[11:12]
	v_sub_nc_u32_e32 v21, 0, v67
	v_ldexp_f64 v[13:14], v[13:14], v21
	v_add_f64 v[15:16], v[17:18], v[15:16]
	v_add_f64 v[19:20], v[13:14], 1.0
	v_add_f64 v[25:26], v[13:14], -1.0
	v_ldexp_f64 v[15:16], v[15:16], v21
	v_add_f64 v[17:18], v[19:20], -1.0
	v_add_f64 v[27:28], v[25:26], 1.0
	v_add_f64 v[17:18], v[13:14], -v[17:18]
	v_add_f64 v[13:14], v[13:14], -v[27:28]
	v_add_f64 v[17:18], v[15:16], v[17:18]
	v_add_f64 v[13:14], v[15:16], v[13:14]
	v_add_f64 v[21:22], v[19:20], v[17:18]
	v_add_f64 v[27:28], v[25:26], v[13:14]
	v_rcp_f64_e32 v[23:24], v[21:22]
	v_add_f64 v[19:20], v[21:22], -v[19:20]
	v_add_f64 v[25:26], v[27:28], -v[25:26]
	;; [unrolled: 1-line block ×3, first 2 shown]
	v_fma_f64 v[35:36], -v[21:22], v[23:24], 1.0
	v_add_f64 v[13:14], v[13:14], -v[25:26]
	v_fma_f64 v[23:24], v[35:36], v[23:24], v[23:24]
	v_fma_f64 v[15:16], -v[21:22], v[23:24], 1.0
	v_fma_f64 v[15:16], v[15:16], v[23:24], v[23:24]
	v_mul_f64 v[23:24], v[27:28], v[15:16]
	v_mul_f64 v[35:36], v[21:22], v[23:24]
	v_fma_f64 v[19:20], v[23:24], v[21:22], -v[35:36]
	v_fma_f64 v[19:20], v[23:24], v[17:18], v[19:20]
	v_add_f64 v[63:64], v[35:36], v[19:20]
	v_add_f64 v[65:66], v[27:28], -v[63:64]
	v_add_f64 v[25:26], v[63:64], -v[35:36]
	v_add_f64 v[27:28], v[27:28], -v[65:66]
	v_add_f64 v[19:20], v[25:26], -v[19:20]
	v_add_f64 v[27:28], v[27:28], -v[63:64]
	v_add_f64 v[13:14], v[13:14], v[27:28]
	v_add_f64 v[13:14], v[19:20], v[13:14]
	v_add_f64 v[19:20], v[65:66], v[13:14]
	v_mul_f64 v[25:26], v[15:16], v[19:20]
	v_add_f64 v[63:64], v[65:66], -v[19:20]
	v_mul_f64 v[27:28], v[21:22], v[25:26]
	v_add_f64 v[13:14], v[13:14], v[63:64]
	v_fma_f64 v[21:22], v[25:26], v[21:22], -v[27:28]
	v_fma_f64 v[17:18], v[25:26], v[17:18], v[21:22]
	v_add_f64 v[21:22], v[27:28], v[17:18]
	v_add_f64 v[35:36], v[19:20], -v[21:22]
	v_add_f64 v[27:28], v[21:22], -v[27:28]
	;; [unrolled: 1-line block ×5, first 2 shown]
	v_add_f64 v[13:14], v[13:14], v[19:20]
	v_add_f64 v[19:20], v[23:24], v[25:26]
	;; [unrolled: 1-line block ×3, first 2 shown]
	v_add_f64 v[17:18], v[19:20], -v[23:24]
	v_add_f64 v[13:14], v[35:36], v[13:14]
	v_add_f64 v[17:18], v[25:26], -v[17:18]
	v_mul_f64 v[13:14], v[15:16], v[13:14]
	v_add_f64 v[13:14], v[17:18], v[13:14]
	v_add_f64 v[15:16], v[19:20], v[13:14]
	v_mul_f64 v[17:18], v[15:16], v[15:16]
	v_fma_f64 v[21:22], v[17:18], s[16:17], s[14:15]
	s_mov_b32 s14, 0xd7f4df2e
	s_mov_b32 s15, 0x3fc7474d
	v_mul_f64 v[23:24], v[15:16], v[17:18]
	v_fma_f64 v[21:22], v[17:18], v[21:22], s[14:15]
	s_mov_b32 s14, 0x16291751
	s_mov_b32 s15, 0x3fcc71c0
	v_fma_f64 v[21:22], v[17:18], v[21:22], s[14:15]
	s_mov_b32 s14, 0x9b27acf1
	s_mov_b32 s15, 0x3fd24924
	;; [unrolled: 3-line block ×3, first 2 shown]
	v_fma_f64 v[21:22], v[17:18], v[21:22], s[14:15]
	v_fma_f64 v[17:18], v[17:18], v[21:22], s[4:5]
	v_ldexp_f64 v[21:22], v[15:16], 1
	v_add_f64 v[15:16], v[15:16], -v[19:20]
	v_cmp_neq_f64_e64 s4, 0x7ff00000, v[11:12]
	v_cmp_ngt_f64_e64 s5, -1.0, v[11:12]
	v_mul_f64 v[17:18], v[23:24], v[17:18]
	v_cvt_f64_i32_e32 v[23:24], v67
	v_add_f64 v[13:14], v[13:14], -v[15:16]
	s_and_b32 s3, s3, s4
	v_add_f64 v[19:20], v[21:22], v[17:18]
	v_mul_f64 v[25:26], v[23:24], s[6:7]
	v_ldexp_f64 v[13:14], v[13:14], 1
	v_add_f64 v[15:16], v[19:20], -v[21:22]
	v_fma_f64 v[21:22], v[23:24], s[6:7], -v[25:26]
	v_add_f64 v[15:16], v[17:18], -v[15:16]
	v_fma_f64 v[17:18], v[23:24], s[8:9], v[21:22]
	v_add_f64 v[13:14], v[13:14], v[15:16]
	v_add_f64 v[15:16], v[25:26], v[17:18]
	;; [unrolled: 1-line block ×3, first 2 shown]
	v_add_f64 v[25:26], v[15:16], -v[25:26]
	v_add_f64 v[23:24], v[15:16], v[21:22]
	v_add_f64 v[19:20], v[21:22], -v[19:20]
	v_add_f64 v[17:18], v[17:18], -v[25:26]
	;; [unrolled: 1-line block ×6, first 2 shown]
	v_add_f64 v[21:22], v[17:18], v[13:14]
	v_add_f64 v[15:16], v[15:16], -v[35:36]
	v_add_f64 v[15:16], v[19:20], v[15:16]
	v_add_f64 v[19:20], v[21:22], -v[17:18]
	;; [unrolled: 2-line block ×3, first 2 shown]
	v_add_f64 v[13:14], v[13:14], -v[19:20]
	v_add_f64 v[25:26], v[23:24], v[15:16]
	v_add_f64 v[17:18], v[17:18], -v[21:22]
	v_add_f64 v[19:20], v[25:26], -v[23:24]
	v_add_f64 v[13:14], v[13:14], v[17:18]
	v_add_f64 v[15:16], v[15:16], -v[19:20]
	v_add_f64 v[13:14], v[13:14], v[15:16]
	v_add_f64 v[13:14], v[25:26], v[13:14]
	v_cndmask_b32_e64 v13, 0, v13, s3
	v_cmp_neq_f64_e64 s3, -1.0, v[11:12]
	v_cndmask_b32_e64 v14, 0x7ff00000, v14, s4
	v_cndmask_b32_e64 v14, 0x7ff80000, v14, s5
	;; [unrolled: 1-line block ×3, first 2 shown]
	v_add_f64 v[35:36], v[9:10], v[13:14]
.LBB9_202:
	s_or_b32 exec_lo, exec_lo, s10
	v_max_f64 v[9:10], v[53:54], v[53:54]
	v_max_f64 v[11:12], v[35:36], v[35:36]
	v_cmp_u_f64_e64 s4, v[35:36], v[35:36]
	v_cmp_u_f64_e64 s3, v[53:54], v[53:54]
	v_min_f64 v[13:14], v[11:12], v[9:10]
	v_max_f64 v[11:12], v[11:12], v[9:10]
	v_cndmask_b32_e64 v13, v13, v35, s4
	v_cndmask_b32_e64 v14, v14, v36, s4
	;; [unrolled: 1-line block ×8, first 2 shown]
	v_cmp_class_f64_e64 s5, v[13:14], 0x1f8
	v_cmp_neq_f64_e64 s4, v[13:14], v[11:12]
	s_or_b32 s4, s4, s5
	s_and_saveexec_b32 s10, s4
	s_cbranch_execz .LBB9_204
; %bb.203:
	v_add_f64 v[13:14], v[13:14], -v[11:12]
	s_mov_b32 s4, 0x652b82fe
	s_mov_b32 s5, 0x3ff71547
	;; [unrolled: 1-line block ×10, first 2 shown]
	v_mul_f64 v[15:16], v[13:14], s[4:5]
	s_mov_b32 s4, 0xfca7ab0c
	s_mov_b32 s5, 0x3e928af3
	v_rndne_f64_e32 v[15:16], v[15:16]
	v_fma_f64 v[17:18], v[15:16], s[6:7], v[13:14]
	v_cvt_i32_f64_e32 v21, v[15:16]
	s_mov_b32 s7, 0x3fe62e42
	v_fma_f64 v[17:18], v[15:16], s[8:9], v[17:18]
	s_mov_b32 s9, 0x3c7abc9e
	v_fma_f64 v[19:20], v[17:18], s[14:15], s[4:5]
	s_mov_b32 s4, 0x623fde64
	s_mov_b32 s5, 0x3ec71dee
	;; [unrolled: 1-line block ×4, first 2 shown]
	v_fma_f64 v[19:20], v[17:18], v[19:20], s[4:5]
	s_mov_b32 s4, 0x7c89e6b0
	s_mov_b32 s5, 0x3efa0199
	v_fma_f64 v[19:20], v[17:18], v[19:20], s[4:5]
	s_mov_b32 s4, 0x14761f6e
	s_mov_b32 s5, 0x3f2a01a0
	;; [unrolled: 3-line block ×7, first 2 shown]
	v_fma_f64 v[19:20], v[17:18], v[19:20], s[4:5]
	v_cmp_nlt_f64_e64 s4, 0x40900000, v[13:14]
	v_cmp_ngt_f64_e64 s5, 0xc090cc00, v[13:14]
	v_fma_f64 v[19:20], v[17:18], v[19:20], 1.0
	v_fma_f64 v[15:16], v[17:18], v[19:20], 1.0
	v_ldexp_f64 v[15:16], v[15:16], v21
	v_cndmask_b32_e64 v16, 0x7ff00000, v16, s4
	s_and_b32 s4, s5, s4
	v_cndmask_b32_e64 v13, 0, v15, s4
	s_mov_b32 s4, 0x55555555
	v_cndmask_b32_e64 v14, 0, v16, s5
	s_mov_b32 s5, 0x3fe55555
	v_add_f64 v[15:16], v[13:14], 1.0
	v_frexp_mant_f64_e32 v[17:18], v[15:16]
	v_frexp_exp_i32_f64_e32 v21, v[15:16]
	v_add_f64 v[19:20], v[15:16], -1.0
	v_cmp_gt_f64_e64 s4, s[4:5], v[17:18]
	v_add_f64 v[17:18], v[19:20], -v[15:16]
	v_add_f64 v[19:20], v[13:14], -v[19:20]
	v_subrev_co_ci_u32_e64 v69, null, 0, v21, s4
	v_add_f64 v[17:18], v[17:18], 1.0
	s_mov_b32 s4, 0x55555780
	v_sub_nc_u32_e32 v23, 0, v69
	v_ldexp_f64 v[15:16], v[15:16], v23
	v_add_f64 v[17:18], v[19:20], v[17:18]
	v_add_f64 v[21:22], v[15:16], 1.0
	v_add_f64 v[27:28], v[15:16], -1.0
	v_ldexp_f64 v[17:18], v[17:18], v23
	v_add_f64 v[19:20], v[21:22], -1.0
	v_add_f64 v[35:36], v[27:28], 1.0
	v_add_f64 v[19:20], v[15:16], -v[19:20]
	v_add_f64 v[15:16], v[15:16], -v[35:36]
	v_add_f64 v[19:20], v[17:18], v[19:20]
	v_add_f64 v[15:16], v[17:18], v[15:16]
	;; [unrolled: 1-line block ×4, first 2 shown]
	v_rcp_f64_e32 v[25:26], v[23:24]
	v_add_f64 v[21:22], v[23:24], -v[21:22]
	v_add_f64 v[27:28], v[35:36], -v[27:28]
	;; [unrolled: 1-line block ×3, first 2 shown]
	v_fma_f64 v[63:64], -v[23:24], v[25:26], 1.0
	v_add_f64 v[15:16], v[15:16], -v[27:28]
	v_fma_f64 v[25:26], v[63:64], v[25:26], v[25:26]
	v_fma_f64 v[17:18], -v[23:24], v[25:26], 1.0
	v_fma_f64 v[17:18], v[17:18], v[25:26], v[25:26]
	v_mul_f64 v[25:26], v[35:36], v[17:18]
	v_mul_f64 v[63:64], v[23:24], v[25:26]
	v_fma_f64 v[21:22], v[25:26], v[23:24], -v[63:64]
	v_fma_f64 v[21:22], v[25:26], v[19:20], v[21:22]
	v_add_f64 v[65:66], v[63:64], v[21:22]
	v_add_f64 v[67:68], v[35:36], -v[65:66]
	v_add_f64 v[27:28], v[65:66], -v[63:64]
	;; [unrolled: 1-line block ×5, first 2 shown]
	v_add_f64 v[15:16], v[15:16], v[35:36]
	v_add_f64 v[15:16], v[21:22], v[15:16]
	;; [unrolled: 1-line block ×3, first 2 shown]
	v_mul_f64 v[27:28], v[17:18], v[21:22]
	v_add_f64 v[65:66], v[67:68], -v[21:22]
	v_mul_f64 v[35:36], v[23:24], v[27:28]
	v_add_f64 v[15:16], v[15:16], v[65:66]
	v_fma_f64 v[23:24], v[27:28], v[23:24], -v[35:36]
	v_fma_f64 v[19:20], v[27:28], v[19:20], v[23:24]
	v_add_f64 v[23:24], v[35:36], v[19:20]
	v_add_f64 v[63:64], v[21:22], -v[23:24]
	v_add_f64 v[35:36], v[23:24], -v[35:36]
	;; [unrolled: 1-line block ×5, first 2 shown]
	v_add_f64 v[15:16], v[15:16], v[21:22]
	v_add_f64 v[21:22], v[25:26], v[27:28]
	;; [unrolled: 1-line block ×3, first 2 shown]
	v_add_f64 v[19:20], v[21:22], -v[25:26]
	v_add_f64 v[15:16], v[63:64], v[15:16]
	v_add_f64 v[19:20], v[27:28], -v[19:20]
	v_mul_f64 v[15:16], v[17:18], v[15:16]
	v_add_f64 v[15:16], v[19:20], v[15:16]
	v_add_f64 v[17:18], v[21:22], v[15:16]
	v_mul_f64 v[19:20], v[17:18], v[17:18]
	v_fma_f64 v[23:24], v[19:20], s[16:17], s[14:15]
	s_mov_b32 s14, 0xd7f4df2e
	s_mov_b32 s15, 0x3fc7474d
	v_mul_f64 v[25:26], v[17:18], v[19:20]
	v_fma_f64 v[23:24], v[19:20], v[23:24], s[14:15]
	s_mov_b32 s14, 0x16291751
	s_mov_b32 s15, 0x3fcc71c0
	v_fma_f64 v[23:24], v[19:20], v[23:24], s[14:15]
	s_mov_b32 s14, 0x9b27acf1
	s_mov_b32 s15, 0x3fd24924
	;; [unrolled: 3-line block ×3, first 2 shown]
	v_fma_f64 v[23:24], v[19:20], v[23:24], s[14:15]
	v_fma_f64 v[19:20], v[19:20], v[23:24], s[4:5]
	v_ldexp_f64 v[23:24], v[17:18], 1
	v_add_f64 v[17:18], v[17:18], -v[21:22]
	v_cmp_nge_f64_e64 s4, -1.0, v[13:14]
	v_cmp_neq_f64_e64 s5, 0x7ff00000, v[13:14]
	v_mul_f64 v[19:20], v[25:26], v[19:20]
	v_cvt_f64_i32_e32 v[25:26], v69
	v_add_f64 v[15:16], v[15:16], -v[17:18]
	s_and_b32 s4, s4, s5
	v_add_f64 v[21:22], v[23:24], v[19:20]
	v_mul_f64 v[27:28], v[25:26], s[6:7]
	v_ldexp_f64 v[15:16], v[15:16], 1
	v_add_f64 v[17:18], v[21:22], -v[23:24]
	v_fma_f64 v[23:24], v[25:26], s[6:7], -v[27:28]
	v_cmp_ngt_f64_e64 s6, -1.0, v[13:14]
	v_add_f64 v[17:18], v[19:20], -v[17:18]
	v_fma_f64 v[19:20], v[25:26], s[8:9], v[23:24]
	v_add_f64 v[15:16], v[15:16], v[17:18]
	v_add_f64 v[17:18], v[27:28], v[19:20]
	;; [unrolled: 1-line block ×3, first 2 shown]
	v_add_f64 v[27:28], v[17:18], -v[27:28]
	v_add_f64 v[25:26], v[17:18], v[23:24]
	v_add_f64 v[21:22], v[23:24], -v[21:22]
	v_add_f64 v[19:20], v[19:20], -v[27:28]
	;; [unrolled: 1-line block ×6, first 2 shown]
	v_add_f64 v[23:24], v[19:20], v[15:16]
	v_add_f64 v[17:18], v[17:18], -v[63:64]
	v_add_f64 v[17:18], v[21:22], v[17:18]
	v_add_f64 v[21:22], v[23:24], -v[19:20]
	;; [unrolled: 2-line block ×3, first 2 shown]
	v_add_f64 v[15:16], v[15:16], -v[21:22]
	v_add_f64 v[27:28], v[25:26], v[17:18]
	v_add_f64 v[19:20], v[19:20], -v[23:24]
	v_add_f64 v[21:22], v[27:28], -v[25:26]
	v_add_f64 v[15:16], v[15:16], v[19:20]
	v_add_f64 v[17:18], v[17:18], -v[21:22]
	v_add_f64 v[15:16], v[15:16], v[17:18]
	v_add_f64 v[15:16], v[27:28], v[15:16]
	v_cndmask_b32_e64 v15, 0, v15, s4
	v_cmp_neq_f64_e64 s4, -1.0, v[13:14]
	v_cndmask_b32_e64 v16, 0x7ff00000, v16, s5
	v_cndmask_b32_e64 v16, 0x7ff80000, v16, s6
	;; [unrolled: 1-line block ×3, first 2 shown]
	v_add_f64 v[35:36], v[11:12], v[15:16]
.LBB9_204:
	s_or_b32 exec_lo, exec_lo, s10
	v_max_f64 v[11:12], v[55:56], v[55:56]
	v_max_f64 v[13:14], v[35:36], v[35:36]
	v_cmp_u_f64_e64 s5, v[35:36], v[35:36]
	v_cmp_u_f64_e64 s4, v[55:56], v[55:56]
	v_min_f64 v[15:16], v[13:14], v[11:12]
	v_max_f64 v[13:14], v[13:14], v[11:12]
	v_cndmask_b32_e64 v15, v15, v35, s5
	v_cndmask_b32_e64 v16, v16, v36, s5
	;; [unrolled: 1-line block ×8, first 2 shown]
	v_cmp_class_f64_e64 s6, v[15:16], 0x1f8
	v_cmp_neq_f64_e64 s5, v[15:16], v[13:14]
	s_or_b32 s5, s5, s6
	s_and_saveexec_b32 s12, s5
	s_cbranch_execz .LBB9_206
; %bb.205:
	v_add_f64 v[15:16], v[15:16], -v[13:14]
	s_mov_b32 s6, 0x652b82fe
	s_mov_b32 s7, 0x3ff71547
	s_mov_b32 s9, 0xbfe62e42
	s_mov_b32 s8, 0xfefa39ef
	s_mov_b32 s11, 0xbc7abc9e
	s_mov_b32 s10, 0x3b39803f
	s_mov_b32 s14, 0x6a5dcb37
	s_mov_b32 s15, 0x3e5ade15
	s_mov_b32 s16, 0xbf559e2b
	s_mov_b32 s17, 0x3fc3ab76
	v_mul_f64 v[17:18], v[15:16], s[6:7]
	s_mov_b32 s6, 0xfca7ab0c
	s_mov_b32 s7, 0x3e928af3
	v_cmp_nlt_f64_e64 s5, 0x40900000, v[15:16]
	v_rndne_f64_e32 v[17:18], v[17:18]
	v_fma_f64 v[19:20], v[17:18], s[8:9], v[15:16]
	v_cvt_i32_f64_e32 v23, v[17:18]
	s_mov_b32 s9, 0x3fe62e42
	v_fma_f64 v[19:20], v[17:18], s[10:11], v[19:20]
	s_mov_b32 s11, 0x3c7abc9e
	v_fma_f64 v[21:22], v[19:20], s[14:15], s[6:7]
	s_mov_b32 s6, 0x623fde64
	s_mov_b32 s7, 0x3ec71dee
	;; [unrolled: 1-line block ×4, first 2 shown]
	v_fma_f64 v[21:22], v[19:20], v[21:22], s[6:7]
	s_mov_b32 s6, 0x7c89e6b0
	s_mov_b32 s7, 0x3efa0199
	v_fma_f64 v[21:22], v[19:20], v[21:22], s[6:7]
	s_mov_b32 s6, 0x14761f6e
	s_mov_b32 s7, 0x3f2a01a0
	;; [unrolled: 3-line block ×7, first 2 shown]
	v_fma_f64 v[21:22], v[19:20], v[21:22], s[6:7]
	v_cmp_ngt_f64_e64 s6, 0xc090cc00, v[15:16]
	s_mov_b32 s7, 0x3fe55555
	v_fma_f64 v[21:22], v[19:20], v[21:22], 1.0
	v_fma_f64 v[17:18], v[19:20], v[21:22], 1.0
	v_ldexp_f64 v[17:18], v[17:18], v23
	v_cndmask_b32_e64 v18, 0x7ff00000, v18, s5
	s_and_b32 s5, s6, s5
	v_cndmask_b32_e64 v15, 0, v17, s5
	v_cndmask_b32_e64 v16, 0, v18, s6
	s_mov_b32 s6, 0x55555555
	v_add_f64 v[17:18], v[15:16], 1.0
	v_frexp_mant_f64_e32 v[19:20], v[17:18]
	v_frexp_exp_i32_f64_e32 v23, v[17:18]
	v_add_f64 v[21:22], v[17:18], -1.0
	v_cmp_gt_f64_e64 s5, s[6:7], v[19:20]
	s_mov_b32 s6, 0x55555780
	v_add_f64 v[19:20], v[21:22], -v[17:18]
	v_add_f64 v[21:22], v[15:16], -v[21:22]
	v_subrev_co_ci_u32_e64 v71, null, 0, v23, s5
	v_add_f64 v[19:20], v[19:20], 1.0
	v_cmp_nge_f64_e64 s5, -1.0, v[15:16]
	v_sub_nc_u32_e32 v25, 0, v71
	v_ldexp_f64 v[17:18], v[17:18], v25
	v_add_f64 v[19:20], v[21:22], v[19:20]
	v_add_f64 v[23:24], v[17:18], 1.0
	v_add_f64 v[35:36], v[17:18], -1.0
	v_ldexp_f64 v[19:20], v[19:20], v25
	v_add_f64 v[21:22], v[23:24], -1.0
	v_add_f64 v[63:64], v[35:36], 1.0
	v_add_f64 v[21:22], v[17:18], -v[21:22]
	v_add_f64 v[17:18], v[17:18], -v[63:64]
	v_add_f64 v[21:22], v[19:20], v[21:22]
	v_add_f64 v[17:18], v[19:20], v[17:18]
	;; [unrolled: 1-line block ×4, first 2 shown]
	v_rcp_f64_e32 v[27:28], v[25:26]
	v_add_f64 v[23:24], v[25:26], -v[23:24]
	v_add_f64 v[35:36], v[63:64], -v[35:36]
	;; [unrolled: 1-line block ×3, first 2 shown]
	v_fma_f64 v[65:66], -v[25:26], v[27:28], 1.0
	v_add_f64 v[17:18], v[17:18], -v[35:36]
	v_fma_f64 v[27:28], v[65:66], v[27:28], v[27:28]
	v_fma_f64 v[19:20], -v[25:26], v[27:28], 1.0
	v_fma_f64 v[19:20], v[19:20], v[27:28], v[27:28]
	v_mul_f64 v[27:28], v[63:64], v[19:20]
	v_mul_f64 v[65:66], v[25:26], v[27:28]
	v_fma_f64 v[23:24], v[27:28], v[25:26], -v[65:66]
	v_fma_f64 v[23:24], v[27:28], v[21:22], v[23:24]
	v_add_f64 v[67:68], v[65:66], v[23:24]
	v_add_f64 v[69:70], v[63:64], -v[67:68]
	v_add_f64 v[35:36], v[67:68], -v[65:66]
	;; [unrolled: 1-line block ×5, first 2 shown]
	v_add_f64 v[17:18], v[17:18], v[63:64]
	v_add_f64 v[17:18], v[23:24], v[17:18]
	;; [unrolled: 1-line block ×3, first 2 shown]
	v_mul_f64 v[35:36], v[19:20], v[23:24]
	v_add_f64 v[67:68], v[69:70], -v[23:24]
	v_mul_f64 v[63:64], v[25:26], v[35:36]
	v_add_f64 v[17:18], v[17:18], v[67:68]
	v_fma_f64 v[25:26], v[35:36], v[25:26], -v[63:64]
	v_fma_f64 v[21:22], v[35:36], v[21:22], v[25:26]
	v_add_f64 v[25:26], v[63:64], v[21:22]
	v_add_f64 v[65:66], v[23:24], -v[25:26]
	v_add_f64 v[63:64], v[25:26], -v[63:64]
	v_add_f64 v[23:24], v[23:24], -v[65:66]
	v_add_f64 v[21:22], v[63:64], -v[21:22]
	v_add_f64 v[23:24], v[23:24], -v[25:26]
	v_add_f64 v[17:18], v[17:18], v[23:24]
	v_add_f64 v[23:24], v[27:28], v[35:36]
	v_add_f64 v[17:18], v[21:22], v[17:18]
	v_add_f64 v[21:22], v[23:24], -v[27:28]
	v_add_f64 v[17:18], v[65:66], v[17:18]
	v_add_f64 v[21:22], v[35:36], -v[21:22]
	v_mul_f64 v[17:18], v[19:20], v[17:18]
	v_add_f64 v[17:18], v[21:22], v[17:18]
	v_add_f64 v[19:20], v[23:24], v[17:18]
	v_mul_f64 v[21:22], v[19:20], v[19:20]
	v_fma_f64 v[25:26], v[21:22], s[16:17], s[14:15]
	s_mov_b32 s14, 0xd7f4df2e
	s_mov_b32 s15, 0x3fc7474d
	v_mul_f64 v[27:28], v[19:20], v[21:22]
	v_fma_f64 v[25:26], v[21:22], v[25:26], s[14:15]
	s_mov_b32 s14, 0x16291751
	s_mov_b32 s15, 0x3fcc71c0
	v_fma_f64 v[25:26], v[21:22], v[25:26], s[14:15]
	s_mov_b32 s14, 0x9b27acf1
	s_mov_b32 s15, 0x3fd24924
	;; [unrolled: 3-line block ×3, first 2 shown]
	v_fma_f64 v[25:26], v[21:22], v[25:26], s[14:15]
	v_fma_f64 v[21:22], v[21:22], v[25:26], s[6:7]
	v_ldexp_f64 v[25:26], v[19:20], 1
	v_add_f64 v[19:20], v[19:20], -v[23:24]
	v_cmp_neq_f64_e64 s6, 0x7ff00000, v[15:16]
	v_cmp_ngt_f64_e64 s7, -1.0, v[15:16]
	v_mul_f64 v[21:22], v[27:28], v[21:22]
	v_cvt_f64_i32_e32 v[27:28], v71
	v_add_f64 v[17:18], v[17:18], -v[19:20]
	s_and_b32 s5, s5, s6
	v_add_f64 v[23:24], v[25:26], v[21:22]
	v_mul_f64 v[35:36], v[27:28], s[8:9]
	v_ldexp_f64 v[17:18], v[17:18], 1
	v_add_f64 v[19:20], v[23:24], -v[25:26]
	v_fma_f64 v[25:26], v[27:28], s[8:9], -v[35:36]
	v_add_f64 v[19:20], v[21:22], -v[19:20]
	v_fma_f64 v[21:22], v[27:28], s[10:11], v[25:26]
	v_add_f64 v[17:18], v[17:18], v[19:20]
	v_add_f64 v[19:20], v[35:36], v[21:22]
	;; [unrolled: 1-line block ×3, first 2 shown]
	v_add_f64 v[35:36], v[19:20], -v[35:36]
	v_add_f64 v[27:28], v[19:20], v[25:26]
	v_add_f64 v[23:24], v[25:26], -v[23:24]
	v_add_f64 v[21:22], v[21:22], -v[35:36]
	;; [unrolled: 1-line block ×6, first 2 shown]
	v_add_f64 v[25:26], v[21:22], v[17:18]
	v_add_f64 v[19:20], v[19:20], -v[65:66]
	v_add_f64 v[19:20], v[23:24], v[19:20]
	v_add_f64 v[23:24], v[25:26], -v[21:22]
	;; [unrolled: 2-line block ×3, first 2 shown]
	v_add_f64 v[17:18], v[17:18], -v[23:24]
	v_add_f64 v[35:36], v[27:28], v[19:20]
	v_add_f64 v[21:22], v[21:22], -v[25:26]
	v_add_f64 v[23:24], v[35:36], -v[27:28]
	v_add_f64 v[17:18], v[17:18], v[21:22]
	v_add_f64 v[19:20], v[19:20], -v[23:24]
	v_add_f64 v[17:18], v[17:18], v[19:20]
	v_add_f64 v[17:18], v[35:36], v[17:18]
	v_cndmask_b32_e64 v17, 0, v17, s5
	v_cmp_neq_f64_e64 s5, -1.0, v[15:16]
	v_cndmask_b32_e64 v18, 0x7ff00000, v18, s6
	v_cndmask_b32_e64 v18, 0x7ff80000, v18, s7
	;; [unrolled: 1-line block ×3, first 2 shown]
	v_add_f64 v[35:36], v[13:14], v[17:18]
.LBB9_206:
	s_or_b32 exec_lo, exec_lo, s12
	v_max_f64 v[13:14], v[49:50], v[49:50]
	v_max_f64 v[15:16], v[35:36], v[35:36]
	v_cmp_u_f64_e64 s6, v[35:36], v[35:36]
	v_cmp_u_f64_e64 s5, v[49:50], v[49:50]
	v_min_f64 v[17:18], v[15:16], v[13:14]
	v_max_f64 v[15:16], v[15:16], v[13:14]
	v_cndmask_b32_e64 v17, v17, v35, s6
	v_cndmask_b32_e64 v18, v18, v36, s6
	;; [unrolled: 1-line block ×8, first 2 shown]
	v_cmp_class_f64_e64 s7, v[17:18], 0x1f8
	v_cmp_neq_f64_e64 s6, v[17:18], v[15:16]
	s_or_b32 s6, s6, s7
	s_and_saveexec_b32 s12, s6
	s_cbranch_execz .LBB9_208
; %bb.207:
	v_add_f64 v[17:18], v[17:18], -v[15:16]
	s_mov_b32 s6, 0x652b82fe
	s_mov_b32 s7, 0x3ff71547
	;; [unrolled: 1-line block ×10, first 2 shown]
	v_mul_f64 v[19:20], v[17:18], s[6:7]
	s_mov_b32 s6, 0xfca7ab0c
	s_mov_b32 s7, 0x3e928af3
	v_rndne_f64_e32 v[19:20], v[19:20]
	v_fma_f64 v[21:22], v[19:20], s[8:9], v[17:18]
	v_cvt_i32_f64_e32 v25, v[19:20]
	s_mov_b32 s9, 0x3fe62e42
	v_fma_f64 v[21:22], v[19:20], s[10:11], v[21:22]
	s_mov_b32 s11, 0x3c7abc9e
	v_fma_f64 v[23:24], v[21:22], s[14:15], s[6:7]
	s_mov_b32 s6, 0x623fde64
	s_mov_b32 s7, 0x3ec71dee
	;; [unrolled: 1-line block ×4, first 2 shown]
	v_fma_f64 v[23:24], v[21:22], v[23:24], s[6:7]
	s_mov_b32 s6, 0x7c89e6b0
	s_mov_b32 s7, 0x3efa0199
	v_fma_f64 v[23:24], v[21:22], v[23:24], s[6:7]
	s_mov_b32 s6, 0x14761f6e
	s_mov_b32 s7, 0x3f2a01a0
	;; [unrolled: 3-line block ×7, first 2 shown]
	v_fma_f64 v[23:24], v[21:22], v[23:24], s[6:7]
	v_cmp_nlt_f64_e64 s6, 0x40900000, v[17:18]
	v_cmp_ngt_f64_e64 s7, 0xc090cc00, v[17:18]
	v_fma_f64 v[23:24], v[21:22], v[23:24], 1.0
	v_fma_f64 v[19:20], v[21:22], v[23:24], 1.0
	v_ldexp_f64 v[19:20], v[19:20], v25
	v_cndmask_b32_e64 v20, 0x7ff00000, v20, s6
	s_and_b32 s6, s7, s6
	v_cndmask_b32_e64 v17, 0, v19, s6
	s_mov_b32 s6, 0x55555555
	v_cndmask_b32_e64 v18, 0, v20, s7
	s_mov_b32 s7, 0x3fe55555
	v_add_f64 v[19:20], v[17:18], 1.0
	v_frexp_mant_f64_e32 v[21:22], v[19:20]
	v_frexp_exp_i32_f64_e32 v25, v[19:20]
	v_add_f64 v[23:24], v[19:20], -1.0
	v_cmp_gt_f64_e64 s6, s[6:7], v[21:22]
	v_add_f64 v[21:22], v[23:24], -v[19:20]
	v_add_f64 v[23:24], v[17:18], -v[23:24]
	v_subrev_co_ci_u32_e64 v73, null, 0, v25, s6
	v_add_f64 v[21:22], v[21:22], 1.0
	s_mov_b32 s6, 0x55555780
	v_sub_nc_u32_e32 v27, 0, v73
	v_ldexp_f64 v[19:20], v[19:20], v27
	v_add_f64 v[21:22], v[23:24], v[21:22]
	v_add_f64 v[25:26], v[19:20], 1.0
	v_add_f64 v[63:64], v[19:20], -1.0
	v_ldexp_f64 v[21:22], v[21:22], v27
	v_add_f64 v[23:24], v[25:26], -1.0
	v_add_f64 v[65:66], v[63:64], 1.0
	v_add_f64 v[23:24], v[19:20], -v[23:24]
	v_add_f64 v[19:20], v[19:20], -v[65:66]
	v_add_f64 v[23:24], v[21:22], v[23:24]
	v_add_f64 v[19:20], v[21:22], v[19:20]
	;; [unrolled: 1-line block ×4, first 2 shown]
	v_rcp_f64_e32 v[35:36], v[27:28]
	v_add_f64 v[25:26], v[27:28], -v[25:26]
	v_add_f64 v[63:64], v[65:66], -v[63:64]
	;; [unrolled: 1-line block ×3, first 2 shown]
	v_fma_f64 v[67:68], -v[27:28], v[35:36], 1.0
	v_add_f64 v[19:20], v[19:20], -v[63:64]
	v_fma_f64 v[35:36], v[67:68], v[35:36], v[35:36]
	v_fma_f64 v[21:22], -v[27:28], v[35:36], 1.0
	v_fma_f64 v[21:22], v[21:22], v[35:36], v[35:36]
	v_mul_f64 v[35:36], v[65:66], v[21:22]
	v_mul_f64 v[67:68], v[27:28], v[35:36]
	v_fma_f64 v[25:26], v[35:36], v[27:28], -v[67:68]
	v_fma_f64 v[25:26], v[35:36], v[23:24], v[25:26]
	v_add_f64 v[69:70], v[67:68], v[25:26]
	v_add_f64 v[71:72], v[65:66], -v[69:70]
	v_add_f64 v[63:64], v[69:70], -v[67:68]
	;; [unrolled: 1-line block ×5, first 2 shown]
	v_add_f64 v[19:20], v[19:20], v[65:66]
	v_add_f64 v[19:20], v[25:26], v[19:20]
	;; [unrolled: 1-line block ×3, first 2 shown]
	v_mul_f64 v[63:64], v[21:22], v[25:26]
	v_add_f64 v[69:70], v[71:72], -v[25:26]
	v_mul_f64 v[65:66], v[27:28], v[63:64]
	v_add_f64 v[19:20], v[19:20], v[69:70]
	v_fma_f64 v[27:28], v[63:64], v[27:28], -v[65:66]
	v_fma_f64 v[23:24], v[63:64], v[23:24], v[27:28]
	v_add_f64 v[27:28], v[65:66], v[23:24]
	v_add_f64 v[67:68], v[25:26], -v[27:28]
	v_add_f64 v[65:66], v[27:28], -v[65:66]
	;; [unrolled: 1-line block ×5, first 2 shown]
	v_add_f64 v[19:20], v[19:20], v[25:26]
	v_add_f64 v[25:26], v[35:36], v[63:64]
	;; [unrolled: 1-line block ×3, first 2 shown]
	v_add_f64 v[23:24], v[25:26], -v[35:36]
	v_add_f64 v[19:20], v[67:68], v[19:20]
	v_add_f64 v[23:24], v[63:64], -v[23:24]
	v_mul_f64 v[19:20], v[21:22], v[19:20]
	v_add_f64 v[19:20], v[23:24], v[19:20]
	v_add_f64 v[21:22], v[25:26], v[19:20]
	v_mul_f64 v[23:24], v[21:22], v[21:22]
	v_fma_f64 v[27:28], v[23:24], s[16:17], s[14:15]
	s_mov_b32 s14, 0xd7f4df2e
	s_mov_b32 s15, 0x3fc7474d
	v_mul_f64 v[35:36], v[21:22], v[23:24]
	v_fma_f64 v[27:28], v[23:24], v[27:28], s[14:15]
	s_mov_b32 s14, 0x16291751
	s_mov_b32 s15, 0x3fcc71c0
	v_fma_f64 v[27:28], v[23:24], v[27:28], s[14:15]
	s_mov_b32 s14, 0x9b27acf1
	s_mov_b32 s15, 0x3fd24924
	;; [unrolled: 3-line block ×3, first 2 shown]
	v_fma_f64 v[27:28], v[23:24], v[27:28], s[14:15]
	v_fma_f64 v[23:24], v[23:24], v[27:28], s[6:7]
	v_ldexp_f64 v[27:28], v[21:22], 1
	v_add_f64 v[21:22], v[21:22], -v[25:26]
	v_cmp_nge_f64_e64 s6, -1.0, v[17:18]
	v_cmp_neq_f64_e64 s7, 0x7ff00000, v[17:18]
	v_mul_f64 v[23:24], v[35:36], v[23:24]
	v_cvt_f64_i32_e32 v[35:36], v73
	v_add_f64 v[19:20], v[19:20], -v[21:22]
	s_and_b32 s6, s6, s7
	v_add_f64 v[25:26], v[27:28], v[23:24]
	v_mul_f64 v[63:64], v[35:36], s[8:9]
	v_ldexp_f64 v[19:20], v[19:20], 1
	v_add_f64 v[21:22], v[25:26], -v[27:28]
	v_fma_f64 v[27:28], v[35:36], s[8:9], -v[63:64]
	v_cmp_ngt_f64_e64 s8, -1.0, v[17:18]
	v_add_f64 v[21:22], v[23:24], -v[21:22]
	v_fma_f64 v[23:24], v[35:36], s[10:11], v[27:28]
	v_add_f64 v[19:20], v[19:20], v[21:22]
	v_add_f64 v[21:22], v[63:64], v[23:24]
	;; [unrolled: 1-line block ×3, first 2 shown]
	v_add_f64 v[63:64], v[21:22], -v[63:64]
	v_add_f64 v[35:36], v[21:22], v[27:28]
	v_add_f64 v[25:26], v[27:28], -v[25:26]
	v_add_f64 v[23:24], v[23:24], -v[63:64]
	;; [unrolled: 1-line block ×6, first 2 shown]
	v_add_f64 v[27:28], v[23:24], v[19:20]
	v_add_f64 v[21:22], v[21:22], -v[67:68]
	v_add_f64 v[21:22], v[25:26], v[21:22]
	v_add_f64 v[25:26], v[27:28], -v[23:24]
	;; [unrolled: 2-line block ×3, first 2 shown]
	v_add_f64 v[19:20], v[19:20], -v[25:26]
	v_add_f64 v[63:64], v[35:36], v[21:22]
	v_add_f64 v[23:24], v[23:24], -v[27:28]
	v_add_f64 v[25:26], v[63:64], -v[35:36]
	v_add_f64 v[19:20], v[19:20], v[23:24]
	v_add_f64 v[21:22], v[21:22], -v[25:26]
	v_add_f64 v[19:20], v[19:20], v[21:22]
	v_add_f64 v[19:20], v[63:64], v[19:20]
	v_cndmask_b32_e64 v19, 0, v19, s6
	v_cmp_neq_f64_e64 s6, -1.0, v[17:18]
	v_cndmask_b32_e64 v20, 0x7ff00000, v20, s7
	v_cndmask_b32_e64 v20, 0x7ff80000, v20, s8
	;; [unrolled: 1-line block ×3, first 2 shown]
	v_add_f64 v[35:36], v[15:16], v[19:20]
.LBB9_208:
	s_or_b32 exec_lo, exec_lo, s12
	v_max_f64 v[15:16], v[51:52], v[51:52]
	v_max_f64 v[17:18], v[35:36], v[35:36]
	v_cmp_u_f64_e64 s7, v[35:36], v[35:36]
	v_cmp_u_f64_e64 s6, v[51:52], v[51:52]
	v_min_f64 v[19:20], v[17:18], v[15:16]
	v_max_f64 v[17:18], v[17:18], v[15:16]
	v_cndmask_b32_e64 v19, v19, v35, s7
	v_cndmask_b32_e64 v20, v20, v36, s7
	v_cndmask_b32_e64 v18, v18, v36, s7
	v_cndmask_b32_e64 v17, v17, v35, s7
	v_cndmask_b32_e64 v19, v19, v51, s6
	v_cndmask_b32_e64 v20, v20, v52, s6
	v_cndmask_b32_e64 v18, v18, v52, s6
	v_cndmask_b32_e64 v17, v17, v51, s6
	v_cmp_class_f64_e64 s8, v[19:20], 0x1f8
	v_cmp_neq_f64_e64 s7, v[19:20], v[17:18]
	s_or_b32 s7, s7, s8
	s_and_saveexec_b32 s12, s7
	s_cbranch_execz .LBB9_210
; %bb.209:
	v_add_f64 v[19:20], v[19:20], -v[17:18]
	s_mov_b32 s8, 0x652b82fe
	s_mov_b32 s9, 0x3ff71547
	;; [unrolled: 1-line block ×10, first 2 shown]
	v_mul_f64 v[21:22], v[19:20], s[8:9]
	s_mov_b32 s8, 0xfca7ab0c
	s_mov_b32 s9, 0x3e928af3
	v_cmp_nlt_f64_e64 s7, 0x40900000, v[19:20]
	v_rndne_f64_e32 v[21:22], v[21:22]
	v_fma_f64 v[23:24], v[21:22], s[10:11], v[19:20]
	v_cvt_i32_f64_e32 v27, v[21:22]
	s_mov_b32 s11, 0x3fe62e42
	v_fma_f64 v[23:24], v[21:22], s[14:15], v[23:24]
	s_mov_b32 s15, 0x3c7abc9e
	v_fma_f64 v[25:26], v[23:24], s[16:17], s[8:9]
	s_mov_b32 s8, 0x623fde64
	s_mov_b32 s9, 0x3ec71dee
	;; [unrolled: 1-line block ×4, first 2 shown]
	v_fma_f64 v[25:26], v[23:24], v[25:26], s[8:9]
	s_mov_b32 s8, 0x7c89e6b0
	s_mov_b32 s9, 0x3efa0199
	v_fma_f64 v[25:26], v[23:24], v[25:26], s[8:9]
	s_mov_b32 s8, 0x14761f6e
	s_mov_b32 s9, 0x3f2a01a0
	;; [unrolled: 3-line block ×7, first 2 shown]
	v_fma_f64 v[25:26], v[23:24], v[25:26], s[8:9]
	v_cmp_ngt_f64_e64 s8, 0xc090cc00, v[19:20]
	s_mov_b32 s9, 0x3fe55555
	v_fma_f64 v[25:26], v[23:24], v[25:26], 1.0
	v_fma_f64 v[21:22], v[23:24], v[25:26], 1.0
	v_ldexp_f64 v[21:22], v[21:22], v27
	v_cndmask_b32_e64 v22, 0x7ff00000, v22, s7
	s_and_b32 s7, s8, s7
	v_cndmask_b32_e64 v19, 0, v21, s7
	v_cndmask_b32_e64 v20, 0, v22, s8
	s_mov_b32 s8, 0x55555555
	v_add_f64 v[21:22], v[19:20], 1.0
	v_frexp_mant_f64_e32 v[23:24], v[21:22]
	v_frexp_exp_i32_f64_e32 v27, v[21:22]
	v_add_f64 v[25:26], v[21:22], -1.0
	v_cmp_gt_f64_e64 s7, s[8:9], v[23:24]
	s_mov_b32 s8, 0x55555780
	v_add_f64 v[23:24], v[25:26], -v[21:22]
	v_add_f64 v[25:26], v[19:20], -v[25:26]
	v_subrev_co_ci_u32_e64 v77, null, 0, v27, s7
	v_add_f64 v[23:24], v[23:24], 1.0
	v_cmp_nge_f64_e64 s7, -1.0, v[19:20]
	v_sub_nc_u32_e32 v35, 0, v77
	v_ldexp_f64 v[21:22], v[21:22], v35
	v_add_f64 v[23:24], v[25:26], v[23:24]
	v_add_f64 v[27:28], v[21:22], 1.0
	v_add_f64 v[65:66], v[21:22], -1.0
	v_ldexp_f64 v[23:24], v[23:24], v35
	v_add_f64 v[25:26], v[27:28], -1.0
	v_add_f64 v[67:68], v[65:66], 1.0
	v_add_f64 v[25:26], v[21:22], -v[25:26]
	v_add_f64 v[21:22], v[21:22], -v[67:68]
	v_add_f64 v[25:26], v[23:24], v[25:26]
	v_add_f64 v[21:22], v[23:24], v[21:22]
	;; [unrolled: 1-line block ×4, first 2 shown]
	v_rcp_f64_e32 v[63:64], v[35:36]
	v_add_f64 v[27:28], v[35:36], -v[27:28]
	v_add_f64 v[65:66], v[67:68], -v[65:66]
	;; [unrolled: 1-line block ×3, first 2 shown]
	v_fma_f64 v[69:70], -v[35:36], v[63:64], 1.0
	v_add_f64 v[21:22], v[21:22], -v[65:66]
	v_fma_f64 v[63:64], v[69:70], v[63:64], v[63:64]
	v_fma_f64 v[23:24], -v[35:36], v[63:64], 1.0
	v_fma_f64 v[23:24], v[23:24], v[63:64], v[63:64]
	v_mul_f64 v[63:64], v[67:68], v[23:24]
	v_mul_f64 v[69:70], v[35:36], v[63:64]
	v_fma_f64 v[27:28], v[63:64], v[35:36], -v[69:70]
	v_fma_f64 v[27:28], v[63:64], v[25:26], v[27:28]
	v_add_f64 v[71:72], v[69:70], v[27:28]
	v_add_f64 v[73:74], v[67:68], -v[71:72]
	v_add_f64 v[65:66], v[71:72], -v[69:70]
	;; [unrolled: 1-line block ×5, first 2 shown]
	v_add_f64 v[21:22], v[21:22], v[67:68]
	v_add_f64 v[21:22], v[27:28], v[21:22]
	v_add_f64 v[27:28], v[73:74], v[21:22]
	v_mul_f64 v[65:66], v[23:24], v[27:28]
	v_add_f64 v[71:72], v[73:74], -v[27:28]
	v_mul_f64 v[67:68], v[35:36], v[65:66]
	v_add_f64 v[21:22], v[21:22], v[71:72]
	v_fma_f64 v[35:36], v[65:66], v[35:36], -v[67:68]
	v_fma_f64 v[25:26], v[65:66], v[25:26], v[35:36]
	v_add_f64 v[35:36], v[67:68], v[25:26]
	v_add_f64 v[69:70], v[27:28], -v[35:36]
	v_add_f64 v[67:68], v[35:36], -v[67:68]
	;; [unrolled: 1-line block ×5, first 2 shown]
	v_add_f64 v[21:22], v[21:22], v[27:28]
	v_add_f64 v[27:28], v[63:64], v[65:66]
	v_add_f64 v[21:22], v[25:26], v[21:22]
	v_add_f64 v[25:26], v[27:28], -v[63:64]
	v_add_f64 v[21:22], v[69:70], v[21:22]
	v_add_f64 v[25:26], v[65:66], -v[25:26]
	v_mul_f64 v[21:22], v[23:24], v[21:22]
	v_add_f64 v[21:22], v[25:26], v[21:22]
	v_add_f64 v[23:24], v[27:28], v[21:22]
	v_mul_f64 v[25:26], v[23:24], v[23:24]
	v_fma_f64 v[35:36], v[25:26], s[24:25], s[16:17]
	s_mov_b32 s16, 0xd7f4df2e
	s_mov_b32 s17, 0x3fc7474d
	v_mul_f64 v[63:64], v[23:24], v[25:26]
	v_fma_f64 v[35:36], v[25:26], v[35:36], s[16:17]
	s_mov_b32 s16, 0x16291751
	s_mov_b32 s17, 0x3fcc71c0
	v_fma_f64 v[35:36], v[25:26], v[35:36], s[16:17]
	s_mov_b32 s16, 0x9b27acf1
	s_mov_b32 s17, 0x3fd24924
	;; [unrolled: 3-line block ×3, first 2 shown]
	v_fma_f64 v[35:36], v[25:26], v[35:36], s[16:17]
	v_fma_f64 v[25:26], v[25:26], v[35:36], s[8:9]
	v_ldexp_f64 v[35:36], v[23:24], 1
	v_add_f64 v[23:24], v[23:24], -v[27:28]
	v_cmp_neq_f64_e64 s8, 0x7ff00000, v[19:20]
	v_cmp_ngt_f64_e64 s9, -1.0, v[19:20]
	v_mul_f64 v[25:26], v[63:64], v[25:26]
	v_cvt_f64_i32_e32 v[63:64], v77
	v_add_f64 v[21:22], v[21:22], -v[23:24]
	s_and_b32 s7, s7, s8
	v_add_f64 v[27:28], v[35:36], v[25:26]
	v_mul_f64 v[65:66], v[63:64], s[10:11]
	v_ldexp_f64 v[21:22], v[21:22], 1
	v_add_f64 v[23:24], v[27:28], -v[35:36]
	v_fma_f64 v[35:36], v[63:64], s[10:11], -v[65:66]
	v_add_f64 v[23:24], v[25:26], -v[23:24]
	v_fma_f64 v[25:26], v[63:64], s[14:15], v[35:36]
	v_add_f64 v[21:22], v[21:22], v[23:24]
	v_add_f64 v[23:24], v[65:66], v[25:26]
	;; [unrolled: 1-line block ×3, first 2 shown]
	v_add_f64 v[65:66], v[23:24], -v[65:66]
	v_add_f64 v[63:64], v[23:24], v[35:36]
	v_add_f64 v[27:28], v[35:36], -v[27:28]
	v_add_f64 v[25:26], v[25:26], -v[65:66]
	;; [unrolled: 1-line block ×6, first 2 shown]
	v_add_f64 v[35:36], v[25:26], v[21:22]
	v_add_f64 v[23:24], v[23:24], -v[69:70]
	v_add_f64 v[23:24], v[27:28], v[23:24]
	v_add_f64 v[27:28], v[35:36], -v[25:26]
	;; [unrolled: 2-line block ×3, first 2 shown]
	v_add_f64 v[21:22], v[21:22], -v[27:28]
	v_add_f64 v[65:66], v[63:64], v[23:24]
	v_add_f64 v[25:26], v[25:26], -v[35:36]
	v_add_f64 v[27:28], v[65:66], -v[63:64]
	v_add_f64 v[21:22], v[21:22], v[25:26]
	v_add_f64 v[23:24], v[23:24], -v[27:28]
	v_add_f64 v[21:22], v[21:22], v[23:24]
	v_add_f64 v[21:22], v[65:66], v[21:22]
	v_cndmask_b32_e64 v21, 0, v21, s7
	v_cmp_neq_f64_e64 s7, -1.0, v[19:20]
	v_cndmask_b32_e64 v22, 0x7ff00000, v22, s8
	v_cndmask_b32_e64 v22, 0x7ff80000, v22, s9
	;; [unrolled: 1-line block ×3, first 2 shown]
	v_add_f64 v[35:36], v[17:18], v[21:22]
.LBB9_210:
	s_or_b32 exec_lo, exec_lo, s12
	v_max_f64 v[17:18], v[45:46], v[45:46]
	v_max_f64 v[19:20], v[35:36], v[35:36]
	v_cmp_u_f64_e64 s8, v[35:36], v[35:36]
	v_cmp_u_f64_e64 s7, v[45:46], v[45:46]
	v_min_f64 v[21:22], v[19:20], v[17:18]
	v_max_f64 v[19:20], v[19:20], v[17:18]
	v_cndmask_b32_e64 v21, v21, v35, s8
	v_cndmask_b32_e64 v22, v22, v36, s8
	;; [unrolled: 1-line block ×8, first 2 shown]
	v_cmp_class_f64_e64 s9, v[21:22], 0x1f8
	v_cmp_neq_f64_e64 s8, v[21:22], v[19:20]
	s_or_b32 s8, s8, s9
	s_and_saveexec_b32 s12, s8
	s_cbranch_execz .LBB9_212
; %bb.211:
	v_add_f64 v[21:22], v[21:22], -v[19:20]
	s_mov_b32 s8, 0x652b82fe
	s_mov_b32 s9, 0x3ff71547
	;; [unrolled: 1-line block ×10, first 2 shown]
	v_mul_f64 v[23:24], v[21:22], s[8:9]
	s_mov_b32 s8, 0xfca7ab0c
	s_mov_b32 s9, 0x3e928af3
	v_rndne_f64_e32 v[23:24], v[23:24]
	v_fma_f64 v[25:26], v[23:24], s[10:11], v[21:22]
	v_cvt_i32_f64_e32 v35, v[23:24]
	s_mov_b32 s11, 0x3fe62e42
	v_fma_f64 v[25:26], v[23:24], s[14:15], v[25:26]
	s_mov_b32 s15, 0x3c7abc9e
	v_fma_f64 v[27:28], v[25:26], s[16:17], s[8:9]
	s_mov_b32 s8, 0x623fde64
	s_mov_b32 s9, 0x3ec71dee
	;; [unrolled: 1-line block ×4, first 2 shown]
	v_fma_f64 v[27:28], v[25:26], v[27:28], s[8:9]
	s_mov_b32 s8, 0x7c89e6b0
	s_mov_b32 s9, 0x3efa0199
	v_fma_f64 v[27:28], v[25:26], v[27:28], s[8:9]
	s_mov_b32 s8, 0x14761f6e
	s_mov_b32 s9, 0x3f2a01a0
	;; [unrolled: 3-line block ×7, first 2 shown]
	v_fma_f64 v[27:28], v[25:26], v[27:28], s[8:9]
	v_cmp_nlt_f64_e64 s8, 0x40900000, v[21:22]
	v_cmp_ngt_f64_e64 s9, 0xc090cc00, v[21:22]
	v_fma_f64 v[27:28], v[25:26], v[27:28], 1.0
	v_fma_f64 v[23:24], v[25:26], v[27:28], 1.0
	v_ldexp_f64 v[23:24], v[23:24], v35
	v_cndmask_b32_e64 v24, 0x7ff00000, v24, s8
	s_and_b32 s8, s9, s8
	v_cndmask_b32_e64 v21, 0, v23, s8
	s_mov_b32 s8, 0x55555555
	v_cndmask_b32_e64 v22, 0, v24, s9
	s_mov_b32 s9, 0x3fe55555
	v_add_f64 v[23:24], v[21:22], 1.0
	v_frexp_mant_f64_e32 v[25:26], v[23:24]
	v_frexp_exp_i32_f64_e32 v35, v[23:24]
	v_add_f64 v[27:28], v[23:24], -1.0
	v_cmp_gt_f64_e64 s8, s[8:9], v[25:26]
	v_add_f64 v[25:26], v[27:28], -v[23:24]
	v_add_f64 v[27:28], v[21:22], -v[27:28]
	v_subrev_co_ci_u32_e64 v79, null, 0, v35, s8
	v_add_f64 v[25:26], v[25:26], 1.0
	s_mov_b32 s8, 0x55555780
	v_sub_nc_u32_e32 v63, 0, v79
	v_ldexp_f64 v[23:24], v[23:24], v63
	v_add_f64 v[25:26], v[27:28], v[25:26]
	v_add_f64 v[35:36], v[23:24], 1.0
	v_add_f64 v[67:68], v[23:24], -1.0
	v_ldexp_f64 v[25:26], v[25:26], v63
	v_add_f64 v[27:28], v[35:36], -1.0
	v_add_f64 v[69:70], v[67:68], 1.0
	v_add_f64 v[27:28], v[23:24], -v[27:28]
	v_add_f64 v[23:24], v[23:24], -v[69:70]
	v_add_f64 v[27:28], v[25:26], v[27:28]
	v_add_f64 v[23:24], v[25:26], v[23:24]
	;; [unrolled: 1-line block ×4, first 2 shown]
	v_rcp_f64_e32 v[65:66], v[63:64]
	v_add_f64 v[35:36], v[63:64], -v[35:36]
	v_add_f64 v[67:68], v[69:70], -v[67:68]
	;; [unrolled: 1-line block ×3, first 2 shown]
	v_fma_f64 v[71:72], -v[63:64], v[65:66], 1.0
	v_add_f64 v[23:24], v[23:24], -v[67:68]
	v_fma_f64 v[65:66], v[71:72], v[65:66], v[65:66]
	v_fma_f64 v[25:26], -v[63:64], v[65:66], 1.0
	v_fma_f64 v[25:26], v[25:26], v[65:66], v[65:66]
	v_mul_f64 v[65:66], v[69:70], v[25:26]
	v_mul_f64 v[71:72], v[63:64], v[65:66]
	v_fma_f64 v[35:36], v[65:66], v[63:64], -v[71:72]
	v_fma_f64 v[35:36], v[65:66], v[27:28], v[35:36]
	v_add_f64 v[73:74], v[71:72], v[35:36]
	v_add_f64 v[77:78], v[69:70], -v[73:74]
	v_add_f64 v[67:68], v[73:74], -v[71:72]
	;; [unrolled: 1-line block ×5, first 2 shown]
	v_add_f64 v[23:24], v[23:24], v[69:70]
	v_add_f64 v[23:24], v[35:36], v[23:24]
	;; [unrolled: 1-line block ×3, first 2 shown]
	v_mul_f64 v[67:68], v[25:26], v[35:36]
	v_add_f64 v[73:74], v[77:78], -v[35:36]
	v_mul_f64 v[69:70], v[63:64], v[67:68]
	v_add_f64 v[23:24], v[23:24], v[73:74]
	v_fma_f64 v[63:64], v[67:68], v[63:64], -v[69:70]
	v_fma_f64 v[27:28], v[67:68], v[27:28], v[63:64]
	v_add_f64 v[63:64], v[69:70], v[27:28]
	v_add_f64 v[71:72], v[35:36], -v[63:64]
	v_add_f64 v[69:70], v[63:64], -v[69:70]
	;; [unrolled: 1-line block ×5, first 2 shown]
	v_add_f64 v[23:24], v[23:24], v[35:36]
	v_add_f64 v[35:36], v[65:66], v[67:68]
	;; [unrolled: 1-line block ×3, first 2 shown]
	v_add_f64 v[27:28], v[35:36], -v[65:66]
	v_add_f64 v[23:24], v[71:72], v[23:24]
	v_add_f64 v[27:28], v[67:68], -v[27:28]
	v_mul_f64 v[23:24], v[25:26], v[23:24]
	v_add_f64 v[23:24], v[27:28], v[23:24]
	v_add_f64 v[25:26], v[35:36], v[23:24]
	v_mul_f64 v[27:28], v[25:26], v[25:26]
	v_fma_f64 v[63:64], v[27:28], s[24:25], s[16:17]
	s_mov_b32 s16, 0xd7f4df2e
	s_mov_b32 s17, 0x3fc7474d
	v_mul_f64 v[65:66], v[25:26], v[27:28]
	v_fma_f64 v[63:64], v[27:28], v[63:64], s[16:17]
	s_mov_b32 s16, 0x16291751
	s_mov_b32 s17, 0x3fcc71c0
	v_fma_f64 v[63:64], v[27:28], v[63:64], s[16:17]
	s_mov_b32 s16, 0x9b27acf1
	s_mov_b32 s17, 0x3fd24924
	;; [unrolled: 3-line block ×3, first 2 shown]
	v_fma_f64 v[63:64], v[27:28], v[63:64], s[16:17]
	v_fma_f64 v[27:28], v[27:28], v[63:64], s[8:9]
	v_ldexp_f64 v[63:64], v[25:26], 1
	v_add_f64 v[25:26], v[25:26], -v[35:36]
	v_cmp_nge_f64_e64 s8, -1.0, v[21:22]
	v_cmp_neq_f64_e64 s9, 0x7ff00000, v[21:22]
	v_mul_f64 v[27:28], v[65:66], v[27:28]
	v_cvt_f64_i32_e32 v[65:66], v79
	v_add_f64 v[23:24], v[23:24], -v[25:26]
	s_and_b32 s8, s8, s9
	v_add_f64 v[35:36], v[63:64], v[27:28]
	v_mul_f64 v[67:68], v[65:66], s[10:11]
	v_ldexp_f64 v[23:24], v[23:24], 1
	v_add_f64 v[25:26], v[35:36], -v[63:64]
	v_fma_f64 v[63:64], v[65:66], s[10:11], -v[67:68]
	v_cmp_ngt_f64_e64 s10, -1.0, v[21:22]
	v_add_f64 v[25:26], v[27:28], -v[25:26]
	v_fma_f64 v[27:28], v[65:66], s[14:15], v[63:64]
	v_add_f64 v[23:24], v[23:24], v[25:26]
	v_add_f64 v[25:26], v[67:68], v[27:28]
	;; [unrolled: 1-line block ×3, first 2 shown]
	v_add_f64 v[67:68], v[25:26], -v[67:68]
	v_add_f64 v[65:66], v[25:26], v[63:64]
	v_add_f64 v[35:36], v[63:64], -v[35:36]
	v_add_f64 v[27:28], v[27:28], -v[67:68]
	v_add_f64 v[69:70], v[65:66], -v[25:26]
	v_add_f64 v[23:24], v[23:24], -v[35:36]
	v_add_f64 v[71:72], v[65:66], -v[69:70]
	v_add_f64 v[35:36], v[63:64], -v[69:70]
	v_add_f64 v[63:64], v[27:28], v[23:24]
	v_add_f64 v[25:26], v[25:26], -v[71:72]
	v_add_f64 v[25:26], v[35:36], v[25:26]
	v_add_f64 v[35:36], v[63:64], -v[27:28]
	;; [unrolled: 2-line block ×3, first 2 shown]
	v_add_f64 v[23:24], v[23:24], -v[35:36]
	v_add_f64 v[67:68], v[65:66], v[25:26]
	v_add_f64 v[27:28], v[27:28], -v[63:64]
	v_add_f64 v[35:36], v[67:68], -v[65:66]
	v_add_f64 v[23:24], v[23:24], v[27:28]
	v_add_f64 v[25:26], v[25:26], -v[35:36]
	v_add_f64 v[23:24], v[23:24], v[25:26]
	v_add_f64 v[23:24], v[67:68], v[23:24]
	v_cndmask_b32_e64 v23, 0, v23, s8
	v_cmp_neq_f64_e64 s8, -1.0, v[21:22]
	v_cndmask_b32_e64 v24, 0x7ff00000, v24, s9
	v_cndmask_b32_e64 v24, 0x7ff80000, v24, s10
	;; [unrolled: 1-line block ×3, first 2 shown]
	v_add_f64 v[35:36], v[19:20], v[23:24]
.LBB9_212:
	s_or_b32 exec_lo, exec_lo, s12
	v_max_f64 v[19:20], v[47:48], v[47:48]
	v_max_f64 v[21:22], v[35:36], v[35:36]
	v_cmp_u_f64_e64 s9, v[35:36], v[35:36]
	v_cmp_u_f64_e64 s8, v[47:48], v[47:48]
	v_min_f64 v[23:24], v[21:22], v[19:20]
	v_max_f64 v[21:22], v[21:22], v[19:20]
	v_cndmask_b32_e64 v23, v23, v35, s9
	v_cndmask_b32_e64 v24, v24, v36, s9
	;; [unrolled: 1-line block ×8, first 2 shown]
	v_cmp_class_f64_e64 s10, v[23:24], 0x1f8
	v_cmp_neq_f64_e64 s9, v[23:24], v[21:22]
	s_or_b32 s9, s9, s10
	s_and_saveexec_b32 s12, s9
	s_cbranch_execz .LBB9_214
; %bb.213:
	v_add_f64 v[23:24], v[23:24], -v[21:22]
	s_mov_b32 s10, 0x652b82fe
	s_mov_b32 s11, 0x3ff71547
	;; [unrolled: 1-line block ×10, first 2 shown]
	v_mul_f64 v[25:26], v[23:24], s[10:11]
	s_mov_b32 s10, 0xfca7ab0c
	s_mov_b32 s11, 0x3e928af3
	v_cmp_nlt_f64_e64 s9, 0x40900000, v[23:24]
	v_rndne_f64_e32 v[25:26], v[25:26]
	v_fma_f64 v[27:28], v[25:26], s[14:15], v[23:24]
	v_cvt_i32_f64_e32 v63, v[25:26]
	s_mov_b32 s15, 0x3fe62e42
	v_fma_f64 v[27:28], v[25:26], s[16:17], v[27:28]
	s_mov_b32 s17, 0x3c7abc9e
	v_fma_f64 v[35:36], v[27:28], s[24:25], s[10:11]
	s_mov_b32 s10, 0x623fde64
	s_mov_b32 s11, 0x3ec71dee
	;; [unrolled: 1-line block ×4, first 2 shown]
	v_fma_f64 v[35:36], v[27:28], v[35:36], s[10:11]
	s_mov_b32 s10, 0x7c89e6b0
	s_mov_b32 s11, 0x3efa0199
	v_fma_f64 v[35:36], v[27:28], v[35:36], s[10:11]
	s_mov_b32 s10, 0x14761f6e
	s_mov_b32 s11, 0x3f2a01a0
	;; [unrolled: 3-line block ×7, first 2 shown]
	v_fma_f64 v[35:36], v[27:28], v[35:36], s[10:11]
	v_cmp_ngt_f64_e64 s10, 0xc090cc00, v[23:24]
	s_mov_b32 s11, 0x3fe55555
	v_fma_f64 v[35:36], v[27:28], v[35:36], 1.0
	v_fma_f64 v[25:26], v[27:28], v[35:36], 1.0
	v_ldexp_f64 v[25:26], v[25:26], v63
	v_cndmask_b32_e64 v26, 0x7ff00000, v26, s9
	s_and_b32 s9, s10, s9
	v_cndmask_b32_e64 v23, 0, v25, s9
	v_cndmask_b32_e64 v24, 0, v26, s10
	s_mov_b32 s10, 0x55555555
	v_add_f64 v[25:26], v[23:24], 1.0
	v_frexp_mant_f64_e32 v[27:28], v[25:26]
	v_frexp_exp_i32_f64_e32 v63, v[25:26]
	v_add_f64 v[35:36], v[25:26], -1.0
	v_cmp_gt_f64_e64 s9, s[10:11], v[27:28]
	s_mov_b32 s10, 0x55555780
	v_add_f64 v[27:28], v[35:36], -v[25:26]
	v_add_f64 v[35:36], v[23:24], -v[35:36]
	v_subrev_co_ci_u32_e64 v81, null, 0, v63, s9
	v_add_f64 v[27:28], v[27:28], 1.0
	v_cmp_nge_f64_e64 s9, -1.0, v[23:24]
	v_sub_nc_u32_e32 v65, 0, v81
	v_ldexp_f64 v[25:26], v[25:26], v65
	v_add_f64 v[27:28], v[35:36], v[27:28]
	v_add_f64 v[63:64], v[25:26], 1.0
	v_add_f64 v[69:70], v[25:26], -1.0
	v_ldexp_f64 v[27:28], v[27:28], v65
	v_add_f64 v[35:36], v[63:64], -1.0
	v_add_f64 v[71:72], v[69:70], 1.0
	v_add_f64 v[35:36], v[25:26], -v[35:36]
	v_add_f64 v[25:26], v[25:26], -v[71:72]
	v_add_f64 v[35:36], v[27:28], v[35:36]
	v_add_f64 v[25:26], v[27:28], v[25:26]
	;; [unrolled: 1-line block ×4, first 2 shown]
	v_rcp_f64_e32 v[67:68], v[65:66]
	v_add_f64 v[63:64], v[65:66], -v[63:64]
	v_add_f64 v[69:70], v[71:72], -v[69:70]
	;; [unrolled: 1-line block ×3, first 2 shown]
	v_fma_f64 v[73:74], -v[65:66], v[67:68], 1.0
	v_add_f64 v[25:26], v[25:26], -v[69:70]
	v_fma_f64 v[67:68], v[73:74], v[67:68], v[67:68]
	v_fma_f64 v[27:28], -v[65:66], v[67:68], 1.0
	v_fma_f64 v[27:28], v[27:28], v[67:68], v[67:68]
	v_mul_f64 v[67:68], v[71:72], v[27:28]
	v_mul_f64 v[73:74], v[65:66], v[67:68]
	v_fma_f64 v[63:64], v[67:68], v[65:66], -v[73:74]
	v_fma_f64 v[63:64], v[67:68], v[35:36], v[63:64]
	v_add_f64 v[77:78], v[73:74], v[63:64]
	v_add_f64 v[79:80], v[71:72], -v[77:78]
	v_add_f64 v[69:70], v[77:78], -v[73:74]
	;; [unrolled: 1-line block ×5, first 2 shown]
	v_add_f64 v[25:26], v[25:26], v[71:72]
	v_add_f64 v[25:26], v[63:64], v[25:26]
	;; [unrolled: 1-line block ×3, first 2 shown]
	v_mul_f64 v[69:70], v[27:28], v[63:64]
	v_add_f64 v[77:78], v[79:80], -v[63:64]
	v_mul_f64 v[71:72], v[65:66], v[69:70]
	v_add_f64 v[25:26], v[25:26], v[77:78]
	v_fma_f64 v[65:66], v[69:70], v[65:66], -v[71:72]
	v_fma_f64 v[35:36], v[69:70], v[35:36], v[65:66]
	v_add_f64 v[65:66], v[71:72], v[35:36]
	v_add_f64 v[73:74], v[63:64], -v[65:66]
	v_add_f64 v[71:72], v[65:66], -v[71:72]
	;; [unrolled: 1-line block ×5, first 2 shown]
	v_add_f64 v[25:26], v[25:26], v[63:64]
	v_add_f64 v[63:64], v[67:68], v[69:70]
	;; [unrolled: 1-line block ×3, first 2 shown]
	v_add_f64 v[35:36], v[63:64], -v[67:68]
	v_add_f64 v[25:26], v[73:74], v[25:26]
	v_add_f64 v[35:36], v[69:70], -v[35:36]
	v_mul_f64 v[25:26], v[27:28], v[25:26]
	v_add_f64 v[25:26], v[35:36], v[25:26]
	v_add_f64 v[27:28], v[63:64], v[25:26]
	v_mul_f64 v[35:36], v[27:28], v[27:28]
	v_fma_f64 v[65:66], v[35:36], s[28:29], s[24:25]
	s_mov_b32 s24, 0xd7f4df2e
	s_mov_b32 s25, 0x3fc7474d
	v_mul_f64 v[67:68], v[27:28], v[35:36]
	v_fma_f64 v[65:66], v[35:36], v[65:66], s[24:25]
	s_mov_b32 s24, 0x16291751
	s_mov_b32 s25, 0x3fcc71c0
	v_fma_f64 v[65:66], v[35:36], v[65:66], s[24:25]
	s_mov_b32 s24, 0x9b27acf1
	s_mov_b32 s25, 0x3fd24924
	;; [unrolled: 3-line block ×3, first 2 shown]
	v_fma_f64 v[65:66], v[35:36], v[65:66], s[24:25]
	v_fma_f64 v[35:36], v[35:36], v[65:66], s[10:11]
	v_ldexp_f64 v[65:66], v[27:28], 1
	v_add_f64 v[27:28], v[27:28], -v[63:64]
	v_cmp_neq_f64_e64 s10, 0x7ff00000, v[23:24]
	v_cmp_ngt_f64_e64 s11, -1.0, v[23:24]
	v_mul_f64 v[35:36], v[67:68], v[35:36]
	v_cvt_f64_i32_e32 v[67:68], v81
	v_add_f64 v[25:26], v[25:26], -v[27:28]
	s_and_b32 s9, s9, s10
	v_add_f64 v[63:64], v[65:66], v[35:36]
	v_mul_f64 v[69:70], v[67:68], s[14:15]
	v_ldexp_f64 v[25:26], v[25:26], 1
	v_add_f64 v[27:28], v[63:64], -v[65:66]
	v_fma_f64 v[65:66], v[67:68], s[14:15], -v[69:70]
	v_add_f64 v[27:28], v[35:36], -v[27:28]
	v_fma_f64 v[35:36], v[67:68], s[16:17], v[65:66]
	v_add_f64 v[25:26], v[25:26], v[27:28]
	v_add_f64 v[27:28], v[69:70], v[35:36]
	;; [unrolled: 1-line block ×3, first 2 shown]
	v_add_f64 v[69:70], v[27:28], -v[69:70]
	v_add_f64 v[67:68], v[27:28], v[65:66]
	v_add_f64 v[63:64], v[65:66], -v[63:64]
	v_add_f64 v[35:36], v[35:36], -v[69:70]
	;; [unrolled: 1-line block ×6, first 2 shown]
	v_add_f64 v[65:66], v[35:36], v[25:26]
	v_add_f64 v[27:28], v[27:28], -v[73:74]
	v_add_f64 v[27:28], v[63:64], v[27:28]
	v_add_f64 v[63:64], v[65:66], -v[35:36]
	;; [unrolled: 2-line block ×3, first 2 shown]
	v_add_f64 v[25:26], v[25:26], -v[63:64]
	v_add_f64 v[69:70], v[67:68], v[27:28]
	v_add_f64 v[35:36], v[35:36], -v[65:66]
	v_add_f64 v[63:64], v[69:70], -v[67:68]
	v_add_f64 v[25:26], v[25:26], v[35:36]
	v_add_f64 v[27:28], v[27:28], -v[63:64]
	v_add_f64 v[25:26], v[25:26], v[27:28]
	v_add_f64 v[25:26], v[69:70], v[25:26]
	v_cndmask_b32_e64 v25, 0, v25, s9
	v_cmp_neq_f64_e64 s9, -1.0, v[23:24]
	v_cndmask_b32_e64 v26, 0x7ff00000, v26, s10
	v_cndmask_b32_e64 v26, 0x7ff80000, v26, s11
	;; [unrolled: 1-line block ×3, first 2 shown]
	v_add_f64 v[35:36], v[21:22], v[25:26]
.LBB9_214:
	s_or_b32 exec_lo, exec_lo, s12
	v_max_f64 v[21:22], v[41:42], v[41:42]
	v_max_f64 v[23:24], v[35:36], v[35:36]
	v_cmp_u_f64_e64 s10, v[35:36], v[35:36]
	v_cmp_u_f64_e64 s9, v[41:42], v[41:42]
	v_min_f64 v[25:26], v[23:24], v[21:22]
	v_max_f64 v[23:24], v[23:24], v[21:22]
	v_cndmask_b32_e64 v25, v25, v35, s10
	v_cndmask_b32_e64 v26, v26, v36, s10
	;; [unrolled: 1-line block ×8, first 2 shown]
	v_cmp_class_f64_e64 s11, v[25:26], 0x1f8
	v_cmp_neq_f64_e64 s10, v[25:26], v[23:24]
	s_or_b32 s10, s10, s11
	s_and_saveexec_b32 s24, s10
	s_cbranch_execz .LBB9_216
; %bb.215:
	v_add_f64 v[25:26], v[25:26], -v[23:24]
	s_mov_b32 s10, 0x652b82fe
	s_mov_b32 s11, 0x3ff71547
	;; [unrolled: 1-line block ×10, first 2 shown]
	v_mul_f64 v[27:28], v[25:26], s[10:11]
	s_mov_b32 s10, 0xfca7ab0c
	s_mov_b32 s11, 0x3e928af3
	v_rndne_f64_e32 v[27:28], v[27:28]
	v_fma_f64 v[35:36], v[27:28], s[14:15], v[25:26]
	v_cvt_i32_f64_e32 v65, v[27:28]
	s_mov_b32 s15, 0x3fe62e42
	v_fma_f64 v[35:36], v[27:28], s[16:17], v[35:36]
	s_mov_b32 s17, 0x3c7abc9e
	v_fma_f64 v[63:64], v[35:36], s[28:29], s[10:11]
	s_mov_b32 s10, 0x623fde64
	s_mov_b32 s11, 0x3ec71dee
	;; [unrolled: 1-line block ×4, first 2 shown]
	v_fma_f64 v[63:64], v[35:36], v[63:64], s[10:11]
	s_mov_b32 s10, 0x7c89e6b0
	s_mov_b32 s11, 0x3efa0199
	v_fma_f64 v[63:64], v[35:36], v[63:64], s[10:11]
	s_mov_b32 s10, 0x14761f6e
	s_mov_b32 s11, 0x3f2a01a0
	;; [unrolled: 3-line block ×7, first 2 shown]
	v_fma_f64 v[63:64], v[35:36], v[63:64], s[10:11]
	v_cmp_nlt_f64_e64 s10, 0x40900000, v[25:26]
	v_cmp_ngt_f64_e64 s11, 0xc090cc00, v[25:26]
	v_fma_f64 v[63:64], v[35:36], v[63:64], 1.0
	v_fma_f64 v[27:28], v[35:36], v[63:64], 1.0
	v_ldexp_f64 v[27:28], v[27:28], v65
	v_cndmask_b32_e64 v28, 0x7ff00000, v28, s10
	s_and_b32 s10, s11, s10
	v_cndmask_b32_e64 v25, 0, v27, s10
	s_mov_b32 s10, 0x55555555
	v_cndmask_b32_e64 v26, 0, v28, s11
	s_mov_b32 s11, 0x3fe55555
	v_add_f64 v[27:28], v[25:26], 1.0
	v_cmp_ngt_f64_e64 s12, -1.0, v[25:26]
	v_frexp_mant_f64_e32 v[35:36], v[27:28]
	v_frexp_exp_i32_f64_e32 v65, v[27:28]
	v_add_f64 v[63:64], v[27:28], -1.0
	v_cmp_gt_f64_e64 s10, s[10:11], v[35:36]
	v_add_f64 v[35:36], v[63:64], -v[27:28]
	v_add_f64 v[63:64], v[25:26], -v[63:64]
	v_subrev_co_ci_u32_e64 v83, null, 0, v65, s10
	v_add_f64 v[35:36], v[35:36], 1.0
	s_mov_b32 s10, 0x55555780
	v_sub_nc_u32_e32 v67, 0, v83
	v_ldexp_f64 v[27:28], v[27:28], v67
	v_add_f64 v[35:36], v[63:64], v[35:36]
	v_add_f64 v[65:66], v[27:28], 1.0
	v_add_f64 v[71:72], v[27:28], -1.0
	v_ldexp_f64 v[35:36], v[35:36], v67
	v_add_f64 v[63:64], v[65:66], -1.0
	v_add_f64 v[73:74], v[71:72], 1.0
	v_add_f64 v[63:64], v[27:28], -v[63:64]
	v_add_f64 v[27:28], v[27:28], -v[73:74]
	v_add_f64 v[63:64], v[35:36], v[63:64]
	v_add_f64 v[27:28], v[35:36], v[27:28]
	;; [unrolled: 1-line block ×4, first 2 shown]
	v_rcp_f64_e32 v[69:70], v[67:68]
	v_add_f64 v[65:66], v[67:68], -v[65:66]
	v_add_f64 v[71:72], v[73:74], -v[71:72]
	;; [unrolled: 1-line block ×3, first 2 shown]
	v_fma_f64 v[77:78], -v[67:68], v[69:70], 1.0
	v_add_f64 v[27:28], v[27:28], -v[71:72]
	v_fma_f64 v[69:70], v[77:78], v[69:70], v[69:70]
	v_fma_f64 v[35:36], -v[67:68], v[69:70], 1.0
	v_fma_f64 v[35:36], v[35:36], v[69:70], v[69:70]
	v_mul_f64 v[69:70], v[73:74], v[35:36]
	v_mul_f64 v[77:78], v[67:68], v[69:70]
	v_fma_f64 v[65:66], v[69:70], v[67:68], -v[77:78]
	v_fma_f64 v[65:66], v[69:70], v[63:64], v[65:66]
	v_add_f64 v[79:80], v[77:78], v[65:66]
	v_add_f64 v[81:82], v[73:74], -v[79:80]
	v_add_f64 v[71:72], v[79:80], -v[77:78]
	;; [unrolled: 1-line block ×5, first 2 shown]
	v_add_f64 v[27:28], v[27:28], v[73:74]
	v_add_f64 v[27:28], v[65:66], v[27:28]
	;; [unrolled: 1-line block ×3, first 2 shown]
	v_mul_f64 v[71:72], v[35:36], v[65:66]
	v_add_f64 v[79:80], v[81:82], -v[65:66]
	v_mul_f64 v[73:74], v[67:68], v[71:72]
	v_add_f64 v[27:28], v[27:28], v[79:80]
	v_fma_f64 v[67:68], v[71:72], v[67:68], -v[73:74]
	v_fma_f64 v[63:64], v[71:72], v[63:64], v[67:68]
	v_add_f64 v[67:68], v[73:74], v[63:64]
	v_add_f64 v[77:78], v[65:66], -v[67:68]
	v_add_f64 v[73:74], v[67:68], -v[73:74]
	;; [unrolled: 1-line block ×5, first 2 shown]
	v_add_f64 v[27:28], v[27:28], v[65:66]
	v_add_f64 v[65:66], v[69:70], v[71:72]
	;; [unrolled: 1-line block ×3, first 2 shown]
	v_add_f64 v[63:64], v[65:66], -v[69:70]
	v_add_f64 v[27:28], v[77:78], v[27:28]
	v_add_f64 v[63:64], v[71:72], -v[63:64]
	v_mul_f64 v[27:28], v[35:36], v[27:28]
	v_add_f64 v[27:28], v[63:64], v[27:28]
	v_add_f64 v[35:36], v[65:66], v[27:28]
	v_mul_f64 v[63:64], v[35:36], v[35:36]
	v_fma_f64 v[67:68], v[63:64], s[36:37], s[28:29]
	s_mov_b32 s28, 0xd7f4df2e
	s_mov_b32 s29, 0x3fc7474d
	v_mul_f64 v[69:70], v[35:36], v[63:64]
	v_fma_f64 v[67:68], v[63:64], v[67:68], s[28:29]
	s_mov_b32 s28, 0x16291751
	s_mov_b32 s29, 0x3fcc71c0
	v_fma_f64 v[67:68], v[63:64], v[67:68], s[28:29]
	s_mov_b32 s28, 0x9b27acf1
	s_mov_b32 s29, 0x3fd24924
	;; [unrolled: 3-line block ×3, first 2 shown]
	v_fma_f64 v[67:68], v[63:64], v[67:68], s[28:29]
	v_fma_f64 v[63:64], v[63:64], v[67:68], s[10:11]
	v_ldexp_f64 v[67:68], v[35:36], 1
	v_add_f64 v[35:36], v[35:36], -v[65:66]
	v_cmp_nge_f64_e64 s10, -1.0, v[25:26]
	v_cmp_neq_f64_e64 s11, 0x7ff00000, v[25:26]
	v_mul_f64 v[63:64], v[69:70], v[63:64]
	v_cvt_f64_i32_e32 v[69:70], v83
	v_add_f64 v[27:28], v[27:28], -v[35:36]
	s_and_b32 s10, s10, s11
	v_add_f64 v[65:66], v[67:68], v[63:64]
	v_mul_f64 v[71:72], v[69:70], s[14:15]
	v_ldexp_f64 v[27:28], v[27:28], 1
	v_add_f64 v[35:36], v[65:66], -v[67:68]
	v_fma_f64 v[67:68], v[69:70], s[14:15], -v[71:72]
	v_add_f64 v[35:36], v[63:64], -v[35:36]
	v_fma_f64 v[63:64], v[69:70], s[16:17], v[67:68]
	v_add_f64 v[27:28], v[27:28], v[35:36]
	v_add_f64 v[35:36], v[71:72], v[63:64]
	;; [unrolled: 1-line block ×3, first 2 shown]
	v_add_f64 v[71:72], v[35:36], -v[71:72]
	v_add_f64 v[69:70], v[35:36], v[67:68]
	v_add_f64 v[65:66], v[67:68], -v[65:66]
	v_add_f64 v[63:64], v[63:64], -v[71:72]
	;; [unrolled: 1-line block ×6, first 2 shown]
	v_add_f64 v[67:68], v[63:64], v[27:28]
	v_add_f64 v[35:36], v[35:36], -v[77:78]
	v_add_f64 v[35:36], v[65:66], v[35:36]
	v_add_f64 v[65:66], v[67:68], -v[63:64]
	;; [unrolled: 2-line block ×3, first 2 shown]
	v_add_f64 v[27:28], v[27:28], -v[65:66]
	v_add_f64 v[71:72], v[69:70], v[35:36]
	v_add_f64 v[63:64], v[63:64], -v[67:68]
	v_add_f64 v[65:66], v[71:72], -v[69:70]
	v_add_f64 v[27:28], v[27:28], v[63:64]
	v_add_f64 v[35:36], v[35:36], -v[65:66]
	v_add_f64 v[27:28], v[27:28], v[35:36]
	v_add_f64 v[27:28], v[71:72], v[27:28]
	v_cndmask_b32_e64 v27, 0, v27, s10
	v_cmp_neq_f64_e64 s10, -1.0, v[25:26]
	v_cndmask_b32_e64 v28, 0x7ff00000, v28, s11
	v_cndmask_b32_e64 v28, 0x7ff80000, v28, s12
	;; [unrolled: 1-line block ×3, first 2 shown]
	v_add_f64 v[35:36], v[23:24], v[27:28]
.LBB9_216:
	s_or_b32 exec_lo, exec_lo, s24
	v_max_f64 v[23:24], v[43:44], v[43:44]
	v_max_f64 v[25:26], v[35:36], v[35:36]
	v_cmp_u_f64_e64 s11, v[35:36], v[35:36]
	v_cmp_u_f64_e64 s10, v[43:44], v[43:44]
	v_min_f64 v[27:28], v[25:26], v[23:24]
	v_max_f64 v[25:26], v[25:26], v[23:24]
	v_cndmask_b32_e64 v27, v27, v35, s11
	v_cndmask_b32_e64 v28, v28, v36, s11
	;; [unrolled: 1-line block ×8, first 2 shown]
	v_cmp_class_f64_e64 s12, v[27:28], 0x1f8
	v_cmp_neq_f64_e64 s11, v[27:28], v[25:26]
	s_or_b32 s11, s11, s12
	s_and_saveexec_b32 s28, s11
	s_cbranch_execz .LBB9_218
; %bb.217:
	v_add_f64 v[27:28], v[27:28], -v[25:26]
	s_mov_b32 s14, 0x652b82fe
	s_mov_b32 s15, 0x3ff71547
	;; [unrolled: 1-line block ×10, first 2 shown]
	v_mul_f64 v[35:36], v[27:28], s[14:15]
	s_mov_b32 s15, 0xbfe62e42
	s_mov_b32 s14, 0xfefa39ef
	v_cmp_nlt_f64_e64 s11, 0x40900000, v[27:28]
	v_cmp_ngt_f64_e64 s12, 0xc090cc00, v[27:28]
	v_rndne_f64_e32 v[35:36], v[35:36]
	v_fma_f64 v[63:64], v[35:36], s[14:15], v[27:28]
	v_cvt_i32_f64_e32 v67, v[35:36]
	s_mov_b32 s15, 0x3fe62e42
	v_fma_f64 v[63:64], v[35:36], s[16:17], v[63:64]
	s_mov_b32 s17, 0x3c7abc9e
	v_fma_f64 v[65:66], v[63:64], s[36:37], s[24:25]
	s_mov_b32 s24, 0x623fde64
	s_mov_b32 s25, 0x3ec71dee
	;; [unrolled: 1-line block ×4, first 2 shown]
	v_fma_f64 v[65:66], v[63:64], v[65:66], s[24:25]
	s_mov_b32 s24, 0x7c89e6b0
	s_mov_b32 s25, 0x3efa0199
	v_fma_f64 v[65:66], v[63:64], v[65:66], s[24:25]
	s_mov_b32 s24, 0x14761f6e
	s_mov_b32 s25, 0x3f2a01a0
	;; [unrolled: 3-line block ×8, first 2 shown]
	v_fma_f64 v[65:66], v[63:64], v[65:66], 1.0
	v_fma_f64 v[35:36], v[63:64], v[65:66], 1.0
	v_ldexp_f64 v[35:36], v[35:36], v67
	v_cndmask_b32_e64 v36, 0x7ff00000, v36, s11
	s_and_b32 s11, s12, s11
	v_cndmask_b32_e64 v27, 0, v35, s11
	v_cndmask_b32_e64 v28, 0, v36, s12
	v_add_f64 v[35:36], v[27:28], 1.0
	v_cmp_neq_f64_e64 s12, 0x7ff00000, v[27:28]
	v_frexp_mant_f64_e32 v[63:64], v[35:36]
	v_frexp_exp_i32_f64_e32 v67, v[35:36]
	v_add_f64 v[65:66], v[35:36], -1.0
	v_cmp_gt_f64_e64 s11, s[24:25], v[63:64]
	s_mov_b32 s24, 0x55555780
	v_add_f64 v[63:64], v[65:66], -v[35:36]
	v_add_f64 v[65:66], v[27:28], -v[65:66]
	v_subrev_co_ci_u32_e64 v85, null, 0, v67, s11
	v_add_f64 v[63:64], v[63:64], 1.0
	v_cmp_nge_f64_e64 s11, -1.0, v[27:28]
	v_sub_nc_u32_e32 v69, 0, v85
	v_ldexp_f64 v[35:36], v[35:36], v69
	v_add_f64 v[63:64], v[65:66], v[63:64]
	s_and_b32 s11, s11, s12
	v_add_f64 v[67:68], v[35:36], 1.0
	v_add_f64 v[73:74], v[35:36], -1.0
	v_ldexp_f64 v[63:64], v[63:64], v69
	v_add_f64 v[65:66], v[67:68], -1.0
	v_add_f64 v[77:78], v[73:74], 1.0
	v_add_f64 v[65:66], v[35:36], -v[65:66]
	v_add_f64 v[35:36], v[35:36], -v[77:78]
	v_add_f64 v[65:66], v[63:64], v[65:66]
	v_add_f64 v[35:36], v[63:64], v[35:36]
	;; [unrolled: 1-line block ×4, first 2 shown]
	v_rcp_f64_e32 v[71:72], v[69:70]
	v_add_f64 v[67:68], v[69:70], -v[67:68]
	v_add_f64 v[73:74], v[77:78], -v[73:74]
	;; [unrolled: 1-line block ×3, first 2 shown]
	v_fma_f64 v[79:80], -v[69:70], v[71:72], 1.0
	v_add_f64 v[35:36], v[35:36], -v[73:74]
	v_fma_f64 v[71:72], v[79:80], v[71:72], v[71:72]
	v_fma_f64 v[63:64], -v[69:70], v[71:72], 1.0
	v_fma_f64 v[63:64], v[63:64], v[71:72], v[71:72]
	v_mul_f64 v[71:72], v[77:78], v[63:64]
	v_mul_f64 v[79:80], v[69:70], v[71:72]
	v_fma_f64 v[67:68], v[71:72], v[69:70], -v[79:80]
	v_fma_f64 v[67:68], v[71:72], v[65:66], v[67:68]
	v_add_f64 v[81:82], v[79:80], v[67:68]
	v_add_f64 v[83:84], v[77:78], -v[81:82]
	v_add_f64 v[73:74], v[81:82], -v[79:80]
	;; [unrolled: 1-line block ×5, first 2 shown]
	v_add_f64 v[35:36], v[35:36], v[77:78]
	v_add_f64 v[35:36], v[67:68], v[35:36]
	;; [unrolled: 1-line block ×3, first 2 shown]
	v_mul_f64 v[73:74], v[63:64], v[67:68]
	v_add_f64 v[81:82], v[83:84], -v[67:68]
	v_mul_f64 v[77:78], v[69:70], v[73:74]
	v_add_f64 v[35:36], v[35:36], v[81:82]
	v_fma_f64 v[69:70], v[73:74], v[69:70], -v[77:78]
	v_fma_f64 v[65:66], v[73:74], v[65:66], v[69:70]
	v_add_f64 v[69:70], v[77:78], v[65:66]
	v_add_f64 v[79:80], v[67:68], -v[69:70]
	v_add_f64 v[77:78], v[69:70], -v[77:78]
	;; [unrolled: 1-line block ×5, first 2 shown]
	v_add_f64 v[35:36], v[35:36], v[67:68]
	v_add_f64 v[67:68], v[71:72], v[73:74]
	;; [unrolled: 1-line block ×3, first 2 shown]
	v_add_f64 v[65:66], v[67:68], -v[71:72]
	v_add_f64 v[35:36], v[79:80], v[35:36]
	v_add_f64 v[65:66], v[73:74], -v[65:66]
	v_mul_f64 v[35:36], v[63:64], v[35:36]
	v_add_f64 v[35:36], v[65:66], v[35:36]
	v_add_f64 v[63:64], v[67:68], v[35:36]
	v_mul_f64 v[65:66], v[63:64], v[63:64]
	v_fma_f64 v[69:70], v[65:66], s[38:39], s[36:37]
	s_mov_b32 s36, 0xd7f4df2e
	s_mov_b32 s37, 0x3fc7474d
	v_mul_f64 v[71:72], v[63:64], v[65:66]
	v_fma_f64 v[69:70], v[65:66], v[69:70], s[36:37]
	s_mov_b32 s36, 0x16291751
	s_mov_b32 s37, 0x3fcc71c0
	v_fma_f64 v[69:70], v[65:66], v[69:70], s[36:37]
	s_mov_b32 s36, 0x9b27acf1
	s_mov_b32 s37, 0x3fd24924
	;; [unrolled: 3-line block ×3, first 2 shown]
	v_fma_f64 v[69:70], v[65:66], v[69:70], s[36:37]
	v_fma_f64 v[65:66], v[65:66], v[69:70], s[24:25]
	v_ldexp_f64 v[69:70], v[63:64], 1
	v_add_f64 v[63:64], v[63:64], -v[67:68]
	v_mul_f64 v[65:66], v[71:72], v[65:66]
	v_cvt_f64_i32_e32 v[71:72], v85
	v_add_f64 v[35:36], v[35:36], -v[63:64]
	v_add_f64 v[67:68], v[69:70], v[65:66]
	v_mul_f64 v[73:74], v[71:72], s[14:15]
	v_ldexp_f64 v[35:36], v[35:36], 1
	v_add_f64 v[63:64], v[67:68], -v[69:70]
	v_fma_f64 v[69:70], v[71:72], s[14:15], -v[73:74]
	v_cmp_ngt_f64_e64 s14, -1.0, v[27:28]
	v_add_f64 v[63:64], v[65:66], -v[63:64]
	v_fma_f64 v[65:66], v[71:72], s[16:17], v[69:70]
	v_add_f64 v[35:36], v[35:36], v[63:64]
	v_add_f64 v[63:64], v[73:74], v[65:66]
	;; [unrolled: 1-line block ×3, first 2 shown]
	v_add_f64 v[73:74], v[63:64], -v[73:74]
	v_add_f64 v[71:72], v[63:64], v[69:70]
	v_add_f64 v[67:68], v[69:70], -v[67:68]
	v_add_f64 v[65:66], v[65:66], -v[73:74]
	;; [unrolled: 1-line block ×6, first 2 shown]
	v_add_f64 v[69:70], v[65:66], v[35:36]
	v_add_f64 v[63:64], v[63:64], -v[79:80]
	v_add_f64 v[63:64], v[67:68], v[63:64]
	v_add_f64 v[67:68], v[69:70], -v[65:66]
	;; [unrolled: 2-line block ×3, first 2 shown]
	v_add_f64 v[35:36], v[35:36], -v[67:68]
	v_add_f64 v[73:74], v[71:72], v[63:64]
	v_add_f64 v[65:66], v[65:66], -v[69:70]
	v_add_f64 v[67:68], v[73:74], -v[71:72]
	v_add_f64 v[35:36], v[35:36], v[65:66]
	v_add_f64 v[63:64], v[63:64], -v[67:68]
	v_add_f64 v[35:36], v[35:36], v[63:64]
	v_add_f64 v[35:36], v[73:74], v[35:36]
	v_cndmask_b32_e64 v35, 0, v35, s11
	v_cmp_neq_f64_e64 s11, -1.0, v[27:28]
	v_cndmask_b32_e64 v36, 0x7ff00000, v36, s12
	v_cndmask_b32_e64 v36, 0x7ff80000, v36, s14
	;; [unrolled: 1-line block ×3, first 2 shown]
	v_add_f64 v[35:36], v[25:26], v[35:36]
.LBB9_218:
	s_or_b32 exec_lo, exec_lo, s28
	v_max_f64 v[25:26], v[37:38], v[37:38]
	v_max_f64 v[27:28], v[35:36], v[35:36]
	v_cmp_u_f64_e64 s12, v[35:36], v[35:36]
	v_cmp_u_f64_e64 s11, v[37:38], v[37:38]
	v_min_f64 v[63:64], v[27:28], v[25:26]
	v_max_f64 v[27:28], v[27:28], v[25:26]
	v_cndmask_b32_e64 v63, v63, v35, s12
	v_cndmask_b32_e64 v64, v64, v36, s12
	;; [unrolled: 1-line block ×8, first 2 shown]
	v_cmp_class_f64_e64 s14, v[63:64], 0x1f8
	v_cmp_neq_f64_e64 s12, v[63:64], v[27:28]
	s_or_b32 s12, s12, s14
	s_and_saveexec_b32 s28, s12
	s_cbranch_execz .LBB9_220
; %bb.219:
	v_add_f64 v[35:36], v[63:64], -v[27:28]
	s_mov_b32 s14, 0x652b82fe
	s_mov_b32 s15, 0x3ff71547
	;; [unrolled: 1-line block ×10, first 2 shown]
	v_mul_f64 v[63:64], v[35:36], s[14:15]
	s_mov_b32 s14, 0xfca7ab0c
	s_mov_b32 s15, 0x3e928af3
	v_cmp_nlt_f64_e64 s12, 0x40900000, v[35:36]
	v_rndne_f64_e32 v[63:64], v[63:64]
	v_fma_f64 v[65:66], v[63:64], s[16:17], v[35:36]
	v_cvt_i32_f64_e32 v69, v[63:64]
	s_mov_b32 s17, 0x3fe62e42
	v_fma_f64 v[65:66], v[63:64], s[24:25], v[65:66]
	s_mov_b32 s25, 0x3c7abc9e
	v_fma_f64 v[67:68], v[65:66], s[36:37], s[14:15]
	s_mov_b32 s14, 0x623fde64
	s_mov_b32 s15, 0x3ec71dee
	;; [unrolled: 1-line block ×4, first 2 shown]
	v_fma_f64 v[67:68], v[65:66], v[67:68], s[14:15]
	s_mov_b32 s14, 0x7c89e6b0
	s_mov_b32 s15, 0x3efa0199
	v_fma_f64 v[67:68], v[65:66], v[67:68], s[14:15]
	s_mov_b32 s14, 0x14761f6e
	s_mov_b32 s15, 0x3f2a01a0
	;; [unrolled: 3-line block ×7, first 2 shown]
	v_fma_f64 v[67:68], v[65:66], v[67:68], s[14:15]
	v_cmp_ngt_f64_e64 s14, 0xc090cc00, v[35:36]
	s_mov_b32 s15, 0x3fe55555
	v_fma_f64 v[67:68], v[65:66], v[67:68], 1.0
	v_fma_f64 v[63:64], v[65:66], v[67:68], 1.0
	v_ldexp_f64 v[63:64], v[63:64], v69
	v_cndmask_b32_e64 v64, 0x7ff00000, v64, s12
	s_and_b32 s12, s14, s12
	v_cndmask_b32_e64 v35, 0, v63, s12
	v_cndmask_b32_e64 v36, 0, v64, s14
	s_mov_b32 s14, 0x55555555
	v_add_f64 v[63:64], v[35:36], 1.0
	v_frexp_mant_f64_e32 v[65:66], v[63:64]
	v_frexp_exp_i32_f64_e32 v69, v[63:64]
	v_add_f64 v[67:68], v[63:64], -1.0
	v_cmp_gt_f64_e64 s12, s[14:15], v[65:66]
	s_mov_b32 s14, 0x55555780
	v_add_f64 v[65:66], v[67:68], -v[63:64]
	v_add_f64 v[67:68], v[35:36], -v[67:68]
	v_subrev_co_ci_u32_e64 v87, null, 0, v69, s12
	v_add_f64 v[65:66], v[65:66], 1.0
	v_cmp_nge_f64_e64 s12, -1.0, v[35:36]
	v_sub_nc_u32_e32 v71, 0, v87
	v_ldexp_f64 v[63:64], v[63:64], v71
	v_add_f64 v[65:66], v[67:68], v[65:66]
	v_add_f64 v[69:70], v[63:64], 1.0
	v_add_f64 v[77:78], v[63:64], -1.0
	v_ldexp_f64 v[65:66], v[65:66], v71
	v_add_f64 v[67:68], v[69:70], -1.0
	v_add_f64 v[79:80], v[77:78], 1.0
	v_add_f64 v[67:68], v[63:64], -v[67:68]
	v_add_f64 v[63:64], v[63:64], -v[79:80]
	v_add_f64 v[67:68], v[65:66], v[67:68]
	v_add_f64 v[63:64], v[65:66], v[63:64]
	;; [unrolled: 1-line block ×4, first 2 shown]
	v_rcp_f64_e32 v[73:74], v[71:72]
	v_add_f64 v[69:70], v[71:72], -v[69:70]
	v_add_f64 v[77:78], v[79:80], -v[77:78]
	;; [unrolled: 1-line block ×3, first 2 shown]
	v_fma_f64 v[81:82], -v[71:72], v[73:74], 1.0
	v_add_f64 v[63:64], v[63:64], -v[77:78]
	v_fma_f64 v[73:74], v[81:82], v[73:74], v[73:74]
	v_fma_f64 v[65:66], -v[71:72], v[73:74], 1.0
	v_fma_f64 v[65:66], v[65:66], v[73:74], v[73:74]
	v_mul_f64 v[73:74], v[79:80], v[65:66]
	v_mul_f64 v[81:82], v[71:72], v[73:74]
	v_fma_f64 v[69:70], v[73:74], v[71:72], -v[81:82]
	v_fma_f64 v[69:70], v[73:74], v[67:68], v[69:70]
	v_add_f64 v[83:84], v[81:82], v[69:70]
	v_add_f64 v[85:86], v[79:80], -v[83:84]
	v_add_f64 v[77:78], v[83:84], -v[81:82]
	;; [unrolled: 1-line block ×5, first 2 shown]
	v_add_f64 v[63:64], v[63:64], v[79:80]
	v_add_f64 v[63:64], v[69:70], v[63:64]
	;; [unrolled: 1-line block ×3, first 2 shown]
	v_mul_f64 v[77:78], v[65:66], v[69:70]
	v_add_f64 v[83:84], v[85:86], -v[69:70]
	v_mul_f64 v[79:80], v[71:72], v[77:78]
	v_add_f64 v[63:64], v[63:64], v[83:84]
	v_fma_f64 v[71:72], v[77:78], v[71:72], -v[79:80]
	v_fma_f64 v[67:68], v[77:78], v[67:68], v[71:72]
	v_add_f64 v[71:72], v[79:80], v[67:68]
	v_add_f64 v[81:82], v[69:70], -v[71:72]
	v_add_f64 v[79:80], v[71:72], -v[79:80]
	;; [unrolled: 1-line block ×5, first 2 shown]
	v_add_f64 v[63:64], v[63:64], v[69:70]
	v_add_f64 v[69:70], v[73:74], v[77:78]
	;; [unrolled: 1-line block ×3, first 2 shown]
	v_add_f64 v[67:68], v[69:70], -v[73:74]
	v_add_f64 v[63:64], v[81:82], v[63:64]
	v_add_f64 v[67:68], v[77:78], -v[67:68]
	v_mul_f64 v[63:64], v[65:66], v[63:64]
	v_add_f64 v[63:64], v[67:68], v[63:64]
	v_add_f64 v[65:66], v[69:70], v[63:64]
	v_mul_f64 v[67:68], v[65:66], v[65:66]
	v_fma_f64 v[71:72], v[67:68], s[38:39], s[36:37]
	s_mov_b32 s36, 0xd7f4df2e
	s_mov_b32 s37, 0x3fc7474d
	v_mul_f64 v[73:74], v[65:66], v[67:68]
	v_fma_f64 v[71:72], v[67:68], v[71:72], s[36:37]
	s_mov_b32 s36, 0x16291751
	s_mov_b32 s37, 0x3fcc71c0
	v_fma_f64 v[71:72], v[67:68], v[71:72], s[36:37]
	s_mov_b32 s36, 0x9b27acf1
	s_mov_b32 s37, 0x3fd24924
	;; [unrolled: 3-line block ×3, first 2 shown]
	v_fma_f64 v[71:72], v[67:68], v[71:72], s[36:37]
	v_fma_f64 v[67:68], v[67:68], v[71:72], s[14:15]
	v_ldexp_f64 v[71:72], v[65:66], 1
	v_add_f64 v[65:66], v[65:66], -v[69:70]
	v_cmp_neq_f64_e64 s14, 0x7ff00000, v[35:36]
	v_cmp_ngt_f64_e64 s15, -1.0, v[35:36]
	v_mul_f64 v[67:68], v[73:74], v[67:68]
	v_cvt_f64_i32_e32 v[73:74], v87
	v_add_f64 v[63:64], v[63:64], -v[65:66]
	s_and_b32 s12, s12, s14
	v_add_f64 v[69:70], v[71:72], v[67:68]
	v_mul_f64 v[77:78], v[73:74], s[16:17]
	v_ldexp_f64 v[63:64], v[63:64], 1
	v_add_f64 v[65:66], v[69:70], -v[71:72]
	v_fma_f64 v[71:72], v[73:74], s[16:17], -v[77:78]
	v_add_f64 v[65:66], v[67:68], -v[65:66]
	v_fma_f64 v[67:68], v[73:74], s[24:25], v[71:72]
	v_add_f64 v[63:64], v[63:64], v[65:66]
	v_add_f64 v[65:66], v[77:78], v[67:68]
	;; [unrolled: 1-line block ×3, first 2 shown]
	v_add_f64 v[77:78], v[65:66], -v[77:78]
	v_add_f64 v[73:74], v[65:66], v[71:72]
	v_add_f64 v[69:70], v[71:72], -v[69:70]
	v_add_f64 v[67:68], v[67:68], -v[77:78]
	;; [unrolled: 1-line block ×6, first 2 shown]
	v_add_f64 v[71:72], v[67:68], v[63:64]
	v_add_f64 v[65:66], v[65:66], -v[81:82]
	v_add_f64 v[65:66], v[69:70], v[65:66]
	v_add_f64 v[69:70], v[71:72], -v[67:68]
	;; [unrolled: 2-line block ×3, first 2 shown]
	v_add_f64 v[63:64], v[63:64], -v[69:70]
	v_add_f64 v[77:78], v[73:74], v[65:66]
	v_add_f64 v[67:68], v[67:68], -v[71:72]
	v_add_f64 v[69:70], v[77:78], -v[73:74]
	v_add_f64 v[63:64], v[63:64], v[67:68]
	v_add_f64 v[65:66], v[65:66], -v[69:70]
	v_add_f64 v[63:64], v[63:64], v[65:66]
	v_add_f64 v[63:64], v[77:78], v[63:64]
	v_cndmask_b32_e64 v63, 0, v63, s12
	v_cmp_neq_f64_e64 s12, -1.0, v[35:36]
	v_cndmask_b32_e64 v64, 0x7ff00000, v64, s14
	v_cndmask_b32_e64 v64, 0x7ff80000, v64, s15
	;; [unrolled: 1-line block ×3, first 2 shown]
	v_add_f64 v[35:36], v[27:28], v[63:64]
.LBB9_220:
	s_or_b32 exec_lo, exec_lo, s28
	v_max_f64 v[27:28], v[39:40], v[39:40]
	v_max_f64 v[63:64], v[35:36], v[35:36]
	v_cmp_u_f64_e64 s14, v[35:36], v[35:36]
	v_cmp_u_f64_e64 s12, v[39:40], v[39:40]
	v_min_f64 v[65:66], v[63:64], v[27:28]
	v_max_f64 v[63:64], v[63:64], v[27:28]
	v_cndmask_b32_e64 v65, v65, v35, s14
	v_cndmask_b32_e64 v66, v66, v36, s14
	;; [unrolled: 1-line block ×8, first 2 shown]
	v_cmp_class_f64_e64 s15, v[65:66], 0x1f8
	v_cmp_neq_f64_e64 s14, v[65:66], v[63:64]
	s_or_b32 s14, s14, s15
	s_and_saveexec_b32 s28, s14
	s_cbranch_execz .LBB9_222
; %bb.221:
	v_add_f64 v[35:36], v[65:66], -v[63:64]
	s_mov_b32 s14, 0x652b82fe
	s_mov_b32 s15, 0x3ff71547
	;; [unrolled: 1-line block ×10, first 2 shown]
	v_mul_f64 v[65:66], v[35:36], s[14:15]
	s_mov_b32 s14, 0xfca7ab0c
	s_mov_b32 s15, 0x3e928af3
	v_rndne_f64_e32 v[65:66], v[65:66]
	v_fma_f64 v[67:68], v[65:66], s[16:17], v[35:36]
	v_cvt_i32_f64_e32 v71, v[65:66]
	s_mov_b32 s17, 0x3fe62e42
	v_fma_f64 v[67:68], v[65:66], s[24:25], v[67:68]
	s_mov_b32 s25, 0x3c7abc9e
	v_fma_f64 v[69:70], v[67:68], s[36:37], s[14:15]
	s_mov_b32 s14, 0x623fde64
	s_mov_b32 s15, 0x3ec71dee
	;; [unrolled: 1-line block ×4, first 2 shown]
	v_fma_f64 v[69:70], v[67:68], v[69:70], s[14:15]
	s_mov_b32 s14, 0x7c89e6b0
	s_mov_b32 s15, 0x3efa0199
	v_fma_f64 v[69:70], v[67:68], v[69:70], s[14:15]
	s_mov_b32 s14, 0x14761f6e
	s_mov_b32 s15, 0x3f2a01a0
	;; [unrolled: 3-line block ×7, first 2 shown]
	v_fma_f64 v[69:70], v[67:68], v[69:70], s[14:15]
	v_cmp_nlt_f64_e64 s14, 0x40900000, v[35:36]
	v_cmp_ngt_f64_e64 s15, 0xc090cc00, v[35:36]
	v_fma_f64 v[69:70], v[67:68], v[69:70], 1.0
	v_fma_f64 v[65:66], v[67:68], v[69:70], 1.0
	v_ldexp_f64 v[65:66], v[65:66], v71
	v_cndmask_b32_e64 v66, 0x7ff00000, v66, s14
	s_and_b32 s14, s15, s14
	v_cndmask_b32_e64 v35, 0, v65, s14
	s_mov_b32 s14, 0x55555555
	v_cndmask_b32_e64 v36, 0, v66, s15
	s_mov_b32 s15, 0x3fe55555
	v_add_f64 v[65:66], v[35:36], 1.0
	v_frexp_mant_f64_e32 v[67:68], v[65:66]
	v_frexp_exp_i32_f64_e32 v71, v[65:66]
	v_add_f64 v[69:70], v[65:66], -1.0
	v_cmp_gt_f64_e64 s14, s[14:15], v[67:68]
	v_add_f64 v[67:68], v[69:70], -v[65:66]
	v_add_f64 v[69:70], v[35:36], -v[69:70]
	v_subrev_co_ci_u32_e64 v89, null, 0, v71, s14
	v_add_f64 v[67:68], v[67:68], 1.0
	s_mov_b32 s14, 0x55555780
	v_sub_nc_u32_e32 v73, 0, v89
	v_ldexp_f64 v[65:66], v[65:66], v73
	v_add_f64 v[67:68], v[69:70], v[67:68]
	v_add_f64 v[71:72], v[65:66], 1.0
	v_add_f64 v[79:80], v[65:66], -1.0
	v_ldexp_f64 v[67:68], v[67:68], v73
	v_add_f64 v[69:70], v[71:72], -1.0
	v_add_f64 v[81:82], v[79:80], 1.0
	v_add_f64 v[69:70], v[65:66], -v[69:70]
	v_add_f64 v[65:66], v[65:66], -v[81:82]
	v_add_f64 v[69:70], v[67:68], v[69:70]
	v_add_f64 v[65:66], v[67:68], v[65:66]
	v_add_f64 v[73:74], v[71:72], v[69:70]
	v_add_f64 v[81:82], v[79:80], v[65:66]
	v_rcp_f64_e32 v[77:78], v[73:74]
	v_add_f64 v[71:72], v[73:74], -v[71:72]
	v_add_f64 v[79:80], v[81:82], -v[79:80]
	;; [unrolled: 1-line block ×3, first 2 shown]
	v_fma_f64 v[83:84], -v[73:74], v[77:78], 1.0
	v_add_f64 v[65:66], v[65:66], -v[79:80]
	v_fma_f64 v[77:78], v[83:84], v[77:78], v[77:78]
	v_fma_f64 v[67:68], -v[73:74], v[77:78], 1.0
	v_fma_f64 v[67:68], v[67:68], v[77:78], v[77:78]
	v_mul_f64 v[77:78], v[81:82], v[67:68]
	v_mul_f64 v[83:84], v[73:74], v[77:78]
	v_fma_f64 v[71:72], v[77:78], v[73:74], -v[83:84]
	v_fma_f64 v[71:72], v[77:78], v[69:70], v[71:72]
	v_add_f64 v[85:86], v[83:84], v[71:72]
	v_add_f64 v[87:88], v[81:82], -v[85:86]
	v_add_f64 v[79:80], v[85:86], -v[83:84]
	;; [unrolled: 1-line block ×5, first 2 shown]
	v_add_f64 v[65:66], v[65:66], v[81:82]
	v_add_f64 v[65:66], v[71:72], v[65:66]
	;; [unrolled: 1-line block ×3, first 2 shown]
	v_mul_f64 v[79:80], v[67:68], v[71:72]
	v_add_f64 v[85:86], v[87:88], -v[71:72]
	v_mul_f64 v[81:82], v[73:74], v[79:80]
	v_add_f64 v[65:66], v[65:66], v[85:86]
	v_fma_f64 v[73:74], v[79:80], v[73:74], -v[81:82]
	v_fma_f64 v[69:70], v[79:80], v[69:70], v[73:74]
	v_add_f64 v[73:74], v[81:82], v[69:70]
	v_add_f64 v[83:84], v[71:72], -v[73:74]
	v_add_f64 v[81:82], v[73:74], -v[81:82]
	;; [unrolled: 1-line block ×5, first 2 shown]
	v_add_f64 v[65:66], v[65:66], v[71:72]
	v_add_f64 v[71:72], v[77:78], v[79:80]
	;; [unrolled: 1-line block ×3, first 2 shown]
	v_add_f64 v[69:70], v[71:72], -v[77:78]
	v_add_f64 v[65:66], v[83:84], v[65:66]
	v_add_f64 v[69:70], v[79:80], -v[69:70]
	v_mul_f64 v[65:66], v[67:68], v[65:66]
	v_add_f64 v[65:66], v[69:70], v[65:66]
	v_add_f64 v[67:68], v[71:72], v[65:66]
	v_mul_f64 v[69:70], v[67:68], v[67:68]
	v_fma_f64 v[73:74], v[69:70], s[38:39], s[36:37]
	s_mov_b32 s36, 0xd7f4df2e
	s_mov_b32 s37, 0x3fc7474d
	v_mul_f64 v[77:78], v[67:68], v[69:70]
	v_fma_f64 v[73:74], v[69:70], v[73:74], s[36:37]
	s_mov_b32 s36, 0x16291751
	s_mov_b32 s37, 0x3fcc71c0
	v_fma_f64 v[73:74], v[69:70], v[73:74], s[36:37]
	s_mov_b32 s36, 0x9b27acf1
	s_mov_b32 s37, 0x3fd24924
	;; [unrolled: 3-line block ×3, first 2 shown]
	v_fma_f64 v[73:74], v[69:70], v[73:74], s[36:37]
	v_fma_f64 v[69:70], v[69:70], v[73:74], s[14:15]
	v_ldexp_f64 v[73:74], v[67:68], 1
	v_add_f64 v[67:68], v[67:68], -v[71:72]
	v_cmp_nge_f64_e64 s14, -1.0, v[35:36]
	v_cmp_neq_f64_e64 s15, 0x7ff00000, v[35:36]
	v_mul_f64 v[69:70], v[77:78], v[69:70]
	v_cvt_f64_i32_e32 v[77:78], v89
	v_add_f64 v[65:66], v[65:66], -v[67:68]
	s_and_b32 s14, s14, s15
	v_add_f64 v[71:72], v[73:74], v[69:70]
	v_mul_f64 v[79:80], v[77:78], s[16:17]
	v_ldexp_f64 v[65:66], v[65:66], 1
	v_add_f64 v[67:68], v[71:72], -v[73:74]
	v_fma_f64 v[73:74], v[77:78], s[16:17], -v[79:80]
	v_cmp_ngt_f64_e64 s16, -1.0, v[35:36]
	v_add_f64 v[67:68], v[69:70], -v[67:68]
	v_fma_f64 v[69:70], v[77:78], s[24:25], v[73:74]
	v_add_f64 v[65:66], v[65:66], v[67:68]
	v_add_f64 v[67:68], v[79:80], v[69:70]
	;; [unrolled: 1-line block ×3, first 2 shown]
	v_add_f64 v[79:80], v[67:68], -v[79:80]
	v_add_f64 v[77:78], v[67:68], v[73:74]
	v_add_f64 v[71:72], v[73:74], -v[71:72]
	v_add_f64 v[69:70], v[69:70], -v[79:80]
	;; [unrolled: 1-line block ×6, first 2 shown]
	v_add_f64 v[73:74], v[69:70], v[65:66]
	v_add_f64 v[67:68], v[67:68], -v[83:84]
	v_add_f64 v[67:68], v[71:72], v[67:68]
	v_add_f64 v[71:72], v[73:74], -v[69:70]
	;; [unrolled: 2-line block ×3, first 2 shown]
	v_add_f64 v[65:66], v[65:66], -v[71:72]
	v_add_f64 v[79:80], v[77:78], v[67:68]
	v_add_f64 v[69:70], v[69:70], -v[73:74]
	v_add_f64 v[71:72], v[79:80], -v[77:78]
	v_add_f64 v[65:66], v[65:66], v[69:70]
	v_add_f64 v[67:68], v[67:68], -v[71:72]
	v_add_f64 v[65:66], v[65:66], v[67:68]
	v_add_f64 v[65:66], v[79:80], v[65:66]
	v_cndmask_b32_e64 v65, 0, v65, s14
	v_cmp_neq_f64_e64 s14, -1.0, v[35:36]
	v_cndmask_b32_e64 v66, 0x7ff00000, v66, s15
	v_cndmask_b32_e64 v66, 0x7ff80000, v66, s16
	v_cndmask_b32_e64 v66, 0xfff00000, v66, s14
	v_add_f64 v[35:36], v[63:64], v[65:66]
.LBB9_222:
	s_or_b32 exec_lo, exec_lo, s28
	v_mbcnt_lo_u32_b32 v69, -1, 0
	v_mov_b32_dpp v63, v35 row_shr:1 row_mask:0xf bank_mask:0xf
	v_mov_b32_dpp v64, v36 row_shr:1 row_mask:0xf bank_mask:0xf
	v_mov_b32_e32 v65, v35
	v_mov_b32_e32 v66, v36
	v_and_b32_e32 v67, 15, v69
	s_mov_b32 s28, exec_lo
	v_cmpx_ne_u32_e32 0, v67
	s_cbranch_execz .LBB9_226
; %bb.223:
	v_max_f64 v[65:66], v[63:64], v[63:64]
	v_max_f64 v[70:71], v[35:36], v[35:36]
	v_cmp_u_f64_e64 s14, v[63:64], v[63:64]
	v_cmp_u_f64_e64 s15, v[35:36], v[35:36]
	v_min_f64 v[72:73], v[65:66], v[70:71]
	v_max_f64 v[65:66], v[65:66], v[70:71]
	v_cndmask_b32_e64 v68, v73, v64, s14
	v_cndmask_b32_e64 v70, v72, v63, s14
	;; [unrolled: 1-line block ×8, first 2 shown]
	v_cmp_class_f64_e64 s15, v[65:66], 0x1f8
	v_cmp_neq_f64_e64 s14, v[65:66], v[35:36]
	s_or_b32 s14, s14, s15
	s_and_saveexec_b32 s29, s14
	s_cbranch_execz .LBB9_225
; %bb.224:
	v_add_f64 v[63:64], v[65:66], -v[35:36]
	s_mov_b32 s14, 0x652b82fe
	s_mov_b32 s15, 0x3ff71547
	;; [unrolled: 1-line block ×10, first 2 shown]
	v_mul_f64 v[65:66], v[63:64], s[14:15]
	s_mov_b32 s14, 0xfca7ab0c
	s_mov_b32 s15, 0x3e928af3
	v_rndne_f64_e32 v[65:66], v[65:66]
	v_fma_f64 v[70:71], v[65:66], s[16:17], v[63:64]
	v_cvt_i32_f64_e32 v68, v[65:66]
	s_mov_b32 s17, 0x3fe62e42
	v_fma_f64 v[70:71], v[65:66], s[24:25], v[70:71]
	s_mov_b32 s25, 0x3c7abc9e
	v_fma_f64 v[72:73], v[70:71], s[36:37], s[14:15]
	s_mov_b32 s14, 0x623fde64
	s_mov_b32 s15, 0x3ec71dee
	;; [unrolled: 1-line block ×4, first 2 shown]
	v_fma_f64 v[72:73], v[70:71], v[72:73], s[14:15]
	s_mov_b32 s14, 0x7c89e6b0
	s_mov_b32 s15, 0x3efa0199
	v_fma_f64 v[72:73], v[70:71], v[72:73], s[14:15]
	s_mov_b32 s14, 0x14761f6e
	s_mov_b32 s15, 0x3f2a01a0
	;; [unrolled: 3-line block ×7, first 2 shown]
	v_fma_f64 v[72:73], v[70:71], v[72:73], s[14:15]
	v_cmp_nlt_f64_e64 s14, 0x40900000, v[63:64]
	v_cmp_ngt_f64_e64 s15, 0xc090cc00, v[63:64]
	v_fma_f64 v[72:73], v[70:71], v[72:73], 1.0
	v_fma_f64 v[65:66], v[70:71], v[72:73], 1.0
	v_ldexp_f64 v[65:66], v[65:66], v68
	v_cndmask_b32_e64 v66, 0x7ff00000, v66, s14
	s_and_b32 s14, s15, s14
	v_cndmask_b32_e64 v63, 0, v65, s14
	s_mov_b32 s14, 0x55555555
	v_cndmask_b32_e64 v64, 0, v66, s15
	s_mov_b32 s15, 0x3fe55555
	v_add_f64 v[65:66], v[63:64], 1.0
	v_frexp_mant_f64_e32 v[70:71], v[65:66]
	v_frexp_exp_i32_f64_e32 v68, v[65:66]
	v_add_f64 v[72:73], v[65:66], -1.0
	v_cmp_gt_f64_e64 s14, s[14:15], v[70:71]
	v_add_f64 v[70:71], v[72:73], -v[65:66]
	v_add_f64 v[72:73], v[63:64], -v[72:73]
	v_subrev_co_ci_u32_e64 v68, null, 0, v68, s14
	v_add_f64 v[70:71], v[70:71], 1.0
	s_mov_b32 s14, 0x55555780
	v_sub_nc_u32_e32 v74, 0, v68
	v_ldexp_f64 v[65:66], v[65:66], v74
	v_add_f64 v[70:71], v[72:73], v[70:71]
	v_add_f64 v[77:78], v[65:66], 1.0
	v_add_f64 v[83:84], v[65:66], -1.0
	v_ldexp_f64 v[70:71], v[70:71], v74
	v_add_f64 v[72:73], v[77:78], -1.0
	v_add_f64 v[85:86], v[83:84], 1.0
	v_add_f64 v[72:73], v[65:66], -v[72:73]
	v_add_f64 v[65:66], v[65:66], -v[85:86]
	v_add_f64 v[72:73], v[70:71], v[72:73]
	v_add_f64 v[65:66], v[70:71], v[65:66]
	;; [unrolled: 1-line block ×4, first 2 shown]
	v_rcp_f64_e32 v[81:82], v[79:80]
	v_add_f64 v[77:78], v[79:80], -v[77:78]
	v_add_f64 v[83:84], v[85:86], -v[83:84]
	;; [unrolled: 1-line block ×3, first 2 shown]
	v_fma_f64 v[87:88], -v[79:80], v[81:82], 1.0
	v_add_f64 v[65:66], v[65:66], -v[83:84]
	v_fma_f64 v[81:82], v[87:88], v[81:82], v[81:82]
	v_fma_f64 v[70:71], -v[79:80], v[81:82], 1.0
	v_fma_f64 v[70:71], v[70:71], v[81:82], v[81:82]
	v_mul_f64 v[81:82], v[85:86], v[70:71]
	v_mul_f64 v[87:88], v[79:80], v[81:82]
	v_fma_f64 v[77:78], v[81:82], v[79:80], -v[87:88]
	v_fma_f64 v[77:78], v[81:82], v[72:73], v[77:78]
	v_add_f64 v[89:90], v[87:88], v[77:78]
	v_add_f64 v[91:92], v[85:86], -v[89:90]
	v_add_f64 v[83:84], v[89:90], -v[87:88]
	;; [unrolled: 1-line block ×5, first 2 shown]
	v_add_f64 v[65:66], v[65:66], v[85:86]
	v_add_f64 v[65:66], v[77:78], v[65:66]
	;; [unrolled: 1-line block ×3, first 2 shown]
	v_mul_f64 v[83:84], v[70:71], v[77:78]
	v_add_f64 v[89:90], v[91:92], -v[77:78]
	v_mul_f64 v[85:86], v[79:80], v[83:84]
	v_add_f64 v[65:66], v[65:66], v[89:90]
	v_fma_f64 v[79:80], v[83:84], v[79:80], -v[85:86]
	v_fma_f64 v[72:73], v[83:84], v[72:73], v[79:80]
	v_add_f64 v[79:80], v[85:86], v[72:73]
	v_add_f64 v[87:88], v[77:78], -v[79:80]
	v_add_f64 v[85:86], v[79:80], -v[85:86]
	;; [unrolled: 1-line block ×5, first 2 shown]
	v_add_f64 v[65:66], v[65:66], v[77:78]
	v_add_f64 v[77:78], v[81:82], v[83:84]
	;; [unrolled: 1-line block ×3, first 2 shown]
	v_add_f64 v[72:73], v[77:78], -v[81:82]
	v_add_f64 v[65:66], v[87:88], v[65:66]
	v_add_f64 v[72:73], v[83:84], -v[72:73]
	v_mul_f64 v[65:66], v[70:71], v[65:66]
	v_add_f64 v[65:66], v[72:73], v[65:66]
	v_add_f64 v[70:71], v[77:78], v[65:66]
	v_mul_f64 v[72:73], v[70:71], v[70:71]
	v_fma_f64 v[79:80], v[72:73], s[38:39], s[36:37]
	s_mov_b32 s36, 0xd7f4df2e
	s_mov_b32 s37, 0x3fc7474d
	v_mul_f64 v[81:82], v[70:71], v[72:73]
	v_fma_f64 v[79:80], v[72:73], v[79:80], s[36:37]
	s_mov_b32 s36, 0x16291751
	s_mov_b32 s37, 0x3fcc71c0
	v_fma_f64 v[79:80], v[72:73], v[79:80], s[36:37]
	s_mov_b32 s36, 0x9b27acf1
	s_mov_b32 s37, 0x3fd24924
	;; [unrolled: 3-line block ×3, first 2 shown]
	v_fma_f64 v[79:80], v[72:73], v[79:80], s[36:37]
	v_fma_f64 v[72:73], v[72:73], v[79:80], s[14:15]
	v_ldexp_f64 v[79:80], v[70:71], 1
	v_add_f64 v[70:71], v[70:71], -v[77:78]
	v_cmp_nge_f64_e64 s14, -1.0, v[63:64]
	v_cmp_neq_f64_e64 s15, 0x7ff00000, v[63:64]
	v_mul_f64 v[72:73], v[81:82], v[72:73]
	v_cvt_f64_i32_e32 v[81:82], v68
	v_add_f64 v[65:66], v[65:66], -v[70:71]
	s_and_b32 s14, s14, s15
	v_add_f64 v[77:78], v[79:80], v[72:73]
	v_mul_f64 v[83:84], v[81:82], s[16:17]
	v_ldexp_f64 v[65:66], v[65:66], 1
	v_add_f64 v[70:71], v[77:78], -v[79:80]
	v_fma_f64 v[79:80], v[81:82], s[16:17], -v[83:84]
	v_cmp_ngt_f64_e64 s16, -1.0, v[63:64]
	v_add_f64 v[70:71], v[72:73], -v[70:71]
	v_fma_f64 v[72:73], v[81:82], s[24:25], v[79:80]
	v_add_f64 v[65:66], v[65:66], v[70:71]
	v_add_f64 v[70:71], v[83:84], v[72:73]
	v_add_f64 v[79:80], v[77:78], v[65:66]
	v_add_f64 v[83:84], v[70:71], -v[83:84]
	v_add_f64 v[81:82], v[70:71], v[79:80]
	v_add_f64 v[77:78], v[79:80], -v[77:78]
	v_add_f64 v[72:73], v[72:73], -v[83:84]
	;; [unrolled: 1-line block ×6, first 2 shown]
	v_add_f64 v[79:80], v[72:73], v[65:66]
	v_add_f64 v[70:71], v[70:71], -v[87:88]
	v_add_f64 v[70:71], v[77:78], v[70:71]
	v_add_f64 v[77:78], v[79:80], -v[72:73]
	;; [unrolled: 2-line block ×3, first 2 shown]
	v_add_f64 v[65:66], v[65:66], -v[77:78]
	v_add_f64 v[83:84], v[81:82], v[70:71]
	v_add_f64 v[72:73], v[72:73], -v[79:80]
	v_add_f64 v[77:78], v[83:84], -v[81:82]
	v_add_f64 v[65:66], v[65:66], v[72:73]
	v_add_f64 v[70:71], v[70:71], -v[77:78]
	v_add_f64 v[65:66], v[65:66], v[70:71]
	v_add_f64 v[65:66], v[83:84], v[65:66]
	v_cndmask_b32_e64 v65, 0, v65, s14
	v_cmp_neq_f64_e64 s14, -1.0, v[63:64]
	v_cndmask_b32_e64 v66, 0x7ff00000, v66, s15
	v_cndmask_b32_e64 v66, 0x7ff80000, v66, s16
	;; [unrolled: 1-line block ×3, first 2 shown]
	v_add_f64 v[63:64], v[35:36], v[65:66]
.LBB9_225:
	s_or_b32 exec_lo, exec_lo, s29
	v_mov_b32_e32 v35, v63
	v_mov_b32_e32 v65, v63
	;; [unrolled: 1-line block ×4, first 2 shown]
.LBB9_226:
	s_or_b32 exec_lo, exec_lo, s28
	v_mov_b32_dpp v63, v65 row_shr:2 row_mask:0xf bank_mask:0xf
	v_mov_b32_dpp v64, v66 row_shr:2 row_mask:0xf bank_mask:0xf
	s_mov_b32 s28, exec_lo
	v_cmpx_lt_u32_e32 1, v67
	s_cbranch_execz .LBB9_230
; %bb.227:
	v_max_f64 v[65:66], v[63:64], v[63:64]
	v_max_f64 v[70:71], v[35:36], v[35:36]
	v_cmp_u_f64_e64 s14, v[63:64], v[63:64]
	v_cmp_u_f64_e64 s15, v[35:36], v[35:36]
	v_min_f64 v[72:73], v[65:66], v[70:71]
	v_max_f64 v[65:66], v[65:66], v[70:71]
	v_cndmask_b32_e64 v68, v73, v64, s14
	v_cndmask_b32_e64 v70, v72, v63, s14
	;; [unrolled: 1-line block ×8, first 2 shown]
	v_cmp_class_f64_e64 s15, v[65:66], 0x1f8
	v_cmp_neq_f64_e64 s14, v[65:66], v[35:36]
	s_or_b32 s14, s14, s15
	s_and_saveexec_b32 s29, s14
	s_cbranch_execz .LBB9_229
; %bb.228:
	v_add_f64 v[63:64], v[65:66], -v[35:36]
	s_mov_b32 s14, 0x652b82fe
	s_mov_b32 s15, 0x3ff71547
	;; [unrolled: 1-line block ×10, first 2 shown]
	v_mul_f64 v[65:66], v[63:64], s[14:15]
	s_mov_b32 s14, 0xfca7ab0c
	s_mov_b32 s15, 0x3e928af3
	v_rndne_f64_e32 v[65:66], v[65:66]
	v_fma_f64 v[70:71], v[65:66], s[16:17], v[63:64]
	v_cvt_i32_f64_e32 v68, v[65:66]
	s_mov_b32 s17, 0x3fe62e42
	v_fma_f64 v[70:71], v[65:66], s[24:25], v[70:71]
	s_mov_b32 s25, 0x3c7abc9e
	v_fma_f64 v[72:73], v[70:71], s[36:37], s[14:15]
	s_mov_b32 s14, 0x623fde64
	s_mov_b32 s15, 0x3ec71dee
	;; [unrolled: 1-line block ×4, first 2 shown]
	v_fma_f64 v[72:73], v[70:71], v[72:73], s[14:15]
	s_mov_b32 s14, 0x7c89e6b0
	s_mov_b32 s15, 0x3efa0199
	v_fma_f64 v[72:73], v[70:71], v[72:73], s[14:15]
	s_mov_b32 s14, 0x14761f6e
	s_mov_b32 s15, 0x3f2a01a0
	;; [unrolled: 3-line block ×7, first 2 shown]
	v_fma_f64 v[72:73], v[70:71], v[72:73], s[14:15]
	v_cmp_nlt_f64_e64 s14, 0x40900000, v[63:64]
	v_cmp_ngt_f64_e64 s15, 0xc090cc00, v[63:64]
	v_fma_f64 v[72:73], v[70:71], v[72:73], 1.0
	v_fma_f64 v[65:66], v[70:71], v[72:73], 1.0
	v_ldexp_f64 v[65:66], v[65:66], v68
	v_cndmask_b32_e64 v66, 0x7ff00000, v66, s14
	s_and_b32 s14, s15, s14
	v_cndmask_b32_e64 v63, 0, v65, s14
	s_mov_b32 s14, 0x55555555
	v_cndmask_b32_e64 v64, 0, v66, s15
	s_mov_b32 s15, 0x3fe55555
	v_add_f64 v[65:66], v[63:64], 1.0
	v_frexp_mant_f64_e32 v[70:71], v[65:66]
	v_frexp_exp_i32_f64_e32 v68, v[65:66]
	v_add_f64 v[72:73], v[65:66], -1.0
	v_cmp_gt_f64_e64 s14, s[14:15], v[70:71]
	v_add_f64 v[70:71], v[72:73], -v[65:66]
	v_add_f64 v[72:73], v[63:64], -v[72:73]
	v_subrev_co_ci_u32_e64 v68, null, 0, v68, s14
	v_add_f64 v[70:71], v[70:71], 1.0
	s_mov_b32 s14, 0x55555780
	v_sub_nc_u32_e32 v74, 0, v68
	v_ldexp_f64 v[65:66], v[65:66], v74
	v_add_f64 v[70:71], v[72:73], v[70:71]
	v_add_f64 v[77:78], v[65:66], 1.0
	v_add_f64 v[83:84], v[65:66], -1.0
	v_ldexp_f64 v[70:71], v[70:71], v74
	v_add_f64 v[72:73], v[77:78], -1.0
	v_add_f64 v[85:86], v[83:84], 1.0
	v_add_f64 v[72:73], v[65:66], -v[72:73]
	v_add_f64 v[65:66], v[65:66], -v[85:86]
	v_add_f64 v[72:73], v[70:71], v[72:73]
	v_add_f64 v[65:66], v[70:71], v[65:66]
	;; [unrolled: 1-line block ×4, first 2 shown]
	v_rcp_f64_e32 v[81:82], v[79:80]
	v_add_f64 v[77:78], v[79:80], -v[77:78]
	v_add_f64 v[83:84], v[85:86], -v[83:84]
	;; [unrolled: 1-line block ×3, first 2 shown]
	v_fma_f64 v[87:88], -v[79:80], v[81:82], 1.0
	v_add_f64 v[65:66], v[65:66], -v[83:84]
	v_fma_f64 v[81:82], v[87:88], v[81:82], v[81:82]
	v_fma_f64 v[70:71], -v[79:80], v[81:82], 1.0
	v_fma_f64 v[70:71], v[70:71], v[81:82], v[81:82]
	v_mul_f64 v[81:82], v[85:86], v[70:71]
	v_mul_f64 v[87:88], v[79:80], v[81:82]
	v_fma_f64 v[77:78], v[81:82], v[79:80], -v[87:88]
	v_fma_f64 v[77:78], v[81:82], v[72:73], v[77:78]
	v_add_f64 v[89:90], v[87:88], v[77:78]
	v_add_f64 v[91:92], v[85:86], -v[89:90]
	v_add_f64 v[83:84], v[89:90], -v[87:88]
	;; [unrolled: 1-line block ×5, first 2 shown]
	v_add_f64 v[65:66], v[65:66], v[85:86]
	v_add_f64 v[65:66], v[77:78], v[65:66]
	;; [unrolled: 1-line block ×3, first 2 shown]
	v_mul_f64 v[83:84], v[70:71], v[77:78]
	v_add_f64 v[89:90], v[91:92], -v[77:78]
	v_mul_f64 v[85:86], v[79:80], v[83:84]
	v_add_f64 v[65:66], v[65:66], v[89:90]
	v_fma_f64 v[79:80], v[83:84], v[79:80], -v[85:86]
	v_fma_f64 v[72:73], v[83:84], v[72:73], v[79:80]
	v_add_f64 v[79:80], v[85:86], v[72:73]
	v_add_f64 v[87:88], v[77:78], -v[79:80]
	v_add_f64 v[85:86], v[79:80], -v[85:86]
	;; [unrolled: 1-line block ×5, first 2 shown]
	v_add_f64 v[65:66], v[65:66], v[77:78]
	v_add_f64 v[77:78], v[81:82], v[83:84]
	;; [unrolled: 1-line block ×3, first 2 shown]
	v_add_f64 v[72:73], v[77:78], -v[81:82]
	v_add_f64 v[65:66], v[87:88], v[65:66]
	v_add_f64 v[72:73], v[83:84], -v[72:73]
	v_mul_f64 v[65:66], v[70:71], v[65:66]
	v_add_f64 v[65:66], v[72:73], v[65:66]
	v_add_f64 v[70:71], v[77:78], v[65:66]
	v_mul_f64 v[72:73], v[70:71], v[70:71]
	v_fma_f64 v[79:80], v[72:73], s[38:39], s[36:37]
	s_mov_b32 s36, 0xd7f4df2e
	s_mov_b32 s37, 0x3fc7474d
	v_mul_f64 v[81:82], v[70:71], v[72:73]
	v_fma_f64 v[79:80], v[72:73], v[79:80], s[36:37]
	s_mov_b32 s36, 0x16291751
	s_mov_b32 s37, 0x3fcc71c0
	v_fma_f64 v[79:80], v[72:73], v[79:80], s[36:37]
	s_mov_b32 s36, 0x9b27acf1
	s_mov_b32 s37, 0x3fd24924
	;; [unrolled: 3-line block ×3, first 2 shown]
	v_fma_f64 v[79:80], v[72:73], v[79:80], s[36:37]
	v_fma_f64 v[72:73], v[72:73], v[79:80], s[14:15]
	v_ldexp_f64 v[79:80], v[70:71], 1
	v_add_f64 v[70:71], v[70:71], -v[77:78]
	v_cmp_nge_f64_e64 s14, -1.0, v[63:64]
	v_cmp_neq_f64_e64 s15, 0x7ff00000, v[63:64]
	v_mul_f64 v[72:73], v[81:82], v[72:73]
	v_cvt_f64_i32_e32 v[81:82], v68
	v_add_f64 v[65:66], v[65:66], -v[70:71]
	s_and_b32 s14, s14, s15
	v_add_f64 v[77:78], v[79:80], v[72:73]
	v_mul_f64 v[83:84], v[81:82], s[16:17]
	v_ldexp_f64 v[65:66], v[65:66], 1
	v_add_f64 v[70:71], v[77:78], -v[79:80]
	v_fma_f64 v[79:80], v[81:82], s[16:17], -v[83:84]
	v_cmp_ngt_f64_e64 s16, -1.0, v[63:64]
	v_add_f64 v[70:71], v[72:73], -v[70:71]
	v_fma_f64 v[72:73], v[81:82], s[24:25], v[79:80]
	v_add_f64 v[65:66], v[65:66], v[70:71]
	v_add_f64 v[70:71], v[83:84], v[72:73]
	;; [unrolled: 1-line block ×3, first 2 shown]
	v_add_f64 v[83:84], v[70:71], -v[83:84]
	v_add_f64 v[81:82], v[70:71], v[79:80]
	v_add_f64 v[77:78], v[79:80], -v[77:78]
	v_add_f64 v[72:73], v[72:73], -v[83:84]
	;; [unrolled: 1-line block ×6, first 2 shown]
	v_add_f64 v[79:80], v[72:73], v[65:66]
	v_add_f64 v[70:71], v[70:71], -v[87:88]
	v_add_f64 v[70:71], v[77:78], v[70:71]
	v_add_f64 v[77:78], v[79:80], -v[72:73]
	;; [unrolled: 2-line block ×3, first 2 shown]
	v_add_f64 v[65:66], v[65:66], -v[77:78]
	v_add_f64 v[83:84], v[81:82], v[70:71]
	v_add_f64 v[72:73], v[72:73], -v[79:80]
	v_add_f64 v[77:78], v[83:84], -v[81:82]
	v_add_f64 v[65:66], v[65:66], v[72:73]
	v_add_f64 v[70:71], v[70:71], -v[77:78]
	v_add_f64 v[65:66], v[65:66], v[70:71]
	v_add_f64 v[65:66], v[83:84], v[65:66]
	v_cndmask_b32_e64 v65, 0, v65, s14
	v_cmp_neq_f64_e64 s14, -1.0, v[63:64]
	v_cndmask_b32_e64 v66, 0x7ff00000, v66, s15
	v_cndmask_b32_e64 v66, 0x7ff80000, v66, s16
	v_cndmask_b32_e64 v66, 0xfff00000, v66, s14
	v_add_f64 v[63:64], v[35:36], v[65:66]
.LBB9_229:
	s_or_b32 exec_lo, exec_lo, s29
	v_mov_b32_e32 v35, v63
	v_mov_b32_e32 v36, v64
	v_mov_b32_e32 v65, v63
	v_mov_b32_e32 v66, v64
.LBB9_230:
	s_or_b32 exec_lo, exec_lo, s28
	v_mov_b32_dpp v63, v65 row_shr:4 row_mask:0xf bank_mask:0xf
	v_mov_b32_dpp v64, v66 row_shr:4 row_mask:0xf bank_mask:0xf
	s_mov_b32 s28, exec_lo
	v_cmpx_lt_u32_e32 3, v67
	s_cbranch_execz .LBB9_234
; %bb.231:
	v_max_f64 v[65:66], v[63:64], v[63:64]
	v_max_f64 v[70:71], v[35:36], v[35:36]
	v_cmp_u_f64_e64 s14, v[63:64], v[63:64]
	v_cmp_u_f64_e64 s15, v[35:36], v[35:36]
	v_min_f64 v[72:73], v[65:66], v[70:71]
	v_max_f64 v[65:66], v[65:66], v[70:71]
	v_cndmask_b32_e64 v68, v73, v64, s14
	v_cndmask_b32_e64 v70, v72, v63, s14
	;; [unrolled: 1-line block ×8, first 2 shown]
	v_cmp_class_f64_e64 s15, v[65:66], 0x1f8
	v_cmp_neq_f64_e64 s14, v[65:66], v[35:36]
	s_or_b32 s14, s14, s15
	s_and_saveexec_b32 s29, s14
	s_cbranch_execz .LBB9_233
; %bb.232:
	v_add_f64 v[63:64], v[65:66], -v[35:36]
	s_mov_b32 s14, 0x652b82fe
	s_mov_b32 s15, 0x3ff71547
	;; [unrolled: 1-line block ×10, first 2 shown]
	v_mul_f64 v[65:66], v[63:64], s[14:15]
	s_mov_b32 s14, 0xfca7ab0c
	s_mov_b32 s15, 0x3e928af3
	v_rndne_f64_e32 v[65:66], v[65:66]
	v_fma_f64 v[70:71], v[65:66], s[16:17], v[63:64]
	v_cvt_i32_f64_e32 v68, v[65:66]
	s_mov_b32 s17, 0x3fe62e42
	v_fma_f64 v[70:71], v[65:66], s[24:25], v[70:71]
	s_mov_b32 s25, 0x3c7abc9e
	v_fma_f64 v[72:73], v[70:71], s[36:37], s[14:15]
	s_mov_b32 s14, 0x623fde64
	s_mov_b32 s15, 0x3ec71dee
	;; [unrolled: 1-line block ×4, first 2 shown]
	v_fma_f64 v[72:73], v[70:71], v[72:73], s[14:15]
	s_mov_b32 s14, 0x7c89e6b0
	s_mov_b32 s15, 0x3efa0199
	v_fma_f64 v[72:73], v[70:71], v[72:73], s[14:15]
	s_mov_b32 s14, 0x14761f6e
	s_mov_b32 s15, 0x3f2a01a0
	;; [unrolled: 3-line block ×7, first 2 shown]
	v_fma_f64 v[72:73], v[70:71], v[72:73], s[14:15]
	v_cmp_nlt_f64_e64 s14, 0x40900000, v[63:64]
	v_cmp_ngt_f64_e64 s15, 0xc090cc00, v[63:64]
	v_fma_f64 v[72:73], v[70:71], v[72:73], 1.0
	v_fma_f64 v[65:66], v[70:71], v[72:73], 1.0
	v_ldexp_f64 v[65:66], v[65:66], v68
	v_cndmask_b32_e64 v66, 0x7ff00000, v66, s14
	s_and_b32 s14, s15, s14
	v_cndmask_b32_e64 v63, 0, v65, s14
	s_mov_b32 s14, 0x55555555
	v_cndmask_b32_e64 v64, 0, v66, s15
	s_mov_b32 s15, 0x3fe55555
	v_add_f64 v[65:66], v[63:64], 1.0
	v_frexp_mant_f64_e32 v[70:71], v[65:66]
	v_frexp_exp_i32_f64_e32 v68, v[65:66]
	v_add_f64 v[72:73], v[65:66], -1.0
	v_cmp_gt_f64_e64 s14, s[14:15], v[70:71]
	v_add_f64 v[70:71], v[72:73], -v[65:66]
	v_add_f64 v[72:73], v[63:64], -v[72:73]
	v_subrev_co_ci_u32_e64 v68, null, 0, v68, s14
	v_add_f64 v[70:71], v[70:71], 1.0
	s_mov_b32 s14, 0x55555780
	v_sub_nc_u32_e32 v74, 0, v68
	v_ldexp_f64 v[65:66], v[65:66], v74
	v_add_f64 v[70:71], v[72:73], v[70:71]
	v_add_f64 v[77:78], v[65:66], 1.0
	v_add_f64 v[83:84], v[65:66], -1.0
	v_ldexp_f64 v[70:71], v[70:71], v74
	v_add_f64 v[72:73], v[77:78], -1.0
	v_add_f64 v[85:86], v[83:84], 1.0
	v_add_f64 v[72:73], v[65:66], -v[72:73]
	v_add_f64 v[65:66], v[65:66], -v[85:86]
	v_add_f64 v[72:73], v[70:71], v[72:73]
	v_add_f64 v[65:66], v[70:71], v[65:66]
	;; [unrolled: 1-line block ×4, first 2 shown]
	v_rcp_f64_e32 v[81:82], v[79:80]
	v_add_f64 v[77:78], v[79:80], -v[77:78]
	v_add_f64 v[83:84], v[85:86], -v[83:84]
	;; [unrolled: 1-line block ×3, first 2 shown]
	v_fma_f64 v[87:88], -v[79:80], v[81:82], 1.0
	v_add_f64 v[65:66], v[65:66], -v[83:84]
	v_fma_f64 v[81:82], v[87:88], v[81:82], v[81:82]
	v_fma_f64 v[70:71], -v[79:80], v[81:82], 1.0
	v_fma_f64 v[70:71], v[70:71], v[81:82], v[81:82]
	v_mul_f64 v[81:82], v[85:86], v[70:71]
	v_mul_f64 v[87:88], v[79:80], v[81:82]
	v_fma_f64 v[77:78], v[81:82], v[79:80], -v[87:88]
	v_fma_f64 v[77:78], v[81:82], v[72:73], v[77:78]
	v_add_f64 v[89:90], v[87:88], v[77:78]
	v_add_f64 v[91:92], v[85:86], -v[89:90]
	v_add_f64 v[83:84], v[89:90], -v[87:88]
	;; [unrolled: 1-line block ×5, first 2 shown]
	v_add_f64 v[65:66], v[65:66], v[85:86]
	v_add_f64 v[65:66], v[77:78], v[65:66]
	;; [unrolled: 1-line block ×3, first 2 shown]
	v_mul_f64 v[83:84], v[70:71], v[77:78]
	v_add_f64 v[89:90], v[91:92], -v[77:78]
	v_mul_f64 v[85:86], v[79:80], v[83:84]
	v_add_f64 v[65:66], v[65:66], v[89:90]
	v_fma_f64 v[79:80], v[83:84], v[79:80], -v[85:86]
	v_fma_f64 v[72:73], v[83:84], v[72:73], v[79:80]
	v_add_f64 v[79:80], v[85:86], v[72:73]
	v_add_f64 v[87:88], v[77:78], -v[79:80]
	v_add_f64 v[85:86], v[79:80], -v[85:86]
	;; [unrolled: 1-line block ×5, first 2 shown]
	v_add_f64 v[65:66], v[65:66], v[77:78]
	v_add_f64 v[77:78], v[81:82], v[83:84]
	;; [unrolled: 1-line block ×3, first 2 shown]
	v_add_f64 v[72:73], v[77:78], -v[81:82]
	v_add_f64 v[65:66], v[87:88], v[65:66]
	v_add_f64 v[72:73], v[83:84], -v[72:73]
	v_mul_f64 v[65:66], v[70:71], v[65:66]
	v_add_f64 v[65:66], v[72:73], v[65:66]
	v_add_f64 v[70:71], v[77:78], v[65:66]
	v_mul_f64 v[72:73], v[70:71], v[70:71]
	v_fma_f64 v[79:80], v[72:73], s[38:39], s[36:37]
	s_mov_b32 s36, 0xd7f4df2e
	s_mov_b32 s37, 0x3fc7474d
	v_mul_f64 v[81:82], v[70:71], v[72:73]
	v_fma_f64 v[79:80], v[72:73], v[79:80], s[36:37]
	s_mov_b32 s36, 0x16291751
	s_mov_b32 s37, 0x3fcc71c0
	v_fma_f64 v[79:80], v[72:73], v[79:80], s[36:37]
	s_mov_b32 s36, 0x9b27acf1
	s_mov_b32 s37, 0x3fd24924
	;; [unrolled: 3-line block ×3, first 2 shown]
	v_fma_f64 v[79:80], v[72:73], v[79:80], s[36:37]
	v_fma_f64 v[72:73], v[72:73], v[79:80], s[14:15]
	v_ldexp_f64 v[79:80], v[70:71], 1
	v_add_f64 v[70:71], v[70:71], -v[77:78]
	v_cmp_nge_f64_e64 s14, -1.0, v[63:64]
	v_cmp_neq_f64_e64 s15, 0x7ff00000, v[63:64]
	v_mul_f64 v[72:73], v[81:82], v[72:73]
	v_cvt_f64_i32_e32 v[81:82], v68
	v_add_f64 v[65:66], v[65:66], -v[70:71]
	s_and_b32 s14, s14, s15
	v_add_f64 v[77:78], v[79:80], v[72:73]
	v_mul_f64 v[83:84], v[81:82], s[16:17]
	v_ldexp_f64 v[65:66], v[65:66], 1
	v_add_f64 v[70:71], v[77:78], -v[79:80]
	v_fma_f64 v[79:80], v[81:82], s[16:17], -v[83:84]
	v_cmp_ngt_f64_e64 s16, -1.0, v[63:64]
	v_add_f64 v[70:71], v[72:73], -v[70:71]
	v_fma_f64 v[72:73], v[81:82], s[24:25], v[79:80]
	v_add_f64 v[65:66], v[65:66], v[70:71]
	v_add_f64 v[70:71], v[83:84], v[72:73]
	;; [unrolled: 1-line block ×3, first 2 shown]
	v_add_f64 v[83:84], v[70:71], -v[83:84]
	v_add_f64 v[81:82], v[70:71], v[79:80]
	v_add_f64 v[77:78], v[79:80], -v[77:78]
	v_add_f64 v[72:73], v[72:73], -v[83:84]
	;; [unrolled: 1-line block ×6, first 2 shown]
	v_add_f64 v[79:80], v[72:73], v[65:66]
	v_add_f64 v[70:71], v[70:71], -v[87:88]
	v_add_f64 v[70:71], v[77:78], v[70:71]
	v_add_f64 v[77:78], v[79:80], -v[72:73]
	;; [unrolled: 2-line block ×3, first 2 shown]
	v_add_f64 v[65:66], v[65:66], -v[77:78]
	v_add_f64 v[83:84], v[81:82], v[70:71]
	v_add_f64 v[72:73], v[72:73], -v[79:80]
	v_add_f64 v[77:78], v[83:84], -v[81:82]
	v_add_f64 v[65:66], v[65:66], v[72:73]
	v_add_f64 v[70:71], v[70:71], -v[77:78]
	v_add_f64 v[65:66], v[65:66], v[70:71]
	v_add_f64 v[65:66], v[83:84], v[65:66]
	v_cndmask_b32_e64 v65, 0, v65, s14
	v_cmp_neq_f64_e64 s14, -1.0, v[63:64]
	v_cndmask_b32_e64 v66, 0x7ff00000, v66, s15
	v_cndmask_b32_e64 v66, 0x7ff80000, v66, s16
	;; [unrolled: 1-line block ×3, first 2 shown]
	v_add_f64 v[63:64], v[35:36], v[65:66]
.LBB9_233:
	s_or_b32 exec_lo, exec_lo, s29
	v_mov_b32_e32 v35, v63
	v_mov_b32_e32 v36, v64
	;; [unrolled: 1-line block ×4, first 2 shown]
.LBB9_234:
	s_or_b32 exec_lo, exec_lo, s28
	v_mov_b32_dpp v63, v65 row_shr:8 row_mask:0xf bank_mask:0xf
	v_mov_b32_dpp v64, v66 row_shr:8 row_mask:0xf bank_mask:0xf
	s_mov_b32 s28, exec_lo
	v_cmpx_lt_u32_e32 7, v67
	s_cbranch_execz .LBB9_238
; %bb.235:
	v_max_f64 v[65:66], v[63:64], v[63:64]
	v_max_f64 v[67:68], v[35:36], v[35:36]
	v_cmp_u_f64_e64 s14, v[63:64], v[63:64]
	v_cmp_u_f64_e64 s15, v[35:36], v[35:36]
	v_min_f64 v[70:71], v[65:66], v[67:68]
	v_max_f64 v[65:66], v[65:66], v[67:68]
	v_cndmask_b32_e64 v67, v71, v64, s14
	v_cndmask_b32_e64 v68, v70, v63, s14
	;; [unrolled: 1-line block ×8, first 2 shown]
	v_cmp_class_f64_e64 s15, v[65:66], 0x1f8
	v_cmp_neq_f64_e64 s14, v[65:66], v[35:36]
	s_or_b32 s14, s14, s15
	s_and_saveexec_b32 s29, s14
	s_cbranch_execz .LBB9_237
; %bb.236:
	v_add_f64 v[63:64], v[65:66], -v[35:36]
	s_mov_b32 s14, 0x652b82fe
	s_mov_b32 s15, 0x3ff71547
	;; [unrolled: 1-line block ×10, first 2 shown]
	v_mul_f64 v[65:66], v[63:64], s[14:15]
	s_mov_b32 s14, 0xfca7ab0c
	s_mov_b32 s15, 0x3e928af3
	v_rndne_f64_e32 v[65:66], v[65:66]
	v_fma_f64 v[67:68], v[65:66], s[16:17], v[63:64]
	v_cvt_i32_f64_e32 v72, v[65:66]
	s_mov_b32 s17, 0x3fe62e42
	v_fma_f64 v[67:68], v[65:66], s[24:25], v[67:68]
	s_mov_b32 s25, 0x3c7abc9e
	v_fma_f64 v[70:71], v[67:68], s[36:37], s[14:15]
	s_mov_b32 s14, 0x623fde64
	s_mov_b32 s15, 0x3ec71dee
	;; [unrolled: 1-line block ×4, first 2 shown]
	v_fma_f64 v[70:71], v[67:68], v[70:71], s[14:15]
	s_mov_b32 s14, 0x7c89e6b0
	s_mov_b32 s15, 0x3efa0199
	v_fma_f64 v[70:71], v[67:68], v[70:71], s[14:15]
	s_mov_b32 s14, 0x14761f6e
	s_mov_b32 s15, 0x3f2a01a0
	;; [unrolled: 3-line block ×7, first 2 shown]
	v_fma_f64 v[70:71], v[67:68], v[70:71], s[14:15]
	v_cmp_nlt_f64_e64 s14, 0x40900000, v[63:64]
	v_cmp_ngt_f64_e64 s15, 0xc090cc00, v[63:64]
	v_fma_f64 v[70:71], v[67:68], v[70:71], 1.0
	v_fma_f64 v[65:66], v[67:68], v[70:71], 1.0
	v_ldexp_f64 v[65:66], v[65:66], v72
	v_cndmask_b32_e64 v66, 0x7ff00000, v66, s14
	s_and_b32 s14, s15, s14
	v_cndmask_b32_e64 v63, 0, v65, s14
	s_mov_b32 s14, 0x55555555
	v_cndmask_b32_e64 v64, 0, v66, s15
	s_mov_b32 s15, 0x3fe55555
	v_add_f64 v[65:66], v[63:64], 1.0
	v_frexp_mant_f64_e32 v[67:68], v[65:66]
	v_frexp_exp_i32_f64_e32 v72, v[65:66]
	v_add_f64 v[70:71], v[65:66], -1.0
	v_cmp_gt_f64_e64 s14, s[14:15], v[67:68]
	v_add_f64 v[67:68], v[70:71], -v[65:66]
	v_add_f64 v[70:71], v[63:64], -v[70:71]
	v_subrev_co_ci_u32_e64 v74, null, 0, v72, s14
	v_add_f64 v[67:68], v[67:68], 1.0
	s_mov_b32 s14, 0x55555780
	v_sub_nc_u32_e32 v77, 0, v74
	v_ldexp_f64 v[65:66], v[65:66], v77
	v_add_f64 v[67:68], v[70:71], v[67:68]
	v_add_f64 v[72:73], v[65:66], 1.0
	v_add_f64 v[81:82], v[65:66], -1.0
	v_ldexp_f64 v[67:68], v[67:68], v77
	v_add_f64 v[70:71], v[72:73], -1.0
	v_add_f64 v[83:84], v[81:82], 1.0
	v_add_f64 v[70:71], v[65:66], -v[70:71]
	v_add_f64 v[65:66], v[65:66], -v[83:84]
	v_add_f64 v[70:71], v[67:68], v[70:71]
	v_add_f64 v[65:66], v[67:68], v[65:66]
	;; [unrolled: 1-line block ×4, first 2 shown]
	v_rcp_f64_e32 v[79:80], v[77:78]
	v_add_f64 v[72:73], v[77:78], -v[72:73]
	v_add_f64 v[81:82], v[83:84], -v[81:82]
	;; [unrolled: 1-line block ×3, first 2 shown]
	v_fma_f64 v[85:86], -v[77:78], v[79:80], 1.0
	v_add_f64 v[65:66], v[65:66], -v[81:82]
	v_fma_f64 v[79:80], v[85:86], v[79:80], v[79:80]
	v_fma_f64 v[67:68], -v[77:78], v[79:80], 1.0
	v_fma_f64 v[67:68], v[67:68], v[79:80], v[79:80]
	v_mul_f64 v[79:80], v[83:84], v[67:68]
	v_mul_f64 v[85:86], v[77:78], v[79:80]
	v_fma_f64 v[72:73], v[79:80], v[77:78], -v[85:86]
	v_fma_f64 v[72:73], v[79:80], v[70:71], v[72:73]
	v_add_f64 v[87:88], v[85:86], v[72:73]
	v_add_f64 v[89:90], v[83:84], -v[87:88]
	v_add_f64 v[81:82], v[87:88], -v[85:86]
	;; [unrolled: 1-line block ×5, first 2 shown]
	v_add_f64 v[65:66], v[65:66], v[83:84]
	v_add_f64 v[65:66], v[72:73], v[65:66]
	;; [unrolled: 1-line block ×3, first 2 shown]
	v_mul_f64 v[81:82], v[67:68], v[72:73]
	v_add_f64 v[87:88], v[89:90], -v[72:73]
	v_mul_f64 v[83:84], v[77:78], v[81:82]
	v_add_f64 v[65:66], v[65:66], v[87:88]
	v_fma_f64 v[77:78], v[81:82], v[77:78], -v[83:84]
	v_fma_f64 v[70:71], v[81:82], v[70:71], v[77:78]
	v_add_f64 v[77:78], v[83:84], v[70:71]
	v_add_f64 v[85:86], v[72:73], -v[77:78]
	v_add_f64 v[83:84], v[77:78], -v[83:84]
	v_add_f64 v[72:73], v[72:73], -v[85:86]
	v_add_f64 v[70:71], v[83:84], -v[70:71]
	v_add_f64 v[72:73], v[72:73], -v[77:78]
	v_add_f64 v[65:66], v[65:66], v[72:73]
	v_add_f64 v[72:73], v[79:80], v[81:82]
	;; [unrolled: 1-line block ×3, first 2 shown]
	v_add_f64 v[70:71], v[72:73], -v[79:80]
	v_add_f64 v[65:66], v[85:86], v[65:66]
	v_add_f64 v[70:71], v[81:82], -v[70:71]
	v_mul_f64 v[65:66], v[67:68], v[65:66]
	v_add_f64 v[65:66], v[70:71], v[65:66]
	v_add_f64 v[67:68], v[72:73], v[65:66]
	v_mul_f64 v[70:71], v[67:68], v[67:68]
	v_fma_f64 v[77:78], v[70:71], s[38:39], s[36:37]
	s_mov_b32 s36, 0xd7f4df2e
	s_mov_b32 s37, 0x3fc7474d
	v_mul_f64 v[79:80], v[67:68], v[70:71]
	v_fma_f64 v[77:78], v[70:71], v[77:78], s[36:37]
	s_mov_b32 s36, 0x16291751
	s_mov_b32 s37, 0x3fcc71c0
	v_fma_f64 v[77:78], v[70:71], v[77:78], s[36:37]
	s_mov_b32 s36, 0x9b27acf1
	s_mov_b32 s37, 0x3fd24924
	;; [unrolled: 3-line block ×3, first 2 shown]
	v_fma_f64 v[77:78], v[70:71], v[77:78], s[36:37]
	v_fma_f64 v[70:71], v[70:71], v[77:78], s[14:15]
	v_ldexp_f64 v[77:78], v[67:68], 1
	v_add_f64 v[67:68], v[67:68], -v[72:73]
	v_cmp_nge_f64_e64 s14, -1.0, v[63:64]
	v_cmp_neq_f64_e64 s15, 0x7ff00000, v[63:64]
	v_mul_f64 v[70:71], v[79:80], v[70:71]
	v_cvt_f64_i32_e32 v[79:80], v74
	v_add_f64 v[65:66], v[65:66], -v[67:68]
	s_and_b32 s14, s14, s15
	v_add_f64 v[72:73], v[77:78], v[70:71]
	v_mul_f64 v[81:82], v[79:80], s[16:17]
	v_ldexp_f64 v[65:66], v[65:66], 1
	v_add_f64 v[67:68], v[72:73], -v[77:78]
	v_fma_f64 v[77:78], v[79:80], s[16:17], -v[81:82]
	v_cmp_ngt_f64_e64 s16, -1.0, v[63:64]
	v_add_f64 v[67:68], v[70:71], -v[67:68]
	v_fma_f64 v[70:71], v[79:80], s[24:25], v[77:78]
	v_add_f64 v[65:66], v[65:66], v[67:68]
	v_add_f64 v[67:68], v[81:82], v[70:71]
	;; [unrolled: 1-line block ×3, first 2 shown]
	v_add_f64 v[81:82], v[67:68], -v[81:82]
	v_add_f64 v[79:80], v[67:68], v[77:78]
	v_add_f64 v[72:73], v[77:78], -v[72:73]
	v_add_f64 v[70:71], v[70:71], -v[81:82]
	;; [unrolled: 1-line block ×6, first 2 shown]
	v_add_f64 v[77:78], v[70:71], v[65:66]
	v_add_f64 v[67:68], v[67:68], -v[85:86]
	v_add_f64 v[67:68], v[72:73], v[67:68]
	v_add_f64 v[72:73], v[77:78], -v[70:71]
	;; [unrolled: 2-line block ×3, first 2 shown]
	v_add_f64 v[65:66], v[65:66], -v[72:73]
	v_add_f64 v[81:82], v[79:80], v[67:68]
	v_add_f64 v[70:71], v[70:71], -v[77:78]
	v_add_f64 v[72:73], v[81:82], -v[79:80]
	v_add_f64 v[65:66], v[65:66], v[70:71]
	v_add_f64 v[67:68], v[67:68], -v[72:73]
	v_add_f64 v[65:66], v[65:66], v[67:68]
	v_add_f64 v[65:66], v[81:82], v[65:66]
	v_cndmask_b32_e64 v65, 0, v65, s14
	v_cmp_neq_f64_e64 s14, -1.0, v[63:64]
	v_cndmask_b32_e64 v66, 0x7ff00000, v66, s15
	v_cndmask_b32_e64 v66, 0x7ff80000, v66, s16
	v_cndmask_b32_e64 v66, 0xfff00000, v66, s14
	v_add_f64 v[63:64], v[35:36], v[65:66]
.LBB9_237:
	s_or_b32 exec_lo, exec_lo, s29
	v_mov_b32_e32 v35, v63
	v_mov_b32_e32 v65, v63
	;; [unrolled: 1-line block ×4, first 2 shown]
.LBB9_238:
	s_or_b32 exec_lo, exec_lo, s28
	ds_swizzle_b32 v63, v65 offset:swizzle(BROADCAST,32,15)
	ds_swizzle_b32 v64, v66 offset:swizzle(BROADCAST,32,15)
	v_and_b32_e32 v65, 16, v69
	s_mov_b32 s28, exec_lo
	v_cmpx_ne_u32_e32 0, v65
	s_cbranch_execz .LBB9_242
; %bb.239:
	s_waitcnt lgkmcnt(0)
	v_max_f64 v[65:66], v[63:64], v[63:64]
	v_max_f64 v[67:68], v[35:36], v[35:36]
	v_cmp_u_f64_e64 s14, v[63:64], v[63:64]
	v_cmp_u_f64_e64 s15, v[35:36], v[35:36]
	v_min_f64 v[70:71], v[65:66], v[67:68]
	v_max_f64 v[65:66], v[65:66], v[67:68]
	v_cndmask_b32_e64 v67, v71, v64, s14
	v_cndmask_b32_e64 v68, v70, v63, s14
	;; [unrolled: 1-line block ×8, first 2 shown]
	v_cmp_class_f64_e64 s15, v[65:66], 0x1f8
	v_cmp_neq_f64_e64 s14, v[65:66], v[35:36]
	s_or_b32 s14, s14, s15
	s_and_saveexec_b32 s29, s14
	s_cbranch_execz .LBB9_241
; %bb.240:
	v_add_f64 v[63:64], v[65:66], -v[35:36]
	s_mov_b32 s14, 0x652b82fe
	s_mov_b32 s15, 0x3ff71547
	s_mov_b32 s17, 0xbfe62e42
	s_mov_b32 s16, 0xfefa39ef
	s_mov_b32 s25, 0xbc7abc9e
	s_mov_b32 s24, 0x3b39803f
	s_mov_b32 s36, 0x6a5dcb37
	s_mov_b32 s37, 0x3e5ade15
	s_mov_b32 s38, 0xbf559e2b
	s_mov_b32 s39, 0x3fc3ab76
	v_mul_f64 v[65:66], v[63:64], s[14:15]
	s_mov_b32 s14, 0xfca7ab0c
	s_mov_b32 s15, 0x3e928af3
	v_rndne_f64_e32 v[65:66], v[65:66]
	v_fma_f64 v[67:68], v[65:66], s[16:17], v[63:64]
	v_cvt_i32_f64_e32 v72, v[65:66]
	s_mov_b32 s17, 0x3fe62e42
	v_fma_f64 v[67:68], v[65:66], s[24:25], v[67:68]
	s_mov_b32 s25, 0x3c7abc9e
	v_fma_f64 v[70:71], v[67:68], s[36:37], s[14:15]
	s_mov_b32 s14, 0x623fde64
	s_mov_b32 s15, 0x3ec71dee
	;; [unrolled: 1-line block ×4, first 2 shown]
	v_fma_f64 v[70:71], v[67:68], v[70:71], s[14:15]
	s_mov_b32 s14, 0x7c89e6b0
	s_mov_b32 s15, 0x3efa0199
	v_fma_f64 v[70:71], v[67:68], v[70:71], s[14:15]
	s_mov_b32 s14, 0x14761f6e
	s_mov_b32 s15, 0x3f2a01a0
	;; [unrolled: 3-line block ×7, first 2 shown]
	v_fma_f64 v[70:71], v[67:68], v[70:71], s[14:15]
	v_cmp_nlt_f64_e64 s14, 0x40900000, v[63:64]
	v_cmp_ngt_f64_e64 s15, 0xc090cc00, v[63:64]
	v_fma_f64 v[70:71], v[67:68], v[70:71], 1.0
	v_fma_f64 v[65:66], v[67:68], v[70:71], 1.0
	v_ldexp_f64 v[65:66], v[65:66], v72
	v_cndmask_b32_e64 v66, 0x7ff00000, v66, s14
	s_and_b32 s14, s15, s14
	v_cndmask_b32_e64 v63, 0, v65, s14
	s_mov_b32 s14, 0x55555555
	v_cndmask_b32_e64 v64, 0, v66, s15
	s_mov_b32 s15, 0x3fe55555
	v_add_f64 v[65:66], v[63:64], 1.0
	v_frexp_mant_f64_e32 v[67:68], v[65:66]
	v_frexp_exp_i32_f64_e32 v72, v[65:66]
	v_add_f64 v[70:71], v[65:66], -1.0
	v_cmp_gt_f64_e64 s14, s[14:15], v[67:68]
	v_add_f64 v[67:68], v[70:71], -v[65:66]
	v_add_f64 v[70:71], v[63:64], -v[70:71]
	v_subrev_co_ci_u32_e64 v74, null, 0, v72, s14
	v_add_f64 v[67:68], v[67:68], 1.0
	s_mov_b32 s14, 0x55555780
	v_sub_nc_u32_e32 v77, 0, v74
	v_ldexp_f64 v[65:66], v[65:66], v77
	v_add_f64 v[67:68], v[70:71], v[67:68]
	v_add_f64 v[72:73], v[65:66], 1.0
	v_add_f64 v[81:82], v[65:66], -1.0
	v_ldexp_f64 v[67:68], v[67:68], v77
	v_add_f64 v[70:71], v[72:73], -1.0
	v_add_f64 v[83:84], v[81:82], 1.0
	v_add_f64 v[70:71], v[65:66], -v[70:71]
	v_add_f64 v[65:66], v[65:66], -v[83:84]
	v_add_f64 v[70:71], v[67:68], v[70:71]
	v_add_f64 v[65:66], v[67:68], v[65:66]
	;; [unrolled: 1-line block ×4, first 2 shown]
	v_rcp_f64_e32 v[79:80], v[77:78]
	v_add_f64 v[72:73], v[77:78], -v[72:73]
	v_add_f64 v[81:82], v[83:84], -v[81:82]
	;; [unrolled: 1-line block ×3, first 2 shown]
	v_fma_f64 v[85:86], -v[77:78], v[79:80], 1.0
	v_add_f64 v[65:66], v[65:66], -v[81:82]
	v_fma_f64 v[79:80], v[85:86], v[79:80], v[79:80]
	v_fma_f64 v[67:68], -v[77:78], v[79:80], 1.0
	v_fma_f64 v[67:68], v[67:68], v[79:80], v[79:80]
	v_mul_f64 v[79:80], v[83:84], v[67:68]
	v_mul_f64 v[85:86], v[77:78], v[79:80]
	v_fma_f64 v[72:73], v[79:80], v[77:78], -v[85:86]
	v_fma_f64 v[72:73], v[79:80], v[70:71], v[72:73]
	v_add_f64 v[87:88], v[85:86], v[72:73]
	v_add_f64 v[89:90], v[83:84], -v[87:88]
	v_add_f64 v[81:82], v[87:88], -v[85:86]
	;; [unrolled: 1-line block ×5, first 2 shown]
	v_add_f64 v[65:66], v[65:66], v[83:84]
	v_add_f64 v[65:66], v[72:73], v[65:66]
	;; [unrolled: 1-line block ×3, first 2 shown]
	v_mul_f64 v[81:82], v[67:68], v[72:73]
	v_add_f64 v[87:88], v[89:90], -v[72:73]
	v_mul_f64 v[83:84], v[77:78], v[81:82]
	v_add_f64 v[65:66], v[65:66], v[87:88]
	v_fma_f64 v[77:78], v[81:82], v[77:78], -v[83:84]
	v_fma_f64 v[70:71], v[81:82], v[70:71], v[77:78]
	v_add_f64 v[77:78], v[83:84], v[70:71]
	v_add_f64 v[85:86], v[72:73], -v[77:78]
	v_add_f64 v[83:84], v[77:78], -v[83:84]
	;; [unrolled: 1-line block ×5, first 2 shown]
	v_add_f64 v[65:66], v[65:66], v[72:73]
	v_add_f64 v[72:73], v[79:80], v[81:82]
	;; [unrolled: 1-line block ×3, first 2 shown]
	v_add_f64 v[70:71], v[72:73], -v[79:80]
	v_add_f64 v[65:66], v[85:86], v[65:66]
	v_add_f64 v[70:71], v[81:82], -v[70:71]
	v_mul_f64 v[65:66], v[67:68], v[65:66]
	v_add_f64 v[65:66], v[70:71], v[65:66]
	v_add_f64 v[67:68], v[72:73], v[65:66]
	v_mul_f64 v[70:71], v[67:68], v[67:68]
	v_fma_f64 v[77:78], v[70:71], s[38:39], s[36:37]
	s_mov_b32 s36, 0xd7f4df2e
	s_mov_b32 s37, 0x3fc7474d
	v_mul_f64 v[79:80], v[67:68], v[70:71]
	v_fma_f64 v[77:78], v[70:71], v[77:78], s[36:37]
	s_mov_b32 s36, 0x16291751
	s_mov_b32 s37, 0x3fcc71c0
	v_fma_f64 v[77:78], v[70:71], v[77:78], s[36:37]
	s_mov_b32 s36, 0x9b27acf1
	s_mov_b32 s37, 0x3fd24924
	;; [unrolled: 3-line block ×3, first 2 shown]
	v_fma_f64 v[77:78], v[70:71], v[77:78], s[36:37]
	v_fma_f64 v[70:71], v[70:71], v[77:78], s[14:15]
	v_ldexp_f64 v[77:78], v[67:68], 1
	v_add_f64 v[67:68], v[67:68], -v[72:73]
	v_cmp_nge_f64_e64 s14, -1.0, v[63:64]
	v_cmp_neq_f64_e64 s15, 0x7ff00000, v[63:64]
	v_mul_f64 v[70:71], v[79:80], v[70:71]
	v_cvt_f64_i32_e32 v[79:80], v74
	v_add_f64 v[65:66], v[65:66], -v[67:68]
	s_and_b32 s14, s14, s15
	v_add_f64 v[72:73], v[77:78], v[70:71]
	v_mul_f64 v[81:82], v[79:80], s[16:17]
	v_ldexp_f64 v[65:66], v[65:66], 1
	v_add_f64 v[67:68], v[72:73], -v[77:78]
	v_fma_f64 v[77:78], v[79:80], s[16:17], -v[81:82]
	v_cmp_ngt_f64_e64 s16, -1.0, v[63:64]
	v_add_f64 v[67:68], v[70:71], -v[67:68]
	v_fma_f64 v[70:71], v[79:80], s[24:25], v[77:78]
	v_add_f64 v[65:66], v[65:66], v[67:68]
	v_add_f64 v[67:68], v[81:82], v[70:71]
	;; [unrolled: 1-line block ×3, first 2 shown]
	v_add_f64 v[81:82], v[67:68], -v[81:82]
	v_add_f64 v[79:80], v[67:68], v[77:78]
	v_add_f64 v[72:73], v[77:78], -v[72:73]
	v_add_f64 v[70:71], v[70:71], -v[81:82]
	;; [unrolled: 1-line block ×6, first 2 shown]
	v_add_f64 v[77:78], v[70:71], v[65:66]
	v_add_f64 v[67:68], v[67:68], -v[85:86]
	v_add_f64 v[67:68], v[72:73], v[67:68]
	v_add_f64 v[72:73], v[77:78], -v[70:71]
	;; [unrolled: 2-line block ×3, first 2 shown]
	v_add_f64 v[65:66], v[65:66], -v[72:73]
	v_add_f64 v[81:82], v[79:80], v[67:68]
	v_add_f64 v[70:71], v[70:71], -v[77:78]
	v_add_f64 v[72:73], v[81:82], -v[79:80]
	v_add_f64 v[65:66], v[65:66], v[70:71]
	v_add_f64 v[67:68], v[67:68], -v[72:73]
	v_add_f64 v[65:66], v[65:66], v[67:68]
	v_add_f64 v[65:66], v[81:82], v[65:66]
	v_cndmask_b32_e64 v65, 0, v65, s14
	v_cmp_neq_f64_e64 s14, -1.0, v[63:64]
	v_cndmask_b32_e64 v66, 0x7ff00000, v66, s15
	v_cndmask_b32_e64 v66, 0x7ff80000, v66, s16
	;; [unrolled: 1-line block ×3, first 2 shown]
	v_add_f64 v[63:64], v[35:36], v[65:66]
.LBB9_241:
	s_or_b32 exec_lo, exec_lo, s29
	v_mov_b32_e32 v35, v63
	v_mov_b32_e32 v36, v64
.LBB9_242:
	s_or_b32 exec_lo, exec_lo, s28
	s_waitcnt lgkmcnt(1)
	v_or_b32_e32 v63, 31, v0
	v_lshrrev_b32_e32 v70, 5, v0
	s_mov_b32 s15, exec_lo
	v_cmpx_eq_u32_e64 v0, v63
; %bb.243:
	v_lshlrev_b32_e32 v63, 3, v70
	ds_write_b64 v63, v[35:36]
; %bb.244:
	s_or_b32 exec_lo, exec_lo, s15
	s_mov_b32 s28, exec_lo
	s_waitcnt lgkmcnt(0)
	s_barrier
	buffer_gl0_inv
	v_cmpx_gt_u32_e32 4, v0
	s_cbranch_execz .LBB9_254
; %bb.245:
	v_mad_i32_i24 v63, 0xffffff98, v0, v76
	v_and_b32_e32 v71, 3, v69
	s_mov_b32 s29, exec_lo
	ds_read_b64 v[63:64], v63
	s_waitcnt lgkmcnt(0)
	v_mov_b32_dpp v65, v63 row_shr:1 row_mask:0xf bank_mask:0xf
	v_mov_b32_dpp v66, v64 row_shr:1 row_mask:0xf bank_mask:0xf
	v_mov_b32_e32 v67, v63
	v_mov_b32_e32 v68, v64
	v_cmpx_ne_u32_e32 0, v71
	s_cbranch_execz .LBB9_249
; %bb.246:
	v_max_f64 v[67:68], v[65:66], v[65:66]
	v_max_f64 v[72:73], v[63:64], v[63:64]
	v_cmp_u_f64_e64 s14, v[65:66], v[65:66]
	v_cmp_u_f64_e64 s15, v[63:64], v[63:64]
	v_min_f64 v[77:78], v[67:68], v[72:73]
	v_max_f64 v[67:68], v[67:68], v[72:73]
	v_cndmask_b32_e64 v72, v78, v66, s14
	v_cndmask_b32_e64 v73, v77, v65, s14
	;; [unrolled: 1-line block ×8, first 2 shown]
	v_cmp_class_f64_e64 s15, v[67:68], 0x1f8
	v_cmp_neq_f64_e64 s14, v[67:68], v[63:64]
	s_or_b32 s14, s14, s15
	s_and_saveexec_b32 s36, s14
	s_cbranch_execz .LBB9_248
; %bb.247:
	v_add_f64 v[65:66], v[67:68], -v[63:64]
	s_mov_b32 s14, 0x652b82fe
	s_mov_b32 s15, 0x3ff71547
	;; [unrolled: 1-line block ×10, first 2 shown]
	v_mul_f64 v[67:68], v[65:66], s[14:15]
	s_mov_b32 s14, 0xfca7ab0c
	s_mov_b32 s15, 0x3e928af3
	v_rndne_f64_e32 v[67:68], v[67:68]
	v_fma_f64 v[72:73], v[67:68], s[16:17], v[65:66]
	v_cvt_i32_f64_e32 v74, v[67:68]
	s_mov_b32 s17, 0x3fe62e42
	v_fma_f64 v[72:73], v[67:68], s[24:25], v[72:73]
	s_mov_b32 s25, 0x3c7abc9e
	v_fma_f64 v[77:78], v[72:73], s[38:39], s[14:15]
	s_mov_b32 s14, 0x623fde64
	s_mov_b32 s15, 0x3ec71dee
	;; [unrolled: 1-line block ×4, first 2 shown]
	v_fma_f64 v[77:78], v[72:73], v[77:78], s[14:15]
	s_mov_b32 s14, 0x7c89e6b0
	s_mov_b32 s15, 0x3efa0199
	v_fma_f64 v[77:78], v[72:73], v[77:78], s[14:15]
	s_mov_b32 s14, 0x14761f6e
	s_mov_b32 s15, 0x3f2a01a0
	;; [unrolled: 3-line block ×7, first 2 shown]
	v_fma_f64 v[77:78], v[72:73], v[77:78], s[14:15]
	v_cmp_nlt_f64_e64 s14, 0x40900000, v[65:66]
	v_cmp_ngt_f64_e64 s15, 0xc090cc00, v[65:66]
	v_fma_f64 v[77:78], v[72:73], v[77:78], 1.0
	v_fma_f64 v[67:68], v[72:73], v[77:78], 1.0
	v_ldexp_f64 v[67:68], v[67:68], v74
	v_cndmask_b32_e64 v68, 0x7ff00000, v68, s14
	s_and_b32 s14, s15, s14
	v_cndmask_b32_e64 v65, 0, v67, s14
	s_mov_b32 s14, 0x55555555
	v_cndmask_b32_e64 v66, 0, v68, s15
	s_mov_b32 s15, 0x3fe55555
	v_add_f64 v[67:68], v[65:66], 1.0
	v_frexp_mant_f64_e32 v[72:73], v[67:68]
	v_frexp_exp_i32_f64_e32 v74, v[67:68]
	v_add_f64 v[77:78], v[67:68], -1.0
	v_cmp_gt_f64_e64 s14, s[14:15], v[72:73]
	v_add_f64 v[72:73], v[77:78], -v[67:68]
	v_add_f64 v[77:78], v[65:66], -v[77:78]
	v_subrev_co_ci_u32_e64 v74, null, 0, v74, s14
	v_add_f64 v[72:73], v[72:73], 1.0
	s_mov_b32 s14, 0x55555780
	v_sub_nc_u32_e32 v81, 0, v74
	v_ldexp_f64 v[67:68], v[67:68], v81
	v_add_f64 v[72:73], v[77:78], v[72:73]
	v_add_f64 v[79:80], v[67:68], 1.0
	v_add_f64 v[85:86], v[67:68], -1.0
	v_ldexp_f64 v[72:73], v[72:73], v81
	v_add_f64 v[77:78], v[79:80], -1.0
	v_add_f64 v[87:88], v[85:86], 1.0
	v_add_f64 v[77:78], v[67:68], -v[77:78]
	v_add_f64 v[67:68], v[67:68], -v[87:88]
	v_add_f64 v[77:78], v[72:73], v[77:78]
	v_add_f64 v[67:68], v[72:73], v[67:68]
	;; [unrolled: 1-line block ×4, first 2 shown]
	v_rcp_f64_e32 v[83:84], v[81:82]
	v_add_f64 v[79:80], v[81:82], -v[79:80]
	v_add_f64 v[85:86], v[87:88], -v[85:86]
	v_add_f64 v[77:78], v[77:78], -v[79:80]
	v_fma_f64 v[89:90], -v[81:82], v[83:84], 1.0
	v_add_f64 v[67:68], v[67:68], -v[85:86]
	v_fma_f64 v[83:84], v[89:90], v[83:84], v[83:84]
	v_fma_f64 v[72:73], -v[81:82], v[83:84], 1.0
	v_fma_f64 v[72:73], v[72:73], v[83:84], v[83:84]
	v_mul_f64 v[83:84], v[87:88], v[72:73]
	v_mul_f64 v[89:90], v[81:82], v[83:84]
	v_fma_f64 v[79:80], v[83:84], v[81:82], -v[89:90]
	v_fma_f64 v[79:80], v[83:84], v[77:78], v[79:80]
	v_add_f64 v[91:92], v[89:90], v[79:80]
	v_add_f64 v[93:94], v[87:88], -v[91:92]
	v_add_f64 v[85:86], v[91:92], -v[89:90]
	;; [unrolled: 1-line block ×5, first 2 shown]
	v_add_f64 v[67:68], v[67:68], v[87:88]
	v_add_f64 v[67:68], v[79:80], v[67:68]
	;; [unrolled: 1-line block ×3, first 2 shown]
	v_mul_f64 v[85:86], v[72:73], v[79:80]
	v_add_f64 v[91:92], v[93:94], -v[79:80]
	v_mul_f64 v[87:88], v[81:82], v[85:86]
	v_add_f64 v[67:68], v[67:68], v[91:92]
	v_fma_f64 v[81:82], v[85:86], v[81:82], -v[87:88]
	v_fma_f64 v[77:78], v[85:86], v[77:78], v[81:82]
	v_add_f64 v[81:82], v[87:88], v[77:78]
	v_add_f64 v[89:90], v[79:80], -v[81:82]
	v_add_f64 v[87:88], v[81:82], -v[87:88]
	;; [unrolled: 1-line block ×5, first 2 shown]
	v_add_f64 v[67:68], v[67:68], v[79:80]
	v_add_f64 v[79:80], v[83:84], v[85:86]
	;; [unrolled: 1-line block ×3, first 2 shown]
	v_add_f64 v[77:78], v[79:80], -v[83:84]
	v_add_f64 v[67:68], v[89:90], v[67:68]
	v_add_f64 v[77:78], v[85:86], -v[77:78]
	v_mul_f64 v[67:68], v[72:73], v[67:68]
	v_add_f64 v[67:68], v[77:78], v[67:68]
	v_add_f64 v[72:73], v[79:80], v[67:68]
	v_mul_f64 v[77:78], v[72:73], v[72:73]
	v_fma_f64 v[81:82], v[77:78], s[40:41], s[38:39]
	s_mov_b32 s38, 0xd7f4df2e
	s_mov_b32 s39, 0x3fc7474d
	v_mul_f64 v[83:84], v[72:73], v[77:78]
	v_fma_f64 v[81:82], v[77:78], v[81:82], s[38:39]
	s_mov_b32 s38, 0x16291751
	s_mov_b32 s39, 0x3fcc71c0
	v_fma_f64 v[81:82], v[77:78], v[81:82], s[38:39]
	s_mov_b32 s38, 0x9b27acf1
	s_mov_b32 s39, 0x3fd24924
	;; [unrolled: 3-line block ×3, first 2 shown]
	v_fma_f64 v[81:82], v[77:78], v[81:82], s[38:39]
	v_fma_f64 v[77:78], v[77:78], v[81:82], s[14:15]
	v_ldexp_f64 v[81:82], v[72:73], 1
	v_add_f64 v[72:73], v[72:73], -v[79:80]
	v_cmp_nge_f64_e64 s14, -1.0, v[65:66]
	v_cmp_neq_f64_e64 s15, 0x7ff00000, v[65:66]
	v_mul_f64 v[77:78], v[83:84], v[77:78]
	v_cvt_f64_i32_e32 v[83:84], v74
	v_add_f64 v[67:68], v[67:68], -v[72:73]
	s_and_b32 s14, s14, s15
	v_add_f64 v[79:80], v[81:82], v[77:78]
	v_mul_f64 v[85:86], v[83:84], s[16:17]
	v_ldexp_f64 v[67:68], v[67:68], 1
	v_add_f64 v[72:73], v[79:80], -v[81:82]
	v_fma_f64 v[81:82], v[83:84], s[16:17], -v[85:86]
	v_cmp_ngt_f64_e64 s16, -1.0, v[65:66]
	v_add_f64 v[72:73], v[77:78], -v[72:73]
	v_fma_f64 v[77:78], v[83:84], s[24:25], v[81:82]
	v_add_f64 v[67:68], v[67:68], v[72:73]
	v_add_f64 v[72:73], v[85:86], v[77:78]
	;; [unrolled: 1-line block ×3, first 2 shown]
	v_add_f64 v[85:86], v[72:73], -v[85:86]
	v_add_f64 v[83:84], v[72:73], v[81:82]
	v_add_f64 v[79:80], v[81:82], -v[79:80]
	v_add_f64 v[77:78], v[77:78], -v[85:86]
	;; [unrolled: 1-line block ×6, first 2 shown]
	v_add_f64 v[81:82], v[77:78], v[67:68]
	v_add_f64 v[72:73], v[72:73], -v[89:90]
	v_add_f64 v[72:73], v[79:80], v[72:73]
	v_add_f64 v[79:80], v[81:82], -v[77:78]
	;; [unrolled: 2-line block ×3, first 2 shown]
	v_add_f64 v[67:68], v[67:68], -v[79:80]
	v_add_f64 v[85:86], v[83:84], v[72:73]
	v_add_f64 v[77:78], v[77:78], -v[81:82]
	v_add_f64 v[79:80], v[85:86], -v[83:84]
	v_add_f64 v[67:68], v[67:68], v[77:78]
	v_add_f64 v[72:73], v[72:73], -v[79:80]
	v_add_f64 v[67:68], v[67:68], v[72:73]
	v_add_f64 v[67:68], v[85:86], v[67:68]
	v_cndmask_b32_e64 v67, 0, v67, s14
	v_cmp_neq_f64_e64 s14, -1.0, v[65:66]
	v_cndmask_b32_e64 v68, 0x7ff00000, v68, s15
	v_cndmask_b32_e64 v68, 0x7ff80000, v68, s16
	;; [unrolled: 1-line block ×3, first 2 shown]
	v_add_f64 v[65:66], v[63:64], v[67:68]
.LBB9_248:
	s_or_b32 exec_lo, exec_lo, s36
	v_mov_b32_e32 v63, v65
	v_mov_b32_e32 v67, v65
	;; [unrolled: 1-line block ×4, first 2 shown]
.LBB9_249:
	s_or_b32 exec_lo, exec_lo, s29
	v_mul_i32_i24_e32 v72, 0xffffff98, v0
	v_mov_b32_dpp v65, v67 row_shr:2 row_mask:0xf bank_mask:0xf
	v_mov_b32_dpp v66, v68 row_shr:2 row_mask:0xf bank_mask:0xf
	s_mov_b32 s29, exec_lo
	v_cmpx_lt_u32_e32 1, v71
	s_cbranch_execz .LBB9_253
; %bb.250:
	v_max_f64 v[67:68], v[65:66], v[65:66]
	v_max_f64 v[73:74], v[63:64], v[63:64]
	v_cmp_u_f64_e64 s14, v[65:66], v[65:66]
	v_cmp_u_f64_e64 s15, v[63:64], v[63:64]
	v_min_f64 v[77:78], v[67:68], v[73:74]
	v_max_f64 v[67:68], v[67:68], v[73:74]
	v_cndmask_b32_e64 v71, v78, v66, s14
	v_cndmask_b32_e64 v73, v77, v65, s14
	;; [unrolled: 1-line block ×8, first 2 shown]
	v_cmp_class_f64_e64 s15, v[67:68], 0x1f8
	v_cmp_neq_f64_e64 s14, v[67:68], v[63:64]
	s_or_b32 s14, s14, s15
	s_and_saveexec_b32 s36, s14
	s_cbranch_execz .LBB9_252
; %bb.251:
	v_add_f64 v[65:66], v[67:68], -v[63:64]
	s_mov_b32 s14, 0x652b82fe
	s_mov_b32 s15, 0x3ff71547
	;; [unrolled: 1-line block ×10, first 2 shown]
	v_mul_f64 v[67:68], v[65:66], s[14:15]
	s_mov_b32 s14, 0xfca7ab0c
	s_mov_b32 s15, 0x3e928af3
	v_rndne_f64_e32 v[67:68], v[67:68]
	v_fma_f64 v[73:74], v[67:68], s[16:17], v[65:66]
	v_cvt_i32_f64_e32 v71, v[67:68]
	s_mov_b32 s17, 0x3fe62e42
	v_fma_f64 v[73:74], v[67:68], s[24:25], v[73:74]
	s_mov_b32 s25, 0x3c7abc9e
	v_fma_f64 v[77:78], v[73:74], s[38:39], s[14:15]
	s_mov_b32 s14, 0x623fde64
	s_mov_b32 s15, 0x3ec71dee
	;; [unrolled: 1-line block ×4, first 2 shown]
	v_fma_f64 v[77:78], v[73:74], v[77:78], s[14:15]
	s_mov_b32 s14, 0x7c89e6b0
	s_mov_b32 s15, 0x3efa0199
	v_fma_f64 v[77:78], v[73:74], v[77:78], s[14:15]
	s_mov_b32 s14, 0x14761f6e
	s_mov_b32 s15, 0x3f2a01a0
	;; [unrolled: 3-line block ×7, first 2 shown]
	v_fma_f64 v[77:78], v[73:74], v[77:78], s[14:15]
	v_cmp_nlt_f64_e64 s14, 0x40900000, v[65:66]
	v_cmp_ngt_f64_e64 s15, 0xc090cc00, v[65:66]
	v_fma_f64 v[77:78], v[73:74], v[77:78], 1.0
	v_fma_f64 v[67:68], v[73:74], v[77:78], 1.0
	v_ldexp_f64 v[67:68], v[67:68], v71
	v_cndmask_b32_e64 v68, 0x7ff00000, v68, s14
	s_and_b32 s14, s15, s14
	v_cndmask_b32_e64 v65, 0, v67, s14
	s_mov_b32 s14, 0x55555555
	v_cndmask_b32_e64 v66, 0, v68, s15
	s_mov_b32 s15, 0x3fe55555
	v_add_f64 v[67:68], v[65:66], 1.0
	v_frexp_mant_f64_e32 v[73:74], v[67:68]
	v_frexp_exp_i32_f64_e32 v71, v[67:68]
	v_add_f64 v[77:78], v[67:68], -1.0
	v_cmp_gt_f64_e64 s14, s[14:15], v[73:74]
	v_add_f64 v[73:74], v[77:78], -v[67:68]
	v_add_f64 v[77:78], v[65:66], -v[77:78]
	v_subrev_co_ci_u32_e64 v71, null, 0, v71, s14
	v_add_f64 v[73:74], v[73:74], 1.0
	s_mov_b32 s14, 0x55555780
	v_sub_nc_u32_e32 v81, 0, v71
	v_ldexp_f64 v[67:68], v[67:68], v81
	v_add_f64 v[73:74], v[77:78], v[73:74]
	v_add_f64 v[79:80], v[67:68], 1.0
	v_add_f64 v[85:86], v[67:68], -1.0
	v_ldexp_f64 v[73:74], v[73:74], v81
	v_add_f64 v[77:78], v[79:80], -1.0
	v_add_f64 v[87:88], v[85:86], 1.0
	v_add_f64 v[77:78], v[67:68], -v[77:78]
	v_add_f64 v[67:68], v[67:68], -v[87:88]
	v_add_f64 v[77:78], v[73:74], v[77:78]
	v_add_f64 v[67:68], v[73:74], v[67:68]
	;; [unrolled: 1-line block ×4, first 2 shown]
	v_rcp_f64_e32 v[83:84], v[81:82]
	v_add_f64 v[79:80], v[81:82], -v[79:80]
	v_add_f64 v[85:86], v[87:88], -v[85:86]
	;; [unrolled: 1-line block ×3, first 2 shown]
	v_fma_f64 v[89:90], -v[81:82], v[83:84], 1.0
	v_add_f64 v[67:68], v[67:68], -v[85:86]
	v_fma_f64 v[83:84], v[89:90], v[83:84], v[83:84]
	v_fma_f64 v[73:74], -v[81:82], v[83:84], 1.0
	v_fma_f64 v[73:74], v[73:74], v[83:84], v[83:84]
	v_mul_f64 v[83:84], v[87:88], v[73:74]
	v_mul_f64 v[89:90], v[81:82], v[83:84]
	v_fma_f64 v[79:80], v[83:84], v[81:82], -v[89:90]
	v_fma_f64 v[79:80], v[83:84], v[77:78], v[79:80]
	v_add_f64 v[91:92], v[89:90], v[79:80]
	v_add_f64 v[93:94], v[87:88], -v[91:92]
	v_add_f64 v[85:86], v[91:92], -v[89:90]
	;; [unrolled: 1-line block ×5, first 2 shown]
	v_add_f64 v[67:68], v[67:68], v[87:88]
	v_add_f64 v[67:68], v[79:80], v[67:68]
	;; [unrolled: 1-line block ×3, first 2 shown]
	v_mul_f64 v[85:86], v[73:74], v[79:80]
	v_add_f64 v[91:92], v[93:94], -v[79:80]
	v_mul_f64 v[87:88], v[81:82], v[85:86]
	v_add_f64 v[67:68], v[67:68], v[91:92]
	v_fma_f64 v[81:82], v[85:86], v[81:82], -v[87:88]
	v_fma_f64 v[77:78], v[85:86], v[77:78], v[81:82]
	v_add_f64 v[81:82], v[87:88], v[77:78]
	v_add_f64 v[89:90], v[79:80], -v[81:82]
	v_add_f64 v[87:88], v[81:82], -v[87:88]
	;; [unrolled: 1-line block ×5, first 2 shown]
	v_add_f64 v[67:68], v[67:68], v[79:80]
	v_add_f64 v[79:80], v[83:84], v[85:86]
	;; [unrolled: 1-line block ×3, first 2 shown]
	v_add_f64 v[77:78], v[79:80], -v[83:84]
	v_add_f64 v[67:68], v[89:90], v[67:68]
	v_add_f64 v[77:78], v[85:86], -v[77:78]
	v_mul_f64 v[67:68], v[73:74], v[67:68]
	v_add_f64 v[67:68], v[77:78], v[67:68]
	v_add_f64 v[73:74], v[79:80], v[67:68]
	v_mul_f64 v[77:78], v[73:74], v[73:74]
	v_fma_f64 v[81:82], v[77:78], s[40:41], s[38:39]
	s_mov_b32 s38, 0xd7f4df2e
	s_mov_b32 s39, 0x3fc7474d
	v_mul_f64 v[83:84], v[73:74], v[77:78]
	v_fma_f64 v[81:82], v[77:78], v[81:82], s[38:39]
	s_mov_b32 s38, 0x16291751
	s_mov_b32 s39, 0x3fcc71c0
	v_fma_f64 v[81:82], v[77:78], v[81:82], s[38:39]
	s_mov_b32 s38, 0x9b27acf1
	s_mov_b32 s39, 0x3fd24924
	v_fma_f64 v[81:82], v[77:78], v[81:82], s[38:39]
	s_mov_b32 s38, 0x998ef7b6
	s_mov_b32 s39, 0x3fd99999
	v_fma_f64 v[81:82], v[77:78], v[81:82], s[38:39]
	v_fma_f64 v[77:78], v[77:78], v[81:82], s[14:15]
	v_ldexp_f64 v[81:82], v[73:74], 1
	v_add_f64 v[73:74], v[73:74], -v[79:80]
	v_cmp_nge_f64_e64 s14, -1.0, v[65:66]
	v_cmp_neq_f64_e64 s15, 0x7ff00000, v[65:66]
	v_mul_f64 v[77:78], v[83:84], v[77:78]
	v_cvt_f64_i32_e32 v[83:84], v71
	v_add_f64 v[67:68], v[67:68], -v[73:74]
	s_and_b32 s14, s14, s15
	v_add_f64 v[79:80], v[81:82], v[77:78]
	v_mul_f64 v[85:86], v[83:84], s[16:17]
	v_ldexp_f64 v[67:68], v[67:68], 1
	v_add_f64 v[73:74], v[79:80], -v[81:82]
	v_fma_f64 v[81:82], v[83:84], s[16:17], -v[85:86]
	v_cmp_ngt_f64_e64 s16, -1.0, v[65:66]
	v_add_f64 v[73:74], v[77:78], -v[73:74]
	v_fma_f64 v[77:78], v[83:84], s[24:25], v[81:82]
	v_add_f64 v[67:68], v[67:68], v[73:74]
	v_add_f64 v[73:74], v[85:86], v[77:78]
	;; [unrolled: 1-line block ×3, first 2 shown]
	v_add_f64 v[85:86], v[73:74], -v[85:86]
	v_add_f64 v[83:84], v[73:74], v[81:82]
	v_add_f64 v[79:80], v[81:82], -v[79:80]
	v_add_f64 v[77:78], v[77:78], -v[85:86]
	;; [unrolled: 1-line block ×6, first 2 shown]
	v_add_f64 v[81:82], v[77:78], v[67:68]
	v_add_f64 v[73:74], v[73:74], -v[89:90]
	v_add_f64 v[73:74], v[79:80], v[73:74]
	v_add_f64 v[79:80], v[81:82], -v[77:78]
	;; [unrolled: 2-line block ×3, first 2 shown]
	v_add_f64 v[67:68], v[67:68], -v[79:80]
	v_add_f64 v[85:86], v[83:84], v[73:74]
	v_add_f64 v[77:78], v[77:78], -v[81:82]
	v_add_f64 v[79:80], v[85:86], -v[83:84]
	v_add_f64 v[67:68], v[67:68], v[77:78]
	v_add_f64 v[73:74], v[73:74], -v[79:80]
	v_add_f64 v[67:68], v[67:68], v[73:74]
	v_add_f64 v[67:68], v[85:86], v[67:68]
	v_cndmask_b32_e64 v67, 0, v67, s14
	v_cmp_neq_f64_e64 s14, -1.0, v[65:66]
	v_cndmask_b32_e64 v68, 0x7ff00000, v68, s15
	v_cndmask_b32_e64 v68, 0x7ff80000, v68, s16
	;; [unrolled: 1-line block ×3, first 2 shown]
	v_add_f64 v[65:66], v[63:64], v[67:68]
.LBB9_252:
	s_or_b32 exec_lo, exec_lo, s36
	v_mov_b32_e32 v63, v65
	v_mov_b32_e32 v64, v66
.LBB9_253:
	s_or_b32 exec_lo, exec_lo, s29
	v_add_nc_u32_e32 v65, v76, v72
	ds_write_b64 v65, v[63:64]
.LBB9_254:
	s_or_b32 exec_lo, exec_lo, s28
	s_mov_b32 s28, exec_lo
	s_waitcnt lgkmcnt(0)
	s_barrier
	buffer_gl0_inv
                                        ; implicit-def: $vgpr63_vgpr64
	v_cmpx_lt_u32_e32 31, v0
	s_cbranch_execz .LBB9_258
; %bb.255:
	v_lshl_add_u32 v63, v70, 3, -8
	v_max_f64 v[65:66], v[35:36], v[35:36]
	v_cmp_u_f64_e64 s15, v[35:36], v[35:36]
	ds_read_b64 v[63:64], v63
	s_waitcnt lgkmcnt(0)
	v_max_f64 v[67:68], v[63:64], v[63:64]
	v_cmp_u_f64_e64 s14, v[63:64], v[63:64]
	v_min_f64 v[70:71], v[67:68], v[65:66]
	v_max_f64 v[65:66], v[67:68], v[65:66]
	v_cndmask_b32_e64 v67, v70, v63, s14
	v_cndmask_b32_e64 v68, v71, v64, s14
	;; [unrolled: 1-line block ×8, first 2 shown]
	v_mov_b32_e32 v35, v63
	v_mov_b32_e32 v36, v64
	v_cmp_class_f64_e64 s15, v[67:68], 0x1f8
	v_cmp_neq_f64_e64 s14, v[67:68], v[65:66]
	s_or_b32 s14, s14, s15
	s_and_saveexec_b32 s29, s14
	s_cbranch_execz .LBB9_257
; %bb.256:
	v_add_f64 v[35:36], v[67:68], -v[65:66]
	s_mov_b32 s14, 0x652b82fe
	s_mov_b32 s15, 0x3ff71547
	s_mov_b32 s17, 0xbfe62e42
	s_mov_b32 s16, 0xfefa39ef
	s_mov_b32 s25, 0xbc7abc9e
	s_mov_b32 s24, 0x3b39803f
	s_mov_b32 s36, 0x6a5dcb37
	s_mov_b32 s37, 0x3e5ade15
	s_mov_b32 s38, 0xbf559e2b
	s_mov_b32 s39, 0x3fc3ab76
	v_mul_f64 v[67:68], v[35:36], s[14:15]
	s_mov_b32 s14, 0xfca7ab0c
	s_mov_b32 s15, 0x3e928af3
	v_rndne_f64_e32 v[67:68], v[67:68]
	v_fma_f64 v[70:71], v[67:68], s[16:17], v[35:36]
	v_cvt_i32_f64_e32 v74, v[67:68]
	s_mov_b32 s17, 0x3fe62e42
	v_fma_f64 v[70:71], v[67:68], s[24:25], v[70:71]
	s_mov_b32 s25, 0x3c7abc9e
	v_fma_f64 v[72:73], v[70:71], s[36:37], s[14:15]
	s_mov_b32 s14, 0x623fde64
	s_mov_b32 s15, 0x3ec71dee
	;; [unrolled: 1-line block ×4, first 2 shown]
	v_fma_f64 v[72:73], v[70:71], v[72:73], s[14:15]
	s_mov_b32 s14, 0x7c89e6b0
	s_mov_b32 s15, 0x3efa0199
	v_fma_f64 v[72:73], v[70:71], v[72:73], s[14:15]
	s_mov_b32 s14, 0x14761f6e
	s_mov_b32 s15, 0x3f2a01a0
	;; [unrolled: 3-line block ×7, first 2 shown]
	v_fma_f64 v[72:73], v[70:71], v[72:73], s[14:15]
	v_cmp_nlt_f64_e64 s14, 0x40900000, v[35:36]
	v_cmp_ngt_f64_e64 s15, 0xc090cc00, v[35:36]
	v_fma_f64 v[72:73], v[70:71], v[72:73], 1.0
	v_fma_f64 v[67:68], v[70:71], v[72:73], 1.0
	v_ldexp_f64 v[67:68], v[67:68], v74
	v_cndmask_b32_e64 v68, 0x7ff00000, v68, s14
	s_and_b32 s14, s15, s14
	v_cndmask_b32_e64 v35, 0, v67, s14
	s_mov_b32 s14, 0x55555555
	v_cndmask_b32_e64 v36, 0, v68, s15
	s_mov_b32 s15, 0x3fe55555
	v_add_f64 v[67:68], v[35:36], 1.0
	v_frexp_mant_f64_e32 v[70:71], v[67:68]
	v_frexp_exp_i32_f64_e32 v74, v[67:68]
	v_add_f64 v[72:73], v[67:68], -1.0
	v_cmp_gt_f64_e64 s14, s[14:15], v[70:71]
	v_add_f64 v[70:71], v[72:73], -v[67:68]
	v_add_f64 v[72:73], v[35:36], -v[72:73]
	v_subrev_co_ci_u32_e64 v74, null, 0, v74, s14
	v_add_f64 v[70:71], v[70:71], 1.0
	s_mov_b32 s14, 0x55555780
	v_sub_nc_u32_e32 v79, 0, v74
	v_ldexp_f64 v[67:68], v[67:68], v79
	v_add_f64 v[70:71], v[72:73], v[70:71]
	v_add_f64 v[77:78], v[67:68], 1.0
	v_add_f64 v[83:84], v[67:68], -1.0
	v_ldexp_f64 v[70:71], v[70:71], v79
	v_add_f64 v[72:73], v[77:78], -1.0
	v_add_f64 v[85:86], v[83:84], 1.0
	v_add_f64 v[72:73], v[67:68], -v[72:73]
	v_add_f64 v[67:68], v[67:68], -v[85:86]
	v_add_f64 v[72:73], v[70:71], v[72:73]
	v_add_f64 v[67:68], v[70:71], v[67:68]
	;; [unrolled: 1-line block ×4, first 2 shown]
	v_rcp_f64_e32 v[81:82], v[79:80]
	v_add_f64 v[77:78], v[79:80], -v[77:78]
	v_add_f64 v[83:84], v[85:86], -v[83:84]
	;; [unrolled: 1-line block ×3, first 2 shown]
	v_fma_f64 v[87:88], -v[79:80], v[81:82], 1.0
	v_add_f64 v[67:68], v[67:68], -v[83:84]
	v_fma_f64 v[81:82], v[87:88], v[81:82], v[81:82]
	v_fma_f64 v[70:71], -v[79:80], v[81:82], 1.0
	v_fma_f64 v[70:71], v[70:71], v[81:82], v[81:82]
	v_mul_f64 v[81:82], v[85:86], v[70:71]
	v_mul_f64 v[87:88], v[79:80], v[81:82]
	v_fma_f64 v[77:78], v[81:82], v[79:80], -v[87:88]
	v_fma_f64 v[77:78], v[81:82], v[72:73], v[77:78]
	v_add_f64 v[89:90], v[87:88], v[77:78]
	v_add_f64 v[91:92], v[85:86], -v[89:90]
	v_add_f64 v[83:84], v[89:90], -v[87:88]
	;; [unrolled: 1-line block ×5, first 2 shown]
	v_add_f64 v[67:68], v[67:68], v[85:86]
	v_add_f64 v[67:68], v[77:78], v[67:68]
	;; [unrolled: 1-line block ×3, first 2 shown]
	v_mul_f64 v[83:84], v[70:71], v[77:78]
	v_add_f64 v[89:90], v[91:92], -v[77:78]
	v_mul_f64 v[85:86], v[79:80], v[83:84]
	v_add_f64 v[67:68], v[67:68], v[89:90]
	v_fma_f64 v[79:80], v[83:84], v[79:80], -v[85:86]
	v_fma_f64 v[72:73], v[83:84], v[72:73], v[79:80]
	v_add_f64 v[79:80], v[85:86], v[72:73]
	v_add_f64 v[87:88], v[77:78], -v[79:80]
	v_add_f64 v[85:86], v[79:80], -v[85:86]
	;; [unrolled: 1-line block ×5, first 2 shown]
	v_add_f64 v[67:68], v[67:68], v[77:78]
	v_add_f64 v[77:78], v[81:82], v[83:84]
	;; [unrolled: 1-line block ×3, first 2 shown]
	v_add_f64 v[72:73], v[77:78], -v[81:82]
	v_add_f64 v[67:68], v[87:88], v[67:68]
	v_add_f64 v[72:73], v[83:84], -v[72:73]
	v_mul_f64 v[67:68], v[70:71], v[67:68]
	v_add_f64 v[67:68], v[72:73], v[67:68]
	v_add_f64 v[70:71], v[77:78], v[67:68]
	v_mul_f64 v[72:73], v[70:71], v[70:71]
	v_fma_f64 v[79:80], v[72:73], s[38:39], s[36:37]
	s_mov_b32 s36, 0xd7f4df2e
	s_mov_b32 s37, 0x3fc7474d
	v_mul_f64 v[81:82], v[70:71], v[72:73]
	v_fma_f64 v[79:80], v[72:73], v[79:80], s[36:37]
	s_mov_b32 s36, 0x16291751
	s_mov_b32 s37, 0x3fcc71c0
	v_fma_f64 v[79:80], v[72:73], v[79:80], s[36:37]
	s_mov_b32 s36, 0x9b27acf1
	s_mov_b32 s37, 0x3fd24924
	;; [unrolled: 3-line block ×3, first 2 shown]
	v_fma_f64 v[79:80], v[72:73], v[79:80], s[36:37]
	v_fma_f64 v[72:73], v[72:73], v[79:80], s[14:15]
	v_ldexp_f64 v[79:80], v[70:71], 1
	v_add_f64 v[70:71], v[70:71], -v[77:78]
	v_cmp_nge_f64_e64 s14, -1.0, v[35:36]
	v_cmp_neq_f64_e64 s15, 0x7ff00000, v[35:36]
	v_mul_f64 v[72:73], v[81:82], v[72:73]
	v_cvt_f64_i32_e32 v[81:82], v74
	v_add_f64 v[67:68], v[67:68], -v[70:71]
	s_and_b32 s14, s14, s15
	v_add_f64 v[77:78], v[79:80], v[72:73]
	v_mul_f64 v[83:84], v[81:82], s[16:17]
	v_ldexp_f64 v[67:68], v[67:68], 1
	v_add_f64 v[70:71], v[77:78], -v[79:80]
	v_fma_f64 v[79:80], v[81:82], s[16:17], -v[83:84]
	v_cmp_ngt_f64_e64 s16, -1.0, v[35:36]
	v_add_f64 v[70:71], v[72:73], -v[70:71]
	v_fma_f64 v[72:73], v[81:82], s[24:25], v[79:80]
	v_add_f64 v[67:68], v[67:68], v[70:71]
	v_add_f64 v[70:71], v[83:84], v[72:73]
	;; [unrolled: 1-line block ×3, first 2 shown]
	v_add_f64 v[83:84], v[70:71], -v[83:84]
	v_add_f64 v[81:82], v[70:71], v[79:80]
	v_add_f64 v[77:78], v[79:80], -v[77:78]
	v_add_f64 v[72:73], v[72:73], -v[83:84]
	;; [unrolled: 1-line block ×6, first 2 shown]
	v_add_f64 v[79:80], v[72:73], v[67:68]
	v_add_f64 v[70:71], v[70:71], -v[87:88]
	v_add_f64 v[70:71], v[77:78], v[70:71]
	v_add_f64 v[77:78], v[79:80], -v[72:73]
	;; [unrolled: 2-line block ×3, first 2 shown]
	v_add_f64 v[67:68], v[67:68], -v[77:78]
	v_add_f64 v[83:84], v[81:82], v[70:71]
	v_add_f64 v[72:73], v[72:73], -v[79:80]
	v_add_f64 v[77:78], v[83:84], -v[81:82]
	v_add_f64 v[67:68], v[67:68], v[72:73]
	v_add_f64 v[70:71], v[70:71], -v[77:78]
	v_add_f64 v[67:68], v[67:68], v[70:71]
	v_add_f64 v[67:68], v[83:84], v[67:68]
	v_cndmask_b32_e64 v67, 0, v67, s14
	v_cmp_neq_f64_e64 s14, -1.0, v[35:36]
	v_cndmask_b32_e64 v68, 0x7ff00000, v68, s15
	v_cndmask_b32_e64 v68, 0x7ff80000, v68, s16
	;; [unrolled: 1-line block ×3, first 2 shown]
	v_add_f64 v[35:36], v[65:66], v[67:68]
.LBB9_257:
	s_or_b32 exec_lo, exec_lo, s29
.LBB9_258:
	s_or_b32 exec_lo, exec_lo, s28
	v_add_nc_u32_e32 v65, -1, v69
	v_cmp_gt_i32_e64 s14, 0, v65
	v_cndmask_b32_e64 v65, v65, v69, s14
	v_lshlrev_b32_e32 v65, 2, v65
	ds_bpermute_b32 v35, v65, v35
	ds_bpermute_b32 v36, v65, v36
	s_and_saveexec_b32 s28, vcc_lo
	s_cbranch_execz .LBB9_262
; %bb.259:
	v_cmp_eq_u32_e32 vcc_lo, 0, v69
	s_waitcnt lgkmcnt(0)
	v_cndmask_b32_e32 v36, v36, v64, vcc_lo
	v_cndmask_b32_e32 v35, v35, v63, vcc_lo
	v_max_f64 v[31:32], v[35:36], v[35:36]
	v_cmp_u_f64_e32 vcc_lo, v[35:36], v[35:36]
	v_min_f64 v[33:34], v[31:32], v[29:30]
	v_max_f64 v[29:30], v[31:32], v[29:30]
	v_cndmask_b32_e32 v31, v34, v36, vcc_lo
	v_cndmask_b32_e32 v32, v33, v35, vcc_lo
	;; [unrolled: 1-line block ×4, first 2 shown]
	v_cndmask_b32_e64 v30, v31, v2, s13
	v_cndmask_b32_e64 v29, v32, v1, s13
	;; [unrolled: 1-line block ×4, first 2 shown]
	v_cmp_class_f64_e64 s13, v[29:30], 0x1f8
	v_cmp_neq_f64_e32 vcc_lo, v[29:30], v[1:2]
	s_or_b32 s13, vcc_lo, s13
	s_and_saveexec_b32 s29, s13
	s_cbranch_execz .LBB9_261
; %bb.260:
	v_add_f64 v[29:30], v[29:30], -v[1:2]
	s_mov_b32 s14, 0x652b82fe
	s_mov_b32 s15, 0x3ff71547
	;; [unrolled: 1-line block ×10, first 2 shown]
	v_mul_f64 v[31:32], v[29:30], s[14:15]
	s_mov_b32 s15, 0xbfe62e42
	s_mov_b32 s14, 0xfefa39ef
	v_cmp_nlt_f64_e32 vcc_lo, 0x40900000, v[29:30]
	v_cmp_ngt_f64_e64 s13, 0xc090cc00, v[29:30]
	v_rndne_f64_e32 v[31:32], v[31:32]
	v_fma_f64 v[33:34], v[31:32], s[14:15], v[29:30]
	v_cvt_i32_f64_e32 v63, v[31:32]
	s_mov_b32 s15, 0x3fe62e42
	v_fma_f64 v[33:34], v[31:32], s[16:17], v[33:34]
	s_mov_b32 s17, 0x3c7abc9e
	v_fma_f64 v[35:36], v[33:34], s[36:37], s[24:25]
	s_mov_b32 s24, 0x623fde64
	s_mov_b32 s25, 0x3ec71dee
	;; [unrolled: 1-line block ×4, first 2 shown]
	v_fma_f64 v[35:36], v[33:34], v[35:36], s[24:25]
	s_mov_b32 s24, 0x7c89e6b0
	s_mov_b32 s25, 0x3efa0199
	v_fma_f64 v[35:36], v[33:34], v[35:36], s[24:25]
	s_mov_b32 s24, 0x14761f6e
	s_mov_b32 s25, 0x3f2a01a0
	;; [unrolled: 3-line block ×8, first 2 shown]
	v_fma_f64 v[35:36], v[33:34], v[35:36], 1.0
	v_fma_f64 v[31:32], v[33:34], v[35:36], 1.0
	v_ldexp_f64 v[31:32], v[31:32], v63
	v_cndmask_b32_e32 v32, 0x7ff00000, v32, vcc_lo
	s_and_b32 vcc_lo, s13, vcc_lo
	v_cndmask_b32_e32 v29, 0, v31, vcc_lo
	v_cndmask_b32_e64 v30, 0, v32, s13
	v_add_f64 v[31:32], v[29:30], 1.0
	v_cmp_neq_f64_e64 s13, 0x7ff00000, v[29:30]
	v_frexp_mant_f64_e32 v[33:34], v[31:32]
	v_frexp_exp_i32_f64_e32 v63, v[31:32]
	v_add_f64 v[35:36], v[31:32], -1.0
	v_cmp_gt_f64_e32 vcc_lo, s[24:25], v[33:34]
	s_mov_b32 s24, 0x55555780
	v_add_f64 v[33:34], v[35:36], -v[31:32]
	v_add_f64 v[35:36], v[29:30], -v[35:36]
	v_subrev_co_ci_u32_e64 v81, null, 0, v63, vcc_lo
	v_add_f64 v[33:34], v[33:34], 1.0
	v_cmp_nge_f64_e32 vcc_lo, -1.0, v[29:30]
	v_sub_nc_u32_e32 v65, 0, v81
	v_ldexp_f64 v[31:32], v[31:32], v65
	v_add_f64 v[33:34], v[35:36], v[33:34]
	s_and_b32 vcc_lo, vcc_lo, s13
	v_add_f64 v[63:64], v[31:32], 1.0
	v_add_f64 v[69:70], v[31:32], -1.0
	v_ldexp_f64 v[33:34], v[33:34], v65
	v_add_f64 v[35:36], v[63:64], -1.0
	v_add_f64 v[71:72], v[69:70], 1.0
	v_add_f64 v[35:36], v[31:32], -v[35:36]
	v_add_f64 v[31:32], v[31:32], -v[71:72]
	v_add_f64 v[35:36], v[33:34], v[35:36]
	v_add_f64 v[31:32], v[33:34], v[31:32]
	;; [unrolled: 1-line block ×4, first 2 shown]
	v_rcp_f64_e32 v[67:68], v[65:66]
	v_add_f64 v[63:64], v[65:66], -v[63:64]
	v_add_f64 v[69:70], v[71:72], -v[69:70]
	;; [unrolled: 1-line block ×3, first 2 shown]
	v_fma_f64 v[73:74], -v[65:66], v[67:68], 1.0
	v_add_f64 v[31:32], v[31:32], -v[69:70]
	v_fma_f64 v[67:68], v[73:74], v[67:68], v[67:68]
	v_fma_f64 v[33:34], -v[65:66], v[67:68], 1.0
	v_fma_f64 v[33:34], v[33:34], v[67:68], v[67:68]
	v_mul_f64 v[67:68], v[71:72], v[33:34]
	v_mul_f64 v[73:74], v[65:66], v[67:68]
	v_fma_f64 v[63:64], v[67:68], v[65:66], -v[73:74]
	v_fma_f64 v[63:64], v[67:68], v[35:36], v[63:64]
	v_add_f64 v[77:78], v[73:74], v[63:64]
	v_add_f64 v[79:80], v[71:72], -v[77:78]
	v_add_f64 v[69:70], v[77:78], -v[73:74]
	;; [unrolled: 1-line block ×5, first 2 shown]
	v_add_f64 v[31:32], v[31:32], v[71:72]
	v_add_f64 v[31:32], v[63:64], v[31:32]
	;; [unrolled: 1-line block ×3, first 2 shown]
	v_mul_f64 v[69:70], v[33:34], v[63:64]
	v_add_f64 v[77:78], v[79:80], -v[63:64]
	v_mul_f64 v[71:72], v[65:66], v[69:70]
	v_add_f64 v[31:32], v[31:32], v[77:78]
	v_fma_f64 v[65:66], v[69:70], v[65:66], -v[71:72]
	v_fma_f64 v[35:36], v[69:70], v[35:36], v[65:66]
	v_add_f64 v[65:66], v[71:72], v[35:36]
	v_add_f64 v[73:74], v[63:64], -v[65:66]
	v_add_f64 v[71:72], v[65:66], -v[71:72]
	v_add_f64 v[63:64], v[63:64], -v[73:74]
	v_add_f64 v[35:36], v[71:72], -v[35:36]
	v_add_f64 v[63:64], v[63:64], -v[65:66]
	v_add_f64 v[31:32], v[31:32], v[63:64]
	v_add_f64 v[63:64], v[67:68], v[69:70]
	;; [unrolled: 1-line block ×3, first 2 shown]
	v_add_f64 v[35:36], v[63:64], -v[67:68]
	v_add_f64 v[31:32], v[73:74], v[31:32]
	v_add_f64 v[35:36], v[69:70], -v[35:36]
	v_mul_f64 v[31:32], v[33:34], v[31:32]
	v_add_f64 v[31:32], v[35:36], v[31:32]
	v_add_f64 v[33:34], v[63:64], v[31:32]
	v_mul_f64 v[35:36], v[33:34], v[33:34]
	v_fma_f64 v[65:66], v[35:36], s[38:39], s[36:37]
	s_mov_b32 s36, 0xd7f4df2e
	s_mov_b32 s37, 0x3fc7474d
	v_mul_f64 v[67:68], v[33:34], v[35:36]
	v_fma_f64 v[65:66], v[35:36], v[65:66], s[36:37]
	s_mov_b32 s36, 0x16291751
	s_mov_b32 s37, 0x3fcc71c0
	v_fma_f64 v[65:66], v[35:36], v[65:66], s[36:37]
	s_mov_b32 s36, 0x9b27acf1
	s_mov_b32 s37, 0x3fd24924
	v_fma_f64 v[65:66], v[35:36], v[65:66], s[36:37]
	s_mov_b32 s36, 0x998ef7b6
	s_mov_b32 s37, 0x3fd99999
	v_fma_f64 v[65:66], v[35:36], v[65:66], s[36:37]
	v_fma_f64 v[35:36], v[35:36], v[65:66], s[24:25]
	v_ldexp_f64 v[65:66], v[33:34], 1
	v_add_f64 v[33:34], v[33:34], -v[63:64]
	v_mul_f64 v[35:36], v[67:68], v[35:36]
	v_cvt_f64_i32_e32 v[67:68], v81
	v_add_f64 v[31:32], v[31:32], -v[33:34]
	v_add_f64 v[63:64], v[65:66], v[35:36]
	v_mul_f64 v[69:70], v[67:68], s[14:15]
	v_ldexp_f64 v[31:32], v[31:32], 1
	v_add_f64 v[33:34], v[63:64], -v[65:66]
	v_fma_f64 v[65:66], v[67:68], s[14:15], -v[69:70]
	v_cmp_ngt_f64_e64 s14, -1.0, v[29:30]
	v_add_f64 v[33:34], v[35:36], -v[33:34]
	v_fma_f64 v[35:36], v[67:68], s[16:17], v[65:66]
	v_add_f64 v[31:32], v[31:32], v[33:34]
	v_add_f64 v[33:34], v[69:70], v[35:36]
	;; [unrolled: 1-line block ×3, first 2 shown]
	v_add_f64 v[69:70], v[33:34], -v[69:70]
	v_add_f64 v[67:68], v[33:34], v[65:66]
	v_add_f64 v[63:64], v[65:66], -v[63:64]
	v_add_f64 v[35:36], v[35:36], -v[69:70]
	;; [unrolled: 1-line block ×6, first 2 shown]
	v_add_f64 v[65:66], v[35:36], v[31:32]
	v_add_f64 v[33:34], v[33:34], -v[73:74]
	v_add_f64 v[33:34], v[63:64], v[33:34]
	v_add_f64 v[63:64], v[65:66], -v[35:36]
	;; [unrolled: 2-line block ×3, first 2 shown]
	v_add_f64 v[31:32], v[31:32], -v[63:64]
	v_add_f64 v[69:70], v[67:68], v[33:34]
	v_add_f64 v[35:36], v[35:36], -v[65:66]
	v_add_f64 v[63:64], v[69:70], -v[67:68]
	v_add_f64 v[31:32], v[31:32], v[35:36]
	v_add_f64 v[33:34], v[33:34], -v[63:64]
	v_add_f64 v[31:32], v[31:32], v[33:34]
	v_add_f64 v[31:32], v[69:70], v[31:32]
	v_cndmask_b32_e32 v31, 0, v31, vcc_lo
	v_cmp_neq_f64_e32 vcc_lo, -1.0, v[29:30]
	v_cndmask_b32_e64 v32, 0x7ff00000, v32, s13
	v_cndmask_b32_e64 v32, 0x7ff80000, v32, s14
	v_cndmask_b32_e32 v32, 0xfff00000, v32, vcc_lo
	v_add_f64 v[35:36], v[1:2], v[31:32]
.LBB9_261:
	s_or_b32 exec_lo, exec_lo, s29
	v_max_f64 v[1:2], v[35:36], v[35:36]
	;;#ASMSTART
	;;#ASMEND
	v_min_f64 v[31:32], v[1:2], v[61:62]
	v_max_f64 v[33:34], v[1:2], v[61:62]
	v_mov_b32_e32 v1, v35
	v_mov_b32_e32 v2, v36
.LBB9_262:
	s_or_b32 exec_lo, exec_lo, s28
	v_cmp_u_f64_e32 vcc_lo, v[1:2], v[1:2]
	v_cndmask_b32_e32 v29, v31, v1, vcc_lo
	v_cndmask_b32_e32 v30, v32, v2, vcc_lo
	;; [unrolled: 1-line block ×4, first 2 shown]
	v_cndmask_b32_e64 v31, v29, v3, s0
	v_cndmask_b32_e64 v32, v30, v4, s0
	;; [unrolled: 1-line block ×4, first 2 shown]
	v_mov_b32_e32 v4, v2
	v_mov_b32_e32 v3, v1
	v_cmp_class_f64_e64 s0, v[31:32], 0x1f8
	v_cmp_neq_f64_e32 vcc_lo, v[31:32], v[29:30]
	s_or_b32 s0, vcc_lo, s0
	s_and_saveexec_b32 s28, s0
	s_cbranch_execz .LBB9_264
; %bb.263:
	v_add_f64 v[3:4], v[31:32], -v[29:30]
	s_mov_b32 s14, 0x652b82fe
	s_mov_b32 s15, 0x3ff71547
	;; [unrolled: 1-line block ×10, first 2 shown]
	v_mul_f64 v[31:32], v[3:4], s[14:15]
	s_mov_b32 s15, 0xbfe62e42
	s_mov_b32 s14, 0xfefa39ef
	v_cmp_nlt_f64_e32 vcc_lo, 0x40900000, v[3:4]
	v_cmp_ngt_f64_e64 s0, 0xc090cc00, v[3:4]
	v_rndne_f64_e32 v[31:32], v[31:32]
	v_fma_f64 v[33:34], v[31:32], s[14:15], v[3:4]
	v_cvt_i32_f64_e32 v61, v[31:32]
	s_mov_b32 s15, 0x3fe62e42
	v_fma_f64 v[33:34], v[31:32], s[16:17], v[33:34]
	s_mov_b32 s17, 0x3c7abc9e
	s_waitcnt lgkmcnt(0)
	v_fma_f64 v[35:36], v[33:34], s[36:37], s[24:25]
	s_mov_b32 s24, 0x623fde64
	s_mov_b32 s25, 0x3ec71dee
	;; [unrolled: 1-line block ×4, first 2 shown]
	v_fma_f64 v[35:36], v[33:34], v[35:36], s[24:25]
	s_mov_b32 s24, 0x7c89e6b0
	s_mov_b32 s25, 0x3efa0199
	v_fma_f64 v[35:36], v[33:34], v[35:36], s[24:25]
	s_mov_b32 s24, 0x14761f6e
	s_mov_b32 s25, 0x3f2a01a0
	;; [unrolled: 3-line block ×8, first 2 shown]
	v_fma_f64 v[35:36], v[33:34], v[35:36], 1.0
	v_fma_f64 v[31:32], v[33:34], v[35:36], 1.0
	v_ldexp_f64 v[31:32], v[31:32], v61
	v_cndmask_b32_e32 v32, 0x7ff00000, v32, vcc_lo
	s_and_b32 vcc_lo, s0, vcc_lo
	v_cndmask_b32_e32 v3, 0, v31, vcc_lo
	v_cndmask_b32_e64 v4, 0, v32, s0
	v_add_f64 v[31:32], v[3:4], 1.0
	v_cmp_neq_f64_e64 s0, 0x7ff00000, v[3:4]
	v_cmp_ngt_f64_e64 s13, -1.0, v[3:4]
	v_frexp_mant_f64_e32 v[33:34], v[31:32]
	v_frexp_exp_i32_f64_e32 v61, v[31:32]
	v_add_f64 v[35:36], v[31:32], -1.0
	v_cmp_gt_f64_e32 vcc_lo, s[24:25], v[33:34]
	s_mov_b32 s24, 0x55555780
	v_add_f64 v[33:34], v[35:36], -v[31:32]
	v_add_f64 v[35:36], v[3:4], -v[35:36]
	v_subrev_co_ci_u32_e64 v79, null, 0, v61, vcc_lo
	v_add_f64 v[33:34], v[33:34], 1.0
	v_cmp_nge_f64_e32 vcc_lo, -1.0, v[3:4]
	v_sub_nc_u32_e32 v63, 0, v79
	v_ldexp_f64 v[31:32], v[31:32], v63
	v_add_f64 v[33:34], v[35:36], v[33:34]
	s_and_b32 vcc_lo, vcc_lo, s0
	v_add_f64 v[61:62], v[31:32], 1.0
	v_add_f64 v[67:68], v[31:32], -1.0
	v_ldexp_f64 v[33:34], v[33:34], v63
	v_add_f64 v[35:36], v[61:62], -1.0
	v_add_f64 v[69:70], v[67:68], 1.0
	v_add_f64 v[35:36], v[31:32], -v[35:36]
	v_add_f64 v[31:32], v[31:32], -v[69:70]
	v_add_f64 v[35:36], v[33:34], v[35:36]
	v_add_f64 v[31:32], v[33:34], v[31:32]
	;; [unrolled: 1-line block ×4, first 2 shown]
	v_rcp_f64_e32 v[65:66], v[63:64]
	v_add_f64 v[61:62], v[63:64], -v[61:62]
	v_add_f64 v[67:68], v[69:70], -v[67:68]
	;; [unrolled: 1-line block ×3, first 2 shown]
	v_fma_f64 v[71:72], -v[63:64], v[65:66], 1.0
	v_add_f64 v[31:32], v[31:32], -v[67:68]
	v_fma_f64 v[65:66], v[71:72], v[65:66], v[65:66]
	v_fma_f64 v[33:34], -v[63:64], v[65:66], 1.0
	v_fma_f64 v[33:34], v[33:34], v[65:66], v[65:66]
	v_mul_f64 v[65:66], v[69:70], v[33:34]
	v_mul_f64 v[71:72], v[63:64], v[65:66]
	v_fma_f64 v[61:62], v[65:66], v[63:64], -v[71:72]
	v_fma_f64 v[61:62], v[65:66], v[35:36], v[61:62]
	v_add_f64 v[73:74], v[71:72], v[61:62]
	v_add_f64 v[77:78], v[69:70], -v[73:74]
	v_add_f64 v[67:68], v[73:74], -v[71:72]
	;; [unrolled: 1-line block ×5, first 2 shown]
	v_add_f64 v[31:32], v[31:32], v[69:70]
	v_add_f64 v[31:32], v[61:62], v[31:32]
	;; [unrolled: 1-line block ×3, first 2 shown]
	v_mul_f64 v[67:68], v[33:34], v[61:62]
	v_add_f64 v[73:74], v[77:78], -v[61:62]
	v_mul_f64 v[69:70], v[63:64], v[67:68]
	v_add_f64 v[31:32], v[31:32], v[73:74]
	v_fma_f64 v[63:64], v[67:68], v[63:64], -v[69:70]
	v_fma_f64 v[35:36], v[67:68], v[35:36], v[63:64]
	v_add_f64 v[63:64], v[69:70], v[35:36]
	v_add_f64 v[71:72], v[61:62], -v[63:64]
	v_add_f64 v[69:70], v[63:64], -v[69:70]
	;; [unrolled: 1-line block ×5, first 2 shown]
	v_add_f64 v[31:32], v[31:32], v[61:62]
	v_add_f64 v[61:62], v[65:66], v[67:68]
	;; [unrolled: 1-line block ×3, first 2 shown]
	v_add_f64 v[35:36], v[61:62], -v[65:66]
	v_add_f64 v[31:32], v[71:72], v[31:32]
	v_add_f64 v[35:36], v[67:68], -v[35:36]
	v_mul_f64 v[31:32], v[33:34], v[31:32]
	v_add_f64 v[31:32], v[35:36], v[31:32]
	v_add_f64 v[33:34], v[61:62], v[31:32]
	v_mul_f64 v[35:36], v[33:34], v[33:34]
	v_fma_f64 v[63:64], v[35:36], s[38:39], s[36:37]
	s_mov_b32 s36, 0xd7f4df2e
	s_mov_b32 s37, 0x3fc7474d
	v_mul_f64 v[65:66], v[33:34], v[35:36]
	v_fma_f64 v[63:64], v[35:36], v[63:64], s[36:37]
	s_mov_b32 s36, 0x16291751
	s_mov_b32 s37, 0x3fcc71c0
	v_fma_f64 v[63:64], v[35:36], v[63:64], s[36:37]
	s_mov_b32 s36, 0x9b27acf1
	s_mov_b32 s37, 0x3fd24924
	;; [unrolled: 3-line block ×3, first 2 shown]
	v_fma_f64 v[63:64], v[35:36], v[63:64], s[36:37]
	v_fma_f64 v[35:36], v[35:36], v[63:64], s[24:25]
	v_ldexp_f64 v[63:64], v[33:34], 1
	v_add_f64 v[33:34], v[33:34], -v[61:62]
	v_mul_f64 v[35:36], v[65:66], v[35:36]
	v_cvt_f64_i32_e32 v[65:66], v79
	v_add_f64 v[31:32], v[31:32], -v[33:34]
	v_add_f64 v[61:62], v[63:64], v[35:36]
	v_mul_f64 v[67:68], v[65:66], s[14:15]
	v_ldexp_f64 v[31:32], v[31:32], 1
	v_add_f64 v[33:34], v[61:62], -v[63:64]
	v_fma_f64 v[63:64], v[65:66], s[14:15], -v[67:68]
	v_add_f64 v[33:34], v[35:36], -v[33:34]
	v_fma_f64 v[35:36], v[65:66], s[16:17], v[63:64]
	v_add_f64 v[31:32], v[31:32], v[33:34]
	v_add_f64 v[33:34], v[67:68], v[35:36]
	;; [unrolled: 1-line block ×3, first 2 shown]
	v_add_f64 v[67:68], v[33:34], -v[67:68]
	v_add_f64 v[65:66], v[33:34], v[63:64]
	v_add_f64 v[61:62], v[63:64], -v[61:62]
	v_add_f64 v[35:36], v[35:36], -v[67:68]
	;; [unrolled: 1-line block ×6, first 2 shown]
	v_add_f64 v[63:64], v[35:36], v[31:32]
	v_add_f64 v[33:34], v[33:34], -v[71:72]
	v_add_f64 v[33:34], v[61:62], v[33:34]
	v_add_f64 v[61:62], v[63:64], -v[35:36]
	;; [unrolled: 2-line block ×3, first 2 shown]
	v_add_f64 v[31:32], v[31:32], -v[61:62]
	v_add_f64 v[67:68], v[65:66], v[33:34]
	v_add_f64 v[35:36], v[35:36], -v[63:64]
	v_add_f64 v[61:62], v[67:68], -v[65:66]
	v_add_f64 v[31:32], v[31:32], v[35:36]
	v_add_f64 v[33:34], v[33:34], -v[61:62]
	v_add_f64 v[31:32], v[31:32], v[33:34]
	v_add_f64 v[31:32], v[67:68], v[31:32]
	v_cndmask_b32_e32 v31, 0, v31, vcc_lo
	v_cmp_neq_f64_e32 vcc_lo, -1.0, v[3:4]
	v_cndmask_b32_e64 v32, 0x7ff00000, v32, s0
	v_cndmask_b32_e64 v32, 0x7ff80000, v32, s13
	v_cndmask_b32_e32 v32, 0xfff00000, v32, vcc_lo
	v_add_f64 v[3:4], v[29:30], v[31:32]
.LBB9_264:
	s_or_b32 exec_lo, exec_lo, s28
	v_max_f64 v[29:30], v[3:4], v[3:4]
	v_cmp_u_f64_e32 vcc_lo, v[3:4], v[3:4]
	v_min_f64 v[31:32], v[29:30], v[5:6]
	v_max_f64 v[5:6], v[29:30], v[5:6]
	v_cndmask_b32_e32 v29, v31, v3, vcc_lo
	v_cndmask_b32_e32 v30, v32, v4, vcc_lo
	;; [unrolled: 1-line block ×4, first 2 shown]
	v_cndmask_b32_e64 v31, v29, v57, s1
	v_cndmask_b32_e64 v32, v30, v58, s1
	;; [unrolled: 1-line block ×4, first 2 shown]
	v_mov_b32_e32 v6, v4
	v_mov_b32_e32 v5, v3
	v_cmp_class_f64_e64 s0, v[31:32], 0x1f8
	v_cmp_neq_f64_e32 vcc_lo, v[31:32], v[29:30]
	s_or_b32 s0, vcc_lo, s0
	s_and_saveexec_b32 s13, s0
	s_cbranch_execz .LBB9_266
; %bb.265:
	v_add_f64 v[5:6], v[31:32], -v[29:30]
	s_mov_b32 s0, 0x652b82fe
	s_mov_b32 s1, 0x3ff71547
	;; [unrolled: 1-line block ×10, first 2 shown]
	v_mul_f64 v[31:32], v[5:6], s[0:1]
	s_mov_b32 s0, 0xfca7ab0c
	s_mov_b32 s1, 0x3e928af3
	v_cmp_nlt_f64_e32 vcc_lo, 0x40900000, v[5:6]
	v_rndne_f64_e32 v[31:32], v[31:32]
	v_fma_f64 v[33:34], v[31:32], s[14:15], v[5:6]
	v_cvt_i32_f64_e32 v57, v[31:32]
	s_mov_b32 s15, 0x3fe62e42
	v_fma_f64 v[33:34], v[31:32], s[16:17], v[33:34]
	s_mov_b32 s17, 0x3c7abc9e
	s_waitcnt lgkmcnt(0)
	v_fma_f64 v[35:36], v[33:34], s[24:25], s[0:1]
	s_mov_b32 s0, 0x623fde64
	s_mov_b32 s1, 0x3ec71dee
	;; [unrolled: 1-line block ×4, first 2 shown]
	v_fma_f64 v[35:36], v[33:34], v[35:36], s[0:1]
	s_mov_b32 s0, 0x7c89e6b0
	s_mov_b32 s1, 0x3efa0199
	v_fma_f64 v[35:36], v[33:34], v[35:36], s[0:1]
	s_mov_b32 s0, 0x14761f6e
	s_mov_b32 s1, 0x3f2a01a0
	;; [unrolled: 3-line block ×7, first 2 shown]
	v_fma_f64 v[35:36], v[33:34], v[35:36], s[0:1]
	v_cmp_ngt_f64_e64 s0, 0xc090cc00, v[5:6]
	s_mov_b32 s1, 0x3fe55555
	v_fma_f64 v[35:36], v[33:34], v[35:36], 1.0
	v_fma_f64 v[31:32], v[33:34], v[35:36], 1.0
	v_ldexp_f64 v[31:32], v[31:32], v57
	v_cndmask_b32_e32 v32, 0x7ff00000, v32, vcc_lo
	s_and_b32 vcc_lo, s0, vcc_lo
	v_cndmask_b32_e32 v5, 0, v31, vcc_lo
	v_cndmask_b32_e64 v6, 0, v32, s0
	s_mov_b32 s0, 0x55555555
	v_add_f64 v[31:32], v[5:6], 1.0
	v_frexp_mant_f64_e32 v[33:34], v[31:32]
	v_frexp_exp_i32_f64_e32 v57, v[31:32]
	v_add_f64 v[35:36], v[31:32], -1.0
	v_cmp_gt_f64_e32 vcc_lo, s[0:1], v[33:34]
	s_mov_b32 s0, 0x55555780
	v_add_f64 v[33:34], v[35:36], -v[31:32]
	v_add_f64 v[35:36], v[5:6], -v[35:36]
	v_subrev_co_ci_u32_e64 v77, null, 0, v57, vcc_lo
	v_add_f64 v[33:34], v[33:34], 1.0
	v_cmp_nge_f64_e32 vcc_lo, -1.0, v[5:6]
	v_sub_nc_u32_e32 v61, 0, v77
	v_ldexp_f64 v[31:32], v[31:32], v61
	v_add_f64 v[33:34], v[35:36], v[33:34]
	v_add_f64 v[57:58], v[31:32], 1.0
	v_add_f64 v[65:66], v[31:32], -1.0
	v_ldexp_f64 v[33:34], v[33:34], v61
	v_add_f64 v[35:36], v[57:58], -1.0
	v_add_f64 v[67:68], v[65:66], 1.0
	v_add_f64 v[35:36], v[31:32], -v[35:36]
	v_add_f64 v[31:32], v[31:32], -v[67:68]
	v_add_f64 v[35:36], v[33:34], v[35:36]
	v_add_f64 v[31:32], v[33:34], v[31:32]
	;; [unrolled: 1-line block ×4, first 2 shown]
	v_rcp_f64_e32 v[63:64], v[61:62]
	v_add_f64 v[57:58], v[61:62], -v[57:58]
	v_add_f64 v[65:66], v[67:68], -v[65:66]
	;; [unrolled: 1-line block ×3, first 2 shown]
	v_fma_f64 v[69:70], -v[61:62], v[63:64], 1.0
	v_add_f64 v[31:32], v[31:32], -v[65:66]
	v_fma_f64 v[63:64], v[69:70], v[63:64], v[63:64]
	v_fma_f64 v[33:34], -v[61:62], v[63:64], 1.0
	v_fma_f64 v[33:34], v[33:34], v[63:64], v[63:64]
	v_mul_f64 v[63:64], v[67:68], v[33:34]
	v_mul_f64 v[69:70], v[61:62], v[63:64]
	v_fma_f64 v[57:58], v[63:64], v[61:62], -v[69:70]
	v_fma_f64 v[57:58], v[63:64], v[35:36], v[57:58]
	v_add_f64 v[71:72], v[69:70], v[57:58]
	v_add_f64 v[73:74], v[67:68], -v[71:72]
	v_add_f64 v[65:66], v[71:72], -v[69:70]
	;; [unrolled: 1-line block ×5, first 2 shown]
	v_add_f64 v[31:32], v[31:32], v[67:68]
	v_add_f64 v[31:32], v[57:58], v[31:32]
	;; [unrolled: 1-line block ×3, first 2 shown]
	v_mul_f64 v[65:66], v[33:34], v[57:58]
	v_add_f64 v[71:72], v[73:74], -v[57:58]
	v_mul_f64 v[67:68], v[61:62], v[65:66]
	v_add_f64 v[31:32], v[31:32], v[71:72]
	v_fma_f64 v[61:62], v[65:66], v[61:62], -v[67:68]
	v_fma_f64 v[35:36], v[65:66], v[35:36], v[61:62]
	v_add_f64 v[61:62], v[67:68], v[35:36]
	v_add_f64 v[69:70], v[57:58], -v[61:62]
	v_add_f64 v[67:68], v[61:62], -v[67:68]
	;; [unrolled: 1-line block ×5, first 2 shown]
	v_add_f64 v[31:32], v[31:32], v[57:58]
	v_add_f64 v[57:58], v[63:64], v[65:66]
	;; [unrolled: 1-line block ×3, first 2 shown]
	v_add_f64 v[35:36], v[57:58], -v[63:64]
	v_add_f64 v[31:32], v[69:70], v[31:32]
	v_add_f64 v[35:36], v[65:66], -v[35:36]
	v_mul_f64 v[31:32], v[33:34], v[31:32]
	v_add_f64 v[31:32], v[35:36], v[31:32]
	v_add_f64 v[33:34], v[57:58], v[31:32]
	v_mul_f64 v[35:36], v[33:34], v[33:34]
	v_fma_f64 v[61:62], v[35:36], s[28:29], s[24:25]
	s_mov_b32 s24, 0xd7f4df2e
	s_mov_b32 s25, 0x3fc7474d
	v_mul_f64 v[63:64], v[33:34], v[35:36]
	v_fma_f64 v[61:62], v[35:36], v[61:62], s[24:25]
	s_mov_b32 s24, 0x16291751
	s_mov_b32 s25, 0x3fcc71c0
	v_fma_f64 v[61:62], v[35:36], v[61:62], s[24:25]
	s_mov_b32 s24, 0x9b27acf1
	s_mov_b32 s25, 0x3fd24924
	;; [unrolled: 3-line block ×3, first 2 shown]
	v_fma_f64 v[61:62], v[35:36], v[61:62], s[24:25]
	v_fma_f64 v[35:36], v[35:36], v[61:62], s[0:1]
	v_ldexp_f64 v[61:62], v[33:34], 1
	v_add_f64 v[33:34], v[33:34], -v[57:58]
	v_cmp_neq_f64_e64 s0, 0x7ff00000, v[5:6]
	v_cmp_ngt_f64_e64 s1, -1.0, v[5:6]
	v_mul_f64 v[35:36], v[63:64], v[35:36]
	v_cvt_f64_i32_e32 v[63:64], v77
	v_add_f64 v[31:32], v[31:32], -v[33:34]
	s_and_b32 vcc_lo, vcc_lo, s0
	v_add_f64 v[57:58], v[61:62], v[35:36]
	v_mul_f64 v[65:66], v[63:64], s[14:15]
	v_ldexp_f64 v[31:32], v[31:32], 1
	v_add_f64 v[33:34], v[57:58], -v[61:62]
	v_fma_f64 v[61:62], v[63:64], s[14:15], -v[65:66]
	v_add_f64 v[33:34], v[35:36], -v[33:34]
	v_fma_f64 v[35:36], v[63:64], s[16:17], v[61:62]
	v_add_f64 v[31:32], v[31:32], v[33:34]
	v_add_f64 v[33:34], v[65:66], v[35:36]
	;; [unrolled: 1-line block ×3, first 2 shown]
	v_add_f64 v[65:66], v[33:34], -v[65:66]
	v_add_f64 v[63:64], v[33:34], v[61:62]
	v_add_f64 v[57:58], v[61:62], -v[57:58]
	v_add_f64 v[35:36], v[35:36], -v[65:66]
	;; [unrolled: 1-line block ×6, first 2 shown]
	v_add_f64 v[61:62], v[35:36], v[31:32]
	v_add_f64 v[33:34], v[33:34], -v[69:70]
	v_add_f64 v[33:34], v[57:58], v[33:34]
	v_add_f64 v[57:58], v[61:62], -v[35:36]
	;; [unrolled: 2-line block ×3, first 2 shown]
	v_add_f64 v[31:32], v[31:32], -v[57:58]
	v_add_f64 v[65:66], v[63:64], v[33:34]
	v_add_f64 v[35:36], v[35:36], -v[61:62]
	v_add_f64 v[57:58], v[65:66], -v[63:64]
	v_add_f64 v[31:32], v[31:32], v[35:36]
	v_add_f64 v[33:34], v[33:34], -v[57:58]
	v_add_f64 v[31:32], v[31:32], v[33:34]
	v_add_f64 v[31:32], v[65:66], v[31:32]
	v_cndmask_b32_e32 v31, 0, v31, vcc_lo
	v_cmp_neq_f64_e32 vcc_lo, -1.0, v[5:6]
	v_cndmask_b32_e64 v32, 0x7ff00000, v32, s0
	v_cndmask_b32_e64 v32, 0x7ff80000, v32, s1
	v_cndmask_b32_e32 v32, 0xfff00000, v32, vcc_lo
	v_add_f64 v[5:6], v[29:30], v[31:32]
.LBB9_266:
	s_or_b32 exec_lo, exec_lo, s13
	v_max_f64 v[29:30], v[5:6], v[5:6]
	v_cmp_u_f64_e32 vcc_lo, v[5:6], v[5:6]
	v_min_f64 v[31:32], v[29:30], v[7:8]
	v_max_f64 v[7:8], v[29:30], v[7:8]
	v_cndmask_b32_e32 v29, v31, v5, vcc_lo
	v_cndmask_b32_e32 v30, v32, v6, vcc_lo
	;; [unrolled: 1-line block ×4, first 2 shown]
	v_cndmask_b32_e64 v31, v29, v59, s2
	v_cndmask_b32_e64 v32, v30, v60, s2
	;; [unrolled: 1-line block ×4, first 2 shown]
	v_mov_b32_e32 v8, v6
	v_mov_b32_e32 v7, v5
	v_cmp_class_f64_e64 s0, v[31:32], 0x1f8
	v_cmp_neq_f64_e32 vcc_lo, v[31:32], v[29:30]
	s_or_b32 s0, vcc_lo, s0
	s_and_saveexec_b32 s2, s0
	s_cbranch_execz .LBB9_268
; %bb.267:
	v_add_f64 v[7:8], v[31:32], -v[29:30]
	s_mov_b32 s0, 0x652b82fe
	s_mov_b32 s1, 0x3ff71547
	s_mov_b32 s15, 0xbfe62e42
	s_mov_b32 s14, 0xfefa39ef
	s_mov_b32 s17, 0xbc7abc9e
	s_mov_b32 s16, 0x3b39803f
	s_mov_b32 s24, 0x6a5dcb37
	s_mov_b32 s25, 0x3e5ade15
	s_mov_b32 s28, 0xbf559e2b
	s_mov_b32 s29, 0x3fc3ab76
	v_mul_f64 v[31:32], v[7:8], s[0:1]
	s_mov_b32 s0, 0xfca7ab0c
	s_mov_b32 s1, 0x3e928af3
	v_cmp_nlt_f64_e32 vcc_lo, 0x40900000, v[7:8]
	v_rndne_f64_e32 v[31:32], v[31:32]
	v_fma_f64 v[33:34], v[31:32], s[14:15], v[7:8]
	v_cvt_i32_f64_e32 v57, v[31:32]
	s_mov_b32 s15, 0x3fe62e42
	v_fma_f64 v[33:34], v[31:32], s[16:17], v[33:34]
	s_mov_b32 s17, 0x3c7abc9e
	s_waitcnt lgkmcnt(0)
	v_fma_f64 v[35:36], v[33:34], s[24:25], s[0:1]
	s_mov_b32 s0, 0x623fde64
	s_mov_b32 s1, 0x3ec71dee
	;; [unrolled: 1-line block ×4, first 2 shown]
	v_fma_f64 v[35:36], v[33:34], v[35:36], s[0:1]
	s_mov_b32 s0, 0x7c89e6b0
	s_mov_b32 s1, 0x3efa0199
	v_fma_f64 v[35:36], v[33:34], v[35:36], s[0:1]
	s_mov_b32 s0, 0x14761f6e
	s_mov_b32 s1, 0x3f2a01a0
	;; [unrolled: 3-line block ×7, first 2 shown]
	v_fma_f64 v[35:36], v[33:34], v[35:36], s[0:1]
	v_cmp_ngt_f64_e64 s0, 0xc090cc00, v[7:8]
	s_mov_b32 s1, 0x3fe55555
	v_fma_f64 v[35:36], v[33:34], v[35:36], 1.0
	v_fma_f64 v[31:32], v[33:34], v[35:36], 1.0
	v_ldexp_f64 v[31:32], v[31:32], v57
	v_cndmask_b32_e32 v32, 0x7ff00000, v32, vcc_lo
	s_and_b32 vcc_lo, s0, vcc_lo
	v_cndmask_b32_e32 v7, 0, v31, vcc_lo
	v_cndmask_b32_e64 v8, 0, v32, s0
	s_mov_b32 s0, 0x55555555
	v_add_f64 v[31:32], v[7:8], 1.0
	v_frexp_mant_f64_e32 v[33:34], v[31:32]
	v_frexp_exp_i32_f64_e32 v57, v[31:32]
	v_add_f64 v[35:36], v[31:32], -1.0
	v_cmp_gt_f64_e32 vcc_lo, s[0:1], v[33:34]
	s_mov_b32 s0, 0x55555780
	v_add_f64 v[33:34], v[35:36], -v[31:32]
	v_add_f64 v[35:36], v[7:8], -v[35:36]
	v_subrev_co_ci_u32_e64 v73, null, 0, v57, vcc_lo
	v_add_f64 v[33:34], v[33:34], 1.0
	v_cmp_nge_f64_e32 vcc_lo, -1.0, v[7:8]
	v_sub_nc_u32_e32 v59, 0, v73
	v_ldexp_f64 v[31:32], v[31:32], v59
	v_add_f64 v[33:34], v[35:36], v[33:34]
	v_add_f64 v[57:58], v[31:32], 1.0
	v_add_f64 v[63:64], v[31:32], -1.0
	v_ldexp_f64 v[33:34], v[33:34], v59
	v_add_f64 v[35:36], v[57:58], -1.0
	v_add_f64 v[65:66], v[63:64], 1.0
	v_add_f64 v[35:36], v[31:32], -v[35:36]
	v_add_f64 v[31:32], v[31:32], -v[65:66]
	v_add_f64 v[35:36], v[33:34], v[35:36]
	v_add_f64 v[31:32], v[33:34], v[31:32]
	;; [unrolled: 1-line block ×4, first 2 shown]
	v_rcp_f64_e32 v[61:62], v[59:60]
	v_add_f64 v[57:58], v[59:60], -v[57:58]
	v_add_f64 v[63:64], v[65:66], -v[63:64]
	;; [unrolled: 1-line block ×3, first 2 shown]
	v_fma_f64 v[67:68], -v[59:60], v[61:62], 1.0
	v_add_f64 v[31:32], v[31:32], -v[63:64]
	v_fma_f64 v[61:62], v[67:68], v[61:62], v[61:62]
	v_fma_f64 v[33:34], -v[59:60], v[61:62], 1.0
	v_fma_f64 v[33:34], v[33:34], v[61:62], v[61:62]
	v_mul_f64 v[61:62], v[65:66], v[33:34]
	v_mul_f64 v[67:68], v[59:60], v[61:62]
	v_fma_f64 v[57:58], v[61:62], v[59:60], -v[67:68]
	v_fma_f64 v[57:58], v[61:62], v[35:36], v[57:58]
	v_add_f64 v[69:70], v[67:68], v[57:58]
	v_add_f64 v[71:72], v[65:66], -v[69:70]
	v_add_f64 v[63:64], v[69:70], -v[67:68]
	;; [unrolled: 1-line block ×5, first 2 shown]
	v_add_f64 v[31:32], v[31:32], v[65:66]
	v_add_f64 v[31:32], v[57:58], v[31:32]
	;; [unrolled: 1-line block ×3, first 2 shown]
	v_mul_f64 v[63:64], v[33:34], v[57:58]
	v_add_f64 v[69:70], v[71:72], -v[57:58]
	v_mul_f64 v[65:66], v[59:60], v[63:64]
	v_add_f64 v[31:32], v[31:32], v[69:70]
	v_fma_f64 v[59:60], v[63:64], v[59:60], -v[65:66]
	v_fma_f64 v[35:36], v[63:64], v[35:36], v[59:60]
	v_add_f64 v[59:60], v[65:66], v[35:36]
	v_add_f64 v[67:68], v[57:58], -v[59:60]
	v_add_f64 v[65:66], v[59:60], -v[65:66]
	v_add_f64 v[57:58], v[57:58], -v[67:68]
	v_add_f64 v[35:36], v[65:66], -v[35:36]
	v_add_f64 v[57:58], v[57:58], -v[59:60]
	v_add_f64 v[31:32], v[31:32], v[57:58]
	v_add_f64 v[57:58], v[61:62], v[63:64]
	v_add_f64 v[31:32], v[35:36], v[31:32]
	v_add_f64 v[35:36], v[57:58], -v[61:62]
	v_add_f64 v[31:32], v[67:68], v[31:32]
	v_add_f64 v[35:36], v[63:64], -v[35:36]
	v_mul_f64 v[31:32], v[33:34], v[31:32]
	v_add_f64 v[31:32], v[35:36], v[31:32]
	v_add_f64 v[33:34], v[57:58], v[31:32]
	v_mul_f64 v[35:36], v[33:34], v[33:34]
	v_fma_f64 v[59:60], v[35:36], s[28:29], s[24:25]
	s_mov_b32 s24, 0xd7f4df2e
	s_mov_b32 s25, 0x3fc7474d
	v_mul_f64 v[61:62], v[33:34], v[35:36]
	v_fma_f64 v[59:60], v[35:36], v[59:60], s[24:25]
	s_mov_b32 s24, 0x16291751
	s_mov_b32 s25, 0x3fcc71c0
	v_fma_f64 v[59:60], v[35:36], v[59:60], s[24:25]
	s_mov_b32 s24, 0x9b27acf1
	s_mov_b32 s25, 0x3fd24924
	;; [unrolled: 3-line block ×3, first 2 shown]
	v_fma_f64 v[59:60], v[35:36], v[59:60], s[24:25]
	v_fma_f64 v[35:36], v[35:36], v[59:60], s[0:1]
	v_ldexp_f64 v[59:60], v[33:34], 1
	v_add_f64 v[33:34], v[33:34], -v[57:58]
	v_cmp_neq_f64_e64 s0, 0x7ff00000, v[7:8]
	v_cmp_ngt_f64_e64 s1, -1.0, v[7:8]
	v_mul_f64 v[35:36], v[61:62], v[35:36]
	v_cvt_f64_i32_e32 v[61:62], v73
	v_add_f64 v[31:32], v[31:32], -v[33:34]
	s_and_b32 vcc_lo, vcc_lo, s0
	v_add_f64 v[57:58], v[59:60], v[35:36]
	v_mul_f64 v[63:64], v[61:62], s[14:15]
	v_ldexp_f64 v[31:32], v[31:32], 1
	v_add_f64 v[33:34], v[57:58], -v[59:60]
	v_fma_f64 v[59:60], v[61:62], s[14:15], -v[63:64]
	v_add_f64 v[33:34], v[35:36], -v[33:34]
	v_fma_f64 v[35:36], v[61:62], s[16:17], v[59:60]
	v_add_f64 v[31:32], v[31:32], v[33:34]
	v_add_f64 v[33:34], v[63:64], v[35:36]
	;; [unrolled: 1-line block ×3, first 2 shown]
	v_add_f64 v[63:64], v[33:34], -v[63:64]
	v_add_f64 v[61:62], v[33:34], v[59:60]
	v_add_f64 v[57:58], v[59:60], -v[57:58]
	v_add_f64 v[35:36], v[35:36], -v[63:64]
	;; [unrolled: 1-line block ×6, first 2 shown]
	v_add_f64 v[59:60], v[35:36], v[31:32]
	v_add_f64 v[33:34], v[33:34], -v[67:68]
	v_add_f64 v[33:34], v[57:58], v[33:34]
	v_add_f64 v[57:58], v[59:60], -v[35:36]
	;; [unrolled: 2-line block ×3, first 2 shown]
	v_add_f64 v[31:32], v[31:32], -v[57:58]
	v_add_f64 v[63:64], v[61:62], v[33:34]
	v_add_f64 v[35:36], v[35:36], -v[59:60]
	v_add_f64 v[57:58], v[63:64], -v[61:62]
	v_add_f64 v[31:32], v[31:32], v[35:36]
	v_add_f64 v[33:34], v[33:34], -v[57:58]
	v_add_f64 v[31:32], v[31:32], v[33:34]
	v_add_f64 v[31:32], v[63:64], v[31:32]
	v_cndmask_b32_e32 v31, 0, v31, vcc_lo
	v_cmp_neq_f64_e32 vcc_lo, -1.0, v[7:8]
	v_cndmask_b32_e64 v32, 0x7ff00000, v32, s0
	v_cndmask_b32_e64 v32, 0x7ff80000, v32, s1
	v_cndmask_b32_e32 v32, 0xfff00000, v32, vcc_lo
	v_add_f64 v[7:8], v[29:30], v[31:32]
.LBB9_268:
	s_or_b32 exec_lo, exec_lo, s2
	v_max_f64 v[29:30], v[7:8], v[7:8]
	v_cmp_u_f64_e32 vcc_lo, v[7:8], v[7:8]
	v_min_f64 v[31:32], v[29:30], v[9:10]
	v_max_f64 v[9:10], v[29:30], v[9:10]
	v_cndmask_b32_e32 v29, v31, v7, vcc_lo
	v_cndmask_b32_e32 v30, v32, v8, vcc_lo
	;; [unrolled: 1-line block ×4, first 2 shown]
	v_cndmask_b32_e64 v31, v29, v53, s3
	v_cndmask_b32_e64 v32, v30, v54, s3
	;; [unrolled: 1-line block ×4, first 2 shown]
	v_mov_b32_e32 v10, v8
	v_mov_b32_e32 v9, v7
	v_cmp_class_f64_e64 s0, v[31:32], 0x1f8
	v_cmp_neq_f64_e32 vcc_lo, v[31:32], v[29:30]
	s_or_b32 s0, vcc_lo, s0
	s_and_saveexec_b32 s13, s0
	s_cbranch_execz .LBB9_270
; %bb.269:
	v_add_f64 v[9:10], v[31:32], -v[29:30]
	s_mov_b32 s0, 0x652b82fe
	s_mov_b32 s1, 0x3ff71547
	;; [unrolled: 1-line block ×10, first 2 shown]
	v_mul_f64 v[31:32], v[9:10], s[0:1]
	s_mov_b32 s0, 0xfca7ab0c
	s_mov_b32 s1, 0x3e928af3
	v_cmp_nlt_f64_e32 vcc_lo, 0x40900000, v[9:10]
	v_rndne_f64_e32 v[31:32], v[31:32]
	v_fma_f64 v[33:34], v[31:32], s[2:3], v[9:10]
	v_cvt_i32_f64_e32 v53, v[31:32]
	s_mov_b32 s3, 0x3fe62e42
	v_fma_f64 v[33:34], v[31:32], s[14:15], v[33:34]
	s_mov_b32 s15, 0x3c7abc9e
	s_waitcnt lgkmcnt(0)
	v_fma_f64 v[35:36], v[33:34], s[16:17], s[0:1]
	s_mov_b32 s0, 0x623fde64
	s_mov_b32 s1, 0x3ec71dee
	;; [unrolled: 1-line block ×4, first 2 shown]
	v_fma_f64 v[35:36], v[33:34], v[35:36], s[0:1]
	s_mov_b32 s0, 0x7c89e6b0
	s_mov_b32 s1, 0x3efa0199
	v_fma_f64 v[35:36], v[33:34], v[35:36], s[0:1]
	s_mov_b32 s0, 0x14761f6e
	s_mov_b32 s1, 0x3f2a01a0
	;; [unrolled: 3-line block ×7, first 2 shown]
	v_fma_f64 v[35:36], v[33:34], v[35:36], s[0:1]
	v_cmp_ngt_f64_e64 s0, 0xc090cc00, v[9:10]
	s_mov_b32 s1, 0x3fe55555
	v_fma_f64 v[35:36], v[33:34], v[35:36], 1.0
	v_fma_f64 v[31:32], v[33:34], v[35:36], 1.0
	v_ldexp_f64 v[31:32], v[31:32], v53
	v_cndmask_b32_e32 v32, 0x7ff00000, v32, vcc_lo
	s_and_b32 vcc_lo, s0, vcc_lo
	v_cndmask_b32_e32 v9, 0, v31, vcc_lo
	v_cndmask_b32_e64 v10, 0, v32, s0
	s_mov_b32 s0, 0x55555555
	v_add_f64 v[31:32], v[9:10], 1.0
	v_frexp_mant_f64_e32 v[33:34], v[31:32]
	v_frexp_exp_i32_f64_e32 v53, v[31:32]
	v_add_f64 v[35:36], v[31:32], -1.0
	v_cmp_gt_f64_e32 vcc_lo, s[0:1], v[33:34]
	s_mov_b32 s0, 0x55555780
	v_add_f64 v[33:34], v[35:36], -v[31:32]
	v_add_f64 v[35:36], v[9:10], -v[35:36]
	v_subrev_co_ci_u32_e64 v71, null, 0, v53, vcc_lo
	v_add_f64 v[33:34], v[33:34], 1.0
	v_cmp_nge_f64_e32 vcc_lo, -1.0, v[9:10]
	v_sub_nc_u32_e32 v57, 0, v71
	v_ldexp_f64 v[31:32], v[31:32], v57
	v_add_f64 v[33:34], v[35:36], v[33:34]
	v_add_f64 v[53:54], v[31:32], 1.0
	v_add_f64 v[61:62], v[31:32], -1.0
	v_ldexp_f64 v[33:34], v[33:34], v57
	v_add_f64 v[35:36], v[53:54], -1.0
	v_add_f64 v[63:64], v[61:62], 1.0
	v_add_f64 v[35:36], v[31:32], -v[35:36]
	v_add_f64 v[31:32], v[31:32], -v[63:64]
	v_add_f64 v[35:36], v[33:34], v[35:36]
	v_add_f64 v[31:32], v[33:34], v[31:32]
	;; [unrolled: 1-line block ×4, first 2 shown]
	v_rcp_f64_e32 v[59:60], v[57:58]
	v_add_f64 v[53:54], v[57:58], -v[53:54]
	v_add_f64 v[61:62], v[63:64], -v[61:62]
	;; [unrolled: 1-line block ×3, first 2 shown]
	v_fma_f64 v[65:66], -v[57:58], v[59:60], 1.0
	v_add_f64 v[31:32], v[31:32], -v[61:62]
	v_fma_f64 v[59:60], v[65:66], v[59:60], v[59:60]
	v_fma_f64 v[33:34], -v[57:58], v[59:60], 1.0
	v_fma_f64 v[33:34], v[33:34], v[59:60], v[59:60]
	v_mul_f64 v[59:60], v[63:64], v[33:34]
	v_mul_f64 v[65:66], v[57:58], v[59:60]
	v_fma_f64 v[53:54], v[59:60], v[57:58], -v[65:66]
	v_fma_f64 v[53:54], v[59:60], v[35:36], v[53:54]
	v_add_f64 v[67:68], v[65:66], v[53:54]
	v_add_f64 v[69:70], v[63:64], -v[67:68]
	v_add_f64 v[61:62], v[67:68], -v[65:66]
	v_add_f64 v[63:64], v[63:64], -v[69:70]
	v_add_f64 v[53:54], v[61:62], -v[53:54]
	v_add_f64 v[63:64], v[63:64], -v[67:68]
	v_add_f64 v[31:32], v[31:32], v[63:64]
	v_add_f64 v[31:32], v[53:54], v[31:32]
	;; [unrolled: 1-line block ×3, first 2 shown]
	v_mul_f64 v[61:62], v[33:34], v[53:54]
	v_add_f64 v[67:68], v[69:70], -v[53:54]
	v_mul_f64 v[63:64], v[57:58], v[61:62]
	v_add_f64 v[31:32], v[31:32], v[67:68]
	v_fma_f64 v[57:58], v[61:62], v[57:58], -v[63:64]
	v_fma_f64 v[35:36], v[61:62], v[35:36], v[57:58]
	v_add_f64 v[57:58], v[63:64], v[35:36]
	v_add_f64 v[65:66], v[53:54], -v[57:58]
	v_add_f64 v[63:64], v[57:58], -v[63:64]
	;; [unrolled: 1-line block ×5, first 2 shown]
	v_add_f64 v[31:32], v[31:32], v[53:54]
	v_add_f64 v[53:54], v[59:60], v[61:62]
	;; [unrolled: 1-line block ×3, first 2 shown]
	v_add_f64 v[35:36], v[53:54], -v[59:60]
	v_add_f64 v[31:32], v[65:66], v[31:32]
	v_add_f64 v[35:36], v[61:62], -v[35:36]
	v_mul_f64 v[31:32], v[33:34], v[31:32]
	v_add_f64 v[31:32], v[35:36], v[31:32]
	v_add_f64 v[33:34], v[53:54], v[31:32]
	v_mul_f64 v[35:36], v[33:34], v[33:34]
	v_fma_f64 v[57:58], v[35:36], s[24:25], s[16:17]
	s_mov_b32 s16, 0xd7f4df2e
	s_mov_b32 s17, 0x3fc7474d
	v_mul_f64 v[59:60], v[33:34], v[35:36]
	v_fma_f64 v[57:58], v[35:36], v[57:58], s[16:17]
	s_mov_b32 s16, 0x16291751
	s_mov_b32 s17, 0x3fcc71c0
	v_fma_f64 v[57:58], v[35:36], v[57:58], s[16:17]
	s_mov_b32 s16, 0x9b27acf1
	s_mov_b32 s17, 0x3fd24924
	;; [unrolled: 3-line block ×3, first 2 shown]
	v_fma_f64 v[57:58], v[35:36], v[57:58], s[16:17]
	v_fma_f64 v[35:36], v[35:36], v[57:58], s[0:1]
	v_ldexp_f64 v[57:58], v[33:34], 1
	v_add_f64 v[33:34], v[33:34], -v[53:54]
	v_cmp_neq_f64_e64 s0, 0x7ff00000, v[9:10]
	v_cmp_ngt_f64_e64 s1, -1.0, v[9:10]
	v_mul_f64 v[35:36], v[59:60], v[35:36]
	v_cvt_f64_i32_e32 v[59:60], v71
	v_add_f64 v[31:32], v[31:32], -v[33:34]
	s_and_b32 vcc_lo, vcc_lo, s0
	v_add_f64 v[53:54], v[57:58], v[35:36]
	v_mul_f64 v[61:62], v[59:60], s[2:3]
	v_ldexp_f64 v[31:32], v[31:32], 1
	v_add_f64 v[33:34], v[53:54], -v[57:58]
	v_fma_f64 v[57:58], v[59:60], s[2:3], -v[61:62]
	v_add_f64 v[33:34], v[35:36], -v[33:34]
	v_fma_f64 v[35:36], v[59:60], s[14:15], v[57:58]
	v_add_f64 v[31:32], v[31:32], v[33:34]
	v_add_f64 v[33:34], v[61:62], v[35:36]
	;; [unrolled: 1-line block ×3, first 2 shown]
	v_add_f64 v[61:62], v[33:34], -v[61:62]
	v_add_f64 v[59:60], v[33:34], v[57:58]
	v_add_f64 v[53:54], v[57:58], -v[53:54]
	v_add_f64 v[35:36], v[35:36], -v[61:62]
	;; [unrolled: 1-line block ×6, first 2 shown]
	v_add_f64 v[57:58], v[35:36], v[31:32]
	v_add_f64 v[33:34], v[33:34], -v[65:66]
	v_add_f64 v[33:34], v[53:54], v[33:34]
	v_add_f64 v[53:54], v[57:58], -v[35:36]
	;; [unrolled: 2-line block ×3, first 2 shown]
	v_add_f64 v[31:32], v[31:32], -v[53:54]
	v_add_f64 v[61:62], v[59:60], v[33:34]
	v_add_f64 v[35:36], v[35:36], -v[57:58]
	v_add_f64 v[53:54], v[61:62], -v[59:60]
	v_add_f64 v[31:32], v[31:32], v[35:36]
	v_add_f64 v[33:34], v[33:34], -v[53:54]
	v_add_f64 v[31:32], v[31:32], v[33:34]
	v_add_f64 v[31:32], v[61:62], v[31:32]
	v_cndmask_b32_e32 v31, 0, v31, vcc_lo
	v_cmp_neq_f64_e32 vcc_lo, -1.0, v[9:10]
	v_cndmask_b32_e64 v32, 0x7ff00000, v32, s0
	v_cndmask_b32_e64 v32, 0x7ff80000, v32, s1
	v_cndmask_b32_e32 v32, 0xfff00000, v32, vcc_lo
	v_add_f64 v[9:10], v[29:30], v[31:32]
.LBB9_270:
	s_or_b32 exec_lo, exec_lo, s13
	v_max_f64 v[29:30], v[9:10], v[9:10]
	v_cmp_u_f64_e32 vcc_lo, v[9:10], v[9:10]
	v_min_f64 v[31:32], v[29:30], v[11:12]
	v_max_f64 v[11:12], v[29:30], v[11:12]
	v_cndmask_b32_e32 v29, v31, v9, vcc_lo
	v_cndmask_b32_e32 v30, v32, v10, vcc_lo
	;; [unrolled: 1-line block ×4, first 2 shown]
	v_cndmask_b32_e64 v31, v29, v55, s4
	v_cndmask_b32_e64 v32, v30, v56, s4
	;; [unrolled: 1-line block ×4, first 2 shown]
	v_mov_b32_e32 v12, v10
	v_mov_b32_e32 v11, v9
	v_cmp_class_f64_e64 s0, v[31:32], 0x1f8
	v_cmp_neq_f64_e32 vcc_lo, v[31:32], v[29:30]
	s_or_b32 s0, vcc_lo, s0
	s_and_saveexec_b32 s4, s0
	s_cbranch_execz .LBB9_272
; %bb.271:
	v_add_f64 v[11:12], v[31:32], -v[29:30]
	s_mov_b32 s0, 0x652b82fe
	s_mov_b32 s1, 0x3ff71547
	;; [unrolled: 1-line block ×10, first 2 shown]
	v_mul_f64 v[31:32], v[11:12], s[0:1]
	s_mov_b32 s0, 0xfca7ab0c
	s_mov_b32 s1, 0x3e928af3
	v_cmp_nlt_f64_e32 vcc_lo, 0x40900000, v[11:12]
	v_rndne_f64_e32 v[31:32], v[31:32]
	v_fma_f64 v[33:34], v[31:32], s[2:3], v[11:12]
	v_cvt_i32_f64_e32 v53, v[31:32]
	s_mov_b32 s3, 0x3fe62e42
	v_fma_f64 v[33:34], v[31:32], s[14:15], v[33:34]
	s_mov_b32 s15, 0x3c7abc9e
	s_waitcnt lgkmcnt(0)
	v_fma_f64 v[35:36], v[33:34], s[16:17], s[0:1]
	s_mov_b32 s0, 0x623fde64
	s_mov_b32 s1, 0x3ec71dee
	;; [unrolled: 1-line block ×4, first 2 shown]
	v_fma_f64 v[35:36], v[33:34], v[35:36], s[0:1]
	s_mov_b32 s0, 0x7c89e6b0
	s_mov_b32 s1, 0x3efa0199
	v_fma_f64 v[35:36], v[33:34], v[35:36], s[0:1]
	s_mov_b32 s0, 0x14761f6e
	s_mov_b32 s1, 0x3f2a01a0
	v_fma_f64 v[35:36], v[33:34], v[35:36], s[0:1]
	s_mov_b32 s0, 0x1852b7b0
	s_mov_b32 s1, 0x3f56c16c
	v_fma_f64 v[35:36], v[33:34], v[35:36], s[0:1]
	s_mov_b32 s0, 0x11122322
	s_mov_b32 s1, 0x3f811111
	v_fma_f64 v[35:36], v[33:34], v[35:36], s[0:1]
	s_mov_b32 s0, 0x555502a1
	s_mov_b32 s1, 0x3fa55555
	v_fma_f64 v[35:36], v[33:34], v[35:36], s[0:1]
	s_mov_b32 s0, 0x55555511
	s_mov_b32 s1, 0x3fc55555
	v_fma_f64 v[35:36], v[33:34], v[35:36], s[0:1]
	s_mov_b32 s0, 11
	s_mov_b32 s1, 0x3fe00000
	v_fma_f64 v[35:36], v[33:34], v[35:36], s[0:1]
	v_cmp_ngt_f64_e64 s0, 0xc090cc00, v[11:12]
	s_mov_b32 s1, 0x3fe55555
	v_fma_f64 v[35:36], v[33:34], v[35:36], 1.0
	v_fma_f64 v[31:32], v[33:34], v[35:36], 1.0
	v_ldexp_f64 v[31:32], v[31:32], v53
	v_cndmask_b32_e32 v32, 0x7ff00000, v32, vcc_lo
	s_and_b32 vcc_lo, s0, vcc_lo
	v_cndmask_b32_e32 v11, 0, v31, vcc_lo
	v_cndmask_b32_e64 v12, 0, v32, s0
	s_mov_b32 s0, 0x55555555
	v_add_f64 v[31:32], v[11:12], 1.0
	v_frexp_mant_f64_e32 v[33:34], v[31:32]
	v_frexp_exp_i32_f64_e32 v53, v[31:32]
	v_add_f64 v[35:36], v[31:32], -1.0
	v_cmp_gt_f64_e32 vcc_lo, s[0:1], v[33:34]
	s_mov_b32 s0, 0x55555780
	v_add_f64 v[33:34], v[35:36], -v[31:32]
	v_add_f64 v[35:36], v[11:12], -v[35:36]
	v_subrev_co_ci_u32_e64 v69, null, 0, v53, vcc_lo
	v_add_f64 v[33:34], v[33:34], 1.0
	v_cmp_nge_f64_e32 vcc_lo, -1.0, v[11:12]
	v_sub_nc_u32_e32 v55, 0, v69
	v_ldexp_f64 v[31:32], v[31:32], v55
	v_add_f64 v[33:34], v[35:36], v[33:34]
	v_add_f64 v[53:54], v[31:32], 1.0
	v_add_f64 v[59:60], v[31:32], -1.0
	v_ldexp_f64 v[33:34], v[33:34], v55
	v_add_f64 v[35:36], v[53:54], -1.0
	v_add_f64 v[61:62], v[59:60], 1.0
	v_add_f64 v[35:36], v[31:32], -v[35:36]
	v_add_f64 v[31:32], v[31:32], -v[61:62]
	v_add_f64 v[35:36], v[33:34], v[35:36]
	v_add_f64 v[31:32], v[33:34], v[31:32]
	;; [unrolled: 1-line block ×4, first 2 shown]
	v_rcp_f64_e32 v[57:58], v[55:56]
	v_add_f64 v[53:54], v[55:56], -v[53:54]
	v_add_f64 v[59:60], v[61:62], -v[59:60]
	;; [unrolled: 1-line block ×3, first 2 shown]
	v_fma_f64 v[63:64], -v[55:56], v[57:58], 1.0
	v_add_f64 v[31:32], v[31:32], -v[59:60]
	v_fma_f64 v[57:58], v[63:64], v[57:58], v[57:58]
	v_fma_f64 v[33:34], -v[55:56], v[57:58], 1.0
	v_fma_f64 v[33:34], v[33:34], v[57:58], v[57:58]
	v_mul_f64 v[57:58], v[61:62], v[33:34]
	v_mul_f64 v[63:64], v[55:56], v[57:58]
	v_fma_f64 v[53:54], v[57:58], v[55:56], -v[63:64]
	v_fma_f64 v[53:54], v[57:58], v[35:36], v[53:54]
	v_add_f64 v[65:66], v[63:64], v[53:54]
	v_add_f64 v[67:68], v[61:62], -v[65:66]
	v_add_f64 v[59:60], v[65:66], -v[63:64]
	v_add_f64 v[61:62], v[61:62], -v[67:68]
	v_add_f64 v[53:54], v[59:60], -v[53:54]
	v_add_f64 v[61:62], v[61:62], -v[65:66]
	v_add_f64 v[31:32], v[31:32], v[61:62]
	v_add_f64 v[31:32], v[53:54], v[31:32]
	;; [unrolled: 1-line block ×3, first 2 shown]
	v_mul_f64 v[59:60], v[33:34], v[53:54]
	v_add_f64 v[65:66], v[67:68], -v[53:54]
	v_mul_f64 v[61:62], v[55:56], v[59:60]
	v_add_f64 v[31:32], v[31:32], v[65:66]
	v_fma_f64 v[55:56], v[59:60], v[55:56], -v[61:62]
	v_fma_f64 v[35:36], v[59:60], v[35:36], v[55:56]
	v_add_f64 v[55:56], v[61:62], v[35:36]
	v_add_f64 v[63:64], v[53:54], -v[55:56]
	v_add_f64 v[61:62], v[55:56], -v[61:62]
	;; [unrolled: 1-line block ×5, first 2 shown]
	v_add_f64 v[31:32], v[31:32], v[53:54]
	v_add_f64 v[53:54], v[57:58], v[59:60]
	;; [unrolled: 1-line block ×3, first 2 shown]
	v_add_f64 v[35:36], v[53:54], -v[57:58]
	v_add_f64 v[31:32], v[63:64], v[31:32]
	v_add_f64 v[35:36], v[59:60], -v[35:36]
	v_mul_f64 v[31:32], v[33:34], v[31:32]
	v_add_f64 v[31:32], v[35:36], v[31:32]
	v_add_f64 v[33:34], v[53:54], v[31:32]
	v_mul_f64 v[35:36], v[33:34], v[33:34]
	v_fma_f64 v[55:56], v[35:36], s[24:25], s[16:17]
	s_mov_b32 s16, 0xd7f4df2e
	s_mov_b32 s17, 0x3fc7474d
	v_mul_f64 v[57:58], v[33:34], v[35:36]
	v_fma_f64 v[55:56], v[35:36], v[55:56], s[16:17]
	s_mov_b32 s16, 0x16291751
	s_mov_b32 s17, 0x3fcc71c0
	v_fma_f64 v[55:56], v[35:36], v[55:56], s[16:17]
	s_mov_b32 s16, 0x9b27acf1
	s_mov_b32 s17, 0x3fd24924
	;; [unrolled: 3-line block ×3, first 2 shown]
	v_fma_f64 v[55:56], v[35:36], v[55:56], s[16:17]
	v_fma_f64 v[35:36], v[35:36], v[55:56], s[0:1]
	v_ldexp_f64 v[55:56], v[33:34], 1
	v_add_f64 v[33:34], v[33:34], -v[53:54]
	v_cmp_neq_f64_e64 s0, 0x7ff00000, v[11:12]
	v_cmp_ngt_f64_e64 s1, -1.0, v[11:12]
	v_mul_f64 v[35:36], v[57:58], v[35:36]
	v_cvt_f64_i32_e32 v[57:58], v69
	v_add_f64 v[31:32], v[31:32], -v[33:34]
	s_and_b32 vcc_lo, vcc_lo, s0
	v_add_f64 v[53:54], v[55:56], v[35:36]
	v_mul_f64 v[59:60], v[57:58], s[2:3]
	v_ldexp_f64 v[31:32], v[31:32], 1
	v_add_f64 v[33:34], v[53:54], -v[55:56]
	v_fma_f64 v[55:56], v[57:58], s[2:3], -v[59:60]
	v_add_f64 v[33:34], v[35:36], -v[33:34]
	v_fma_f64 v[35:36], v[57:58], s[14:15], v[55:56]
	v_add_f64 v[31:32], v[31:32], v[33:34]
	v_add_f64 v[33:34], v[59:60], v[35:36]
	;; [unrolled: 1-line block ×3, first 2 shown]
	v_add_f64 v[59:60], v[33:34], -v[59:60]
	v_add_f64 v[57:58], v[33:34], v[55:56]
	v_add_f64 v[53:54], v[55:56], -v[53:54]
	v_add_f64 v[35:36], v[35:36], -v[59:60]
	;; [unrolled: 1-line block ×6, first 2 shown]
	v_add_f64 v[55:56], v[35:36], v[31:32]
	v_add_f64 v[33:34], v[33:34], -v[63:64]
	v_add_f64 v[33:34], v[53:54], v[33:34]
	v_add_f64 v[53:54], v[55:56], -v[35:36]
	;; [unrolled: 2-line block ×3, first 2 shown]
	v_add_f64 v[31:32], v[31:32], -v[53:54]
	v_add_f64 v[59:60], v[57:58], v[33:34]
	v_add_f64 v[35:36], v[35:36], -v[55:56]
	v_add_f64 v[53:54], v[59:60], -v[57:58]
	v_add_f64 v[31:32], v[31:32], v[35:36]
	v_add_f64 v[33:34], v[33:34], -v[53:54]
	v_add_f64 v[31:32], v[31:32], v[33:34]
	v_add_f64 v[31:32], v[59:60], v[31:32]
	v_cndmask_b32_e32 v31, 0, v31, vcc_lo
	v_cmp_neq_f64_e32 vcc_lo, -1.0, v[11:12]
	v_cndmask_b32_e64 v32, 0x7ff00000, v32, s0
	v_cndmask_b32_e64 v32, 0x7ff80000, v32, s1
	v_cndmask_b32_e32 v32, 0xfff00000, v32, vcc_lo
	v_add_f64 v[11:12], v[29:30], v[31:32]
.LBB9_272:
	s_or_b32 exec_lo, exec_lo, s4
	v_max_f64 v[29:30], v[11:12], v[11:12]
	v_cmp_u_f64_e32 vcc_lo, v[11:12], v[11:12]
	v_min_f64 v[31:32], v[29:30], v[13:14]
	v_max_f64 v[13:14], v[29:30], v[13:14]
	v_cndmask_b32_e32 v29, v31, v11, vcc_lo
	v_cndmask_b32_e32 v30, v32, v12, vcc_lo
	;; [unrolled: 1-line block ×4, first 2 shown]
	v_cndmask_b32_e64 v31, v29, v49, s5
	v_cndmask_b32_e64 v32, v30, v50, s5
	;; [unrolled: 1-line block ×4, first 2 shown]
	v_mov_b32_e32 v14, v12
	v_mov_b32_e32 v13, v11
	v_cmp_class_f64_e64 s0, v[31:32], 0x1f8
	v_cmp_neq_f64_e32 vcc_lo, v[31:32], v[29:30]
	s_or_b32 s0, vcc_lo, s0
	s_and_saveexec_b32 s13, s0
	s_cbranch_execz .LBB9_274
; %bb.273:
	v_add_f64 v[13:14], v[31:32], -v[29:30]
	s_mov_b32 s0, 0x652b82fe
	s_mov_b32 s1, 0x3ff71547
	;; [unrolled: 1-line block ×10, first 2 shown]
	v_mul_f64 v[31:32], v[13:14], s[0:1]
	s_mov_b32 s0, 0xfca7ab0c
	s_mov_b32 s1, 0x3e928af3
	v_cmp_nlt_f64_e32 vcc_lo, 0x40900000, v[13:14]
	v_rndne_f64_e32 v[31:32], v[31:32]
	v_fma_f64 v[33:34], v[31:32], s[2:3], v[13:14]
	v_cvt_i32_f64_e32 v49, v[31:32]
	s_mov_b32 s3, 0x3fe62e42
	v_fma_f64 v[33:34], v[31:32], s[4:5], v[33:34]
	s_mov_b32 s5, 0x3c7abc9e
	s_waitcnt lgkmcnt(0)
	v_fma_f64 v[35:36], v[33:34], s[14:15], s[0:1]
	s_mov_b32 s0, 0x623fde64
	s_mov_b32 s1, 0x3ec71dee
	;; [unrolled: 1-line block ×4, first 2 shown]
	v_fma_f64 v[35:36], v[33:34], v[35:36], s[0:1]
	s_mov_b32 s0, 0x7c89e6b0
	s_mov_b32 s1, 0x3efa0199
	v_fma_f64 v[35:36], v[33:34], v[35:36], s[0:1]
	s_mov_b32 s0, 0x14761f6e
	s_mov_b32 s1, 0x3f2a01a0
	;; [unrolled: 3-line block ×7, first 2 shown]
	v_fma_f64 v[35:36], v[33:34], v[35:36], s[0:1]
	v_cmp_ngt_f64_e64 s0, 0xc090cc00, v[13:14]
	s_mov_b32 s1, 0x3fe55555
	v_fma_f64 v[35:36], v[33:34], v[35:36], 1.0
	v_fma_f64 v[31:32], v[33:34], v[35:36], 1.0
	v_ldexp_f64 v[31:32], v[31:32], v49
	v_cndmask_b32_e32 v32, 0x7ff00000, v32, vcc_lo
	s_and_b32 vcc_lo, s0, vcc_lo
	v_cndmask_b32_e32 v13, 0, v31, vcc_lo
	v_cndmask_b32_e64 v14, 0, v32, s0
	s_mov_b32 s0, 0x55555555
	v_add_f64 v[31:32], v[13:14], 1.0
	v_frexp_mant_f64_e32 v[33:34], v[31:32]
	v_frexp_exp_i32_f64_e32 v49, v[31:32]
	v_add_f64 v[35:36], v[31:32], -1.0
	v_cmp_gt_f64_e32 vcc_lo, s[0:1], v[33:34]
	s_mov_b32 s0, 0x55555780
	v_add_f64 v[33:34], v[35:36], -v[31:32]
	v_add_f64 v[35:36], v[13:14], -v[35:36]
	v_subrev_co_ci_u32_e64 v67, null, 0, v49, vcc_lo
	v_add_f64 v[33:34], v[33:34], 1.0
	v_cmp_nge_f64_e32 vcc_lo, -1.0, v[13:14]
	v_sub_nc_u32_e32 v53, 0, v67
	v_ldexp_f64 v[31:32], v[31:32], v53
	v_add_f64 v[33:34], v[35:36], v[33:34]
	v_add_f64 v[49:50], v[31:32], 1.0
	v_add_f64 v[57:58], v[31:32], -1.0
	v_ldexp_f64 v[33:34], v[33:34], v53
	v_add_f64 v[35:36], v[49:50], -1.0
	v_add_f64 v[59:60], v[57:58], 1.0
	v_add_f64 v[35:36], v[31:32], -v[35:36]
	v_add_f64 v[31:32], v[31:32], -v[59:60]
	v_add_f64 v[35:36], v[33:34], v[35:36]
	v_add_f64 v[31:32], v[33:34], v[31:32]
	;; [unrolled: 1-line block ×4, first 2 shown]
	v_rcp_f64_e32 v[55:56], v[53:54]
	v_add_f64 v[49:50], v[53:54], -v[49:50]
	v_add_f64 v[57:58], v[59:60], -v[57:58]
	;; [unrolled: 1-line block ×3, first 2 shown]
	v_fma_f64 v[61:62], -v[53:54], v[55:56], 1.0
	v_add_f64 v[31:32], v[31:32], -v[57:58]
	v_fma_f64 v[55:56], v[61:62], v[55:56], v[55:56]
	v_fma_f64 v[33:34], -v[53:54], v[55:56], 1.0
	v_fma_f64 v[33:34], v[33:34], v[55:56], v[55:56]
	v_mul_f64 v[55:56], v[59:60], v[33:34]
	v_mul_f64 v[61:62], v[53:54], v[55:56]
	v_fma_f64 v[49:50], v[55:56], v[53:54], -v[61:62]
	v_fma_f64 v[49:50], v[55:56], v[35:36], v[49:50]
	v_add_f64 v[63:64], v[61:62], v[49:50]
	v_add_f64 v[65:66], v[59:60], -v[63:64]
	v_add_f64 v[57:58], v[63:64], -v[61:62]
	;; [unrolled: 1-line block ×5, first 2 shown]
	v_add_f64 v[31:32], v[31:32], v[59:60]
	v_add_f64 v[31:32], v[49:50], v[31:32]
	;; [unrolled: 1-line block ×3, first 2 shown]
	v_mul_f64 v[57:58], v[33:34], v[49:50]
	v_add_f64 v[63:64], v[65:66], -v[49:50]
	v_mul_f64 v[59:60], v[53:54], v[57:58]
	v_add_f64 v[31:32], v[31:32], v[63:64]
	v_fma_f64 v[53:54], v[57:58], v[53:54], -v[59:60]
	v_fma_f64 v[35:36], v[57:58], v[35:36], v[53:54]
	v_add_f64 v[53:54], v[59:60], v[35:36]
	v_add_f64 v[61:62], v[49:50], -v[53:54]
	v_add_f64 v[59:60], v[53:54], -v[59:60]
	;; [unrolled: 1-line block ×5, first 2 shown]
	v_add_f64 v[31:32], v[31:32], v[49:50]
	v_add_f64 v[49:50], v[55:56], v[57:58]
	;; [unrolled: 1-line block ×3, first 2 shown]
	v_add_f64 v[35:36], v[49:50], -v[55:56]
	v_add_f64 v[31:32], v[61:62], v[31:32]
	v_add_f64 v[35:36], v[57:58], -v[35:36]
	v_mul_f64 v[31:32], v[33:34], v[31:32]
	v_add_f64 v[31:32], v[35:36], v[31:32]
	v_add_f64 v[33:34], v[49:50], v[31:32]
	v_mul_f64 v[35:36], v[33:34], v[33:34]
	v_fma_f64 v[53:54], v[35:36], s[16:17], s[14:15]
	s_mov_b32 s14, 0xd7f4df2e
	s_mov_b32 s15, 0x3fc7474d
	v_mul_f64 v[55:56], v[33:34], v[35:36]
	v_fma_f64 v[53:54], v[35:36], v[53:54], s[14:15]
	s_mov_b32 s14, 0x16291751
	s_mov_b32 s15, 0x3fcc71c0
	v_fma_f64 v[53:54], v[35:36], v[53:54], s[14:15]
	s_mov_b32 s14, 0x9b27acf1
	s_mov_b32 s15, 0x3fd24924
	;; [unrolled: 3-line block ×3, first 2 shown]
	v_fma_f64 v[53:54], v[35:36], v[53:54], s[14:15]
	v_fma_f64 v[35:36], v[35:36], v[53:54], s[0:1]
	v_ldexp_f64 v[53:54], v[33:34], 1
	v_add_f64 v[33:34], v[33:34], -v[49:50]
	v_cmp_neq_f64_e64 s0, 0x7ff00000, v[13:14]
	v_cmp_ngt_f64_e64 s1, -1.0, v[13:14]
	v_mul_f64 v[35:36], v[55:56], v[35:36]
	v_cvt_f64_i32_e32 v[55:56], v67
	v_add_f64 v[31:32], v[31:32], -v[33:34]
	s_and_b32 vcc_lo, vcc_lo, s0
	v_add_f64 v[49:50], v[53:54], v[35:36]
	v_mul_f64 v[57:58], v[55:56], s[2:3]
	v_ldexp_f64 v[31:32], v[31:32], 1
	v_add_f64 v[33:34], v[49:50], -v[53:54]
	v_fma_f64 v[53:54], v[55:56], s[2:3], -v[57:58]
	v_add_f64 v[33:34], v[35:36], -v[33:34]
	v_fma_f64 v[35:36], v[55:56], s[4:5], v[53:54]
	v_add_f64 v[31:32], v[31:32], v[33:34]
	v_add_f64 v[33:34], v[57:58], v[35:36]
	;; [unrolled: 1-line block ×3, first 2 shown]
	v_add_f64 v[57:58], v[33:34], -v[57:58]
	v_add_f64 v[55:56], v[33:34], v[53:54]
	v_add_f64 v[49:50], v[53:54], -v[49:50]
	v_add_f64 v[35:36], v[35:36], -v[57:58]
	;; [unrolled: 1-line block ×6, first 2 shown]
	v_add_f64 v[53:54], v[35:36], v[31:32]
	v_add_f64 v[33:34], v[33:34], -v[61:62]
	v_add_f64 v[33:34], v[49:50], v[33:34]
	v_add_f64 v[49:50], v[53:54], -v[35:36]
	;; [unrolled: 2-line block ×3, first 2 shown]
	v_add_f64 v[31:32], v[31:32], -v[49:50]
	v_add_f64 v[57:58], v[55:56], v[33:34]
	v_add_f64 v[35:36], v[35:36], -v[53:54]
	v_add_f64 v[49:50], v[57:58], -v[55:56]
	v_add_f64 v[31:32], v[31:32], v[35:36]
	v_add_f64 v[33:34], v[33:34], -v[49:50]
	v_add_f64 v[31:32], v[31:32], v[33:34]
	v_add_f64 v[31:32], v[57:58], v[31:32]
	v_cndmask_b32_e32 v31, 0, v31, vcc_lo
	v_cmp_neq_f64_e32 vcc_lo, -1.0, v[13:14]
	v_cndmask_b32_e64 v32, 0x7ff00000, v32, s0
	v_cndmask_b32_e64 v32, 0x7ff80000, v32, s1
	v_cndmask_b32_e32 v32, 0xfff00000, v32, vcc_lo
	v_add_f64 v[13:14], v[29:30], v[31:32]
.LBB9_274:
	s_or_b32 exec_lo, exec_lo, s13
	v_max_f64 v[29:30], v[13:14], v[13:14]
	v_cmp_u_f64_e32 vcc_lo, v[13:14], v[13:14]
	v_min_f64 v[31:32], v[29:30], v[15:16]
	v_max_f64 v[15:16], v[29:30], v[15:16]
	v_cndmask_b32_e32 v29, v31, v13, vcc_lo
	v_cndmask_b32_e32 v30, v32, v14, vcc_lo
	;; [unrolled: 1-line block ×4, first 2 shown]
	v_cndmask_b32_e64 v31, v29, v51, s6
	v_cndmask_b32_e64 v32, v30, v52, s6
	v_cndmask_b32_e64 v30, v16, v52, s6
	v_cndmask_b32_e64 v29, v15, v51, s6
	v_mov_b32_e32 v16, v14
	v_mov_b32_e32 v15, v13
	v_cmp_class_f64_e64 s0, v[31:32], 0x1f8
	v_cmp_neq_f64_e32 vcc_lo, v[31:32], v[29:30]
	s_or_b32 s0, vcc_lo, s0
	s_and_saveexec_b32 s6, s0
	s_cbranch_execz .LBB9_276
; %bb.275:
	v_add_f64 v[15:16], v[31:32], -v[29:30]
	s_mov_b32 s0, 0x652b82fe
	s_mov_b32 s1, 0x3ff71547
	;; [unrolled: 1-line block ×10, first 2 shown]
	v_mul_f64 v[31:32], v[15:16], s[0:1]
	s_mov_b32 s0, 0xfca7ab0c
	s_mov_b32 s1, 0x3e928af3
	v_cmp_nlt_f64_e32 vcc_lo, 0x40900000, v[15:16]
	v_rndne_f64_e32 v[31:32], v[31:32]
	v_fma_f64 v[33:34], v[31:32], s[2:3], v[15:16]
	v_cvt_i32_f64_e32 v49, v[31:32]
	s_mov_b32 s3, 0x3fe62e42
	v_fma_f64 v[33:34], v[31:32], s[4:5], v[33:34]
	s_mov_b32 s5, 0x3c7abc9e
	s_waitcnt lgkmcnt(0)
	v_fma_f64 v[35:36], v[33:34], s[14:15], s[0:1]
	s_mov_b32 s0, 0x623fde64
	s_mov_b32 s1, 0x3ec71dee
	;; [unrolled: 1-line block ×4, first 2 shown]
	v_fma_f64 v[35:36], v[33:34], v[35:36], s[0:1]
	s_mov_b32 s0, 0x7c89e6b0
	s_mov_b32 s1, 0x3efa0199
	v_fma_f64 v[35:36], v[33:34], v[35:36], s[0:1]
	s_mov_b32 s0, 0x14761f6e
	s_mov_b32 s1, 0x3f2a01a0
	;; [unrolled: 3-line block ×7, first 2 shown]
	v_fma_f64 v[35:36], v[33:34], v[35:36], s[0:1]
	v_cmp_ngt_f64_e64 s0, 0xc090cc00, v[15:16]
	s_mov_b32 s1, 0x3fe55555
	v_fma_f64 v[35:36], v[33:34], v[35:36], 1.0
	v_fma_f64 v[31:32], v[33:34], v[35:36], 1.0
	v_ldexp_f64 v[31:32], v[31:32], v49
	v_cndmask_b32_e32 v32, 0x7ff00000, v32, vcc_lo
	s_and_b32 vcc_lo, s0, vcc_lo
	v_cndmask_b32_e32 v15, 0, v31, vcc_lo
	v_cndmask_b32_e64 v16, 0, v32, s0
	s_mov_b32 s0, 0x55555555
	v_add_f64 v[31:32], v[15:16], 1.0
	v_frexp_mant_f64_e32 v[33:34], v[31:32]
	v_frexp_exp_i32_f64_e32 v49, v[31:32]
	v_add_f64 v[35:36], v[31:32], -1.0
	v_cmp_gt_f64_e32 vcc_lo, s[0:1], v[33:34]
	s_mov_b32 s0, 0x55555780
	v_add_f64 v[33:34], v[35:36], -v[31:32]
	v_add_f64 v[35:36], v[15:16], -v[35:36]
	v_subrev_co_ci_u32_e64 v65, null, 0, v49, vcc_lo
	v_add_f64 v[33:34], v[33:34], 1.0
	v_cmp_nge_f64_e32 vcc_lo, -1.0, v[15:16]
	v_sub_nc_u32_e32 v51, 0, v65
	v_ldexp_f64 v[31:32], v[31:32], v51
	v_add_f64 v[33:34], v[35:36], v[33:34]
	v_add_f64 v[49:50], v[31:32], 1.0
	v_add_f64 v[55:56], v[31:32], -1.0
	v_ldexp_f64 v[33:34], v[33:34], v51
	v_add_f64 v[35:36], v[49:50], -1.0
	v_add_f64 v[57:58], v[55:56], 1.0
	v_add_f64 v[35:36], v[31:32], -v[35:36]
	v_add_f64 v[31:32], v[31:32], -v[57:58]
	v_add_f64 v[35:36], v[33:34], v[35:36]
	v_add_f64 v[31:32], v[33:34], v[31:32]
	;; [unrolled: 1-line block ×4, first 2 shown]
	v_rcp_f64_e32 v[53:54], v[51:52]
	v_add_f64 v[49:50], v[51:52], -v[49:50]
	v_add_f64 v[55:56], v[57:58], -v[55:56]
	;; [unrolled: 1-line block ×3, first 2 shown]
	v_fma_f64 v[59:60], -v[51:52], v[53:54], 1.0
	v_add_f64 v[31:32], v[31:32], -v[55:56]
	v_fma_f64 v[53:54], v[59:60], v[53:54], v[53:54]
	v_fma_f64 v[33:34], -v[51:52], v[53:54], 1.0
	v_fma_f64 v[33:34], v[33:34], v[53:54], v[53:54]
	v_mul_f64 v[53:54], v[57:58], v[33:34]
	v_mul_f64 v[59:60], v[51:52], v[53:54]
	v_fma_f64 v[49:50], v[53:54], v[51:52], -v[59:60]
	v_fma_f64 v[49:50], v[53:54], v[35:36], v[49:50]
	v_add_f64 v[61:62], v[59:60], v[49:50]
	v_add_f64 v[63:64], v[57:58], -v[61:62]
	v_add_f64 v[55:56], v[61:62], -v[59:60]
	;; [unrolled: 1-line block ×5, first 2 shown]
	v_add_f64 v[31:32], v[31:32], v[57:58]
	v_add_f64 v[31:32], v[49:50], v[31:32]
	;; [unrolled: 1-line block ×3, first 2 shown]
	v_mul_f64 v[55:56], v[33:34], v[49:50]
	v_add_f64 v[61:62], v[63:64], -v[49:50]
	v_mul_f64 v[57:58], v[51:52], v[55:56]
	v_add_f64 v[31:32], v[31:32], v[61:62]
	v_fma_f64 v[51:52], v[55:56], v[51:52], -v[57:58]
	v_fma_f64 v[35:36], v[55:56], v[35:36], v[51:52]
	v_add_f64 v[51:52], v[57:58], v[35:36]
	v_add_f64 v[59:60], v[49:50], -v[51:52]
	v_add_f64 v[57:58], v[51:52], -v[57:58]
	;; [unrolled: 1-line block ×5, first 2 shown]
	v_add_f64 v[31:32], v[31:32], v[49:50]
	v_add_f64 v[49:50], v[53:54], v[55:56]
	;; [unrolled: 1-line block ×3, first 2 shown]
	v_add_f64 v[35:36], v[49:50], -v[53:54]
	v_add_f64 v[31:32], v[59:60], v[31:32]
	v_add_f64 v[35:36], v[55:56], -v[35:36]
	v_mul_f64 v[31:32], v[33:34], v[31:32]
	v_add_f64 v[31:32], v[35:36], v[31:32]
	v_add_f64 v[33:34], v[49:50], v[31:32]
	v_mul_f64 v[35:36], v[33:34], v[33:34]
	v_fma_f64 v[51:52], v[35:36], s[16:17], s[14:15]
	s_mov_b32 s14, 0xd7f4df2e
	s_mov_b32 s15, 0x3fc7474d
	v_mul_f64 v[53:54], v[33:34], v[35:36]
	v_fma_f64 v[51:52], v[35:36], v[51:52], s[14:15]
	s_mov_b32 s14, 0x16291751
	s_mov_b32 s15, 0x3fcc71c0
	v_fma_f64 v[51:52], v[35:36], v[51:52], s[14:15]
	s_mov_b32 s14, 0x9b27acf1
	s_mov_b32 s15, 0x3fd24924
	;; [unrolled: 3-line block ×3, first 2 shown]
	v_fma_f64 v[51:52], v[35:36], v[51:52], s[14:15]
	v_fma_f64 v[35:36], v[35:36], v[51:52], s[0:1]
	v_ldexp_f64 v[51:52], v[33:34], 1
	v_add_f64 v[33:34], v[33:34], -v[49:50]
	v_cmp_neq_f64_e64 s0, 0x7ff00000, v[15:16]
	v_cmp_ngt_f64_e64 s1, -1.0, v[15:16]
	v_mul_f64 v[35:36], v[53:54], v[35:36]
	v_cvt_f64_i32_e32 v[53:54], v65
	v_add_f64 v[31:32], v[31:32], -v[33:34]
	s_and_b32 vcc_lo, vcc_lo, s0
	v_add_f64 v[49:50], v[51:52], v[35:36]
	v_mul_f64 v[55:56], v[53:54], s[2:3]
	v_ldexp_f64 v[31:32], v[31:32], 1
	v_add_f64 v[33:34], v[49:50], -v[51:52]
	v_fma_f64 v[51:52], v[53:54], s[2:3], -v[55:56]
	v_add_f64 v[33:34], v[35:36], -v[33:34]
	v_fma_f64 v[35:36], v[53:54], s[4:5], v[51:52]
	v_add_f64 v[31:32], v[31:32], v[33:34]
	v_add_f64 v[33:34], v[55:56], v[35:36]
	;; [unrolled: 1-line block ×3, first 2 shown]
	v_add_f64 v[55:56], v[33:34], -v[55:56]
	v_add_f64 v[53:54], v[33:34], v[51:52]
	v_add_f64 v[49:50], v[51:52], -v[49:50]
	v_add_f64 v[35:36], v[35:36], -v[55:56]
	;; [unrolled: 1-line block ×6, first 2 shown]
	v_add_f64 v[51:52], v[35:36], v[31:32]
	v_add_f64 v[33:34], v[33:34], -v[59:60]
	v_add_f64 v[33:34], v[49:50], v[33:34]
	v_add_f64 v[49:50], v[51:52], -v[35:36]
	;; [unrolled: 2-line block ×3, first 2 shown]
	v_add_f64 v[31:32], v[31:32], -v[49:50]
	v_add_f64 v[55:56], v[53:54], v[33:34]
	v_add_f64 v[35:36], v[35:36], -v[51:52]
	v_add_f64 v[49:50], v[55:56], -v[53:54]
	v_add_f64 v[31:32], v[31:32], v[35:36]
	v_add_f64 v[33:34], v[33:34], -v[49:50]
	v_add_f64 v[31:32], v[31:32], v[33:34]
	v_add_f64 v[31:32], v[55:56], v[31:32]
	v_cndmask_b32_e32 v31, 0, v31, vcc_lo
	v_cmp_neq_f64_e32 vcc_lo, -1.0, v[15:16]
	v_cndmask_b32_e64 v32, 0x7ff00000, v32, s0
	v_cndmask_b32_e64 v32, 0x7ff80000, v32, s1
	v_cndmask_b32_e32 v32, 0xfff00000, v32, vcc_lo
	v_add_f64 v[15:16], v[29:30], v[31:32]
.LBB9_276:
	s_or_b32 exec_lo, exec_lo, s6
	v_max_f64 v[29:30], v[15:16], v[15:16]
	v_cmp_u_f64_e32 vcc_lo, v[15:16], v[15:16]
	v_min_f64 v[31:32], v[29:30], v[17:18]
	v_max_f64 v[17:18], v[29:30], v[17:18]
	v_cndmask_b32_e32 v29, v31, v15, vcc_lo
	v_cndmask_b32_e32 v30, v32, v16, vcc_lo
	;; [unrolled: 1-line block ×4, first 2 shown]
	v_cndmask_b32_e64 v31, v29, v45, s7
	v_cndmask_b32_e64 v32, v30, v46, s7
	;; [unrolled: 1-line block ×4, first 2 shown]
	v_mov_b32_e32 v18, v16
	v_mov_b32_e32 v17, v15
	v_cmp_class_f64_e64 s0, v[31:32], 0x1f8
	v_cmp_neq_f64_e32 vcc_lo, v[31:32], v[29:30]
	s_or_b32 s0, vcc_lo, s0
	s_and_saveexec_b32 s6, s0
	s_cbranch_execz .LBB9_278
; %bb.277:
	v_add_f64 v[17:18], v[31:32], -v[29:30]
	s_mov_b32 s0, 0x652b82fe
	s_mov_b32 s1, 0x3ff71547
	;; [unrolled: 1-line block ×10, first 2 shown]
	v_mul_f64 v[31:32], v[17:18], s[0:1]
	s_mov_b32 s0, 0xfca7ab0c
	s_mov_b32 s1, 0x3e928af3
	v_cmp_nlt_f64_e32 vcc_lo, 0x40900000, v[17:18]
	v_rndne_f64_e32 v[31:32], v[31:32]
	v_fma_f64 v[33:34], v[31:32], s[2:3], v[17:18]
	v_cvt_i32_f64_e32 v45, v[31:32]
	s_mov_b32 s3, 0x3fe62e42
	v_fma_f64 v[33:34], v[31:32], s[4:5], v[33:34]
	s_mov_b32 s5, 0x3c7abc9e
	s_waitcnt lgkmcnt(0)
	v_fma_f64 v[35:36], v[33:34], s[14:15], s[0:1]
	s_mov_b32 s0, 0x623fde64
	s_mov_b32 s1, 0x3ec71dee
	;; [unrolled: 1-line block ×4, first 2 shown]
	v_fma_f64 v[35:36], v[33:34], v[35:36], s[0:1]
	s_mov_b32 s0, 0x7c89e6b0
	s_mov_b32 s1, 0x3efa0199
	v_fma_f64 v[35:36], v[33:34], v[35:36], s[0:1]
	s_mov_b32 s0, 0x14761f6e
	s_mov_b32 s1, 0x3f2a01a0
	;; [unrolled: 3-line block ×7, first 2 shown]
	v_fma_f64 v[35:36], v[33:34], v[35:36], s[0:1]
	v_cmp_ngt_f64_e64 s0, 0xc090cc00, v[17:18]
	s_mov_b32 s1, 0x3fe55555
	v_fma_f64 v[35:36], v[33:34], v[35:36], 1.0
	v_fma_f64 v[31:32], v[33:34], v[35:36], 1.0
	v_ldexp_f64 v[31:32], v[31:32], v45
	v_cndmask_b32_e32 v32, 0x7ff00000, v32, vcc_lo
	s_and_b32 vcc_lo, s0, vcc_lo
	v_cndmask_b32_e32 v17, 0, v31, vcc_lo
	v_cndmask_b32_e64 v18, 0, v32, s0
	s_mov_b32 s0, 0x55555555
	v_add_f64 v[31:32], v[17:18], 1.0
	v_frexp_mant_f64_e32 v[33:34], v[31:32]
	v_frexp_exp_i32_f64_e32 v45, v[31:32]
	v_add_f64 v[35:36], v[31:32], -1.0
	v_cmp_gt_f64_e32 vcc_lo, s[0:1], v[33:34]
	s_mov_b32 s0, 0x55555780
	v_add_f64 v[33:34], v[35:36], -v[31:32]
	v_add_f64 v[35:36], v[17:18], -v[35:36]
	v_subrev_co_ci_u32_e64 v63, null, 0, v45, vcc_lo
	v_add_f64 v[33:34], v[33:34], 1.0
	v_cmp_nge_f64_e32 vcc_lo, -1.0, v[17:18]
	v_sub_nc_u32_e32 v49, 0, v63
	v_ldexp_f64 v[31:32], v[31:32], v49
	v_add_f64 v[33:34], v[35:36], v[33:34]
	v_add_f64 v[45:46], v[31:32], 1.0
	v_add_f64 v[53:54], v[31:32], -1.0
	v_ldexp_f64 v[33:34], v[33:34], v49
	v_add_f64 v[35:36], v[45:46], -1.0
	v_add_f64 v[55:56], v[53:54], 1.0
	v_add_f64 v[35:36], v[31:32], -v[35:36]
	v_add_f64 v[31:32], v[31:32], -v[55:56]
	v_add_f64 v[35:36], v[33:34], v[35:36]
	v_add_f64 v[31:32], v[33:34], v[31:32]
	;; [unrolled: 1-line block ×4, first 2 shown]
	v_rcp_f64_e32 v[51:52], v[49:50]
	v_add_f64 v[45:46], v[49:50], -v[45:46]
	v_add_f64 v[53:54], v[55:56], -v[53:54]
	;; [unrolled: 1-line block ×3, first 2 shown]
	v_fma_f64 v[57:58], -v[49:50], v[51:52], 1.0
	v_add_f64 v[31:32], v[31:32], -v[53:54]
	v_fma_f64 v[51:52], v[57:58], v[51:52], v[51:52]
	v_fma_f64 v[33:34], -v[49:50], v[51:52], 1.0
	v_fma_f64 v[33:34], v[33:34], v[51:52], v[51:52]
	v_mul_f64 v[51:52], v[55:56], v[33:34]
	v_mul_f64 v[57:58], v[49:50], v[51:52]
	v_fma_f64 v[45:46], v[51:52], v[49:50], -v[57:58]
	v_fma_f64 v[45:46], v[51:52], v[35:36], v[45:46]
	v_add_f64 v[59:60], v[57:58], v[45:46]
	v_add_f64 v[61:62], v[55:56], -v[59:60]
	v_add_f64 v[53:54], v[59:60], -v[57:58]
	;; [unrolled: 1-line block ×5, first 2 shown]
	v_add_f64 v[31:32], v[31:32], v[55:56]
	v_add_f64 v[31:32], v[45:46], v[31:32]
	;; [unrolled: 1-line block ×3, first 2 shown]
	v_mul_f64 v[53:54], v[33:34], v[45:46]
	v_add_f64 v[59:60], v[61:62], -v[45:46]
	v_mul_f64 v[55:56], v[49:50], v[53:54]
	v_add_f64 v[31:32], v[31:32], v[59:60]
	v_fma_f64 v[49:50], v[53:54], v[49:50], -v[55:56]
	v_fma_f64 v[35:36], v[53:54], v[35:36], v[49:50]
	v_add_f64 v[49:50], v[55:56], v[35:36]
	v_add_f64 v[57:58], v[45:46], -v[49:50]
	v_add_f64 v[55:56], v[49:50], -v[55:56]
	;; [unrolled: 1-line block ×5, first 2 shown]
	v_add_f64 v[31:32], v[31:32], v[45:46]
	v_add_f64 v[45:46], v[51:52], v[53:54]
	;; [unrolled: 1-line block ×3, first 2 shown]
	v_add_f64 v[35:36], v[45:46], -v[51:52]
	v_add_f64 v[31:32], v[57:58], v[31:32]
	v_add_f64 v[35:36], v[53:54], -v[35:36]
	v_mul_f64 v[31:32], v[33:34], v[31:32]
	v_add_f64 v[31:32], v[35:36], v[31:32]
	v_add_f64 v[33:34], v[45:46], v[31:32]
	v_mul_f64 v[35:36], v[33:34], v[33:34]
	v_fma_f64 v[49:50], v[35:36], s[16:17], s[14:15]
	s_mov_b32 s14, 0xd7f4df2e
	s_mov_b32 s15, 0x3fc7474d
	v_mul_f64 v[51:52], v[33:34], v[35:36]
	v_fma_f64 v[49:50], v[35:36], v[49:50], s[14:15]
	s_mov_b32 s14, 0x16291751
	s_mov_b32 s15, 0x3fcc71c0
	v_fma_f64 v[49:50], v[35:36], v[49:50], s[14:15]
	s_mov_b32 s14, 0x9b27acf1
	s_mov_b32 s15, 0x3fd24924
	;; [unrolled: 3-line block ×3, first 2 shown]
	v_fma_f64 v[49:50], v[35:36], v[49:50], s[14:15]
	v_fma_f64 v[35:36], v[35:36], v[49:50], s[0:1]
	v_ldexp_f64 v[49:50], v[33:34], 1
	v_add_f64 v[33:34], v[33:34], -v[45:46]
	v_cmp_neq_f64_e64 s0, 0x7ff00000, v[17:18]
	v_cmp_ngt_f64_e64 s1, -1.0, v[17:18]
	v_mul_f64 v[35:36], v[51:52], v[35:36]
	v_cvt_f64_i32_e32 v[51:52], v63
	v_add_f64 v[31:32], v[31:32], -v[33:34]
	s_and_b32 vcc_lo, vcc_lo, s0
	v_add_f64 v[45:46], v[49:50], v[35:36]
	v_mul_f64 v[53:54], v[51:52], s[2:3]
	v_ldexp_f64 v[31:32], v[31:32], 1
	v_add_f64 v[33:34], v[45:46], -v[49:50]
	v_fma_f64 v[49:50], v[51:52], s[2:3], -v[53:54]
	v_add_f64 v[33:34], v[35:36], -v[33:34]
	v_fma_f64 v[35:36], v[51:52], s[4:5], v[49:50]
	v_add_f64 v[31:32], v[31:32], v[33:34]
	v_add_f64 v[33:34], v[53:54], v[35:36]
	;; [unrolled: 1-line block ×3, first 2 shown]
	v_add_f64 v[53:54], v[33:34], -v[53:54]
	v_add_f64 v[51:52], v[33:34], v[49:50]
	v_add_f64 v[45:46], v[49:50], -v[45:46]
	v_add_f64 v[35:36], v[35:36], -v[53:54]
	;; [unrolled: 1-line block ×6, first 2 shown]
	v_add_f64 v[49:50], v[35:36], v[31:32]
	v_add_f64 v[33:34], v[33:34], -v[57:58]
	v_add_f64 v[33:34], v[45:46], v[33:34]
	v_add_f64 v[45:46], v[49:50], -v[35:36]
	;; [unrolled: 2-line block ×3, first 2 shown]
	v_add_f64 v[31:32], v[31:32], -v[45:46]
	v_add_f64 v[53:54], v[51:52], v[33:34]
	v_add_f64 v[35:36], v[35:36], -v[49:50]
	v_add_f64 v[45:46], v[53:54], -v[51:52]
	v_add_f64 v[31:32], v[31:32], v[35:36]
	v_add_f64 v[33:34], v[33:34], -v[45:46]
	v_add_f64 v[31:32], v[31:32], v[33:34]
	v_add_f64 v[31:32], v[53:54], v[31:32]
	v_cndmask_b32_e32 v31, 0, v31, vcc_lo
	v_cmp_neq_f64_e32 vcc_lo, -1.0, v[17:18]
	v_cndmask_b32_e64 v32, 0x7ff00000, v32, s0
	v_cndmask_b32_e64 v32, 0x7ff80000, v32, s1
	v_cndmask_b32_e32 v32, 0xfff00000, v32, vcc_lo
	v_add_f64 v[17:18], v[29:30], v[31:32]
.LBB9_278:
	s_or_b32 exec_lo, exec_lo, s6
	v_max_f64 v[29:30], v[17:18], v[17:18]
	v_cmp_u_f64_e32 vcc_lo, v[17:18], v[17:18]
	v_min_f64 v[31:32], v[29:30], v[19:20]
	v_max_f64 v[19:20], v[29:30], v[19:20]
	v_cndmask_b32_e32 v29, v31, v17, vcc_lo
	v_cndmask_b32_e32 v30, v32, v18, vcc_lo
	;; [unrolled: 1-line block ×4, first 2 shown]
	v_cndmask_b32_e64 v31, v29, v47, s8
	v_cndmask_b32_e64 v32, v30, v48, s8
	;; [unrolled: 1-line block ×4, first 2 shown]
	v_mov_b32_e32 v20, v18
	v_mov_b32_e32 v19, v17
	v_cmp_class_f64_e64 s0, v[31:32], 0x1f8
	v_cmp_neq_f64_e32 vcc_lo, v[31:32], v[29:30]
	s_or_b32 s0, vcc_lo, s0
	s_and_saveexec_b32 s6, s0
	s_cbranch_execz .LBB9_280
; %bb.279:
	v_add_f64 v[19:20], v[31:32], -v[29:30]
	s_mov_b32 s0, 0x652b82fe
	s_mov_b32 s1, 0x3ff71547
	;; [unrolled: 1-line block ×10, first 2 shown]
	v_mul_f64 v[31:32], v[19:20], s[0:1]
	s_mov_b32 s0, 0xfca7ab0c
	s_mov_b32 s1, 0x3e928af3
	v_cmp_nlt_f64_e32 vcc_lo, 0x40900000, v[19:20]
	v_rndne_f64_e32 v[31:32], v[31:32]
	v_fma_f64 v[33:34], v[31:32], s[2:3], v[19:20]
	v_cvt_i32_f64_e32 v45, v[31:32]
	s_mov_b32 s3, 0x3fe62e42
	v_fma_f64 v[33:34], v[31:32], s[4:5], v[33:34]
	s_mov_b32 s5, 0x3c7abc9e
	s_waitcnt lgkmcnt(0)
	v_fma_f64 v[35:36], v[33:34], s[14:15], s[0:1]
	s_mov_b32 s0, 0x623fde64
	s_mov_b32 s1, 0x3ec71dee
	;; [unrolled: 1-line block ×4, first 2 shown]
	v_fma_f64 v[35:36], v[33:34], v[35:36], s[0:1]
	s_mov_b32 s0, 0x7c89e6b0
	s_mov_b32 s1, 0x3efa0199
	v_fma_f64 v[35:36], v[33:34], v[35:36], s[0:1]
	s_mov_b32 s0, 0x14761f6e
	s_mov_b32 s1, 0x3f2a01a0
	;; [unrolled: 3-line block ×7, first 2 shown]
	v_fma_f64 v[35:36], v[33:34], v[35:36], s[0:1]
	v_cmp_ngt_f64_e64 s0, 0xc090cc00, v[19:20]
	s_mov_b32 s1, 0x3fe55555
	v_fma_f64 v[35:36], v[33:34], v[35:36], 1.0
	v_fma_f64 v[31:32], v[33:34], v[35:36], 1.0
	v_ldexp_f64 v[31:32], v[31:32], v45
	v_cndmask_b32_e32 v32, 0x7ff00000, v32, vcc_lo
	s_and_b32 vcc_lo, s0, vcc_lo
	v_cndmask_b32_e32 v19, 0, v31, vcc_lo
	v_cndmask_b32_e64 v20, 0, v32, s0
	s_mov_b32 s0, 0x55555555
	v_add_f64 v[31:32], v[19:20], 1.0
	v_frexp_mant_f64_e32 v[33:34], v[31:32]
	v_frexp_exp_i32_f64_e32 v45, v[31:32]
	v_add_f64 v[35:36], v[31:32], -1.0
	v_cmp_gt_f64_e32 vcc_lo, s[0:1], v[33:34]
	s_mov_b32 s0, 0x55555780
	v_add_f64 v[33:34], v[35:36], -v[31:32]
	v_add_f64 v[35:36], v[19:20], -v[35:36]
	v_subrev_co_ci_u32_e64 v61, null, 0, v45, vcc_lo
	v_add_f64 v[33:34], v[33:34], 1.0
	v_cmp_nge_f64_e32 vcc_lo, -1.0, v[19:20]
	v_sub_nc_u32_e32 v47, 0, v61
	v_ldexp_f64 v[31:32], v[31:32], v47
	v_add_f64 v[33:34], v[35:36], v[33:34]
	v_add_f64 v[45:46], v[31:32], 1.0
	v_add_f64 v[51:52], v[31:32], -1.0
	v_ldexp_f64 v[33:34], v[33:34], v47
	v_add_f64 v[35:36], v[45:46], -1.0
	v_add_f64 v[53:54], v[51:52], 1.0
	v_add_f64 v[35:36], v[31:32], -v[35:36]
	v_add_f64 v[31:32], v[31:32], -v[53:54]
	v_add_f64 v[35:36], v[33:34], v[35:36]
	v_add_f64 v[31:32], v[33:34], v[31:32]
	;; [unrolled: 1-line block ×4, first 2 shown]
	v_rcp_f64_e32 v[49:50], v[47:48]
	v_add_f64 v[45:46], v[47:48], -v[45:46]
	v_add_f64 v[51:52], v[53:54], -v[51:52]
	;; [unrolled: 1-line block ×3, first 2 shown]
	v_fma_f64 v[55:56], -v[47:48], v[49:50], 1.0
	v_add_f64 v[31:32], v[31:32], -v[51:52]
	v_fma_f64 v[49:50], v[55:56], v[49:50], v[49:50]
	v_fma_f64 v[33:34], -v[47:48], v[49:50], 1.0
	v_fma_f64 v[33:34], v[33:34], v[49:50], v[49:50]
	v_mul_f64 v[49:50], v[53:54], v[33:34]
	v_mul_f64 v[55:56], v[47:48], v[49:50]
	v_fma_f64 v[45:46], v[49:50], v[47:48], -v[55:56]
	v_fma_f64 v[45:46], v[49:50], v[35:36], v[45:46]
	v_add_f64 v[57:58], v[55:56], v[45:46]
	v_add_f64 v[59:60], v[53:54], -v[57:58]
	v_add_f64 v[51:52], v[57:58], -v[55:56]
	v_add_f64 v[53:54], v[53:54], -v[59:60]
	v_add_f64 v[45:46], v[51:52], -v[45:46]
	v_add_f64 v[53:54], v[53:54], -v[57:58]
	v_add_f64 v[31:32], v[31:32], v[53:54]
	v_add_f64 v[31:32], v[45:46], v[31:32]
	;; [unrolled: 1-line block ×3, first 2 shown]
	v_mul_f64 v[51:52], v[33:34], v[45:46]
	v_add_f64 v[57:58], v[59:60], -v[45:46]
	v_mul_f64 v[53:54], v[47:48], v[51:52]
	v_add_f64 v[31:32], v[31:32], v[57:58]
	v_fma_f64 v[47:48], v[51:52], v[47:48], -v[53:54]
	v_fma_f64 v[35:36], v[51:52], v[35:36], v[47:48]
	v_add_f64 v[47:48], v[53:54], v[35:36]
	v_add_f64 v[55:56], v[45:46], -v[47:48]
	v_add_f64 v[53:54], v[47:48], -v[53:54]
	;; [unrolled: 1-line block ×5, first 2 shown]
	v_add_f64 v[31:32], v[31:32], v[45:46]
	v_add_f64 v[45:46], v[49:50], v[51:52]
	;; [unrolled: 1-line block ×3, first 2 shown]
	v_add_f64 v[35:36], v[45:46], -v[49:50]
	v_add_f64 v[31:32], v[55:56], v[31:32]
	v_add_f64 v[35:36], v[51:52], -v[35:36]
	v_mul_f64 v[31:32], v[33:34], v[31:32]
	v_add_f64 v[31:32], v[35:36], v[31:32]
	v_add_f64 v[33:34], v[45:46], v[31:32]
	v_mul_f64 v[35:36], v[33:34], v[33:34]
	v_fma_f64 v[47:48], v[35:36], s[16:17], s[14:15]
	s_mov_b32 s14, 0xd7f4df2e
	s_mov_b32 s15, 0x3fc7474d
	v_mul_f64 v[49:50], v[33:34], v[35:36]
	v_fma_f64 v[47:48], v[35:36], v[47:48], s[14:15]
	s_mov_b32 s14, 0x16291751
	s_mov_b32 s15, 0x3fcc71c0
	v_fma_f64 v[47:48], v[35:36], v[47:48], s[14:15]
	s_mov_b32 s14, 0x9b27acf1
	s_mov_b32 s15, 0x3fd24924
	;; [unrolled: 3-line block ×3, first 2 shown]
	v_fma_f64 v[47:48], v[35:36], v[47:48], s[14:15]
	v_fma_f64 v[35:36], v[35:36], v[47:48], s[0:1]
	v_ldexp_f64 v[47:48], v[33:34], 1
	v_add_f64 v[33:34], v[33:34], -v[45:46]
	v_cmp_neq_f64_e64 s0, 0x7ff00000, v[19:20]
	v_cmp_ngt_f64_e64 s1, -1.0, v[19:20]
	v_mul_f64 v[35:36], v[49:50], v[35:36]
	v_cvt_f64_i32_e32 v[49:50], v61
	v_add_f64 v[31:32], v[31:32], -v[33:34]
	s_and_b32 vcc_lo, vcc_lo, s0
	v_add_f64 v[45:46], v[47:48], v[35:36]
	v_mul_f64 v[51:52], v[49:50], s[2:3]
	v_ldexp_f64 v[31:32], v[31:32], 1
	v_add_f64 v[33:34], v[45:46], -v[47:48]
	v_fma_f64 v[47:48], v[49:50], s[2:3], -v[51:52]
	v_add_f64 v[33:34], v[35:36], -v[33:34]
	v_fma_f64 v[35:36], v[49:50], s[4:5], v[47:48]
	v_add_f64 v[31:32], v[31:32], v[33:34]
	v_add_f64 v[33:34], v[51:52], v[35:36]
	;; [unrolled: 1-line block ×3, first 2 shown]
	v_add_f64 v[51:52], v[33:34], -v[51:52]
	v_add_f64 v[49:50], v[33:34], v[47:48]
	v_add_f64 v[45:46], v[47:48], -v[45:46]
	v_add_f64 v[35:36], v[35:36], -v[51:52]
	;; [unrolled: 1-line block ×6, first 2 shown]
	v_add_f64 v[47:48], v[35:36], v[31:32]
	v_add_f64 v[33:34], v[33:34], -v[55:56]
	v_add_f64 v[33:34], v[45:46], v[33:34]
	v_add_f64 v[45:46], v[47:48], -v[35:36]
	;; [unrolled: 2-line block ×3, first 2 shown]
	v_add_f64 v[31:32], v[31:32], -v[45:46]
	v_add_f64 v[51:52], v[49:50], v[33:34]
	v_add_f64 v[35:36], v[35:36], -v[47:48]
	v_add_f64 v[45:46], v[51:52], -v[49:50]
	v_add_f64 v[31:32], v[31:32], v[35:36]
	v_add_f64 v[33:34], v[33:34], -v[45:46]
	v_add_f64 v[31:32], v[31:32], v[33:34]
	v_add_f64 v[31:32], v[51:52], v[31:32]
	v_cndmask_b32_e32 v31, 0, v31, vcc_lo
	v_cmp_neq_f64_e32 vcc_lo, -1.0, v[19:20]
	v_cndmask_b32_e64 v32, 0x7ff00000, v32, s0
	v_cndmask_b32_e64 v32, 0x7ff80000, v32, s1
	v_cndmask_b32_e32 v32, 0xfff00000, v32, vcc_lo
	v_add_f64 v[19:20], v[29:30], v[31:32]
.LBB9_280:
	s_or_b32 exec_lo, exec_lo, s6
	v_max_f64 v[29:30], v[19:20], v[19:20]
	v_cmp_u_f64_e32 vcc_lo, v[19:20], v[19:20]
	v_min_f64 v[31:32], v[29:30], v[21:22]
	v_max_f64 v[21:22], v[29:30], v[21:22]
	v_cndmask_b32_e32 v29, v31, v19, vcc_lo
	v_cndmask_b32_e32 v30, v32, v20, vcc_lo
	;; [unrolled: 1-line block ×4, first 2 shown]
	v_cndmask_b32_e64 v31, v29, v41, s9
	v_cndmask_b32_e64 v32, v30, v42, s9
	v_cndmask_b32_e64 v30, v22, v42, s9
	v_cndmask_b32_e64 v29, v21, v41, s9
	v_mov_b32_e32 v22, v20
	v_mov_b32_e32 v21, v19
	v_cmp_class_f64_e64 s0, v[31:32], 0x1f8
	v_cmp_neq_f64_e32 vcc_lo, v[31:32], v[29:30]
	s_or_b32 s0, vcc_lo, s0
	s_and_saveexec_b32 s6, s0
	s_cbranch_execz .LBB9_282
; %bb.281:
	v_add_f64 v[21:22], v[31:32], -v[29:30]
	s_mov_b32 s0, 0x652b82fe
	s_mov_b32 s1, 0x3ff71547
	;; [unrolled: 1-line block ×10, first 2 shown]
	v_mul_f64 v[31:32], v[21:22], s[0:1]
	s_mov_b32 s0, 0xfca7ab0c
	s_mov_b32 s1, 0x3e928af3
	v_cmp_nlt_f64_e32 vcc_lo, 0x40900000, v[21:22]
	v_rndne_f64_e32 v[31:32], v[31:32]
	v_fma_f64 v[33:34], v[31:32], s[2:3], v[21:22]
	v_cvt_i32_f64_e32 v41, v[31:32]
	s_mov_b32 s3, 0x3fe62e42
	v_fma_f64 v[33:34], v[31:32], s[4:5], v[33:34]
	s_mov_b32 s5, 0x3c7abc9e
	s_waitcnt lgkmcnt(0)
	v_fma_f64 v[35:36], v[33:34], s[8:9], s[0:1]
	s_mov_b32 s0, 0x623fde64
	s_mov_b32 s1, 0x3ec71dee
	;; [unrolled: 1-line block ×4, first 2 shown]
	v_fma_f64 v[35:36], v[33:34], v[35:36], s[0:1]
	s_mov_b32 s0, 0x7c89e6b0
	s_mov_b32 s1, 0x3efa0199
	v_fma_f64 v[35:36], v[33:34], v[35:36], s[0:1]
	s_mov_b32 s0, 0x14761f6e
	s_mov_b32 s1, 0x3f2a01a0
	;; [unrolled: 3-line block ×7, first 2 shown]
	v_fma_f64 v[35:36], v[33:34], v[35:36], s[0:1]
	v_cmp_ngt_f64_e64 s0, 0xc090cc00, v[21:22]
	s_mov_b32 s1, 0x3fe55555
	v_fma_f64 v[35:36], v[33:34], v[35:36], 1.0
	v_fma_f64 v[31:32], v[33:34], v[35:36], 1.0
	v_ldexp_f64 v[31:32], v[31:32], v41
	v_cndmask_b32_e32 v32, 0x7ff00000, v32, vcc_lo
	s_and_b32 vcc_lo, s0, vcc_lo
	v_cndmask_b32_e32 v21, 0, v31, vcc_lo
	v_cndmask_b32_e64 v22, 0, v32, s0
	s_mov_b32 s0, 0x55555555
	v_add_f64 v[31:32], v[21:22], 1.0
	v_frexp_mant_f64_e32 v[33:34], v[31:32]
	v_frexp_exp_i32_f64_e32 v41, v[31:32]
	v_add_f64 v[35:36], v[31:32], -1.0
	v_cmp_gt_f64_e32 vcc_lo, s[0:1], v[33:34]
	s_mov_b32 s0, 0x55555780
	v_add_f64 v[33:34], v[35:36], -v[31:32]
	v_add_f64 v[35:36], v[21:22], -v[35:36]
	v_subrev_co_ci_u32_e64 v59, null, 0, v41, vcc_lo
	v_add_f64 v[33:34], v[33:34], 1.0
	v_cmp_nge_f64_e32 vcc_lo, -1.0, v[21:22]
	v_sub_nc_u32_e32 v45, 0, v59
	v_ldexp_f64 v[31:32], v[31:32], v45
	v_add_f64 v[33:34], v[35:36], v[33:34]
	v_add_f64 v[41:42], v[31:32], 1.0
	v_add_f64 v[49:50], v[31:32], -1.0
	v_ldexp_f64 v[33:34], v[33:34], v45
	v_add_f64 v[35:36], v[41:42], -1.0
	v_add_f64 v[51:52], v[49:50], 1.0
	v_add_f64 v[35:36], v[31:32], -v[35:36]
	v_add_f64 v[31:32], v[31:32], -v[51:52]
	v_add_f64 v[35:36], v[33:34], v[35:36]
	v_add_f64 v[31:32], v[33:34], v[31:32]
	;; [unrolled: 1-line block ×4, first 2 shown]
	v_rcp_f64_e32 v[47:48], v[45:46]
	v_add_f64 v[41:42], v[45:46], -v[41:42]
	v_add_f64 v[49:50], v[51:52], -v[49:50]
	;; [unrolled: 1-line block ×3, first 2 shown]
	v_fma_f64 v[53:54], -v[45:46], v[47:48], 1.0
	v_add_f64 v[31:32], v[31:32], -v[49:50]
	v_fma_f64 v[47:48], v[53:54], v[47:48], v[47:48]
	v_fma_f64 v[33:34], -v[45:46], v[47:48], 1.0
	v_fma_f64 v[33:34], v[33:34], v[47:48], v[47:48]
	v_mul_f64 v[47:48], v[51:52], v[33:34]
	v_mul_f64 v[53:54], v[45:46], v[47:48]
	v_fma_f64 v[41:42], v[47:48], v[45:46], -v[53:54]
	v_fma_f64 v[41:42], v[47:48], v[35:36], v[41:42]
	v_add_f64 v[55:56], v[53:54], v[41:42]
	v_add_f64 v[57:58], v[51:52], -v[55:56]
	v_add_f64 v[49:50], v[55:56], -v[53:54]
	;; [unrolled: 1-line block ×5, first 2 shown]
	v_add_f64 v[31:32], v[31:32], v[51:52]
	v_add_f64 v[31:32], v[41:42], v[31:32]
	;; [unrolled: 1-line block ×3, first 2 shown]
	v_mul_f64 v[49:50], v[33:34], v[41:42]
	v_add_f64 v[55:56], v[57:58], -v[41:42]
	v_mul_f64 v[51:52], v[45:46], v[49:50]
	v_add_f64 v[31:32], v[31:32], v[55:56]
	v_fma_f64 v[45:46], v[49:50], v[45:46], -v[51:52]
	v_fma_f64 v[35:36], v[49:50], v[35:36], v[45:46]
	v_add_f64 v[45:46], v[51:52], v[35:36]
	v_add_f64 v[53:54], v[41:42], -v[45:46]
	v_add_f64 v[51:52], v[45:46], -v[51:52]
	;; [unrolled: 1-line block ×5, first 2 shown]
	v_add_f64 v[31:32], v[31:32], v[41:42]
	v_add_f64 v[41:42], v[47:48], v[49:50]
	;; [unrolled: 1-line block ×3, first 2 shown]
	v_add_f64 v[35:36], v[41:42], -v[47:48]
	v_add_f64 v[31:32], v[53:54], v[31:32]
	v_add_f64 v[35:36], v[49:50], -v[35:36]
	v_mul_f64 v[31:32], v[33:34], v[31:32]
	v_add_f64 v[31:32], v[35:36], v[31:32]
	v_add_f64 v[33:34], v[41:42], v[31:32]
	v_mul_f64 v[35:36], v[33:34], v[33:34]
	v_fma_f64 v[45:46], v[35:36], s[14:15], s[8:9]
	s_mov_b32 s8, 0xd7f4df2e
	s_mov_b32 s9, 0x3fc7474d
	v_mul_f64 v[47:48], v[33:34], v[35:36]
	v_fma_f64 v[45:46], v[35:36], v[45:46], s[8:9]
	s_mov_b32 s8, 0x16291751
	s_mov_b32 s9, 0x3fcc71c0
	v_fma_f64 v[45:46], v[35:36], v[45:46], s[8:9]
	s_mov_b32 s8, 0x9b27acf1
	s_mov_b32 s9, 0x3fd24924
	;; [unrolled: 3-line block ×3, first 2 shown]
	v_fma_f64 v[45:46], v[35:36], v[45:46], s[8:9]
	v_fma_f64 v[35:36], v[35:36], v[45:46], s[0:1]
	v_ldexp_f64 v[45:46], v[33:34], 1
	v_add_f64 v[33:34], v[33:34], -v[41:42]
	v_cmp_neq_f64_e64 s0, 0x7ff00000, v[21:22]
	v_cmp_ngt_f64_e64 s1, -1.0, v[21:22]
	v_mul_f64 v[35:36], v[47:48], v[35:36]
	v_cvt_f64_i32_e32 v[47:48], v59
	v_add_f64 v[31:32], v[31:32], -v[33:34]
	s_and_b32 vcc_lo, vcc_lo, s0
	v_add_f64 v[41:42], v[45:46], v[35:36]
	v_mul_f64 v[49:50], v[47:48], s[2:3]
	v_ldexp_f64 v[31:32], v[31:32], 1
	v_add_f64 v[33:34], v[41:42], -v[45:46]
	v_fma_f64 v[45:46], v[47:48], s[2:3], -v[49:50]
	v_add_f64 v[33:34], v[35:36], -v[33:34]
	v_fma_f64 v[35:36], v[47:48], s[4:5], v[45:46]
	v_add_f64 v[31:32], v[31:32], v[33:34]
	v_add_f64 v[33:34], v[49:50], v[35:36]
	;; [unrolled: 1-line block ×3, first 2 shown]
	v_add_f64 v[49:50], v[33:34], -v[49:50]
	v_add_f64 v[47:48], v[33:34], v[45:46]
	v_add_f64 v[41:42], v[45:46], -v[41:42]
	v_add_f64 v[35:36], v[35:36], -v[49:50]
	;; [unrolled: 1-line block ×6, first 2 shown]
	v_add_f64 v[45:46], v[35:36], v[31:32]
	v_add_f64 v[33:34], v[33:34], -v[53:54]
	v_add_f64 v[33:34], v[41:42], v[33:34]
	v_add_f64 v[41:42], v[45:46], -v[35:36]
	;; [unrolled: 2-line block ×3, first 2 shown]
	v_add_f64 v[31:32], v[31:32], -v[41:42]
	v_add_f64 v[49:50], v[47:48], v[33:34]
	v_add_f64 v[35:36], v[35:36], -v[45:46]
	v_add_f64 v[41:42], v[49:50], -v[47:48]
	v_add_f64 v[31:32], v[31:32], v[35:36]
	v_add_f64 v[33:34], v[33:34], -v[41:42]
	v_add_f64 v[31:32], v[31:32], v[33:34]
	v_add_f64 v[31:32], v[49:50], v[31:32]
	v_cndmask_b32_e32 v31, 0, v31, vcc_lo
	v_cmp_neq_f64_e32 vcc_lo, -1.0, v[21:22]
	v_cndmask_b32_e64 v32, 0x7ff00000, v32, s0
	v_cndmask_b32_e64 v32, 0x7ff80000, v32, s1
	v_cndmask_b32_e32 v32, 0xfff00000, v32, vcc_lo
	v_add_f64 v[21:22], v[29:30], v[31:32]
.LBB9_282:
	s_or_b32 exec_lo, exec_lo, s6
	v_max_f64 v[29:30], v[21:22], v[21:22]
	v_cmp_u_f64_e32 vcc_lo, v[21:22], v[21:22]
	v_min_f64 v[31:32], v[29:30], v[23:24]
	v_max_f64 v[23:24], v[29:30], v[23:24]
	v_cndmask_b32_e32 v29, v31, v21, vcc_lo
	v_cndmask_b32_e32 v30, v32, v22, vcc_lo
	;; [unrolled: 1-line block ×4, first 2 shown]
	v_cndmask_b32_e64 v31, v29, v43, s10
	v_cndmask_b32_e64 v32, v30, v44, s10
	;; [unrolled: 1-line block ×4, first 2 shown]
	v_mov_b32_e32 v24, v22
	v_mov_b32_e32 v23, v21
	v_cmp_class_f64_e64 s0, v[31:32], 0x1f8
	v_cmp_neq_f64_e32 vcc_lo, v[31:32], v[29:30]
	s_or_b32 s0, vcc_lo, s0
	s_and_saveexec_b32 s6, s0
	s_cbranch_execz .LBB9_284
; %bb.283:
	v_add_f64 v[23:24], v[31:32], -v[29:30]
	s_mov_b32 s0, 0x652b82fe
	s_mov_b32 s1, 0x3ff71547
	;; [unrolled: 1-line block ×10, first 2 shown]
	v_mul_f64 v[31:32], v[23:24], s[0:1]
	s_mov_b32 s0, 0xfca7ab0c
	s_mov_b32 s1, 0x3e928af3
	v_cmp_nlt_f64_e32 vcc_lo, 0x40900000, v[23:24]
	v_rndne_f64_e32 v[31:32], v[31:32]
	v_fma_f64 v[33:34], v[31:32], s[2:3], v[23:24]
	v_cvt_i32_f64_e32 v41, v[31:32]
	s_mov_b32 s3, 0x3fe62e42
	v_fma_f64 v[33:34], v[31:32], s[4:5], v[33:34]
	s_mov_b32 s5, 0x3c7abc9e
	s_waitcnt lgkmcnt(0)
	v_fma_f64 v[35:36], v[33:34], s[8:9], s[0:1]
	s_mov_b32 s0, 0x623fde64
	s_mov_b32 s1, 0x3ec71dee
	;; [unrolled: 1-line block ×4, first 2 shown]
	v_fma_f64 v[35:36], v[33:34], v[35:36], s[0:1]
	s_mov_b32 s0, 0x7c89e6b0
	s_mov_b32 s1, 0x3efa0199
	v_fma_f64 v[35:36], v[33:34], v[35:36], s[0:1]
	s_mov_b32 s0, 0x14761f6e
	s_mov_b32 s1, 0x3f2a01a0
	v_fma_f64 v[35:36], v[33:34], v[35:36], s[0:1]
	s_mov_b32 s0, 0x1852b7b0
	s_mov_b32 s1, 0x3f56c16c
	v_fma_f64 v[35:36], v[33:34], v[35:36], s[0:1]
	s_mov_b32 s0, 0x11122322
	s_mov_b32 s1, 0x3f811111
	v_fma_f64 v[35:36], v[33:34], v[35:36], s[0:1]
	s_mov_b32 s0, 0x555502a1
	s_mov_b32 s1, 0x3fa55555
	v_fma_f64 v[35:36], v[33:34], v[35:36], s[0:1]
	s_mov_b32 s0, 0x55555511
	s_mov_b32 s1, 0x3fc55555
	v_fma_f64 v[35:36], v[33:34], v[35:36], s[0:1]
	s_mov_b32 s0, 11
	s_mov_b32 s1, 0x3fe00000
	v_fma_f64 v[35:36], v[33:34], v[35:36], s[0:1]
	v_cmp_ngt_f64_e64 s0, 0xc090cc00, v[23:24]
	s_mov_b32 s1, 0x3fe55555
	v_fma_f64 v[35:36], v[33:34], v[35:36], 1.0
	v_fma_f64 v[31:32], v[33:34], v[35:36], 1.0
	v_ldexp_f64 v[31:32], v[31:32], v41
	v_cndmask_b32_e32 v32, 0x7ff00000, v32, vcc_lo
	s_and_b32 vcc_lo, s0, vcc_lo
	v_cndmask_b32_e32 v23, 0, v31, vcc_lo
	v_cndmask_b32_e64 v24, 0, v32, s0
	s_mov_b32 s0, 0x55555555
	v_add_f64 v[31:32], v[23:24], 1.0
	v_frexp_mant_f64_e32 v[33:34], v[31:32]
	v_frexp_exp_i32_f64_e32 v41, v[31:32]
	v_add_f64 v[35:36], v[31:32], -1.0
	v_cmp_gt_f64_e32 vcc_lo, s[0:1], v[33:34]
	s_mov_b32 s0, 0x55555780
	v_add_f64 v[33:34], v[35:36], -v[31:32]
	v_add_f64 v[35:36], v[23:24], -v[35:36]
	v_subrev_co_ci_u32_e64 v57, null, 0, v41, vcc_lo
	v_add_f64 v[33:34], v[33:34], 1.0
	v_cmp_nge_f64_e32 vcc_lo, -1.0, v[23:24]
	v_sub_nc_u32_e32 v43, 0, v57
	v_ldexp_f64 v[31:32], v[31:32], v43
	v_add_f64 v[33:34], v[35:36], v[33:34]
	v_add_f64 v[41:42], v[31:32], 1.0
	v_add_f64 v[47:48], v[31:32], -1.0
	v_ldexp_f64 v[33:34], v[33:34], v43
	v_add_f64 v[35:36], v[41:42], -1.0
	v_add_f64 v[49:50], v[47:48], 1.0
	v_add_f64 v[35:36], v[31:32], -v[35:36]
	v_add_f64 v[31:32], v[31:32], -v[49:50]
	v_add_f64 v[35:36], v[33:34], v[35:36]
	v_add_f64 v[31:32], v[33:34], v[31:32]
	;; [unrolled: 1-line block ×4, first 2 shown]
	v_rcp_f64_e32 v[45:46], v[43:44]
	v_add_f64 v[41:42], v[43:44], -v[41:42]
	v_add_f64 v[47:48], v[49:50], -v[47:48]
	;; [unrolled: 1-line block ×3, first 2 shown]
	v_fma_f64 v[51:52], -v[43:44], v[45:46], 1.0
	v_add_f64 v[31:32], v[31:32], -v[47:48]
	v_fma_f64 v[45:46], v[51:52], v[45:46], v[45:46]
	v_fma_f64 v[33:34], -v[43:44], v[45:46], 1.0
	v_fma_f64 v[33:34], v[33:34], v[45:46], v[45:46]
	v_mul_f64 v[45:46], v[49:50], v[33:34]
	v_mul_f64 v[51:52], v[43:44], v[45:46]
	v_fma_f64 v[41:42], v[45:46], v[43:44], -v[51:52]
	v_fma_f64 v[41:42], v[45:46], v[35:36], v[41:42]
	v_add_f64 v[53:54], v[51:52], v[41:42]
	v_add_f64 v[55:56], v[49:50], -v[53:54]
	v_add_f64 v[47:48], v[53:54], -v[51:52]
	;; [unrolled: 1-line block ×5, first 2 shown]
	v_add_f64 v[31:32], v[31:32], v[49:50]
	v_add_f64 v[31:32], v[41:42], v[31:32]
	;; [unrolled: 1-line block ×3, first 2 shown]
	v_mul_f64 v[47:48], v[33:34], v[41:42]
	v_add_f64 v[53:54], v[55:56], -v[41:42]
	v_mul_f64 v[49:50], v[43:44], v[47:48]
	v_add_f64 v[31:32], v[31:32], v[53:54]
	v_fma_f64 v[43:44], v[47:48], v[43:44], -v[49:50]
	v_fma_f64 v[35:36], v[47:48], v[35:36], v[43:44]
	v_add_f64 v[43:44], v[49:50], v[35:36]
	v_add_f64 v[51:52], v[41:42], -v[43:44]
	v_add_f64 v[49:50], v[43:44], -v[49:50]
	;; [unrolled: 1-line block ×5, first 2 shown]
	v_add_f64 v[31:32], v[31:32], v[41:42]
	v_add_f64 v[41:42], v[45:46], v[47:48]
	;; [unrolled: 1-line block ×3, first 2 shown]
	v_add_f64 v[35:36], v[41:42], -v[45:46]
	v_add_f64 v[31:32], v[51:52], v[31:32]
	v_add_f64 v[35:36], v[47:48], -v[35:36]
	v_mul_f64 v[31:32], v[33:34], v[31:32]
	v_add_f64 v[31:32], v[35:36], v[31:32]
	v_add_f64 v[33:34], v[41:42], v[31:32]
	v_mul_f64 v[35:36], v[33:34], v[33:34]
	v_fma_f64 v[43:44], v[35:36], s[14:15], s[8:9]
	s_mov_b32 s8, 0xd7f4df2e
	s_mov_b32 s9, 0x3fc7474d
	v_mul_f64 v[45:46], v[33:34], v[35:36]
	v_fma_f64 v[43:44], v[35:36], v[43:44], s[8:9]
	s_mov_b32 s8, 0x16291751
	s_mov_b32 s9, 0x3fcc71c0
	v_fma_f64 v[43:44], v[35:36], v[43:44], s[8:9]
	s_mov_b32 s8, 0x9b27acf1
	s_mov_b32 s9, 0x3fd24924
	;; [unrolled: 3-line block ×3, first 2 shown]
	v_fma_f64 v[43:44], v[35:36], v[43:44], s[8:9]
	v_fma_f64 v[35:36], v[35:36], v[43:44], s[0:1]
	v_ldexp_f64 v[43:44], v[33:34], 1
	v_add_f64 v[33:34], v[33:34], -v[41:42]
	v_cmp_neq_f64_e64 s0, 0x7ff00000, v[23:24]
	v_cmp_ngt_f64_e64 s1, -1.0, v[23:24]
	v_mul_f64 v[35:36], v[45:46], v[35:36]
	v_cvt_f64_i32_e32 v[45:46], v57
	v_add_f64 v[31:32], v[31:32], -v[33:34]
	s_and_b32 vcc_lo, vcc_lo, s0
	v_add_f64 v[41:42], v[43:44], v[35:36]
	v_mul_f64 v[47:48], v[45:46], s[2:3]
	v_ldexp_f64 v[31:32], v[31:32], 1
	v_add_f64 v[33:34], v[41:42], -v[43:44]
	v_fma_f64 v[43:44], v[45:46], s[2:3], -v[47:48]
	v_add_f64 v[33:34], v[35:36], -v[33:34]
	v_fma_f64 v[35:36], v[45:46], s[4:5], v[43:44]
	v_add_f64 v[31:32], v[31:32], v[33:34]
	v_add_f64 v[33:34], v[47:48], v[35:36]
	;; [unrolled: 1-line block ×3, first 2 shown]
	v_add_f64 v[47:48], v[33:34], -v[47:48]
	v_add_f64 v[45:46], v[33:34], v[43:44]
	v_add_f64 v[41:42], v[43:44], -v[41:42]
	v_add_f64 v[35:36], v[35:36], -v[47:48]
	;; [unrolled: 1-line block ×6, first 2 shown]
	v_add_f64 v[43:44], v[35:36], v[31:32]
	v_add_f64 v[33:34], v[33:34], -v[51:52]
	v_add_f64 v[33:34], v[41:42], v[33:34]
	v_add_f64 v[41:42], v[43:44], -v[35:36]
	;; [unrolled: 2-line block ×3, first 2 shown]
	v_add_f64 v[31:32], v[31:32], -v[41:42]
	v_add_f64 v[47:48], v[45:46], v[33:34]
	v_add_f64 v[35:36], v[35:36], -v[43:44]
	v_add_f64 v[41:42], v[47:48], -v[45:46]
	v_add_f64 v[31:32], v[31:32], v[35:36]
	v_add_f64 v[33:34], v[33:34], -v[41:42]
	v_add_f64 v[31:32], v[31:32], v[33:34]
	v_add_f64 v[31:32], v[47:48], v[31:32]
	v_cndmask_b32_e32 v31, 0, v31, vcc_lo
	v_cmp_neq_f64_e32 vcc_lo, -1.0, v[23:24]
	v_cndmask_b32_e64 v32, 0x7ff00000, v32, s0
	v_cndmask_b32_e64 v32, 0x7ff80000, v32, s1
	v_cndmask_b32_e32 v32, 0xfff00000, v32, vcc_lo
	v_add_f64 v[23:24], v[29:30], v[31:32]
.LBB9_284:
	s_or_b32 exec_lo, exec_lo, s6
	v_max_f64 v[29:30], v[23:24], v[23:24]
	v_cmp_u_f64_e32 vcc_lo, v[23:24], v[23:24]
	v_min_f64 v[31:32], v[29:30], v[25:26]
	v_max_f64 v[25:26], v[29:30], v[25:26]
	v_cndmask_b32_e32 v29, v31, v23, vcc_lo
	v_cndmask_b32_e32 v30, v32, v24, vcc_lo
	;; [unrolled: 1-line block ×4, first 2 shown]
	v_cndmask_b32_e64 v31, v29, v37, s11
	v_cndmask_b32_e64 v32, v30, v38, s11
	;; [unrolled: 1-line block ×4, first 2 shown]
	v_mov_b32_e32 v26, v24
	v_mov_b32_e32 v25, v23
	v_cmp_class_f64_e64 s0, v[31:32], 0x1f8
	v_cmp_neq_f64_e32 vcc_lo, v[31:32], v[29:30]
	s_or_b32 s0, vcc_lo, s0
	s_and_saveexec_b32 s6, s0
	s_cbranch_execz .LBB9_286
; %bb.285:
	v_add_f64 v[25:26], v[31:32], -v[29:30]
	s_mov_b32 s0, 0x652b82fe
	s_mov_b32 s1, 0x3ff71547
	;; [unrolled: 1-line block ×10, first 2 shown]
	v_mul_f64 v[31:32], v[25:26], s[0:1]
	s_mov_b32 s0, 0xfca7ab0c
	s_mov_b32 s1, 0x3e928af3
	v_cmp_nlt_f64_e32 vcc_lo, 0x40900000, v[25:26]
	v_rndne_f64_e32 v[31:32], v[31:32]
	v_fma_f64 v[33:34], v[31:32], s[2:3], v[25:26]
	v_cvt_i32_f64_e32 v37, v[31:32]
	s_mov_b32 s3, 0x3fe62e42
	v_fma_f64 v[33:34], v[31:32], s[4:5], v[33:34]
	s_mov_b32 s5, 0x3c7abc9e
	s_waitcnt lgkmcnt(0)
	v_fma_f64 v[35:36], v[33:34], s[8:9], s[0:1]
	s_mov_b32 s0, 0x623fde64
	s_mov_b32 s1, 0x3ec71dee
	;; [unrolled: 1-line block ×4, first 2 shown]
	v_fma_f64 v[35:36], v[33:34], v[35:36], s[0:1]
	s_mov_b32 s0, 0x7c89e6b0
	s_mov_b32 s1, 0x3efa0199
	v_fma_f64 v[35:36], v[33:34], v[35:36], s[0:1]
	s_mov_b32 s0, 0x14761f6e
	s_mov_b32 s1, 0x3f2a01a0
	;; [unrolled: 3-line block ×7, first 2 shown]
	v_fma_f64 v[35:36], v[33:34], v[35:36], s[0:1]
	v_cmp_ngt_f64_e64 s0, 0xc090cc00, v[25:26]
	s_mov_b32 s1, 0x3fe55555
	v_fma_f64 v[35:36], v[33:34], v[35:36], 1.0
	v_fma_f64 v[31:32], v[33:34], v[35:36], 1.0
	v_ldexp_f64 v[31:32], v[31:32], v37
	v_cndmask_b32_e32 v32, 0x7ff00000, v32, vcc_lo
	s_and_b32 vcc_lo, s0, vcc_lo
	v_cndmask_b32_e32 v25, 0, v31, vcc_lo
	v_cndmask_b32_e64 v26, 0, v32, s0
	s_mov_b32 s0, 0x55555555
	v_add_f64 v[31:32], v[25:26], 1.0
	v_frexp_mant_f64_e32 v[33:34], v[31:32]
	v_frexp_exp_i32_f64_e32 v37, v[31:32]
	v_add_f64 v[35:36], v[31:32], -1.0
	v_cmp_gt_f64_e32 vcc_lo, s[0:1], v[33:34]
	s_mov_b32 s0, 0x55555780
	v_add_f64 v[33:34], v[35:36], -v[31:32]
	v_add_f64 v[35:36], v[25:26], -v[35:36]
	v_subrev_co_ci_u32_e64 v55, null, 0, v37, vcc_lo
	v_add_f64 v[33:34], v[33:34], 1.0
	v_cmp_nge_f64_e32 vcc_lo, -1.0, v[25:26]
	v_sub_nc_u32_e32 v41, 0, v55
	v_ldexp_f64 v[31:32], v[31:32], v41
	v_add_f64 v[33:34], v[35:36], v[33:34]
	v_add_f64 v[37:38], v[31:32], 1.0
	v_add_f64 v[45:46], v[31:32], -1.0
	v_ldexp_f64 v[33:34], v[33:34], v41
	v_add_f64 v[35:36], v[37:38], -1.0
	v_add_f64 v[47:48], v[45:46], 1.0
	v_add_f64 v[35:36], v[31:32], -v[35:36]
	v_add_f64 v[31:32], v[31:32], -v[47:48]
	v_add_f64 v[35:36], v[33:34], v[35:36]
	v_add_f64 v[31:32], v[33:34], v[31:32]
	;; [unrolled: 1-line block ×4, first 2 shown]
	v_rcp_f64_e32 v[43:44], v[41:42]
	v_add_f64 v[37:38], v[41:42], -v[37:38]
	v_add_f64 v[45:46], v[47:48], -v[45:46]
	;; [unrolled: 1-line block ×3, first 2 shown]
	v_fma_f64 v[49:50], -v[41:42], v[43:44], 1.0
	v_add_f64 v[31:32], v[31:32], -v[45:46]
	v_fma_f64 v[43:44], v[49:50], v[43:44], v[43:44]
	v_fma_f64 v[33:34], -v[41:42], v[43:44], 1.0
	v_fma_f64 v[33:34], v[33:34], v[43:44], v[43:44]
	v_mul_f64 v[43:44], v[47:48], v[33:34]
	v_mul_f64 v[49:50], v[41:42], v[43:44]
	v_fma_f64 v[37:38], v[43:44], v[41:42], -v[49:50]
	v_fma_f64 v[37:38], v[43:44], v[35:36], v[37:38]
	v_add_f64 v[51:52], v[49:50], v[37:38]
	v_add_f64 v[53:54], v[47:48], -v[51:52]
	v_add_f64 v[45:46], v[51:52], -v[49:50]
	;; [unrolled: 1-line block ×5, first 2 shown]
	v_add_f64 v[31:32], v[31:32], v[47:48]
	v_add_f64 v[31:32], v[37:38], v[31:32]
	;; [unrolled: 1-line block ×3, first 2 shown]
	v_mul_f64 v[45:46], v[33:34], v[37:38]
	v_add_f64 v[51:52], v[53:54], -v[37:38]
	v_mul_f64 v[47:48], v[41:42], v[45:46]
	v_add_f64 v[31:32], v[31:32], v[51:52]
	v_fma_f64 v[41:42], v[45:46], v[41:42], -v[47:48]
	v_fma_f64 v[35:36], v[45:46], v[35:36], v[41:42]
	v_add_f64 v[41:42], v[47:48], v[35:36]
	v_add_f64 v[49:50], v[37:38], -v[41:42]
	v_add_f64 v[47:48], v[41:42], -v[47:48]
	;; [unrolled: 1-line block ×5, first 2 shown]
	v_add_f64 v[31:32], v[31:32], v[37:38]
	v_add_f64 v[37:38], v[43:44], v[45:46]
	;; [unrolled: 1-line block ×3, first 2 shown]
	v_add_f64 v[35:36], v[37:38], -v[43:44]
	v_add_f64 v[31:32], v[49:50], v[31:32]
	v_add_f64 v[35:36], v[45:46], -v[35:36]
	v_mul_f64 v[31:32], v[33:34], v[31:32]
	v_add_f64 v[31:32], v[35:36], v[31:32]
	v_add_f64 v[33:34], v[37:38], v[31:32]
	v_mul_f64 v[35:36], v[33:34], v[33:34]
	v_fma_f64 v[41:42], v[35:36], s[10:11], s[8:9]
	s_mov_b32 s8, 0xd7f4df2e
	s_mov_b32 s9, 0x3fc7474d
	v_mul_f64 v[43:44], v[33:34], v[35:36]
	v_fma_f64 v[41:42], v[35:36], v[41:42], s[8:9]
	s_mov_b32 s8, 0x16291751
	s_mov_b32 s9, 0x3fcc71c0
	v_fma_f64 v[41:42], v[35:36], v[41:42], s[8:9]
	s_mov_b32 s8, 0x9b27acf1
	s_mov_b32 s9, 0x3fd24924
	;; [unrolled: 3-line block ×3, first 2 shown]
	v_fma_f64 v[41:42], v[35:36], v[41:42], s[8:9]
	v_fma_f64 v[35:36], v[35:36], v[41:42], s[0:1]
	v_ldexp_f64 v[41:42], v[33:34], 1
	v_add_f64 v[33:34], v[33:34], -v[37:38]
	v_cmp_neq_f64_e64 s0, 0x7ff00000, v[25:26]
	v_cmp_ngt_f64_e64 s1, -1.0, v[25:26]
	v_mul_f64 v[35:36], v[43:44], v[35:36]
	v_cvt_f64_i32_e32 v[43:44], v55
	v_add_f64 v[31:32], v[31:32], -v[33:34]
	s_and_b32 vcc_lo, vcc_lo, s0
	v_add_f64 v[37:38], v[41:42], v[35:36]
	v_mul_f64 v[45:46], v[43:44], s[2:3]
	v_ldexp_f64 v[31:32], v[31:32], 1
	v_add_f64 v[33:34], v[37:38], -v[41:42]
	v_fma_f64 v[41:42], v[43:44], s[2:3], -v[45:46]
	v_add_f64 v[33:34], v[35:36], -v[33:34]
	v_fma_f64 v[35:36], v[43:44], s[4:5], v[41:42]
	v_add_f64 v[31:32], v[31:32], v[33:34]
	v_add_f64 v[33:34], v[45:46], v[35:36]
	;; [unrolled: 1-line block ×3, first 2 shown]
	v_add_f64 v[45:46], v[33:34], -v[45:46]
	v_add_f64 v[43:44], v[33:34], v[41:42]
	v_add_f64 v[37:38], v[41:42], -v[37:38]
	v_add_f64 v[35:36], v[35:36], -v[45:46]
	;; [unrolled: 1-line block ×6, first 2 shown]
	v_add_f64 v[41:42], v[35:36], v[31:32]
	v_add_f64 v[33:34], v[33:34], -v[49:50]
	v_add_f64 v[33:34], v[37:38], v[33:34]
	v_add_f64 v[37:38], v[41:42], -v[35:36]
	;; [unrolled: 2-line block ×3, first 2 shown]
	v_add_f64 v[31:32], v[31:32], -v[37:38]
	v_add_f64 v[45:46], v[43:44], v[33:34]
	v_add_f64 v[35:36], v[35:36], -v[41:42]
	v_add_f64 v[37:38], v[45:46], -v[43:44]
	v_add_f64 v[31:32], v[31:32], v[35:36]
	v_add_f64 v[33:34], v[33:34], -v[37:38]
	v_add_f64 v[31:32], v[31:32], v[33:34]
	v_add_f64 v[31:32], v[45:46], v[31:32]
	v_cndmask_b32_e32 v31, 0, v31, vcc_lo
	v_cmp_neq_f64_e32 vcc_lo, -1.0, v[25:26]
	v_cndmask_b32_e64 v32, 0x7ff00000, v32, s0
	v_cndmask_b32_e64 v32, 0x7ff80000, v32, s1
	v_cndmask_b32_e32 v32, 0xfff00000, v32, vcc_lo
	v_add_f64 v[25:26], v[29:30], v[31:32]
.LBB9_286:
	s_or_b32 exec_lo, exec_lo, s6
	v_max_f64 v[29:30], v[25:26], v[25:26]
	v_cmp_u_f64_e32 vcc_lo, v[25:26], v[25:26]
	v_min_f64 v[31:32], v[29:30], v[27:28]
	v_max_f64 v[27:28], v[29:30], v[27:28]
	v_cndmask_b32_e32 v29, v31, v25, vcc_lo
	v_cndmask_b32_e32 v30, v32, v26, vcc_lo
	;; [unrolled: 1-line block ×4, first 2 shown]
	v_cndmask_b32_e64 v31, v29, v39, s12
	v_cndmask_b32_e64 v32, v30, v40, s12
	;; [unrolled: 1-line block ×4, first 2 shown]
	v_mov_b32_e32 v28, v26
	v_mov_b32_e32 v27, v25
	v_cmp_class_f64_e64 s0, v[31:32], 0x1f8
	v_cmp_neq_f64_e32 vcc_lo, v[31:32], v[29:30]
	s_or_b32 s0, vcc_lo, s0
	s_and_saveexec_b32 s6, s0
	s_cbranch_execz .LBB9_288
; %bb.287:
	v_add_f64 v[27:28], v[31:32], -v[29:30]
	s_mov_b32 s0, 0x652b82fe
	s_mov_b32 s1, 0x3ff71547
	;; [unrolled: 1-line block ×10, first 2 shown]
	v_mul_f64 v[31:32], v[27:28], s[0:1]
	s_mov_b32 s0, 0xfca7ab0c
	s_mov_b32 s1, 0x3e928af3
	v_cmp_nlt_f64_e32 vcc_lo, 0x40900000, v[27:28]
	v_rndne_f64_e32 v[31:32], v[31:32]
	v_fma_f64 v[33:34], v[31:32], s[2:3], v[27:28]
	v_cvt_i32_f64_e32 v37, v[31:32]
	s_mov_b32 s3, 0x3fe62e42
	v_fma_f64 v[33:34], v[31:32], s[4:5], v[33:34]
	s_mov_b32 s5, 0x3c7abc9e
	s_waitcnt lgkmcnt(0)
	v_fma_f64 v[35:36], v[33:34], s[8:9], s[0:1]
	s_mov_b32 s0, 0x623fde64
	s_mov_b32 s1, 0x3ec71dee
	;; [unrolled: 1-line block ×4, first 2 shown]
	v_fma_f64 v[35:36], v[33:34], v[35:36], s[0:1]
	s_mov_b32 s0, 0x7c89e6b0
	s_mov_b32 s1, 0x3efa0199
	v_fma_f64 v[35:36], v[33:34], v[35:36], s[0:1]
	s_mov_b32 s0, 0x14761f6e
	s_mov_b32 s1, 0x3f2a01a0
	;; [unrolled: 3-line block ×7, first 2 shown]
	v_fma_f64 v[35:36], v[33:34], v[35:36], s[0:1]
	v_cmp_ngt_f64_e64 s0, 0xc090cc00, v[27:28]
	s_mov_b32 s1, 0x3fe55555
	v_fma_f64 v[35:36], v[33:34], v[35:36], 1.0
	v_fma_f64 v[31:32], v[33:34], v[35:36], 1.0
	v_ldexp_f64 v[31:32], v[31:32], v37
	v_cndmask_b32_e32 v32, 0x7ff00000, v32, vcc_lo
	s_and_b32 vcc_lo, s0, vcc_lo
	v_cndmask_b32_e32 v27, 0, v31, vcc_lo
	v_cndmask_b32_e64 v28, 0, v32, s0
	s_mov_b32 s0, 0x55555555
	v_add_f64 v[31:32], v[27:28], 1.0
	v_frexp_mant_f64_e32 v[33:34], v[31:32]
	v_frexp_exp_i32_f64_e32 v37, v[31:32]
	v_add_f64 v[35:36], v[31:32], -1.0
	v_cmp_gt_f64_e32 vcc_lo, s[0:1], v[33:34]
	s_mov_b32 s0, 0x55555780
	v_add_f64 v[33:34], v[35:36], -v[31:32]
	v_add_f64 v[35:36], v[27:28], -v[35:36]
	v_subrev_co_ci_u32_e64 v53, null, 0, v37, vcc_lo
	v_add_f64 v[33:34], v[33:34], 1.0
	v_cmp_nge_f64_e32 vcc_lo, -1.0, v[27:28]
	v_sub_nc_u32_e32 v39, 0, v53
	v_ldexp_f64 v[31:32], v[31:32], v39
	v_add_f64 v[33:34], v[35:36], v[33:34]
	v_add_f64 v[37:38], v[31:32], 1.0
	v_add_f64 v[43:44], v[31:32], -1.0
	v_ldexp_f64 v[33:34], v[33:34], v39
	v_add_f64 v[35:36], v[37:38], -1.0
	v_add_f64 v[45:46], v[43:44], 1.0
	v_add_f64 v[35:36], v[31:32], -v[35:36]
	v_add_f64 v[31:32], v[31:32], -v[45:46]
	v_add_f64 v[35:36], v[33:34], v[35:36]
	v_add_f64 v[31:32], v[33:34], v[31:32]
	;; [unrolled: 1-line block ×4, first 2 shown]
	v_rcp_f64_e32 v[41:42], v[39:40]
	v_add_f64 v[37:38], v[39:40], -v[37:38]
	v_add_f64 v[43:44], v[45:46], -v[43:44]
	;; [unrolled: 1-line block ×3, first 2 shown]
	v_fma_f64 v[47:48], -v[39:40], v[41:42], 1.0
	v_add_f64 v[31:32], v[31:32], -v[43:44]
	v_fma_f64 v[41:42], v[47:48], v[41:42], v[41:42]
	v_fma_f64 v[33:34], -v[39:40], v[41:42], 1.0
	v_fma_f64 v[33:34], v[33:34], v[41:42], v[41:42]
	v_mul_f64 v[41:42], v[45:46], v[33:34]
	v_mul_f64 v[47:48], v[39:40], v[41:42]
	v_fma_f64 v[37:38], v[41:42], v[39:40], -v[47:48]
	v_fma_f64 v[37:38], v[41:42], v[35:36], v[37:38]
	v_add_f64 v[49:50], v[47:48], v[37:38]
	v_add_f64 v[51:52], v[45:46], -v[49:50]
	v_add_f64 v[43:44], v[49:50], -v[47:48]
	;; [unrolled: 1-line block ×5, first 2 shown]
	v_add_f64 v[31:32], v[31:32], v[45:46]
	v_add_f64 v[31:32], v[37:38], v[31:32]
	;; [unrolled: 1-line block ×3, first 2 shown]
	v_mul_f64 v[43:44], v[33:34], v[37:38]
	v_add_f64 v[49:50], v[51:52], -v[37:38]
	v_mul_f64 v[45:46], v[39:40], v[43:44]
	v_add_f64 v[31:32], v[31:32], v[49:50]
	v_fma_f64 v[39:40], v[43:44], v[39:40], -v[45:46]
	v_fma_f64 v[35:36], v[43:44], v[35:36], v[39:40]
	v_add_f64 v[39:40], v[45:46], v[35:36]
	v_add_f64 v[47:48], v[37:38], -v[39:40]
	v_add_f64 v[45:46], v[39:40], -v[45:46]
	;; [unrolled: 1-line block ×5, first 2 shown]
	v_add_f64 v[31:32], v[31:32], v[37:38]
	v_add_f64 v[37:38], v[41:42], v[43:44]
	v_add_f64 v[31:32], v[35:36], v[31:32]
	v_add_f64 v[35:36], v[37:38], -v[41:42]
	v_add_f64 v[31:32], v[47:48], v[31:32]
	v_add_f64 v[35:36], v[43:44], -v[35:36]
	v_mul_f64 v[31:32], v[33:34], v[31:32]
	v_add_f64 v[31:32], v[35:36], v[31:32]
	v_add_f64 v[33:34], v[37:38], v[31:32]
	v_mul_f64 v[35:36], v[33:34], v[33:34]
	v_fma_f64 v[39:40], v[35:36], s[10:11], s[8:9]
	s_mov_b32 s8, 0xd7f4df2e
	s_mov_b32 s9, 0x3fc7474d
	v_mul_f64 v[41:42], v[33:34], v[35:36]
	v_fma_f64 v[39:40], v[35:36], v[39:40], s[8:9]
	s_mov_b32 s8, 0x16291751
	s_mov_b32 s9, 0x3fcc71c0
	v_fma_f64 v[39:40], v[35:36], v[39:40], s[8:9]
	s_mov_b32 s8, 0x9b27acf1
	s_mov_b32 s9, 0x3fd24924
	;; [unrolled: 3-line block ×3, first 2 shown]
	v_fma_f64 v[39:40], v[35:36], v[39:40], s[8:9]
	v_fma_f64 v[35:36], v[35:36], v[39:40], s[0:1]
	v_ldexp_f64 v[39:40], v[33:34], 1
	v_add_f64 v[33:34], v[33:34], -v[37:38]
	v_cmp_neq_f64_e64 s0, 0x7ff00000, v[27:28]
	v_cmp_ngt_f64_e64 s1, -1.0, v[27:28]
	v_mul_f64 v[35:36], v[41:42], v[35:36]
	v_cvt_f64_i32_e32 v[41:42], v53
	v_add_f64 v[31:32], v[31:32], -v[33:34]
	s_and_b32 vcc_lo, vcc_lo, s0
	v_add_f64 v[37:38], v[39:40], v[35:36]
	v_mul_f64 v[43:44], v[41:42], s[2:3]
	v_ldexp_f64 v[31:32], v[31:32], 1
	v_add_f64 v[33:34], v[37:38], -v[39:40]
	v_fma_f64 v[39:40], v[41:42], s[2:3], -v[43:44]
	v_add_f64 v[33:34], v[35:36], -v[33:34]
	v_fma_f64 v[35:36], v[41:42], s[4:5], v[39:40]
	v_add_f64 v[31:32], v[31:32], v[33:34]
	v_add_f64 v[33:34], v[43:44], v[35:36]
	v_add_f64 v[39:40], v[37:38], v[31:32]
	v_add_f64 v[43:44], v[33:34], -v[43:44]
	v_add_f64 v[41:42], v[33:34], v[39:40]
	v_add_f64 v[37:38], v[39:40], -v[37:38]
	v_add_f64 v[35:36], v[35:36], -v[43:44]
	;; [unrolled: 1-line block ×6, first 2 shown]
	v_add_f64 v[39:40], v[35:36], v[31:32]
	v_add_f64 v[33:34], v[33:34], -v[47:48]
	v_add_f64 v[33:34], v[37:38], v[33:34]
	v_add_f64 v[37:38], v[39:40], -v[35:36]
	;; [unrolled: 2-line block ×3, first 2 shown]
	v_add_f64 v[31:32], v[31:32], -v[37:38]
	v_add_f64 v[43:44], v[41:42], v[33:34]
	v_add_f64 v[35:36], v[35:36], -v[39:40]
	v_add_f64 v[37:38], v[43:44], -v[41:42]
	v_add_f64 v[31:32], v[31:32], v[35:36]
	v_add_f64 v[33:34], v[33:34], -v[37:38]
	v_add_f64 v[31:32], v[31:32], v[33:34]
	v_add_f64 v[31:32], v[43:44], v[31:32]
	v_cndmask_b32_e32 v31, 0, v31, vcc_lo
	v_cmp_neq_f64_e32 vcc_lo, -1.0, v[27:28]
	v_cndmask_b32_e64 v32, 0x7ff00000, v32, s0
	v_cndmask_b32_e64 v32, 0x7ff80000, v32, s1
	v_cndmask_b32_e32 v32, 0xfff00000, v32, vcc_lo
	v_add_f64 v[27:28], v[29:30], v[31:32]
.LBB9_288:
	s_or_b32 exec_lo, exec_lo, s6
	s_mov_b32 s0, exec_lo
	v_cmpx_eq_u32_e32 0x7f, v0
	s_cbranch_execz .LBB9_290
; %bb.289:
	s_add_u32 s2, s34, 0x200
	s_addc_u32 s3, s35, 0
	v_mov_b32_e32 v29, 2
	v_mov_b32_e32 v32, s3
	;; [unrolled: 1-line block ×4, first 2 shown]
	;;#ASMSTART
	global_store_dwordx4 v[31:32], v[27:30] off	
s_waitcnt vmcnt(0)
	;;#ASMEND
.LBB9_290:
	s_or_b32 exec_lo, exec_lo, s0
	s_waitcnt lgkmcnt(0)
	v_mov_b32_e32 v36, v32
	v_mov_b32_e32 v35, v31
	;; [unrolled: 1-line block ×32, first 2 shown]
.LBB9_291:
	s_add_u32 s0, s20, s18
	s_addc_u32 s1, s21, s19
	s_add_u32 s0, s0, s22
	s_addc_u32 s1, s1, s23
	s_and_b32 vcc_lo, exec_lo, s83
	s_mov_b32 s2, -1
	s_barrier
	buffer_gl0_inv
	s_cbranch_vccz .LBB9_293
; %bb.292:
	ds_write_b128 v76, v[5:8]
	ds_write_b128 v76, v[9:12] offset:16
	ds_write_b128 v76, v[13:16] offset:32
	ds_write_b128 v76, v[17:20] offset:48
	ds_write_b128 v76, v[21:24] offset:64
	ds_write_b128 v76, v[25:28] offset:80
	ds_write_b128 v76, v[29:32] offset:96
	s_waitcnt lgkmcnt(0)
	s_barrier
	buffer_gl0_inv
	ds_read2st64_b64 v[1:4], v75 offset1:2
	ds_read2st64_b64 v[33:36], v75 offset0:4 offset1:6
	ds_read2st64_b64 v[37:40], v75 offset0:8 offset1:10
	;; [unrolled: 1-line block ×6, first 2 shown]
	v_add_co_u32 v61, s2, s0, v75
	v_add_co_ci_u32_e64 v62, null, s1, 0, s2
	s_mov_b32 s2, 0
	s_waitcnt lgkmcnt(6)
	global_store_dwordx2 v75, v[1:2], s[0:1]
	global_store_dwordx2 v75, v[3:4], s[0:1] offset:1024
	v_add_co_u32 v1, vcc_lo, v61, 0x1000
	v_add_co_ci_u32_e64 v2, null, 0, v62, vcc_lo
	v_add_co_u32 v3, vcc_lo, 0x800, v61
	v_add_co_ci_u32_e64 v4, null, 0, v62, vcc_lo
	s_waitcnt lgkmcnt(5)
	global_store_dwordx2 v[1:2], v[33:34], off offset:-2048
	v_add_co_u32 v33, vcc_lo, 0x1000, v61
	v_add_co_ci_u32_e64 v34, null, 0, v62, vcc_lo
	v_add_co_u32 v57, vcc_lo, v61, 0x2000
	v_add_co_ci_u32_e64 v58, null, 0, v62, vcc_lo
	;; [unrolled: 2-line block ×3, first 2 shown]
	global_store_dwordx2 v[3:4], v[35:36], off offset:1024
	s_waitcnt lgkmcnt(4)
	global_store_dwordx2 v[1:2], v[37:38], off
	global_store_dwordx2 v[33:34], v[39:40], off offset:1024
	s_waitcnt lgkmcnt(3)
	global_store_dwordx2 v[57:58], v[41:42], off offset:-2048
	global_store_dwordx2 v[59:60], v[43:44], off offset:1024
	v_add_co_u32 v1, vcc_lo, 0x2000, v61
	v_add_co_ci_u32_e64 v2, null, 0, v62, vcc_lo
	v_add_co_u32 v3, vcc_lo, 0x2800, v61
	v_add_co_ci_u32_e64 v4, null, 0, v62, vcc_lo
	;; [unrolled: 2-line block ×4, first 2 shown]
	s_waitcnt lgkmcnt(2)
	global_store_dwordx2 v[57:58], v[45:46], off
	global_store_dwordx2 v[1:2], v[47:48], off offset:1024
	s_waitcnt lgkmcnt(1)
	global_store_dwordx2 v[33:34], v[49:50], off offset:-2048
	global_store_dwordx2 v[3:4], v[51:52], off offset:1024
	s_waitcnt lgkmcnt(0)
	global_store_dwordx2 v[33:34], v[53:54], off
	global_store_dwordx2 v[35:36], v[55:56], off offset:1024
.LBB9_293:
	s_andn2_b32 vcc_lo, exec_lo, s2
	s_cbranch_vccnz .LBB9_373
; %bb.294:
	ds_write_b128 v76, v[5:8]
	ds_write_b128 v76, v[9:12] offset:16
	ds_write_b128 v76, v[13:16] offset:32
	;; [unrolled: 1-line block ×6, first 2 shown]
	s_waitcnt lgkmcnt(0)
	s_waitcnt_vscnt null, 0x0
	s_barrier
	buffer_gl0_inv
	ds_read2st64_b64 v[6:9], v75 offset1:2
	ds_read2st64_b64 v[10:13], v75 offset0:4 offset1:6
	ds_read2st64_b64 v[14:17], v75 offset0:8 offset1:10
	;; [unrolled: 1-line block ×6, first 2 shown]
	v_add_co_u32 v30, s0, s0, v75
	v_mov_b32_e32 v1, 0
	v_add_co_ci_u32_e64 v31, null, s1, 0, s0
	s_mov_b32 s0, exec_lo
	v_cmpx_gt_u32_e64 s33, v0
	s_cbranch_execz .LBB9_296
; %bb.295:
	s_waitcnt lgkmcnt(6)
	global_store_dwordx2 v[30:31], v[6:7], off
.LBB9_296:
	s_or_b32 exec_lo, exec_lo, s0
	v_or_b32_e32 v32, 0x80, v0
	s_mov_b32 s0, exec_lo
	v_cmpx_gt_u32_e64 s33, v32
	s_cbranch_execz .LBB9_298
; %bb.297:
	s_waitcnt lgkmcnt(6)
	global_store_dwordx2 v[30:31], v[8:9], off offset:1024
.LBB9_298:
	s_or_b32 exec_lo, exec_lo, s0
	v_or_b32_e32 v32, 0x100, v0
	s_mov_b32 s0, exec_lo
	v_cmpx_gt_u32_e64 s33, v32
	s_cbranch_execz .LBB9_300
; %bb.299:
	v_add_co_u32 v32, vcc_lo, 0x800, v30
	v_add_co_ci_u32_e64 v33, null, 0, v31, vcc_lo
	s_waitcnt lgkmcnt(5)
	global_store_dwordx2 v[32:33], v[10:11], off
.LBB9_300:
	s_or_b32 exec_lo, exec_lo, s0
	v_or_b32_e32 v32, 0x180, v0
	s_mov_b32 s0, exec_lo
	v_cmpx_gt_u32_e64 s33, v32
	s_cbranch_execz .LBB9_302
; %bb.301:
	v_add_co_u32 v32, vcc_lo, 0x800, v30
	v_add_co_ci_u32_e64 v33, null, 0, v31, vcc_lo
	s_waitcnt lgkmcnt(5)
	global_store_dwordx2 v[32:33], v[12:13], off offset:1024
.LBB9_302:
	s_or_b32 exec_lo, exec_lo, s0
	v_or_b32_e32 v32, 0x200, v0
	s_mov_b32 s0, exec_lo
	v_cmpx_gt_u32_e64 s33, v32
	s_cbranch_execz .LBB9_304
; %bb.303:
	v_add_co_u32 v32, vcc_lo, 0x1000, v30
	v_add_co_ci_u32_e64 v33, null, 0, v31, vcc_lo
	s_waitcnt lgkmcnt(4)
	global_store_dwordx2 v[32:33], v[14:15], off
.LBB9_304:
	s_or_b32 exec_lo, exec_lo, s0
	v_or_b32_e32 v32, 0x280, v0
	s_mov_b32 s0, exec_lo
	v_cmpx_gt_u32_e64 s33, v32
	s_cbranch_execz .LBB9_306
; %bb.305:
	v_add_co_u32 v32, vcc_lo, 0x1000, v30
	v_add_co_ci_u32_e64 v33, null, 0, v31, vcc_lo
	s_waitcnt lgkmcnt(4)
	global_store_dwordx2 v[32:33], v[16:17], off offset:1024
.LBB9_306:
	;; [unrolled: 22-line block ×6, first 2 shown]
	s_or_b32 exec_lo, exec_lo, s0
	v_cmp_lt_u64_e64 s0, s[30:31], 2
	s_and_b32 vcc_lo, exec_lo, s0
	s_cbranch_vccnz .LBB9_373
; %bb.323:
	s_add_u32 s0, s33, -1
	s_addc_u32 s1, s82, -1
	s_lshr_b64 s[2:3], s[0:1], 1
	s_lshr_b32 s3, s1, 1
	s_mul_hi_u32 s4, s2, 0x49249249
	s_mul_i32 s5, s2, 0x49249249
	s_mul_i32 s6, s3, 0x24924925
	s_mul_hi_u32 s2, s2, 0x24924925
	s_mul_hi_u32 s7, s3, 0x24924925
	s_add_u32 s2, s6, s2
	s_addc_u32 s6, s7, 0
	s_add_u32 s2, s5, s2
	s_addc_u32 s2, s4, 0
	s_mul_i32 s5, s3, 0x49249249
	s_add_u32 s2, s6, s2
	s_addc_u32 s4, 0, 0
	s_mul_hi_u32 s3, s3, 0x49249249
	s_add_u32 s2, s5, s2
	s_addc_u32 s3, s3, s4
	s_lshr_b64 s[2:3], s[2:3], 1
	v_cmp_eq_u64_e32 vcc_lo, s[2:3], v[0:1]
	s_and_saveexec_b32 s2, vcc_lo
	s_cbranch_execz .LBB9_373
; %bb.324:
	v_mul_u32_u24_e32 v1, 14, v0
	v_mul_hi_u32_u24_e32 v30, 14, v0
	v_sub_co_u32 v0, vcc_lo, s0, v1
	v_sub_co_ci_u32_e64 v1, null, s1, v30, vcc_lo
	s_mov_b32 s0, exec_lo
	v_cmpx_lt_i64_e32 6, v[0:1]
	s_xor_b32 s0, exec_lo, s0
	s_cbranch_execz .LBB9_350
; %bb.325:
	s_mov_b32 s1, exec_lo
	v_cmpx_lt_i64_e32 9, v[0:1]
	s_xor_b32 s1, exec_lo, s1
	s_cbranch_execz .LBB9_339
; %bb.326:
	s_mov_b32 s2, exec_lo
	v_cmpx_lt_i64_e32 11, v[0:1]
	s_xor_b32 s2, exec_lo, s2
	s_cbranch_execz .LBB9_332
; %bb.327:
	s_mov_b32 s3, exec_lo
	v_cmpx_lt_i64_e32 12, v[0:1]
	s_xor_b32 s3, exec_lo, s3
	s_cbranch_execz .LBB9_329
; %bb.328:
	v_mov_b32_e32 v0, 0
	s_waitcnt lgkmcnt(0)
	global_store_dwordx2 v0, v[28:29], s[26:27]
                                        ; implicit-def: $vgpr26_vgpr27_vgpr28_vgpr29
.LBB9_329:
	s_andn2_saveexec_b32 s3, s3
	s_cbranch_execz .LBB9_331
; %bb.330:
	v_mov_b32_e32 v0, 0
	s_waitcnt lgkmcnt(0)
	global_store_dwordx2 v0, v[26:27], s[26:27]
.LBB9_331:
	s_or_b32 exec_lo, exec_lo, s3
                                        ; implicit-def: $vgpr18_vgpr19_vgpr20_vgpr21
                                        ; implicit-def: $vgpr0_vgpr1
.LBB9_332:
	s_andn2_saveexec_b32 s2, s2
	s_cbranch_execz .LBB9_338
; %bb.333:
	s_mov_b32 s3, exec_lo
	v_cmpx_lt_i64_e32 10, v[0:1]
	s_xor_b32 s3, exec_lo, s3
	s_cbranch_execz .LBB9_335
; %bb.334:
	v_mov_b32_e32 v0, 0
	s_waitcnt lgkmcnt(1)
	global_store_dwordx2 v0, v[20:21], s[26:27]
                                        ; implicit-def: $vgpr18_vgpr19_vgpr20_vgpr21
.LBB9_335:
	s_andn2_saveexec_b32 s3, s3
	s_cbranch_execz .LBB9_337
; %bb.336:
	v_mov_b32_e32 v0, 0
	s_waitcnt lgkmcnt(1)
	global_store_dwordx2 v0, v[18:19], s[26:27]
.LBB9_337:
	s_or_b32 exec_lo, exec_lo, s3
.LBB9_338:
	s_or_b32 exec_lo, exec_lo, s2
                                        ; implicit-def: $vgpr2_vgpr3_vgpr4_vgpr5
                                        ; implicit-def: $vgpr0_vgpr1
                                        ; implicit-def: $vgpr22_vgpr23_vgpr24_vgpr25
.LBB9_339:
	s_andn2_saveexec_b32 s1, s1
	s_cbranch_execz .LBB9_349
; %bb.340:
	s_mov_b32 s2, exec_lo
	v_cmpx_lt_i64_e32 7, v[0:1]
	s_xor_b32 s2, exec_lo, s2
	s_cbranch_execz .LBB9_346
; %bb.341:
	s_mov_b32 s3, exec_lo
	v_cmpx_lt_i64_e32 8, v[0:1]
	s_xor_b32 s3, exec_lo, s3
	s_cbranch_execz .LBB9_343
; %bb.342:
	v_mov_b32_e32 v0, 0
	s_waitcnt lgkmcnt(2)
	global_store_dwordx2 v0, v[24:25], s[26:27]
                                        ; implicit-def: $vgpr22_vgpr23_vgpr24_vgpr25
.LBB9_343:
	s_andn2_saveexec_b32 s3, s3
	s_cbranch_execz .LBB9_345
; %bb.344:
	v_mov_b32_e32 v0, 0
	s_waitcnt lgkmcnt(2)
	global_store_dwordx2 v0, v[22:23], s[26:27]
.LBB9_345:
	s_or_b32 exec_lo, exec_lo, s3
                                        ; implicit-def: $vgpr2_vgpr3_vgpr4_vgpr5
.LBB9_346:
	s_andn2_saveexec_b32 s2, s2
	s_cbranch_execz .LBB9_348
; %bb.347:
	v_mov_b32_e32 v0, 0
	s_waitcnt lgkmcnt(3)
	global_store_dwordx2 v0, v[4:5], s[26:27]
.LBB9_348:
	s_or_b32 exec_lo, exec_lo, s2
.LBB9_349:
	s_or_b32 exec_lo, exec_lo, s1
                                        ; implicit-def: $vgpr0_vgpr1
                                        ; implicit-def: $vgpr14_vgpr15_vgpr16_vgpr17
                                        ; implicit-def: $vgpr6_vgpr7_vgpr8_vgpr9
                                        ; implicit-def: $vgpr10_vgpr11_vgpr12_vgpr13
                                        ; implicit-def: $vgpr2_vgpr3_vgpr4_vgpr5
.LBB9_350:
	s_andn2_saveexec_b32 s0, s0
	s_cbranch_execz .LBB9_373
; %bb.351:
	s_mov_b32 s0, exec_lo
	v_cmpx_lt_i64_e32 3, v[0:1]
	s_xor_b32 s0, exec_lo, s0
	s_cbranch_execz .LBB9_361
; %bb.352:
	s_mov_b32 s1, exec_lo
	v_cmpx_lt_i64_e32 4, v[0:1]
	s_xor_b32 s1, exec_lo, s1
	;; [unrolled: 5-line block ×3, first 2 shown]
	s_cbranch_execz .LBB9_355
; %bb.354:
	v_mov_b32_e32 v0, 0
                                        ; implicit-def: $vgpr14_vgpr15_vgpr16_vgpr17
	s_waitcnt lgkmcnt(3)
	global_store_dwordx2 v0, v[2:3], s[26:27]
.LBB9_355:
	s_andn2_saveexec_b32 s2, s2
	s_cbranch_execz .LBB9_357
; %bb.356:
	v_mov_b32_e32 v0, 0
	s_waitcnt lgkmcnt(4)
	global_store_dwordx2 v0, v[16:17], s[26:27]
.LBB9_357:
	s_or_b32 exec_lo, exec_lo, s2
                                        ; implicit-def: $vgpr14_vgpr15_vgpr16_vgpr17
.LBB9_358:
	s_andn2_saveexec_b32 s1, s1
	s_cbranch_execz .LBB9_360
; %bb.359:
	v_mov_b32_e32 v0, 0
	s_waitcnt lgkmcnt(4)
	global_store_dwordx2 v0, v[14:15], s[26:27]
.LBB9_360:
	s_or_b32 exec_lo, exec_lo, s1
                                        ; implicit-def: $vgpr0_vgpr1
                                        ; implicit-def: $vgpr6_vgpr7_vgpr8_vgpr9
                                        ; implicit-def: $vgpr10_vgpr11_vgpr12_vgpr13
.LBB9_361:
	s_andn2_saveexec_b32 s0, s0
	s_cbranch_execz .LBB9_373
; %bb.362:
	s_mov_b32 s0, exec_lo
	v_cmpx_lt_i64_e32 1, v[0:1]
	s_xor_b32 s0, exec_lo, s0
	s_cbranch_execz .LBB9_368
; %bb.363:
	s_mov_b32 s1, exec_lo
	v_cmpx_lt_i64_e32 2, v[0:1]
	s_xor_b32 s1, exec_lo, s1
	s_cbranch_execz .LBB9_365
; %bb.364:
	v_mov_b32_e32 v0, 0
	s_waitcnt lgkmcnt(5)
	global_store_dwordx2 v0, v[12:13], s[26:27]
                                        ; implicit-def: $vgpr10_vgpr11_vgpr12_vgpr13
.LBB9_365:
	s_andn2_saveexec_b32 s1, s1
	s_cbranch_execz .LBB9_367
; %bb.366:
	v_mov_b32_e32 v0, 0
	s_waitcnt lgkmcnt(5)
	global_store_dwordx2 v0, v[10:11], s[26:27]
.LBB9_367:
	s_or_b32 exec_lo, exec_lo, s1
                                        ; implicit-def: $vgpr6_vgpr7_vgpr8_vgpr9
                                        ; implicit-def: $vgpr0_vgpr1
.LBB9_368:
	s_andn2_saveexec_b32 s0, s0
	s_cbranch_execz .LBB9_373
; %bb.369:
	s_mov_b32 s0, exec_lo
	v_cmpx_ne_u64_e32 1, v[0:1]
	s_xor_b32 s0, exec_lo, s0
	s_cbranch_execz .LBB9_371
; %bb.370:
	v_mov_b32_e32 v0, 0
	s_waitcnt lgkmcnt(6)
	global_store_dwordx2 v0, v[6:7], s[26:27]
                                        ; implicit-def: $vgpr6_vgpr7_vgpr8_vgpr9
.LBB9_371:
	s_andn2_saveexec_b32 s0, s0
	s_cbranch_execz .LBB9_373
; %bb.372:
	v_mov_b32_e32 v0, 0
	s_waitcnt lgkmcnt(6)
	global_store_dwordx2 v0, v[8:9], s[26:27]
.LBB9_373:
	s_endpgm
	.section	.rodata,"a",@progbits
	.p2align	6, 0x0
	.amdhsa_kernel _ZN7rocprim17ROCPRIM_400000_NS6detail17trampoline_kernelINS0_14default_configENS1_20scan_config_selectorIdEEZZNS1_9scan_implILNS1_25lookback_scan_determinismE0ELb0ELb0ES3_PKdPddZZZN2at6native31launch_logcumsumexp_cuda_kernelERKNSB_10TensorBaseESF_lENKUlvE_clEvENKUlvE_clEvEUlddE_dEEDaPvRmT3_T4_T5_mT6_P12ihipStream_tbENKUlT_T0_E_clISt17integral_constantIbLb0EESW_EEDaSR_SS_EUlSR_E_NS1_11comp_targetILNS1_3genE8ELNS1_11target_archE1030ELNS1_3gpuE2ELNS1_3repE0EEENS1_30default_config_static_selectorELNS0_4arch9wavefront6targetE0EEEvT1_
		.amdhsa_group_segment_fixed_size 14336
		.amdhsa_private_segment_fixed_size 0
		.amdhsa_kernarg_size 104
		.amdhsa_user_sgpr_count 6
		.amdhsa_user_sgpr_private_segment_buffer 1
		.amdhsa_user_sgpr_dispatch_ptr 0
		.amdhsa_user_sgpr_queue_ptr 0
		.amdhsa_user_sgpr_kernarg_segment_ptr 1
		.amdhsa_user_sgpr_dispatch_id 0
		.amdhsa_user_sgpr_flat_scratch_init 0
		.amdhsa_user_sgpr_private_segment_size 0
		.amdhsa_wavefront_size32 1
		.amdhsa_uses_dynamic_stack 0
		.amdhsa_system_sgpr_private_segment_wavefront_offset 0
		.amdhsa_system_sgpr_workgroup_id_x 1
		.amdhsa_system_sgpr_workgroup_id_y 0
		.amdhsa_system_sgpr_workgroup_id_z 0
		.amdhsa_system_sgpr_workgroup_info 0
		.amdhsa_system_vgpr_workitem_id 0
		.amdhsa_next_free_vgpr 110
		.amdhsa_next_free_sgpr 87
		.amdhsa_reserve_vcc 1
		.amdhsa_reserve_flat_scratch 0
		.amdhsa_float_round_mode_32 0
		.amdhsa_float_round_mode_16_64 0
		.amdhsa_float_denorm_mode_32 3
		.amdhsa_float_denorm_mode_16_64 3
		.amdhsa_dx10_clamp 1
		.amdhsa_ieee_mode 1
		.amdhsa_fp16_overflow 0
		.amdhsa_workgroup_processor_mode 1
		.amdhsa_memory_ordered 1
		.amdhsa_forward_progress 1
		.amdhsa_shared_vgpr_count 0
		.amdhsa_exception_fp_ieee_invalid_op 0
		.amdhsa_exception_fp_denorm_src 0
		.amdhsa_exception_fp_ieee_div_zero 0
		.amdhsa_exception_fp_ieee_overflow 0
		.amdhsa_exception_fp_ieee_underflow 0
		.amdhsa_exception_fp_ieee_inexact 0
		.amdhsa_exception_int_div_zero 0
	.end_amdhsa_kernel
	.section	.text._ZN7rocprim17ROCPRIM_400000_NS6detail17trampoline_kernelINS0_14default_configENS1_20scan_config_selectorIdEEZZNS1_9scan_implILNS1_25lookback_scan_determinismE0ELb0ELb0ES3_PKdPddZZZN2at6native31launch_logcumsumexp_cuda_kernelERKNSB_10TensorBaseESF_lENKUlvE_clEvENKUlvE_clEvEUlddE_dEEDaPvRmT3_T4_T5_mT6_P12ihipStream_tbENKUlT_T0_E_clISt17integral_constantIbLb0EESW_EEDaSR_SS_EUlSR_E_NS1_11comp_targetILNS1_3genE8ELNS1_11target_archE1030ELNS1_3gpuE2ELNS1_3repE0EEENS1_30default_config_static_selectorELNS0_4arch9wavefront6targetE0EEEvT1_,"axG",@progbits,_ZN7rocprim17ROCPRIM_400000_NS6detail17trampoline_kernelINS0_14default_configENS1_20scan_config_selectorIdEEZZNS1_9scan_implILNS1_25lookback_scan_determinismE0ELb0ELb0ES3_PKdPddZZZN2at6native31launch_logcumsumexp_cuda_kernelERKNSB_10TensorBaseESF_lENKUlvE_clEvENKUlvE_clEvEUlddE_dEEDaPvRmT3_T4_T5_mT6_P12ihipStream_tbENKUlT_T0_E_clISt17integral_constantIbLb0EESW_EEDaSR_SS_EUlSR_E_NS1_11comp_targetILNS1_3genE8ELNS1_11target_archE1030ELNS1_3gpuE2ELNS1_3repE0EEENS1_30default_config_static_selectorELNS0_4arch9wavefront6targetE0EEEvT1_,comdat
.Lfunc_end9:
	.size	_ZN7rocprim17ROCPRIM_400000_NS6detail17trampoline_kernelINS0_14default_configENS1_20scan_config_selectorIdEEZZNS1_9scan_implILNS1_25lookback_scan_determinismE0ELb0ELb0ES3_PKdPddZZZN2at6native31launch_logcumsumexp_cuda_kernelERKNSB_10TensorBaseESF_lENKUlvE_clEvENKUlvE_clEvEUlddE_dEEDaPvRmT3_T4_T5_mT6_P12ihipStream_tbENKUlT_T0_E_clISt17integral_constantIbLb0EESW_EEDaSR_SS_EUlSR_E_NS1_11comp_targetILNS1_3genE8ELNS1_11target_archE1030ELNS1_3gpuE2ELNS1_3repE0EEENS1_30default_config_static_selectorELNS0_4arch9wavefront6targetE0EEEvT1_, .Lfunc_end9-_ZN7rocprim17ROCPRIM_400000_NS6detail17trampoline_kernelINS0_14default_configENS1_20scan_config_selectorIdEEZZNS1_9scan_implILNS1_25lookback_scan_determinismE0ELb0ELb0ES3_PKdPddZZZN2at6native31launch_logcumsumexp_cuda_kernelERKNSB_10TensorBaseESF_lENKUlvE_clEvENKUlvE_clEvEUlddE_dEEDaPvRmT3_T4_T5_mT6_P12ihipStream_tbENKUlT_T0_E_clISt17integral_constantIbLb0EESW_EEDaSR_SS_EUlSR_E_NS1_11comp_targetILNS1_3genE8ELNS1_11target_archE1030ELNS1_3gpuE2ELNS1_3repE0EEENS1_30default_config_static_selectorELNS0_4arch9wavefront6targetE0EEEvT1_
                                        ; -- End function
	.set _ZN7rocprim17ROCPRIM_400000_NS6detail17trampoline_kernelINS0_14default_configENS1_20scan_config_selectorIdEEZZNS1_9scan_implILNS1_25lookback_scan_determinismE0ELb0ELb0ES3_PKdPddZZZN2at6native31launch_logcumsumexp_cuda_kernelERKNSB_10TensorBaseESF_lENKUlvE_clEvENKUlvE_clEvEUlddE_dEEDaPvRmT3_T4_T5_mT6_P12ihipStream_tbENKUlT_T0_E_clISt17integral_constantIbLb0EESW_EEDaSR_SS_EUlSR_E_NS1_11comp_targetILNS1_3genE8ELNS1_11target_archE1030ELNS1_3gpuE2ELNS1_3repE0EEENS1_30default_config_static_selectorELNS0_4arch9wavefront6targetE0EEEvT1_.num_vgpr, 110
	.set _ZN7rocprim17ROCPRIM_400000_NS6detail17trampoline_kernelINS0_14default_configENS1_20scan_config_selectorIdEEZZNS1_9scan_implILNS1_25lookback_scan_determinismE0ELb0ELb0ES3_PKdPddZZZN2at6native31launch_logcumsumexp_cuda_kernelERKNSB_10TensorBaseESF_lENKUlvE_clEvENKUlvE_clEvEUlddE_dEEDaPvRmT3_T4_T5_mT6_P12ihipStream_tbENKUlT_T0_E_clISt17integral_constantIbLb0EESW_EEDaSR_SS_EUlSR_E_NS1_11comp_targetILNS1_3genE8ELNS1_11target_archE1030ELNS1_3gpuE2ELNS1_3repE0EEENS1_30default_config_static_selectorELNS0_4arch9wavefront6targetE0EEEvT1_.num_agpr, 0
	.set _ZN7rocprim17ROCPRIM_400000_NS6detail17trampoline_kernelINS0_14default_configENS1_20scan_config_selectorIdEEZZNS1_9scan_implILNS1_25lookback_scan_determinismE0ELb0ELb0ES3_PKdPddZZZN2at6native31launch_logcumsumexp_cuda_kernelERKNSB_10TensorBaseESF_lENKUlvE_clEvENKUlvE_clEvEUlddE_dEEDaPvRmT3_T4_T5_mT6_P12ihipStream_tbENKUlT_T0_E_clISt17integral_constantIbLb0EESW_EEDaSR_SS_EUlSR_E_NS1_11comp_targetILNS1_3genE8ELNS1_11target_archE1030ELNS1_3gpuE2ELNS1_3repE0EEENS1_30default_config_static_selectorELNS0_4arch9wavefront6targetE0EEEvT1_.numbered_sgpr, 87
	.set _ZN7rocprim17ROCPRIM_400000_NS6detail17trampoline_kernelINS0_14default_configENS1_20scan_config_selectorIdEEZZNS1_9scan_implILNS1_25lookback_scan_determinismE0ELb0ELb0ES3_PKdPddZZZN2at6native31launch_logcumsumexp_cuda_kernelERKNSB_10TensorBaseESF_lENKUlvE_clEvENKUlvE_clEvEUlddE_dEEDaPvRmT3_T4_T5_mT6_P12ihipStream_tbENKUlT_T0_E_clISt17integral_constantIbLb0EESW_EEDaSR_SS_EUlSR_E_NS1_11comp_targetILNS1_3genE8ELNS1_11target_archE1030ELNS1_3gpuE2ELNS1_3repE0EEENS1_30default_config_static_selectorELNS0_4arch9wavefront6targetE0EEEvT1_.num_named_barrier, 0
	.set _ZN7rocprim17ROCPRIM_400000_NS6detail17trampoline_kernelINS0_14default_configENS1_20scan_config_selectorIdEEZZNS1_9scan_implILNS1_25lookback_scan_determinismE0ELb0ELb0ES3_PKdPddZZZN2at6native31launch_logcumsumexp_cuda_kernelERKNSB_10TensorBaseESF_lENKUlvE_clEvENKUlvE_clEvEUlddE_dEEDaPvRmT3_T4_T5_mT6_P12ihipStream_tbENKUlT_T0_E_clISt17integral_constantIbLb0EESW_EEDaSR_SS_EUlSR_E_NS1_11comp_targetILNS1_3genE8ELNS1_11target_archE1030ELNS1_3gpuE2ELNS1_3repE0EEENS1_30default_config_static_selectorELNS0_4arch9wavefront6targetE0EEEvT1_.private_seg_size, 0
	.set _ZN7rocprim17ROCPRIM_400000_NS6detail17trampoline_kernelINS0_14default_configENS1_20scan_config_selectorIdEEZZNS1_9scan_implILNS1_25lookback_scan_determinismE0ELb0ELb0ES3_PKdPddZZZN2at6native31launch_logcumsumexp_cuda_kernelERKNSB_10TensorBaseESF_lENKUlvE_clEvENKUlvE_clEvEUlddE_dEEDaPvRmT3_T4_T5_mT6_P12ihipStream_tbENKUlT_T0_E_clISt17integral_constantIbLb0EESW_EEDaSR_SS_EUlSR_E_NS1_11comp_targetILNS1_3genE8ELNS1_11target_archE1030ELNS1_3gpuE2ELNS1_3repE0EEENS1_30default_config_static_selectorELNS0_4arch9wavefront6targetE0EEEvT1_.uses_vcc, 1
	.set _ZN7rocprim17ROCPRIM_400000_NS6detail17trampoline_kernelINS0_14default_configENS1_20scan_config_selectorIdEEZZNS1_9scan_implILNS1_25lookback_scan_determinismE0ELb0ELb0ES3_PKdPddZZZN2at6native31launch_logcumsumexp_cuda_kernelERKNSB_10TensorBaseESF_lENKUlvE_clEvENKUlvE_clEvEUlddE_dEEDaPvRmT3_T4_T5_mT6_P12ihipStream_tbENKUlT_T0_E_clISt17integral_constantIbLb0EESW_EEDaSR_SS_EUlSR_E_NS1_11comp_targetILNS1_3genE8ELNS1_11target_archE1030ELNS1_3gpuE2ELNS1_3repE0EEENS1_30default_config_static_selectorELNS0_4arch9wavefront6targetE0EEEvT1_.uses_flat_scratch, 0
	.set _ZN7rocprim17ROCPRIM_400000_NS6detail17trampoline_kernelINS0_14default_configENS1_20scan_config_selectorIdEEZZNS1_9scan_implILNS1_25lookback_scan_determinismE0ELb0ELb0ES3_PKdPddZZZN2at6native31launch_logcumsumexp_cuda_kernelERKNSB_10TensorBaseESF_lENKUlvE_clEvENKUlvE_clEvEUlddE_dEEDaPvRmT3_T4_T5_mT6_P12ihipStream_tbENKUlT_T0_E_clISt17integral_constantIbLb0EESW_EEDaSR_SS_EUlSR_E_NS1_11comp_targetILNS1_3genE8ELNS1_11target_archE1030ELNS1_3gpuE2ELNS1_3repE0EEENS1_30default_config_static_selectorELNS0_4arch9wavefront6targetE0EEEvT1_.has_dyn_sized_stack, 0
	.set _ZN7rocprim17ROCPRIM_400000_NS6detail17trampoline_kernelINS0_14default_configENS1_20scan_config_selectorIdEEZZNS1_9scan_implILNS1_25lookback_scan_determinismE0ELb0ELb0ES3_PKdPddZZZN2at6native31launch_logcumsumexp_cuda_kernelERKNSB_10TensorBaseESF_lENKUlvE_clEvENKUlvE_clEvEUlddE_dEEDaPvRmT3_T4_T5_mT6_P12ihipStream_tbENKUlT_T0_E_clISt17integral_constantIbLb0EESW_EEDaSR_SS_EUlSR_E_NS1_11comp_targetILNS1_3genE8ELNS1_11target_archE1030ELNS1_3gpuE2ELNS1_3repE0EEENS1_30default_config_static_selectorELNS0_4arch9wavefront6targetE0EEEvT1_.has_recursion, 0
	.set _ZN7rocprim17ROCPRIM_400000_NS6detail17trampoline_kernelINS0_14default_configENS1_20scan_config_selectorIdEEZZNS1_9scan_implILNS1_25lookback_scan_determinismE0ELb0ELb0ES3_PKdPddZZZN2at6native31launch_logcumsumexp_cuda_kernelERKNSB_10TensorBaseESF_lENKUlvE_clEvENKUlvE_clEvEUlddE_dEEDaPvRmT3_T4_T5_mT6_P12ihipStream_tbENKUlT_T0_E_clISt17integral_constantIbLb0EESW_EEDaSR_SS_EUlSR_E_NS1_11comp_targetILNS1_3genE8ELNS1_11target_archE1030ELNS1_3gpuE2ELNS1_3repE0EEENS1_30default_config_static_selectorELNS0_4arch9wavefront6targetE0EEEvT1_.has_indirect_call, 0
	.section	.AMDGPU.csdata,"",@progbits
; Kernel info:
; codeLenInByte = 139288
; TotalNumSgprs: 89
; NumVgprs: 110
; ScratchSize: 0
; MemoryBound: 0
; FloatMode: 240
; IeeeMode: 1
; LDSByteSize: 14336 bytes/workgroup (compile time only)
; SGPRBlocks: 0
; VGPRBlocks: 13
; NumSGPRsForWavesPerEU: 89
; NumVGPRsForWavesPerEU: 110
; Occupancy: 9
; WaveLimiterHint : 1
; COMPUTE_PGM_RSRC2:SCRATCH_EN: 0
; COMPUTE_PGM_RSRC2:USER_SGPR: 6
; COMPUTE_PGM_RSRC2:TRAP_HANDLER: 0
; COMPUTE_PGM_RSRC2:TGID_X_EN: 1
; COMPUTE_PGM_RSRC2:TGID_Y_EN: 0
; COMPUTE_PGM_RSRC2:TGID_Z_EN: 0
; COMPUTE_PGM_RSRC2:TIDIG_COMP_CNT: 0
	.section	.text._ZN7rocprim17ROCPRIM_400000_NS6detail17trampoline_kernelINS0_14default_configENS1_25transform_config_selectorIdLb1EEEZNS1_14transform_implILb1ES3_S5_PdS7_NS0_8identityIdEEEE10hipError_tT2_T3_mT4_P12ihipStream_tbEUlT_E_NS1_11comp_targetILNS1_3genE0ELNS1_11target_archE4294967295ELNS1_3gpuE0ELNS1_3repE0EEENS1_30default_config_static_selectorELNS0_4arch9wavefront6targetE0EEEvT1_,"axG",@progbits,_ZN7rocprim17ROCPRIM_400000_NS6detail17trampoline_kernelINS0_14default_configENS1_25transform_config_selectorIdLb1EEEZNS1_14transform_implILb1ES3_S5_PdS7_NS0_8identityIdEEEE10hipError_tT2_T3_mT4_P12ihipStream_tbEUlT_E_NS1_11comp_targetILNS1_3genE0ELNS1_11target_archE4294967295ELNS1_3gpuE0ELNS1_3repE0EEENS1_30default_config_static_selectorELNS0_4arch9wavefront6targetE0EEEvT1_,comdat
	.protected	_ZN7rocprim17ROCPRIM_400000_NS6detail17trampoline_kernelINS0_14default_configENS1_25transform_config_selectorIdLb1EEEZNS1_14transform_implILb1ES3_S5_PdS7_NS0_8identityIdEEEE10hipError_tT2_T3_mT4_P12ihipStream_tbEUlT_E_NS1_11comp_targetILNS1_3genE0ELNS1_11target_archE4294967295ELNS1_3gpuE0ELNS1_3repE0EEENS1_30default_config_static_selectorELNS0_4arch9wavefront6targetE0EEEvT1_ ; -- Begin function _ZN7rocprim17ROCPRIM_400000_NS6detail17trampoline_kernelINS0_14default_configENS1_25transform_config_selectorIdLb1EEEZNS1_14transform_implILb1ES3_S5_PdS7_NS0_8identityIdEEEE10hipError_tT2_T3_mT4_P12ihipStream_tbEUlT_E_NS1_11comp_targetILNS1_3genE0ELNS1_11target_archE4294967295ELNS1_3gpuE0ELNS1_3repE0EEENS1_30default_config_static_selectorELNS0_4arch9wavefront6targetE0EEEvT1_
	.globl	_ZN7rocprim17ROCPRIM_400000_NS6detail17trampoline_kernelINS0_14default_configENS1_25transform_config_selectorIdLb1EEEZNS1_14transform_implILb1ES3_S5_PdS7_NS0_8identityIdEEEE10hipError_tT2_T3_mT4_P12ihipStream_tbEUlT_E_NS1_11comp_targetILNS1_3genE0ELNS1_11target_archE4294967295ELNS1_3gpuE0ELNS1_3repE0EEENS1_30default_config_static_selectorELNS0_4arch9wavefront6targetE0EEEvT1_
	.p2align	8
	.type	_ZN7rocprim17ROCPRIM_400000_NS6detail17trampoline_kernelINS0_14default_configENS1_25transform_config_selectorIdLb1EEEZNS1_14transform_implILb1ES3_S5_PdS7_NS0_8identityIdEEEE10hipError_tT2_T3_mT4_P12ihipStream_tbEUlT_E_NS1_11comp_targetILNS1_3genE0ELNS1_11target_archE4294967295ELNS1_3gpuE0ELNS1_3repE0EEENS1_30default_config_static_selectorELNS0_4arch9wavefront6targetE0EEEvT1_,@function
_ZN7rocprim17ROCPRIM_400000_NS6detail17trampoline_kernelINS0_14default_configENS1_25transform_config_selectorIdLb1EEEZNS1_14transform_implILb1ES3_S5_PdS7_NS0_8identityIdEEEE10hipError_tT2_T3_mT4_P12ihipStream_tbEUlT_E_NS1_11comp_targetILNS1_3genE0ELNS1_11target_archE4294967295ELNS1_3gpuE0ELNS1_3repE0EEENS1_30default_config_static_selectorELNS0_4arch9wavefront6targetE0EEEvT1_: ; @_ZN7rocprim17ROCPRIM_400000_NS6detail17trampoline_kernelINS0_14default_configENS1_25transform_config_selectorIdLb1EEEZNS1_14transform_implILb1ES3_S5_PdS7_NS0_8identityIdEEEE10hipError_tT2_T3_mT4_P12ihipStream_tbEUlT_E_NS1_11comp_targetILNS1_3genE0ELNS1_11target_archE4294967295ELNS1_3gpuE0ELNS1_3repE0EEENS1_30default_config_static_selectorELNS0_4arch9wavefront6targetE0EEEvT1_
; %bb.0:
	.section	.rodata,"a",@progbits
	.p2align	6, 0x0
	.amdhsa_kernel _ZN7rocprim17ROCPRIM_400000_NS6detail17trampoline_kernelINS0_14default_configENS1_25transform_config_selectorIdLb1EEEZNS1_14transform_implILb1ES3_S5_PdS7_NS0_8identityIdEEEE10hipError_tT2_T3_mT4_P12ihipStream_tbEUlT_E_NS1_11comp_targetILNS1_3genE0ELNS1_11target_archE4294967295ELNS1_3gpuE0ELNS1_3repE0EEENS1_30default_config_static_selectorELNS0_4arch9wavefront6targetE0EEEvT1_
		.amdhsa_group_segment_fixed_size 0
		.amdhsa_private_segment_fixed_size 0
		.amdhsa_kernarg_size 40
		.amdhsa_user_sgpr_count 6
		.amdhsa_user_sgpr_private_segment_buffer 1
		.amdhsa_user_sgpr_dispatch_ptr 0
		.amdhsa_user_sgpr_queue_ptr 0
		.amdhsa_user_sgpr_kernarg_segment_ptr 1
		.amdhsa_user_sgpr_dispatch_id 0
		.amdhsa_user_sgpr_flat_scratch_init 0
		.amdhsa_user_sgpr_private_segment_size 0
		.amdhsa_wavefront_size32 1
		.amdhsa_uses_dynamic_stack 0
		.amdhsa_system_sgpr_private_segment_wavefront_offset 0
		.amdhsa_system_sgpr_workgroup_id_x 1
		.amdhsa_system_sgpr_workgroup_id_y 0
		.amdhsa_system_sgpr_workgroup_id_z 0
		.amdhsa_system_sgpr_workgroup_info 0
		.amdhsa_system_vgpr_workitem_id 0
		.amdhsa_next_free_vgpr 1
		.amdhsa_next_free_sgpr 1
		.amdhsa_reserve_vcc 0
		.amdhsa_reserve_flat_scratch 0
		.amdhsa_float_round_mode_32 0
		.amdhsa_float_round_mode_16_64 0
		.amdhsa_float_denorm_mode_32 3
		.amdhsa_float_denorm_mode_16_64 3
		.amdhsa_dx10_clamp 1
		.amdhsa_ieee_mode 1
		.amdhsa_fp16_overflow 0
		.amdhsa_workgroup_processor_mode 1
		.amdhsa_memory_ordered 1
		.amdhsa_forward_progress 1
		.amdhsa_shared_vgpr_count 0
		.amdhsa_exception_fp_ieee_invalid_op 0
		.amdhsa_exception_fp_denorm_src 0
		.amdhsa_exception_fp_ieee_div_zero 0
		.amdhsa_exception_fp_ieee_overflow 0
		.amdhsa_exception_fp_ieee_underflow 0
		.amdhsa_exception_fp_ieee_inexact 0
		.amdhsa_exception_int_div_zero 0
	.end_amdhsa_kernel
	.section	.text._ZN7rocprim17ROCPRIM_400000_NS6detail17trampoline_kernelINS0_14default_configENS1_25transform_config_selectorIdLb1EEEZNS1_14transform_implILb1ES3_S5_PdS7_NS0_8identityIdEEEE10hipError_tT2_T3_mT4_P12ihipStream_tbEUlT_E_NS1_11comp_targetILNS1_3genE0ELNS1_11target_archE4294967295ELNS1_3gpuE0ELNS1_3repE0EEENS1_30default_config_static_selectorELNS0_4arch9wavefront6targetE0EEEvT1_,"axG",@progbits,_ZN7rocprim17ROCPRIM_400000_NS6detail17trampoline_kernelINS0_14default_configENS1_25transform_config_selectorIdLb1EEEZNS1_14transform_implILb1ES3_S5_PdS7_NS0_8identityIdEEEE10hipError_tT2_T3_mT4_P12ihipStream_tbEUlT_E_NS1_11comp_targetILNS1_3genE0ELNS1_11target_archE4294967295ELNS1_3gpuE0ELNS1_3repE0EEENS1_30default_config_static_selectorELNS0_4arch9wavefront6targetE0EEEvT1_,comdat
.Lfunc_end10:
	.size	_ZN7rocprim17ROCPRIM_400000_NS6detail17trampoline_kernelINS0_14default_configENS1_25transform_config_selectorIdLb1EEEZNS1_14transform_implILb1ES3_S5_PdS7_NS0_8identityIdEEEE10hipError_tT2_T3_mT4_P12ihipStream_tbEUlT_E_NS1_11comp_targetILNS1_3genE0ELNS1_11target_archE4294967295ELNS1_3gpuE0ELNS1_3repE0EEENS1_30default_config_static_selectorELNS0_4arch9wavefront6targetE0EEEvT1_, .Lfunc_end10-_ZN7rocprim17ROCPRIM_400000_NS6detail17trampoline_kernelINS0_14default_configENS1_25transform_config_selectorIdLb1EEEZNS1_14transform_implILb1ES3_S5_PdS7_NS0_8identityIdEEEE10hipError_tT2_T3_mT4_P12ihipStream_tbEUlT_E_NS1_11comp_targetILNS1_3genE0ELNS1_11target_archE4294967295ELNS1_3gpuE0ELNS1_3repE0EEENS1_30default_config_static_selectorELNS0_4arch9wavefront6targetE0EEEvT1_
                                        ; -- End function
	.set _ZN7rocprim17ROCPRIM_400000_NS6detail17trampoline_kernelINS0_14default_configENS1_25transform_config_selectorIdLb1EEEZNS1_14transform_implILb1ES3_S5_PdS7_NS0_8identityIdEEEE10hipError_tT2_T3_mT4_P12ihipStream_tbEUlT_E_NS1_11comp_targetILNS1_3genE0ELNS1_11target_archE4294967295ELNS1_3gpuE0ELNS1_3repE0EEENS1_30default_config_static_selectorELNS0_4arch9wavefront6targetE0EEEvT1_.num_vgpr, 0
	.set _ZN7rocprim17ROCPRIM_400000_NS6detail17trampoline_kernelINS0_14default_configENS1_25transform_config_selectorIdLb1EEEZNS1_14transform_implILb1ES3_S5_PdS7_NS0_8identityIdEEEE10hipError_tT2_T3_mT4_P12ihipStream_tbEUlT_E_NS1_11comp_targetILNS1_3genE0ELNS1_11target_archE4294967295ELNS1_3gpuE0ELNS1_3repE0EEENS1_30default_config_static_selectorELNS0_4arch9wavefront6targetE0EEEvT1_.num_agpr, 0
	.set _ZN7rocprim17ROCPRIM_400000_NS6detail17trampoline_kernelINS0_14default_configENS1_25transform_config_selectorIdLb1EEEZNS1_14transform_implILb1ES3_S5_PdS7_NS0_8identityIdEEEE10hipError_tT2_T3_mT4_P12ihipStream_tbEUlT_E_NS1_11comp_targetILNS1_3genE0ELNS1_11target_archE4294967295ELNS1_3gpuE0ELNS1_3repE0EEENS1_30default_config_static_selectorELNS0_4arch9wavefront6targetE0EEEvT1_.numbered_sgpr, 0
	.set _ZN7rocprim17ROCPRIM_400000_NS6detail17trampoline_kernelINS0_14default_configENS1_25transform_config_selectorIdLb1EEEZNS1_14transform_implILb1ES3_S5_PdS7_NS0_8identityIdEEEE10hipError_tT2_T3_mT4_P12ihipStream_tbEUlT_E_NS1_11comp_targetILNS1_3genE0ELNS1_11target_archE4294967295ELNS1_3gpuE0ELNS1_3repE0EEENS1_30default_config_static_selectorELNS0_4arch9wavefront6targetE0EEEvT1_.num_named_barrier, 0
	.set _ZN7rocprim17ROCPRIM_400000_NS6detail17trampoline_kernelINS0_14default_configENS1_25transform_config_selectorIdLb1EEEZNS1_14transform_implILb1ES3_S5_PdS7_NS0_8identityIdEEEE10hipError_tT2_T3_mT4_P12ihipStream_tbEUlT_E_NS1_11comp_targetILNS1_3genE0ELNS1_11target_archE4294967295ELNS1_3gpuE0ELNS1_3repE0EEENS1_30default_config_static_selectorELNS0_4arch9wavefront6targetE0EEEvT1_.private_seg_size, 0
	.set _ZN7rocprim17ROCPRIM_400000_NS6detail17trampoline_kernelINS0_14default_configENS1_25transform_config_selectorIdLb1EEEZNS1_14transform_implILb1ES3_S5_PdS7_NS0_8identityIdEEEE10hipError_tT2_T3_mT4_P12ihipStream_tbEUlT_E_NS1_11comp_targetILNS1_3genE0ELNS1_11target_archE4294967295ELNS1_3gpuE0ELNS1_3repE0EEENS1_30default_config_static_selectorELNS0_4arch9wavefront6targetE0EEEvT1_.uses_vcc, 0
	.set _ZN7rocprim17ROCPRIM_400000_NS6detail17trampoline_kernelINS0_14default_configENS1_25transform_config_selectorIdLb1EEEZNS1_14transform_implILb1ES3_S5_PdS7_NS0_8identityIdEEEE10hipError_tT2_T3_mT4_P12ihipStream_tbEUlT_E_NS1_11comp_targetILNS1_3genE0ELNS1_11target_archE4294967295ELNS1_3gpuE0ELNS1_3repE0EEENS1_30default_config_static_selectorELNS0_4arch9wavefront6targetE0EEEvT1_.uses_flat_scratch, 0
	.set _ZN7rocprim17ROCPRIM_400000_NS6detail17trampoline_kernelINS0_14default_configENS1_25transform_config_selectorIdLb1EEEZNS1_14transform_implILb1ES3_S5_PdS7_NS0_8identityIdEEEE10hipError_tT2_T3_mT4_P12ihipStream_tbEUlT_E_NS1_11comp_targetILNS1_3genE0ELNS1_11target_archE4294967295ELNS1_3gpuE0ELNS1_3repE0EEENS1_30default_config_static_selectorELNS0_4arch9wavefront6targetE0EEEvT1_.has_dyn_sized_stack, 0
	.set _ZN7rocprim17ROCPRIM_400000_NS6detail17trampoline_kernelINS0_14default_configENS1_25transform_config_selectorIdLb1EEEZNS1_14transform_implILb1ES3_S5_PdS7_NS0_8identityIdEEEE10hipError_tT2_T3_mT4_P12ihipStream_tbEUlT_E_NS1_11comp_targetILNS1_3genE0ELNS1_11target_archE4294967295ELNS1_3gpuE0ELNS1_3repE0EEENS1_30default_config_static_selectorELNS0_4arch9wavefront6targetE0EEEvT1_.has_recursion, 0
	.set _ZN7rocprim17ROCPRIM_400000_NS6detail17trampoline_kernelINS0_14default_configENS1_25transform_config_selectorIdLb1EEEZNS1_14transform_implILb1ES3_S5_PdS7_NS0_8identityIdEEEE10hipError_tT2_T3_mT4_P12ihipStream_tbEUlT_E_NS1_11comp_targetILNS1_3genE0ELNS1_11target_archE4294967295ELNS1_3gpuE0ELNS1_3repE0EEENS1_30default_config_static_selectorELNS0_4arch9wavefront6targetE0EEEvT1_.has_indirect_call, 0
	.section	.AMDGPU.csdata,"",@progbits
; Kernel info:
; codeLenInByte = 0
; TotalNumSgprs: 0
; NumVgprs: 0
; ScratchSize: 0
; MemoryBound: 0
; FloatMode: 240
; IeeeMode: 1
; LDSByteSize: 0 bytes/workgroup (compile time only)
; SGPRBlocks: 0
; VGPRBlocks: 0
; NumSGPRsForWavesPerEU: 1
; NumVGPRsForWavesPerEU: 1
; Occupancy: 16
; WaveLimiterHint : 0
; COMPUTE_PGM_RSRC2:SCRATCH_EN: 0
; COMPUTE_PGM_RSRC2:USER_SGPR: 6
; COMPUTE_PGM_RSRC2:TRAP_HANDLER: 0
; COMPUTE_PGM_RSRC2:TGID_X_EN: 1
; COMPUTE_PGM_RSRC2:TGID_Y_EN: 0
; COMPUTE_PGM_RSRC2:TGID_Z_EN: 0
; COMPUTE_PGM_RSRC2:TIDIG_COMP_CNT: 0
	.section	.text._ZN7rocprim17ROCPRIM_400000_NS6detail17trampoline_kernelINS0_14default_configENS1_25transform_config_selectorIdLb1EEEZNS1_14transform_implILb1ES3_S5_PdS7_NS0_8identityIdEEEE10hipError_tT2_T3_mT4_P12ihipStream_tbEUlT_E_NS1_11comp_targetILNS1_3genE10ELNS1_11target_archE1201ELNS1_3gpuE5ELNS1_3repE0EEENS1_30default_config_static_selectorELNS0_4arch9wavefront6targetE0EEEvT1_,"axG",@progbits,_ZN7rocprim17ROCPRIM_400000_NS6detail17trampoline_kernelINS0_14default_configENS1_25transform_config_selectorIdLb1EEEZNS1_14transform_implILb1ES3_S5_PdS7_NS0_8identityIdEEEE10hipError_tT2_T3_mT4_P12ihipStream_tbEUlT_E_NS1_11comp_targetILNS1_3genE10ELNS1_11target_archE1201ELNS1_3gpuE5ELNS1_3repE0EEENS1_30default_config_static_selectorELNS0_4arch9wavefront6targetE0EEEvT1_,comdat
	.protected	_ZN7rocprim17ROCPRIM_400000_NS6detail17trampoline_kernelINS0_14default_configENS1_25transform_config_selectorIdLb1EEEZNS1_14transform_implILb1ES3_S5_PdS7_NS0_8identityIdEEEE10hipError_tT2_T3_mT4_P12ihipStream_tbEUlT_E_NS1_11comp_targetILNS1_3genE10ELNS1_11target_archE1201ELNS1_3gpuE5ELNS1_3repE0EEENS1_30default_config_static_selectorELNS0_4arch9wavefront6targetE0EEEvT1_ ; -- Begin function _ZN7rocprim17ROCPRIM_400000_NS6detail17trampoline_kernelINS0_14default_configENS1_25transform_config_selectorIdLb1EEEZNS1_14transform_implILb1ES3_S5_PdS7_NS0_8identityIdEEEE10hipError_tT2_T3_mT4_P12ihipStream_tbEUlT_E_NS1_11comp_targetILNS1_3genE10ELNS1_11target_archE1201ELNS1_3gpuE5ELNS1_3repE0EEENS1_30default_config_static_selectorELNS0_4arch9wavefront6targetE0EEEvT1_
	.globl	_ZN7rocprim17ROCPRIM_400000_NS6detail17trampoline_kernelINS0_14default_configENS1_25transform_config_selectorIdLb1EEEZNS1_14transform_implILb1ES3_S5_PdS7_NS0_8identityIdEEEE10hipError_tT2_T3_mT4_P12ihipStream_tbEUlT_E_NS1_11comp_targetILNS1_3genE10ELNS1_11target_archE1201ELNS1_3gpuE5ELNS1_3repE0EEENS1_30default_config_static_selectorELNS0_4arch9wavefront6targetE0EEEvT1_
	.p2align	8
	.type	_ZN7rocprim17ROCPRIM_400000_NS6detail17trampoline_kernelINS0_14default_configENS1_25transform_config_selectorIdLb1EEEZNS1_14transform_implILb1ES3_S5_PdS7_NS0_8identityIdEEEE10hipError_tT2_T3_mT4_P12ihipStream_tbEUlT_E_NS1_11comp_targetILNS1_3genE10ELNS1_11target_archE1201ELNS1_3gpuE5ELNS1_3repE0EEENS1_30default_config_static_selectorELNS0_4arch9wavefront6targetE0EEEvT1_,@function
_ZN7rocprim17ROCPRIM_400000_NS6detail17trampoline_kernelINS0_14default_configENS1_25transform_config_selectorIdLb1EEEZNS1_14transform_implILb1ES3_S5_PdS7_NS0_8identityIdEEEE10hipError_tT2_T3_mT4_P12ihipStream_tbEUlT_E_NS1_11comp_targetILNS1_3genE10ELNS1_11target_archE1201ELNS1_3gpuE5ELNS1_3repE0EEENS1_30default_config_static_selectorELNS0_4arch9wavefront6targetE0EEEvT1_: ; @_ZN7rocprim17ROCPRIM_400000_NS6detail17trampoline_kernelINS0_14default_configENS1_25transform_config_selectorIdLb1EEEZNS1_14transform_implILb1ES3_S5_PdS7_NS0_8identityIdEEEE10hipError_tT2_T3_mT4_P12ihipStream_tbEUlT_E_NS1_11comp_targetILNS1_3genE10ELNS1_11target_archE1201ELNS1_3gpuE5ELNS1_3repE0EEENS1_30default_config_static_selectorELNS0_4arch9wavefront6targetE0EEEvT1_
; %bb.0:
	.section	.rodata,"a",@progbits
	.p2align	6, 0x0
	.amdhsa_kernel _ZN7rocprim17ROCPRIM_400000_NS6detail17trampoline_kernelINS0_14default_configENS1_25transform_config_selectorIdLb1EEEZNS1_14transform_implILb1ES3_S5_PdS7_NS0_8identityIdEEEE10hipError_tT2_T3_mT4_P12ihipStream_tbEUlT_E_NS1_11comp_targetILNS1_3genE10ELNS1_11target_archE1201ELNS1_3gpuE5ELNS1_3repE0EEENS1_30default_config_static_selectorELNS0_4arch9wavefront6targetE0EEEvT1_
		.amdhsa_group_segment_fixed_size 0
		.amdhsa_private_segment_fixed_size 0
		.amdhsa_kernarg_size 40
		.amdhsa_user_sgpr_count 6
		.amdhsa_user_sgpr_private_segment_buffer 1
		.amdhsa_user_sgpr_dispatch_ptr 0
		.amdhsa_user_sgpr_queue_ptr 0
		.amdhsa_user_sgpr_kernarg_segment_ptr 1
		.amdhsa_user_sgpr_dispatch_id 0
		.amdhsa_user_sgpr_flat_scratch_init 0
		.amdhsa_user_sgpr_private_segment_size 0
		.amdhsa_wavefront_size32 1
		.amdhsa_uses_dynamic_stack 0
		.amdhsa_system_sgpr_private_segment_wavefront_offset 0
		.amdhsa_system_sgpr_workgroup_id_x 1
		.amdhsa_system_sgpr_workgroup_id_y 0
		.amdhsa_system_sgpr_workgroup_id_z 0
		.amdhsa_system_sgpr_workgroup_info 0
		.amdhsa_system_vgpr_workitem_id 0
		.amdhsa_next_free_vgpr 1
		.amdhsa_next_free_sgpr 1
		.amdhsa_reserve_vcc 0
		.amdhsa_reserve_flat_scratch 0
		.amdhsa_float_round_mode_32 0
		.amdhsa_float_round_mode_16_64 0
		.amdhsa_float_denorm_mode_32 3
		.amdhsa_float_denorm_mode_16_64 3
		.amdhsa_dx10_clamp 1
		.amdhsa_ieee_mode 1
		.amdhsa_fp16_overflow 0
		.amdhsa_workgroup_processor_mode 1
		.amdhsa_memory_ordered 1
		.amdhsa_forward_progress 1
		.amdhsa_shared_vgpr_count 0
		.amdhsa_exception_fp_ieee_invalid_op 0
		.amdhsa_exception_fp_denorm_src 0
		.amdhsa_exception_fp_ieee_div_zero 0
		.amdhsa_exception_fp_ieee_overflow 0
		.amdhsa_exception_fp_ieee_underflow 0
		.amdhsa_exception_fp_ieee_inexact 0
		.amdhsa_exception_int_div_zero 0
	.end_amdhsa_kernel
	.section	.text._ZN7rocprim17ROCPRIM_400000_NS6detail17trampoline_kernelINS0_14default_configENS1_25transform_config_selectorIdLb1EEEZNS1_14transform_implILb1ES3_S5_PdS7_NS0_8identityIdEEEE10hipError_tT2_T3_mT4_P12ihipStream_tbEUlT_E_NS1_11comp_targetILNS1_3genE10ELNS1_11target_archE1201ELNS1_3gpuE5ELNS1_3repE0EEENS1_30default_config_static_selectorELNS0_4arch9wavefront6targetE0EEEvT1_,"axG",@progbits,_ZN7rocprim17ROCPRIM_400000_NS6detail17trampoline_kernelINS0_14default_configENS1_25transform_config_selectorIdLb1EEEZNS1_14transform_implILb1ES3_S5_PdS7_NS0_8identityIdEEEE10hipError_tT2_T3_mT4_P12ihipStream_tbEUlT_E_NS1_11comp_targetILNS1_3genE10ELNS1_11target_archE1201ELNS1_3gpuE5ELNS1_3repE0EEENS1_30default_config_static_selectorELNS0_4arch9wavefront6targetE0EEEvT1_,comdat
.Lfunc_end11:
	.size	_ZN7rocprim17ROCPRIM_400000_NS6detail17trampoline_kernelINS0_14default_configENS1_25transform_config_selectorIdLb1EEEZNS1_14transform_implILb1ES3_S5_PdS7_NS0_8identityIdEEEE10hipError_tT2_T3_mT4_P12ihipStream_tbEUlT_E_NS1_11comp_targetILNS1_3genE10ELNS1_11target_archE1201ELNS1_3gpuE5ELNS1_3repE0EEENS1_30default_config_static_selectorELNS0_4arch9wavefront6targetE0EEEvT1_, .Lfunc_end11-_ZN7rocprim17ROCPRIM_400000_NS6detail17trampoline_kernelINS0_14default_configENS1_25transform_config_selectorIdLb1EEEZNS1_14transform_implILb1ES3_S5_PdS7_NS0_8identityIdEEEE10hipError_tT2_T3_mT4_P12ihipStream_tbEUlT_E_NS1_11comp_targetILNS1_3genE10ELNS1_11target_archE1201ELNS1_3gpuE5ELNS1_3repE0EEENS1_30default_config_static_selectorELNS0_4arch9wavefront6targetE0EEEvT1_
                                        ; -- End function
	.set _ZN7rocprim17ROCPRIM_400000_NS6detail17trampoline_kernelINS0_14default_configENS1_25transform_config_selectorIdLb1EEEZNS1_14transform_implILb1ES3_S5_PdS7_NS0_8identityIdEEEE10hipError_tT2_T3_mT4_P12ihipStream_tbEUlT_E_NS1_11comp_targetILNS1_3genE10ELNS1_11target_archE1201ELNS1_3gpuE5ELNS1_3repE0EEENS1_30default_config_static_selectorELNS0_4arch9wavefront6targetE0EEEvT1_.num_vgpr, 0
	.set _ZN7rocprim17ROCPRIM_400000_NS6detail17trampoline_kernelINS0_14default_configENS1_25transform_config_selectorIdLb1EEEZNS1_14transform_implILb1ES3_S5_PdS7_NS0_8identityIdEEEE10hipError_tT2_T3_mT4_P12ihipStream_tbEUlT_E_NS1_11comp_targetILNS1_3genE10ELNS1_11target_archE1201ELNS1_3gpuE5ELNS1_3repE0EEENS1_30default_config_static_selectorELNS0_4arch9wavefront6targetE0EEEvT1_.num_agpr, 0
	.set _ZN7rocprim17ROCPRIM_400000_NS6detail17trampoline_kernelINS0_14default_configENS1_25transform_config_selectorIdLb1EEEZNS1_14transform_implILb1ES3_S5_PdS7_NS0_8identityIdEEEE10hipError_tT2_T3_mT4_P12ihipStream_tbEUlT_E_NS1_11comp_targetILNS1_3genE10ELNS1_11target_archE1201ELNS1_3gpuE5ELNS1_3repE0EEENS1_30default_config_static_selectorELNS0_4arch9wavefront6targetE0EEEvT1_.numbered_sgpr, 0
	.set _ZN7rocprim17ROCPRIM_400000_NS6detail17trampoline_kernelINS0_14default_configENS1_25transform_config_selectorIdLb1EEEZNS1_14transform_implILb1ES3_S5_PdS7_NS0_8identityIdEEEE10hipError_tT2_T3_mT4_P12ihipStream_tbEUlT_E_NS1_11comp_targetILNS1_3genE10ELNS1_11target_archE1201ELNS1_3gpuE5ELNS1_3repE0EEENS1_30default_config_static_selectorELNS0_4arch9wavefront6targetE0EEEvT1_.num_named_barrier, 0
	.set _ZN7rocprim17ROCPRIM_400000_NS6detail17trampoline_kernelINS0_14default_configENS1_25transform_config_selectorIdLb1EEEZNS1_14transform_implILb1ES3_S5_PdS7_NS0_8identityIdEEEE10hipError_tT2_T3_mT4_P12ihipStream_tbEUlT_E_NS1_11comp_targetILNS1_3genE10ELNS1_11target_archE1201ELNS1_3gpuE5ELNS1_3repE0EEENS1_30default_config_static_selectorELNS0_4arch9wavefront6targetE0EEEvT1_.private_seg_size, 0
	.set _ZN7rocprim17ROCPRIM_400000_NS6detail17trampoline_kernelINS0_14default_configENS1_25transform_config_selectorIdLb1EEEZNS1_14transform_implILb1ES3_S5_PdS7_NS0_8identityIdEEEE10hipError_tT2_T3_mT4_P12ihipStream_tbEUlT_E_NS1_11comp_targetILNS1_3genE10ELNS1_11target_archE1201ELNS1_3gpuE5ELNS1_3repE0EEENS1_30default_config_static_selectorELNS0_4arch9wavefront6targetE0EEEvT1_.uses_vcc, 0
	.set _ZN7rocprim17ROCPRIM_400000_NS6detail17trampoline_kernelINS0_14default_configENS1_25transform_config_selectorIdLb1EEEZNS1_14transform_implILb1ES3_S5_PdS7_NS0_8identityIdEEEE10hipError_tT2_T3_mT4_P12ihipStream_tbEUlT_E_NS1_11comp_targetILNS1_3genE10ELNS1_11target_archE1201ELNS1_3gpuE5ELNS1_3repE0EEENS1_30default_config_static_selectorELNS0_4arch9wavefront6targetE0EEEvT1_.uses_flat_scratch, 0
	.set _ZN7rocprim17ROCPRIM_400000_NS6detail17trampoline_kernelINS0_14default_configENS1_25transform_config_selectorIdLb1EEEZNS1_14transform_implILb1ES3_S5_PdS7_NS0_8identityIdEEEE10hipError_tT2_T3_mT4_P12ihipStream_tbEUlT_E_NS1_11comp_targetILNS1_3genE10ELNS1_11target_archE1201ELNS1_3gpuE5ELNS1_3repE0EEENS1_30default_config_static_selectorELNS0_4arch9wavefront6targetE0EEEvT1_.has_dyn_sized_stack, 0
	.set _ZN7rocprim17ROCPRIM_400000_NS6detail17trampoline_kernelINS0_14default_configENS1_25transform_config_selectorIdLb1EEEZNS1_14transform_implILb1ES3_S5_PdS7_NS0_8identityIdEEEE10hipError_tT2_T3_mT4_P12ihipStream_tbEUlT_E_NS1_11comp_targetILNS1_3genE10ELNS1_11target_archE1201ELNS1_3gpuE5ELNS1_3repE0EEENS1_30default_config_static_selectorELNS0_4arch9wavefront6targetE0EEEvT1_.has_recursion, 0
	.set _ZN7rocprim17ROCPRIM_400000_NS6detail17trampoline_kernelINS0_14default_configENS1_25transform_config_selectorIdLb1EEEZNS1_14transform_implILb1ES3_S5_PdS7_NS0_8identityIdEEEE10hipError_tT2_T3_mT4_P12ihipStream_tbEUlT_E_NS1_11comp_targetILNS1_3genE10ELNS1_11target_archE1201ELNS1_3gpuE5ELNS1_3repE0EEENS1_30default_config_static_selectorELNS0_4arch9wavefront6targetE0EEEvT1_.has_indirect_call, 0
	.section	.AMDGPU.csdata,"",@progbits
; Kernel info:
; codeLenInByte = 0
; TotalNumSgprs: 0
; NumVgprs: 0
; ScratchSize: 0
; MemoryBound: 0
; FloatMode: 240
; IeeeMode: 1
; LDSByteSize: 0 bytes/workgroup (compile time only)
; SGPRBlocks: 0
; VGPRBlocks: 0
; NumSGPRsForWavesPerEU: 1
; NumVGPRsForWavesPerEU: 1
; Occupancy: 16
; WaveLimiterHint : 0
; COMPUTE_PGM_RSRC2:SCRATCH_EN: 0
; COMPUTE_PGM_RSRC2:USER_SGPR: 6
; COMPUTE_PGM_RSRC2:TRAP_HANDLER: 0
; COMPUTE_PGM_RSRC2:TGID_X_EN: 1
; COMPUTE_PGM_RSRC2:TGID_Y_EN: 0
; COMPUTE_PGM_RSRC2:TGID_Z_EN: 0
; COMPUTE_PGM_RSRC2:TIDIG_COMP_CNT: 0
	.section	.text._ZN7rocprim17ROCPRIM_400000_NS6detail17trampoline_kernelINS0_14default_configENS1_25transform_config_selectorIdLb1EEEZNS1_14transform_implILb1ES3_S5_PdS7_NS0_8identityIdEEEE10hipError_tT2_T3_mT4_P12ihipStream_tbEUlT_E_NS1_11comp_targetILNS1_3genE5ELNS1_11target_archE942ELNS1_3gpuE9ELNS1_3repE0EEENS1_30default_config_static_selectorELNS0_4arch9wavefront6targetE0EEEvT1_,"axG",@progbits,_ZN7rocprim17ROCPRIM_400000_NS6detail17trampoline_kernelINS0_14default_configENS1_25transform_config_selectorIdLb1EEEZNS1_14transform_implILb1ES3_S5_PdS7_NS0_8identityIdEEEE10hipError_tT2_T3_mT4_P12ihipStream_tbEUlT_E_NS1_11comp_targetILNS1_3genE5ELNS1_11target_archE942ELNS1_3gpuE9ELNS1_3repE0EEENS1_30default_config_static_selectorELNS0_4arch9wavefront6targetE0EEEvT1_,comdat
	.protected	_ZN7rocprim17ROCPRIM_400000_NS6detail17trampoline_kernelINS0_14default_configENS1_25transform_config_selectorIdLb1EEEZNS1_14transform_implILb1ES3_S5_PdS7_NS0_8identityIdEEEE10hipError_tT2_T3_mT4_P12ihipStream_tbEUlT_E_NS1_11comp_targetILNS1_3genE5ELNS1_11target_archE942ELNS1_3gpuE9ELNS1_3repE0EEENS1_30default_config_static_selectorELNS0_4arch9wavefront6targetE0EEEvT1_ ; -- Begin function _ZN7rocprim17ROCPRIM_400000_NS6detail17trampoline_kernelINS0_14default_configENS1_25transform_config_selectorIdLb1EEEZNS1_14transform_implILb1ES3_S5_PdS7_NS0_8identityIdEEEE10hipError_tT2_T3_mT4_P12ihipStream_tbEUlT_E_NS1_11comp_targetILNS1_3genE5ELNS1_11target_archE942ELNS1_3gpuE9ELNS1_3repE0EEENS1_30default_config_static_selectorELNS0_4arch9wavefront6targetE0EEEvT1_
	.globl	_ZN7rocprim17ROCPRIM_400000_NS6detail17trampoline_kernelINS0_14default_configENS1_25transform_config_selectorIdLb1EEEZNS1_14transform_implILb1ES3_S5_PdS7_NS0_8identityIdEEEE10hipError_tT2_T3_mT4_P12ihipStream_tbEUlT_E_NS1_11comp_targetILNS1_3genE5ELNS1_11target_archE942ELNS1_3gpuE9ELNS1_3repE0EEENS1_30default_config_static_selectorELNS0_4arch9wavefront6targetE0EEEvT1_
	.p2align	8
	.type	_ZN7rocprim17ROCPRIM_400000_NS6detail17trampoline_kernelINS0_14default_configENS1_25transform_config_selectorIdLb1EEEZNS1_14transform_implILb1ES3_S5_PdS7_NS0_8identityIdEEEE10hipError_tT2_T3_mT4_P12ihipStream_tbEUlT_E_NS1_11comp_targetILNS1_3genE5ELNS1_11target_archE942ELNS1_3gpuE9ELNS1_3repE0EEENS1_30default_config_static_selectorELNS0_4arch9wavefront6targetE0EEEvT1_,@function
_ZN7rocprim17ROCPRIM_400000_NS6detail17trampoline_kernelINS0_14default_configENS1_25transform_config_selectorIdLb1EEEZNS1_14transform_implILb1ES3_S5_PdS7_NS0_8identityIdEEEE10hipError_tT2_T3_mT4_P12ihipStream_tbEUlT_E_NS1_11comp_targetILNS1_3genE5ELNS1_11target_archE942ELNS1_3gpuE9ELNS1_3repE0EEENS1_30default_config_static_selectorELNS0_4arch9wavefront6targetE0EEEvT1_: ; @_ZN7rocprim17ROCPRIM_400000_NS6detail17trampoline_kernelINS0_14default_configENS1_25transform_config_selectorIdLb1EEEZNS1_14transform_implILb1ES3_S5_PdS7_NS0_8identityIdEEEE10hipError_tT2_T3_mT4_P12ihipStream_tbEUlT_E_NS1_11comp_targetILNS1_3genE5ELNS1_11target_archE942ELNS1_3gpuE9ELNS1_3repE0EEENS1_30default_config_static_selectorELNS0_4arch9wavefront6targetE0EEEvT1_
; %bb.0:
	.section	.rodata,"a",@progbits
	.p2align	6, 0x0
	.amdhsa_kernel _ZN7rocprim17ROCPRIM_400000_NS6detail17trampoline_kernelINS0_14default_configENS1_25transform_config_selectorIdLb1EEEZNS1_14transform_implILb1ES3_S5_PdS7_NS0_8identityIdEEEE10hipError_tT2_T3_mT4_P12ihipStream_tbEUlT_E_NS1_11comp_targetILNS1_3genE5ELNS1_11target_archE942ELNS1_3gpuE9ELNS1_3repE0EEENS1_30default_config_static_selectorELNS0_4arch9wavefront6targetE0EEEvT1_
		.amdhsa_group_segment_fixed_size 0
		.amdhsa_private_segment_fixed_size 0
		.amdhsa_kernarg_size 40
		.amdhsa_user_sgpr_count 6
		.amdhsa_user_sgpr_private_segment_buffer 1
		.amdhsa_user_sgpr_dispatch_ptr 0
		.amdhsa_user_sgpr_queue_ptr 0
		.amdhsa_user_sgpr_kernarg_segment_ptr 1
		.amdhsa_user_sgpr_dispatch_id 0
		.amdhsa_user_sgpr_flat_scratch_init 0
		.amdhsa_user_sgpr_private_segment_size 0
		.amdhsa_wavefront_size32 1
		.amdhsa_uses_dynamic_stack 0
		.amdhsa_system_sgpr_private_segment_wavefront_offset 0
		.amdhsa_system_sgpr_workgroup_id_x 1
		.amdhsa_system_sgpr_workgroup_id_y 0
		.amdhsa_system_sgpr_workgroup_id_z 0
		.amdhsa_system_sgpr_workgroup_info 0
		.amdhsa_system_vgpr_workitem_id 0
		.amdhsa_next_free_vgpr 1
		.amdhsa_next_free_sgpr 1
		.amdhsa_reserve_vcc 0
		.amdhsa_reserve_flat_scratch 0
		.amdhsa_float_round_mode_32 0
		.amdhsa_float_round_mode_16_64 0
		.amdhsa_float_denorm_mode_32 3
		.amdhsa_float_denorm_mode_16_64 3
		.amdhsa_dx10_clamp 1
		.amdhsa_ieee_mode 1
		.amdhsa_fp16_overflow 0
		.amdhsa_workgroup_processor_mode 1
		.amdhsa_memory_ordered 1
		.amdhsa_forward_progress 1
		.amdhsa_shared_vgpr_count 0
		.amdhsa_exception_fp_ieee_invalid_op 0
		.amdhsa_exception_fp_denorm_src 0
		.amdhsa_exception_fp_ieee_div_zero 0
		.amdhsa_exception_fp_ieee_overflow 0
		.amdhsa_exception_fp_ieee_underflow 0
		.amdhsa_exception_fp_ieee_inexact 0
		.amdhsa_exception_int_div_zero 0
	.end_amdhsa_kernel
	.section	.text._ZN7rocprim17ROCPRIM_400000_NS6detail17trampoline_kernelINS0_14default_configENS1_25transform_config_selectorIdLb1EEEZNS1_14transform_implILb1ES3_S5_PdS7_NS0_8identityIdEEEE10hipError_tT2_T3_mT4_P12ihipStream_tbEUlT_E_NS1_11comp_targetILNS1_3genE5ELNS1_11target_archE942ELNS1_3gpuE9ELNS1_3repE0EEENS1_30default_config_static_selectorELNS0_4arch9wavefront6targetE0EEEvT1_,"axG",@progbits,_ZN7rocprim17ROCPRIM_400000_NS6detail17trampoline_kernelINS0_14default_configENS1_25transform_config_selectorIdLb1EEEZNS1_14transform_implILb1ES3_S5_PdS7_NS0_8identityIdEEEE10hipError_tT2_T3_mT4_P12ihipStream_tbEUlT_E_NS1_11comp_targetILNS1_3genE5ELNS1_11target_archE942ELNS1_3gpuE9ELNS1_3repE0EEENS1_30default_config_static_selectorELNS0_4arch9wavefront6targetE0EEEvT1_,comdat
.Lfunc_end12:
	.size	_ZN7rocprim17ROCPRIM_400000_NS6detail17trampoline_kernelINS0_14default_configENS1_25transform_config_selectorIdLb1EEEZNS1_14transform_implILb1ES3_S5_PdS7_NS0_8identityIdEEEE10hipError_tT2_T3_mT4_P12ihipStream_tbEUlT_E_NS1_11comp_targetILNS1_3genE5ELNS1_11target_archE942ELNS1_3gpuE9ELNS1_3repE0EEENS1_30default_config_static_selectorELNS0_4arch9wavefront6targetE0EEEvT1_, .Lfunc_end12-_ZN7rocprim17ROCPRIM_400000_NS6detail17trampoline_kernelINS0_14default_configENS1_25transform_config_selectorIdLb1EEEZNS1_14transform_implILb1ES3_S5_PdS7_NS0_8identityIdEEEE10hipError_tT2_T3_mT4_P12ihipStream_tbEUlT_E_NS1_11comp_targetILNS1_3genE5ELNS1_11target_archE942ELNS1_3gpuE9ELNS1_3repE0EEENS1_30default_config_static_selectorELNS0_4arch9wavefront6targetE0EEEvT1_
                                        ; -- End function
	.set _ZN7rocprim17ROCPRIM_400000_NS6detail17trampoline_kernelINS0_14default_configENS1_25transform_config_selectorIdLb1EEEZNS1_14transform_implILb1ES3_S5_PdS7_NS0_8identityIdEEEE10hipError_tT2_T3_mT4_P12ihipStream_tbEUlT_E_NS1_11comp_targetILNS1_3genE5ELNS1_11target_archE942ELNS1_3gpuE9ELNS1_3repE0EEENS1_30default_config_static_selectorELNS0_4arch9wavefront6targetE0EEEvT1_.num_vgpr, 0
	.set _ZN7rocprim17ROCPRIM_400000_NS6detail17trampoline_kernelINS0_14default_configENS1_25transform_config_selectorIdLb1EEEZNS1_14transform_implILb1ES3_S5_PdS7_NS0_8identityIdEEEE10hipError_tT2_T3_mT4_P12ihipStream_tbEUlT_E_NS1_11comp_targetILNS1_3genE5ELNS1_11target_archE942ELNS1_3gpuE9ELNS1_3repE0EEENS1_30default_config_static_selectorELNS0_4arch9wavefront6targetE0EEEvT1_.num_agpr, 0
	.set _ZN7rocprim17ROCPRIM_400000_NS6detail17trampoline_kernelINS0_14default_configENS1_25transform_config_selectorIdLb1EEEZNS1_14transform_implILb1ES3_S5_PdS7_NS0_8identityIdEEEE10hipError_tT2_T3_mT4_P12ihipStream_tbEUlT_E_NS1_11comp_targetILNS1_3genE5ELNS1_11target_archE942ELNS1_3gpuE9ELNS1_3repE0EEENS1_30default_config_static_selectorELNS0_4arch9wavefront6targetE0EEEvT1_.numbered_sgpr, 0
	.set _ZN7rocprim17ROCPRIM_400000_NS6detail17trampoline_kernelINS0_14default_configENS1_25transform_config_selectorIdLb1EEEZNS1_14transform_implILb1ES3_S5_PdS7_NS0_8identityIdEEEE10hipError_tT2_T3_mT4_P12ihipStream_tbEUlT_E_NS1_11comp_targetILNS1_3genE5ELNS1_11target_archE942ELNS1_3gpuE9ELNS1_3repE0EEENS1_30default_config_static_selectorELNS0_4arch9wavefront6targetE0EEEvT1_.num_named_barrier, 0
	.set _ZN7rocprim17ROCPRIM_400000_NS6detail17trampoline_kernelINS0_14default_configENS1_25transform_config_selectorIdLb1EEEZNS1_14transform_implILb1ES3_S5_PdS7_NS0_8identityIdEEEE10hipError_tT2_T3_mT4_P12ihipStream_tbEUlT_E_NS1_11comp_targetILNS1_3genE5ELNS1_11target_archE942ELNS1_3gpuE9ELNS1_3repE0EEENS1_30default_config_static_selectorELNS0_4arch9wavefront6targetE0EEEvT1_.private_seg_size, 0
	.set _ZN7rocprim17ROCPRIM_400000_NS6detail17trampoline_kernelINS0_14default_configENS1_25transform_config_selectorIdLb1EEEZNS1_14transform_implILb1ES3_S5_PdS7_NS0_8identityIdEEEE10hipError_tT2_T3_mT4_P12ihipStream_tbEUlT_E_NS1_11comp_targetILNS1_3genE5ELNS1_11target_archE942ELNS1_3gpuE9ELNS1_3repE0EEENS1_30default_config_static_selectorELNS0_4arch9wavefront6targetE0EEEvT1_.uses_vcc, 0
	.set _ZN7rocprim17ROCPRIM_400000_NS6detail17trampoline_kernelINS0_14default_configENS1_25transform_config_selectorIdLb1EEEZNS1_14transform_implILb1ES3_S5_PdS7_NS0_8identityIdEEEE10hipError_tT2_T3_mT4_P12ihipStream_tbEUlT_E_NS1_11comp_targetILNS1_3genE5ELNS1_11target_archE942ELNS1_3gpuE9ELNS1_3repE0EEENS1_30default_config_static_selectorELNS0_4arch9wavefront6targetE0EEEvT1_.uses_flat_scratch, 0
	.set _ZN7rocprim17ROCPRIM_400000_NS6detail17trampoline_kernelINS0_14default_configENS1_25transform_config_selectorIdLb1EEEZNS1_14transform_implILb1ES3_S5_PdS7_NS0_8identityIdEEEE10hipError_tT2_T3_mT4_P12ihipStream_tbEUlT_E_NS1_11comp_targetILNS1_3genE5ELNS1_11target_archE942ELNS1_3gpuE9ELNS1_3repE0EEENS1_30default_config_static_selectorELNS0_4arch9wavefront6targetE0EEEvT1_.has_dyn_sized_stack, 0
	.set _ZN7rocprim17ROCPRIM_400000_NS6detail17trampoline_kernelINS0_14default_configENS1_25transform_config_selectorIdLb1EEEZNS1_14transform_implILb1ES3_S5_PdS7_NS0_8identityIdEEEE10hipError_tT2_T3_mT4_P12ihipStream_tbEUlT_E_NS1_11comp_targetILNS1_3genE5ELNS1_11target_archE942ELNS1_3gpuE9ELNS1_3repE0EEENS1_30default_config_static_selectorELNS0_4arch9wavefront6targetE0EEEvT1_.has_recursion, 0
	.set _ZN7rocprim17ROCPRIM_400000_NS6detail17trampoline_kernelINS0_14default_configENS1_25transform_config_selectorIdLb1EEEZNS1_14transform_implILb1ES3_S5_PdS7_NS0_8identityIdEEEE10hipError_tT2_T3_mT4_P12ihipStream_tbEUlT_E_NS1_11comp_targetILNS1_3genE5ELNS1_11target_archE942ELNS1_3gpuE9ELNS1_3repE0EEENS1_30default_config_static_selectorELNS0_4arch9wavefront6targetE0EEEvT1_.has_indirect_call, 0
	.section	.AMDGPU.csdata,"",@progbits
; Kernel info:
; codeLenInByte = 0
; TotalNumSgprs: 0
; NumVgprs: 0
; ScratchSize: 0
; MemoryBound: 0
; FloatMode: 240
; IeeeMode: 1
; LDSByteSize: 0 bytes/workgroup (compile time only)
; SGPRBlocks: 0
; VGPRBlocks: 0
; NumSGPRsForWavesPerEU: 1
; NumVGPRsForWavesPerEU: 1
; Occupancy: 16
; WaveLimiterHint : 0
; COMPUTE_PGM_RSRC2:SCRATCH_EN: 0
; COMPUTE_PGM_RSRC2:USER_SGPR: 6
; COMPUTE_PGM_RSRC2:TRAP_HANDLER: 0
; COMPUTE_PGM_RSRC2:TGID_X_EN: 1
; COMPUTE_PGM_RSRC2:TGID_Y_EN: 0
; COMPUTE_PGM_RSRC2:TGID_Z_EN: 0
; COMPUTE_PGM_RSRC2:TIDIG_COMP_CNT: 0
	.section	.text._ZN7rocprim17ROCPRIM_400000_NS6detail17trampoline_kernelINS0_14default_configENS1_25transform_config_selectorIdLb1EEEZNS1_14transform_implILb1ES3_S5_PdS7_NS0_8identityIdEEEE10hipError_tT2_T3_mT4_P12ihipStream_tbEUlT_E_NS1_11comp_targetILNS1_3genE4ELNS1_11target_archE910ELNS1_3gpuE8ELNS1_3repE0EEENS1_30default_config_static_selectorELNS0_4arch9wavefront6targetE0EEEvT1_,"axG",@progbits,_ZN7rocprim17ROCPRIM_400000_NS6detail17trampoline_kernelINS0_14default_configENS1_25transform_config_selectorIdLb1EEEZNS1_14transform_implILb1ES3_S5_PdS7_NS0_8identityIdEEEE10hipError_tT2_T3_mT4_P12ihipStream_tbEUlT_E_NS1_11comp_targetILNS1_3genE4ELNS1_11target_archE910ELNS1_3gpuE8ELNS1_3repE0EEENS1_30default_config_static_selectorELNS0_4arch9wavefront6targetE0EEEvT1_,comdat
	.protected	_ZN7rocprim17ROCPRIM_400000_NS6detail17trampoline_kernelINS0_14default_configENS1_25transform_config_selectorIdLb1EEEZNS1_14transform_implILb1ES3_S5_PdS7_NS0_8identityIdEEEE10hipError_tT2_T3_mT4_P12ihipStream_tbEUlT_E_NS1_11comp_targetILNS1_3genE4ELNS1_11target_archE910ELNS1_3gpuE8ELNS1_3repE0EEENS1_30default_config_static_selectorELNS0_4arch9wavefront6targetE0EEEvT1_ ; -- Begin function _ZN7rocprim17ROCPRIM_400000_NS6detail17trampoline_kernelINS0_14default_configENS1_25transform_config_selectorIdLb1EEEZNS1_14transform_implILb1ES3_S5_PdS7_NS0_8identityIdEEEE10hipError_tT2_T3_mT4_P12ihipStream_tbEUlT_E_NS1_11comp_targetILNS1_3genE4ELNS1_11target_archE910ELNS1_3gpuE8ELNS1_3repE0EEENS1_30default_config_static_selectorELNS0_4arch9wavefront6targetE0EEEvT1_
	.globl	_ZN7rocprim17ROCPRIM_400000_NS6detail17trampoline_kernelINS0_14default_configENS1_25transform_config_selectorIdLb1EEEZNS1_14transform_implILb1ES3_S5_PdS7_NS0_8identityIdEEEE10hipError_tT2_T3_mT4_P12ihipStream_tbEUlT_E_NS1_11comp_targetILNS1_3genE4ELNS1_11target_archE910ELNS1_3gpuE8ELNS1_3repE0EEENS1_30default_config_static_selectorELNS0_4arch9wavefront6targetE0EEEvT1_
	.p2align	8
	.type	_ZN7rocprim17ROCPRIM_400000_NS6detail17trampoline_kernelINS0_14default_configENS1_25transform_config_selectorIdLb1EEEZNS1_14transform_implILb1ES3_S5_PdS7_NS0_8identityIdEEEE10hipError_tT2_T3_mT4_P12ihipStream_tbEUlT_E_NS1_11comp_targetILNS1_3genE4ELNS1_11target_archE910ELNS1_3gpuE8ELNS1_3repE0EEENS1_30default_config_static_selectorELNS0_4arch9wavefront6targetE0EEEvT1_,@function
_ZN7rocprim17ROCPRIM_400000_NS6detail17trampoline_kernelINS0_14default_configENS1_25transform_config_selectorIdLb1EEEZNS1_14transform_implILb1ES3_S5_PdS7_NS0_8identityIdEEEE10hipError_tT2_T3_mT4_P12ihipStream_tbEUlT_E_NS1_11comp_targetILNS1_3genE4ELNS1_11target_archE910ELNS1_3gpuE8ELNS1_3repE0EEENS1_30default_config_static_selectorELNS0_4arch9wavefront6targetE0EEEvT1_: ; @_ZN7rocprim17ROCPRIM_400000_NS6detail17trampoline_kernelINS0_14default_configENS1_25transform_config_selectorIdLb1EEEZNS1_14transform_implILb1ES3_S5_PdS7_NS0_8identityIdEEEE10hipError_tT2_T3_mT4_P12ihipStream_tbEUlT_E_NS1_11comp_targetILNS1_3genE4ELNS1_11target_archE910ELNS1_3gpuE8ELNS1_3repE0EEENS1_30default_config_static_selectorELNS0_4arch9wavefront6targetE0EEEvT1_
; %bb.0:
	.section	.rodata,"a",@progbits
	.p2align	6, 0x0
	.amdhsa_kernel _ZN7rocprim17ROCPRIM_400000_NS6detail17trampoline_kernelINS0_14default_configENS1_25transform_config_selectorIdLb1EEEZNS1_14transform_implILb1ES3_S5_PdS7_NS0_8identityIdEEEE10hipError_tT2_T3_mT4_P12ihipStream_tbEUlT_E_NS1_11comp_targetILNS1_3genE4ELNS1_11target_archE910ELNS1_3gpuE8ELNS1_3repE0EEENS1_30default_config_static_selectorELNS0_4arch9wavefront6targetE0EEEvT1_
		.amdhsa_group_segment_fixed_size 0
		.amdhsa_private_segment_fixed_size 0
		.amdhsa_kernarg_size 40
		.amdhsa_user_sgpr_count 6
		.amdhsa_user_sgpr_private_segment_buffer 1
		.amdhsa_user_sgpr_dispatch_ptr 0
		.amdhsa_user_sgpr_queue_ptr 0
		.amdhsa_user_sgpr_kernarg_segment_ptr 1
		.amdhsa_user_sgpr_dispatch_id 0
		.amdhsa_user_sgpr_flat_scratch_init 0
		.amdhsa_user_sgpr_private_segment_size 0
		.amdhsa_wavefront_size32 1
		.amdhsa_uses_dynamic_stack 0
		.amdhsa_system_sgpr_private_segment_wavefront_offset 0
		.amdhsa_system_sgpr_workgroup_id_x 1
		.amdhsa_system_sgpr_workgroup_id_y 0
		.amdhsa_system_sgpr_workgroup_id_z 0
		.amdhsa_system_sgpr_workgroup_info 0
		.amdhsa_system_vgpr_workitem_id 0
		.amdhsa_next_free_vgpr 1
		.amdhsa_next_free_sgpr 1
		.amdhsa_reserve_vcc 0
		.amdhsa_reserve_flat_scratch 0
		.amdhsa_float_round_mode_32 0
		.amdhsa_float_round_mode_16_64 0
		.amdhsa_float_denorm_mode_32 3
		.amdhsa_float_denorm_mode_16_64 3
		.amdhsa_dx10_clamp 1
		.amdhsa_ieee_mode 1
		.amdhsa_fp16_overflow 0
		.amdhsa_workgroup_processor_mode 1
		.amdhsa_memory_ordered 1
		.amdhsa_forward_progress 1
		.amdhsa_shared_vgpr_count 0
		.amdhsa_exception_fp_ieee_invalid_op 0
		.amdhsa_exception_fp_denorm_src 0
		.amdhsa_exception_fp_ieee_div_zero 0
		.amdhsa_exception_fp_ieee_overflow 0
		.amdhsa_exception_fp_ieee_underflow 0
		.amdhsa_exception_fp_ieee_inexact 0
		.amdhsa_exception_int_div_zero 0
	.end_amdhsa_kernel
	.section	.text._ZN7rocprim17ROCPRIM_400000_NS6detail17trampoline_kernelINS0_14default_configENS1_25transform_config_selectorIdLb1EEEZNS1_14transform_implILb1ES3_S5_PdS7_NS0_8identityIdEEEE10hipError_tT2_T3_mT4_P12ihipStream_tbEUlT_E_NS1_11comp_targetILNS1_3genE4ELNS1_11target_archE910ELNS1_3gpuE8ELNS1_3repE0EEENS1_30default_config_static_selectorELNS0_4arch9wavefront6targetE0EEEvT1_,"axG",@progbits,_ZN7rocprim17ROCPRIM_400000_NS6detail17trampoline_kernelINS0_14default_configENS1_25transform_config_selectorIdLb1EEEZNS1_14transform_implILb1ES3_S5_PdS7_NS0_8identityIdEEEE10hipError_tT2_T3_mT4_P12ihipStream_tbEUlT_E_NS1_11comp_targetILNS1_3genE4ELNS1_11target_archE910ELNS1_3gpuE8ELNS1_3repE0EEENS1_30default_config_static_selectorELNS0_4arch9wavefront6targetE0EEEvT1_,comdat
.Lfunc_end13:
	.size	_ZN7rocprim17ROCPRIM_400000_NS6detail17trampoline_kernelINS0_14default_configENS1_25transform_config_selectorIdLb1EEEZNS1_14transform_implILb1ES3_S5_PdS7_NS0_8identityIdEEEE10hipError_tT2_T3_mT4_P12ihipStream_tbEUlT_E_NS1_11comp_targetILNS1_3genE4ELNS1_11target_archE910ELNS1_3gpuE8ELNS1_3repE0EEENS1_30default_config_static_selectorELNS0_4arch9wavefront6targetE0EEEvT1_, .Lfunc_end13-_ZN7rocprim17ROCPRIM_400000_NS6detail17trampoline_kernelINS0_14default_configENS1_25transform_config_selectorIdLb1EEEZNS1_14transform_implILb1ES3_S5_PdS7_NS0_8identityIdEEEE10hipError_tT2_T3_mT4_P12ihipStream_tbEUlT_E_NS1_11comp_targetILNS1_3genE4ELNS1_11target_archE910ELNS1_3gpuE8ELNS1_3repE0EEENS1_30default_config_static_selectorELNS0_4arch9wavefront6targetE0EEEvT1_
                                        ; -- End function
	.set _ZN7rocprim17ROCPRIM_400000_NS6detail17trampoline_kernelINS0_14default_configENS1_25transform_config_selectorIdLb1EEEZNS1_14transform_implILb1ES3_S5_PdS7_NS0_8identityIdEEEE10hipError_tT2_T3_mT4_P12ihipStream_tbEUlT_E_NS1_11comp_targetILNS1_3genE4ELNS1_11target_archE910ELNS1_3gpuE8ELNS1_3repE0EEENS1_30default_config_static_selectorELNS0_4arch9wavefront6targetE0EEEvT1_.num_vgpr, 0
	.set _ZN7rocprim17ROCPRIM_400000_NS6detail17trampoline_kernelINS0_14default_configENS1_25transform_config_selectorIdLb1EEEZNS1_14transform_implILb1ES3_S5_PdS7_NS0_8identityIdEEEE10hipError_tT2_T3_mT4_P12ihipStream_tbEUlT_E_NS1_11comp_targetILNS1_3genE4ELNS1_11target_archE910ELNS1_3gpuE8ELNS1_3repE0EEENS1_30default_config_static_selectorELNS0_4arch9wavefront6targetE0EEEvT1_.num_agpr, 0
	.set _ZN7rocprim17ROCPRIM_400000_NS6detail17trampoline_kernelINS0_14default_configENS1_25transform_config_selectorIdLb1EEEZNS1_14transform_implILb1ES3_S5_PdS7_NS0_8identityIdEEEE10hipError_tT2_T3_mT4_P12ihipStream_tbEUlT_E_NS1_11comp_targetILNS1_3genE4ELNS1_11target_archE910ELNS1_3gpuE8ELNS1_3repE0EEENS1_30default_config_static_selectorELNS0_4arch9wavefront6targetE0EEEvT1_.numbered_sgpr, 0
	.set _ZN7rocprim17ROCPRIM_400000_NS6detail17trampoline_kernelINS0_14default_configENS1_25transform_config_selectorIdLb1EEEZNS1_14transform_implILb1ES3_S5_PdS7_NS0_8identityIdEEEE10hipError_tT2_T3_mT4_P12ihipStream_tbEUlT_E_NS1_11comp_targetILNS1_3genE4ELNS1_11target_archE910ELNS1_3gpuE8ELNS1_3repE0EEENS1_30default_config_static_selectorELNS0_4arch9wavefront6targetE0EEEvT1_.num_named_barrier, 0
	.set _ZN7rocprim17ROCPRIM_400000_NS6detail17trampoline_kernelINS0_14default_configENS1_25transform_config_selectorIdLb1EEEZNS1_14transform_implILb1ES3_S5_PdS7_NS0_8identityIdEEEE10hipError_tT2_T3_mT4_P12ihipStream_tbEUlT_E_NS1_11comp_targetILNS1_3genE4ELNS1_11target_archE910ELNS1_3gpuE8ELNS1_3repE0EEENS1_30default_config_static_selectorELNS0_4arch9wavefront6targetE0EEEvT1_.private_seg_size, 0
	.set _ZN7rocprim17ROCPRIM_400000_NS6detail17trampoline_kernelINS0_14default_configENS1_25transform_config_selectorIdLb1EEEZNS1_14transform_implILb1ES3_S5_PdS7_NS0_8identityIdEEEE10hipError_tT2_T3_mT4_P12ihipStream_tbEUlT_E_NS1_11comp_targetILNS1_3genE4ELNS1_11target_archE910ELNS1_3gpuE8ELNS1_3repE0EEENS1_30default_config_static_selectorELNS0_4arch9wavefront6targetE0EEEvT1_.uses_vcc, 0
	.set _ZN7rocprim17ROCPRIM_400000_NS6detail17trampoline_kernelINS0_14default_configENS1_25transform_config_selectorIdLb1EEEZNS1_14transform_implILb1ES3_S5_PdS7_NS0_8identityIdEEEE10hipError_tT2_T3_mT4_P12ihipStream_tbEUlT_E_NS1_11comp_targetILNS1_3genE4ELNS1_11target_archE910ELNS1_3gpuE8ELNS1_3repE0EEENS1_30default_config_static_selectorELNS0_4arch9wavefront6targetE0EEEvT1_.uses_flat_scratch, 0
	.set _ZN7rocprim17ROCPRIM_400000_NS6detail17trampoline_kernelINS0_14default_configENS1_25transform_config_selectorIdLb1EEEZNS1_14transform_implILb1ES3_S5_PdS7_NS0_8identityIdEEEE10hipError_tT2_T3_mT4_P12ihipStream_tbEUlT_E_NS1_11comp_targetILNS1_3genE4ELNS1_11target_archE910ELNS1_3gpuE8ELNS1_3repE0EEENS1_30default_config_static_selectorELNS0_4arch9wavefront6targetE0EEEvT1_.has_dyn_sized_stack, 0
	.set _ZN7rocprim17ROCPRIM_400000_NS6detail17trampoline_kernelINS0_14default_configENS1_25transform_config_selectorIdLb1EEEZNS1_14transform_implILb1ES3_S5_PdS7_NS0_8identityIdEEEE10hipError_tT2_T3_mT4_P12ihipStream_tbEUlT_E_NS1_11comp_targetILNS1_3genE4ELNS1_11target_archE910ELNS1_3gpuE8ELNS1_3repE0EEENS1_30default_config_static_selectorELNS0_4arch9wavefront6targetE0EEEvT1_.has_recursion, 0
	.set _ZN7rocprim17ROCPRIM_400000_NS6detail17trampoline_kernelINS0_14default_configENS1_25transform_config_selectorIdLb1EEEZNS1_14transform_implILb1ES3_S5_PdS7_NS0_8identityIdEEEE10hipError_tT2_T3_mT4_P12ihipStream_tbEUlT_E_NS1_11comp_targetILNS1_3genE4ELNS1_11target_archE910ELNS1_3gpuE8ELNS1_3repE0EEENS1_30default_config_static_selectorELNS0_4arch9wavefront6targetE0EEEvT1_.has_indirect_call, 0
	.section	.AMDGPU.csdata,"",@progbits
; Kernel info:
; codeLenInByte = 0
; TotalNumSgprs: 0
; NumVgprs: 0
; ScratchSize: 0
; MemoryBound: 0
; FloatMode: 240
; IeeeMode: 1
; LDSByteSize: 0 bytes/workgroup (compile time only)
; SGPRBlocks: 0
; VGPRBlocks: 0
; NumSGPRsForWavesPerEU: 1
; NumVGPRsForWavesPerEU: 1
; Occupancy: 16
; WaveLimiterHint : 0
; COMPUTE_PGM_RSRC2:SCRATCH_EN: 0
; COMPUTE_PGM_RSRC2:USER_SGPR: 6
; COMPUTE_PGM_RSRC2:TRAP_HANDLER: 0
; COMPUTE_PGM_RSRC2:TGID_X_EN: 1
; COMPUTE_PGM_RSRC2:TGID_Y_EN: 0
; COMPUTE_PGM_RSRC2:TGID_Z_EN: 0
; COMPUTE_PGM_RSRC2:TIDIG_COMP_CNT: 0
	.section	.text._ZN7rocprim17ROCPRIM_400000_NS6detail17trampoline_kernelINS0_14default_configENS1_25transform_config_selectorIdLb1EEEZNS1_14transform_implILb1ES3_S5_PdS7_NS0_8identityIdEEEE10hipError_tT2_T3_mT4_P12ihipStream_tbEUlT_E_NS1_11comp_targetILNS1_3genE3ELNS1_11target_archE908ELNS1_3gpuE7ELNS1_3repE0EEENS1_30default_config_static_selectorELNS0_4arch9wavefront6targetE0EEEvT1_,"axG",@progbits,_ZN7rocprim17ROCPRIM_400000_NS6detail17trampoline_kernelINS0_14default_configENS1_25transform_config_selectorIdLb1EEEZNS1_14transform_implILb1ES3_S5_PdS7_NS0_8identityIdEEEE10hipError_tT2_T3_mT4_P12ihipStream_tbEUlT_E_NS1_11comp_targetILNS1_3genE3ELNS1_11target_archE908ELNS1_3gpuE7ELNS1_3repE0EEENS1_30default_config_static_selectorELNS0_4arch9wavefront6targetE0EEEvT1_,comdat
	.protected	_ZN7rocprim17ROCPRIM_400000_NS6detail17trampoline_kernelINS0_14default_configENS1_25transform_config_selectorIdLb1EEEZNS1_14transform_implILb1ES3_S5_PdS7_NS0_8identityIdEEEE10hipError_tT2_T3_mT4_P12ihipStream_tbEUlT_E_NS1_11comp_targetILNS1_3genE3ELNS1_11target_archE908ELNS1_3gpuE7ELNS1_3repE0EEENS1_30default_config_static_selectorELNS0_4arch9wavefront6targetE0EEEvT1_ ; -- Begin function _ZN7rocprim17ROCPRIM_400000_NS6detail17trampoline_kernelINS0_14default_configENS1_25transform_config_selectorIdLb1EEEZNS1_14transform_implILb1ES3_S5_PdS7_NS0_8identityIdEEEE10hipError_tT2_T3_mT4_P12ihipStream_tbEUlT_E_NS1_11comp_targetILNS1_3genE3ELNS1_11target_archE908ELNS1_3gpuE7ELNS1_3repE0EEENS1_30default_config_static_selectorELNS0_4arch9wavefront6targetE0EEEvT1_
	.globl	_ZN7rocprim17ROCPRIM_400000_NS6detail17trampoline_kernelINS0_14default_configENS1_25transform_config_selectorIdLb1EEEZNS1_14transform_implILb1ES3_S5_PdS7_NS0_8identityIdEEEE10hipError_tT2_T3_mT4_P12ihipStream_tbEUlT_E_NS1_11comp_targetILNS1_3genE3ELNS1_11target_archE908ELNS1_3gpuE7ELNS1_3repE0EEENS1_30default_config_static_selectorELNS0_4arch9wavefront6targetE0EEEvT1_
	.p2align	8
	.type	_ZN7rocprim17ROCPRIM_400000_NS6detail17trampoline_kernelINS0_14default_configENS1_25transform_config_selectorIdLb1EEEZNS1_14transform_implILb1ES3_S5_PdS7_NS0_8identityIdEEEE10hipError_tT2_T3_mT4_P12ihipStream_tbEUlT_E_NS1_11comp_targetILNS1_3genE3ELNS1_11target_archE908ELNS1_3gpuE7ELNS1_3repE0EEENS1_30default_config_static_selectorELNS0_4arch9wavefront6targetE0EEEvT1_,@function
_ZN7rocprim17ROCPRIM_400000_NS6detail17trampoline_kernelINS0_14default_configENS1_25transform_config_selectorIdLb1EEEZNS1_14transform_implILb1ES3_S5_PdS7_NS0_8identityIdEEEE10hipError_tT2_T3_mT4_P12ihipStream_tbEUlT_E_NS1_11comp_targetILNS1_3genE3ELNS1_11target_archE908ELNS1_3gpuE7ELNS1_3repE0EEENS1_30default_config_static_selectorELNS0_4arch9wavefront6targetE0EEEvT1_: ; @_ZN7rocprim17ROCPRIM_400000_NS6detail17trampoline_kernelINS0_14default_configENS1_25transform_config_selectorIdLb1EEEZNS1_14transform_implILb1ES3_S5_PdS7_NS0_8identityIdEEEE10hipError_tT2_T3_mT4_P12ihipStream_tbEUlT_E_NS1_11comp_targetILNS1_3genE3ELNS1_11target_archE908ELNS1_3gpuE7ELNS1_3repE0EEENS1_30default_config_static_selectorELNS0_4arch9wavefront6targetE0EEEvT1_
; %bb.0:
	.section	.rodata,"a",@progbits
	.p2align	6, 0x0
	.amdhsa_kernel _ZN7rocprim17ROCPRIM_400000_NS6detail17trampoline_kernelINS0_14default_configENS1_25transform_config_selectorIdLb1EEEZNS1_14transform_implILb1ES3_S5_PdS7_NS0_8identityIdEEEE10hipError_tT2_T3_mT4_P12ihipStream_tbEUlT_E_NS1_11comp_targetILNS1_3genE3ELNS1_11target_archE908ELNS1_3gpuE7ELNS1_3repE0EEENS1_30default_config_static_selectorELNS0_4arch9wavefront6targetE0EEEvT1_
		.amdhsa_group_segment_fixed_size 0
		.amdhsa_private_segment_fixed_size 0
		.amdhsa_kernarg_size 40
		.amdhsa_user_sgpr_count 6
		.amdhsa_user_sgpr_private_segment_buffer 1
		.amdhsa_user_sgpr_dispatch_ptr 0
		.amdhsa_user_sgpr_queue_ptr 0
		.amdhsa_user_sgpr_kernarg_segment_ptr 1
		.amdhsa_user_sgpr_dispatch_id 0
		.amdhsa_user_sgpr_flat_scratch_init 0
		.amdhsa_user_sgpr_private_segment_size 0
		.amdhsa_wavefront_size32 1
		.amdhsa_uses_dynamic_stack 0
		.amdhsa_system_sgpr_private_segment_wavefront_offset 0
		.amdhsa_system_sgpr_workgroup_id_x 1
		.amdhsa_system_sgpr_workgroup_id_y 0
		.amdhsa_system_sgpr_workgroup_id_z 0
		.amdhsa_system_sgpr_workgroup_info 0
		.amdhsa_system_vgpr_workitem_id 0
		.amdhsa_next_free_vgpr 1
		.amdhsa_next_free_sgpr 1
		.amdhsa_reserve_vcc 0
		.amdhsa_reserve_flat_scratch 0
		.amdhsa_float_round_mode_32 0
		.amdhsa_float_round_mode_16_64 0
		.amdhsa_float_denorm_mode_32 3
		.amdhsa_float_denorm_mode_16_64 3
		.amdhsa_dx10_clamp 1
		.amdhsa_ieee_mode 1
		.amdhsa_fp16_overflow 0
		.amdhsa_workgroup_processor_mode 1
		.amdhsa_memory_ordered 1
		.amdhsa_forward_progress 1
		.amdhsa_shared_vgpr_count 0
		.amdhsa_exception_fp_ieee_invalid_op 0
		.amdhsa_exception_fp_denorm_src 0
		.amdhsa_exception_fp_ieee_div_zero 0
		.amdhsa_exception_fp_ieee_overflow 0
		.amdhsa_exception_fp_ieee_underflow 0
		.amdhsa_exception_fp_ieee_inexact 0
		.amdhsa_exception_int_div_zero 0
	.end_amdhsa_kernel
	.section	.text._ZN7rocprim17ROCPRIM_400000_NS6detail17trampoline_kernelINS0_14default_configENS1_25transform_config_selectorIdLb1EEEZNS1_14transform_implILb1ES3_S5_PdS7_NS0_8identityIdEEEE10hipError_tT2_T3_mT4_P12ihipStream_tbEUlT_E_NS1_11comp_targetILNS1_3genE3ELNS1_11target_archE908ELNS1_3gpuE7ELNS1_3repE0EEENS1_30default_config_static_selectorELNS0_4arch9wavefront6targetE0EEEvT1_,"axG",@progbits,_ZN7rocprim17ROCPRIM_400000_NS6detail17trampoline_kernelINS0_14default_configENS1_25transform_config_selectorIdLb1EEEZNS1_14transform_implILb1ES3_S5_PdS7_NS0_8identityIdEEEE10hipError_tT2_T3_mT4_P12ihipStream_tbEUlT_E_NS1_11comp_targetILNS1_3genE3ELNS1_11target_archE908ELNS1_3gpuE7ELNS1_3repE0EEENS1_30default_config_static_selectorELNS0_4arch9wavefront6targetE0EEEvT1_,comdat
.Lfunc_end14:
	.size	_ZN7rocprim17ROCPRIM_400000_NS6detail17trampoline_kernelINS0_14default_configENS1_25transform_config_selectorIdLb1EEEZNS1_14transform_implILb1ES3_S5_PdS7_NS0_8identityIdEEEE10hipError_tT2_T3_mT4_P12ihipStream_tbEUlT_E_NS1_11comp_targetILNS1_3genE3ELNS1_11target_archE908ELNS1_3gpuE7ELNS1_3repE0EEENS1_30default_config_static_selectorELNS0_4arch9wavefront6targetE0EEEvT1_, .Lfunc_end14-_ZN7rocprim17ROCPRIM_400000_NS6detail17trampoline_kernelINS0_14default_configENS1_25transform_config_selectorIdLb1EEEZNS1_14transform_implILb1ES3_S5_PdS7_NS0_8identityIdEEEE10hipError_tT2_T3_mT4_P12ihipStream_tbEUlT_E_NS1_11comp_targetILNS1_3genE3ELNS1_11target_archE908ELNS1_3gpuE7ELNS1_3repE0EEENS1_30default_config_static_selectorELNS0_4arch9wavefront6targetE0EEEvT1_
                                        ; -- End function
	.set _ZN7rocprim17ROCPRIM_400000_NS6detail17trampoline_kernelINS0_14default_configENS1_25transform_config_selectorIdLb1EEEZNS1_14transform_implILb1ES3_S5_PdS7_NS0_8identityIdEEEE10hipError_tT2_T3_mT4_P12ihipStream_tbEUlT_E_NS1_11comp_targetILNS1_3genE3ELNS1_11target_archE908ELNS1_3gpuE7ELNS1_3repE0EEENS1_30default_config_static_selectorELNS0_4arch9wavefront6targetE0EEEvT1_.num_vgpr, 0
	.set _ZN7rocprim17ROCPRIM_400000_NS6detail17trampoline_kernelINS0_14default_configENS1_25transform_config_selectorIdLb1EEEZNS1_14transform_implILb1ES3_S5_PdS7_NS0_8identityIdEEEE10hipError_tT2_T3_mT4_P12ihipStream_tbEUlT_E_NS1_11comp_targetILNS1_3genE3ELNS1_11target_archE908ELNS1_3gpuE7ELNS1_3repE0EEENS1_30default_config_static_selectorELNS0_4arch9wavefront6targetE0EEEvT1_.num_agpr, 0
	.set _ZN7rocprim17ROCPRIM_400000_NS6detail17trampoline_kernelINS0_14default_configENS1_25transform_config_selectorIdLb1EEEZNS1_14transform_implILb1ES3_S5_PdS7_NS0_8identityIdEEEE10hipError_tT2_T3_mT4_P12ihipStream_tbEUlT_E_NS1_11comp_targetILNS1_3genE3ELNS1_11target_archE908ELNS1_3gpuE7ELNS1_3repE0EEENS1_30default_config_static_selectorELNS0_4arch9wavefront6targetE0EEEvT1_.numbered_sgpr, 0
	.set _ZN7rocprim17ROCPRIM_400000_NS6detail17trampoline_kernelINS0_14default_configENS1_25transform_config_selectorIdLb1EEEZNS1_14transform_implILb1ES3_S5_PdS7_NS0_8identityIdEEEE10hipError_tT2_T3_mT4_P12ihipStream_tbEUlT_E_NS1_11comp_targetILNS1_3genE3ELNS1_11target_archE908ELNS1_3gpuE7ELNS1_3repE0EEENS1_30default_config_static_selectorELNS0_4arch9wavefront6targetE0EEEvT1_.num_named_barrier, 0
	.set _ZN7rocprim17ROCPRIM_400000_NS6detail17trampoline_kernelINS0_14default_configENS1_25transform_config_selectorIdLb1EEEZNS1_14transform_implILb1ES3_S5_PdS7_NS0_8identityIdEEEE10hipError_tT2_T3_mT4_P12ihipStream_tbEUlT_E_NS1_11comp_targetILNS1_3genE3ELNS1_11target_archE908ELNS1_3gpuE7ELNS1_3repE0EEENS1_30default_config_static_selectorELNS0_4arch9wavefront6targetE0EEEvT1_.private_seg_size, 0
	.set _ZN7rocprim17ROCPRIM_400000_NS6detail17trampoline_kernelINS0_14default_configENS1_25transform_config_selectorIdLb1EEEZNS1_14transform_implILb1ES3_S5_PdS7_NS0_8identityIdEEEE10hipError_tT2_T3_mT4_P12ihipStream_tbEUlT_E_NS1_11comp_targetILNS1_3genE3ELNS1_11target_archE908ELNS1_3gpuE7ELNS1_3repE0EEENS1_30default_config_static_selectorELNS0_4arch9wavefront6targetE0EEEvT1_.uses_vcc, 0
	.set _ZN7rocprim17ROCPRIM_400000_NS6detail17trampoline_kernelINS0_14default_configENS1_25transform_config_selectorIdLb1EEEZNS1_14transform_implILb1ES3_S5_PdS7_NS0_8identityIdEEEE10hipError_tT2_T3_mT4_P12ihipStream_tbEUlT_E_NS1_11comp_targetILNS1_3genE3ELNS1_11target_archE908ELNS1_3gpuE7ELNS1_3repE0EEENS1_30default_config_static_selectorELNS0_4arch9wavefront6targetE0EEEvT1_.uses_flat_scratch, 0
	.set _ZN7rocprim17ROCPRIM_400000_NS6detail17trampoline_kernelINS0_14default_configENS1_25transform_config_selectorIdLb1EEEZNS1_14transform_implILb1ES3_S5_PdS7_NS0_8identityIdEEEE10hipError_tT2_T3_mT4_P12ihipStream_tbEUlT_E_NS1_11comp_targetILNS1_3genE3ELNS1_11target_archE908ELNS1_3gpuE7ELNS1_3repE0EEENS1_30default_config_static_selectorELNS0_4arch9wavefront6targetE0EEEvT1_.has_dyn_sized_stack, 0
	.set _ZN7rocprim17ROCPRIM_400000_NS6detail17trampoline_kernelINS0_14default_configENS1_25transform_config_selectorIdLb1EEEZNS1_14transform_implILb1ES3_S5_PdS7_NS0_8identityIdEEEE10hipError_tT2_T3_mT4_P12ihipStream_tbEUlT_E_NS1_11comp_targetILNS1_3genE3ELNS1_11target_archE908ELNS1_3gpuE7ELNS1_3repE0EEENS1_30default_config_static_selectorELNS0_4arch9wavefront6targetE0EEEvT1_.has_recursion, 0
	.set _ZN7rocprim17ROCPRIM_400000_NS6detail17trampoline_kernelINS0_14default_configENS1_25transform_config_selectorIdLb1EEEZNS1_14transform_implILb1ES3_S5_PdS7_NS0_8identityIdEEEE10hipError_tT2_T3_mT4_P12ihipStream_tbEUlT_E_NS1_11comp_targetILNS1_3genE3ELNS1_11target_archE908ELNS1_3gpuE7ELNS1_3repE0EEENS1_30default_config_static_selectorELNS0_4arch9wavefront6targetE0EEEvT1_.has_indirect_call, 0
	.section	.AMDGPU.csdata,"",@progbits
; Kernel info:
; codeLenInByte = 0
; TotalNumSgprs: 0
; NumVgprs: 0
; ScratchSize: 0
; MemoryBound: 0
; FloatMode: 240
; IeeeMode: 1
; LDSByteSize: 0 bytes/workgroup (compile time only)
; SGPRBlocks: 0
; VGPRBlocks: 0
; NumSGPRsForWavesPerEU: 1
; NumVGPRsForWavesPerEU: 1
; Occupancy: 16
; WaveLimiterHint : 0
; COMPUTE_PGM_RSRC2:SCRATCH_EN: 0
; COMPUTE_PGM_RSRC2:USER_SGPR: 6
; COMPUTE_PGM_RSRC2:TRAP_HANDLER: 0
; COMPUTE_PGM_RSRC2:TGID_X_EN: 1
; COMPUTE_PGM_RSRC2:TGID_Y_EN: 0
; COMPUTE_PGM_RSRC2:TGID_Z_EN: 0
; COMPUTE_PGM_RSRC2:TIDIG_COMP_CNT: 0
	.section	.text._ZN7rocprim17ROCPRIM_400000_NS6detail17trampoline_kernelINS0_14default_configENS1_25transform_config_selectorIdLb1EEEZNS1_14transform_implILb1ES3_S5_PdS7_NS0_8identityIdEEEE10hipError_tT2_T3_mT4_P12ihipStream_tbEUlT_E_NS1_11comp_targetILNS1_3genE2ELNS1_11target_archE906ELNS1_3gpuE6ELNS1_3repE0EEENS1_30default_config_static_selectorELNS0_4arch9wavefront6targetE0EEEvT1_,"axG",@progbits,_ZN7rocprim17ROCPRIM_400000_NS6detail17trampoline_kernelINS0_14default_configENS1_25transform_config_selectorIdLb1EEEZNS1_14transform_implILb1ES3_S5_PdS7_NS0_8identityIdEEEE10hipError_tT2_T3_mT4_P12ihipStream_tbEUlT_E_NS1_11comp_targetILNS1_3genE2ELNS1_11target_archE906ELNS1_3gpuE6ELNS1_3repE0EEENS1_30default_config_static_selectorELNS0_4arch9wavefront6targetE0EEEvT1_,comdat
	.protected	_ZN7rocprim17ROCPRIM_400000_NS6detail17trampoline_kernelINS0_14default_configENS1_25transform_config_selectorIdLb1EEEZNS1_14transform_implILb1ES3_S5_PdS7_NS0_8identityIdEEEE10hipError_tT2_T3_mT4_P12ihipStream_tbEUlT_E_NS1_11comp_targetILNS1_3genE2ELNS1_11target_archE906ELNS1_3gpuE6ELNS1_3repE0EEENS1_30default_config_static_selectorELNS0_4arch9wavefront6targetE0EEEvT1_ ; -- Begin function _ZN7rocprim17ROCPRIM_400000_NS6detail17trampoline_kernelINS0_14default_configENS1_25transform_config_selectorIdLb1EEEZNS1_14transform_implILb1ES3_S5_PdS7_NS0_8identityIdEEEE10hipError_tT2_T3_mT4_P12ihipStream_tbEUlT_E_NS1_11comp_targetILNS1_3genE2ELNS1_11target_archE906ELNS1_3gpuE6ELNS1_3repE0EEENS1_30default_config_static_selectorELNS0_4arch9wavefront6targetE0EEEvT1_
	.globl	_ZN7rocprim17ROCPRIM_400000_NS6detail17trampoline_kernelINS0_14default_configENS1_25transform_config_selectorIdLb1EEEZNS1_14transform_implILb1ES3_S5_PdS7_NS0_8identityIdEEEE10hipError_tT2_T3_mT4_P12ihipStream_tbEUlT_E_NS1_11comp_targetILNS1_3genE2ELNS1_11target_archE906ELNS1_3gpuE6ELNS1_3repE0EEENS1_30default_config_static_selectorELNS0_4arch9wavefront6targetE0EEEvT1_
	.p2align	8
	.type	_ZN7rocprim17ROCPRIM_400000_NS6detail17trampoline_kernelINS0_14default_configENS1_25transform_config_selectorIdLb1EEEZNS1_14transform_implILb1ES3_S5_PdS7_NS0_8identityIdEEEE10hipError_tT2_T3_mT4_P12ihipStream_tbEUlT_E_NS1_11comp_targetILNS1_3genE2ELNS1_11target_archE906ELNS1_3gpuE6ELNS1_3repE0EEENS1_30default_config_static_selectorELNS0_4arch9wavefront6targetE0EEEvT1_,@function
_ZN7rocprim17ROCPRIM_400000_NS6detail17trampoline_kernelINS0_14default_configENS1_25transform_config_selectorIdLb1EEEZNS1_14transform_implILb1ES3_S5_PdS7_NS0_8identityIdEEEE10hipError_tT2_T3_mT4_P12ihipStream_tbEUlT_E_NS1_11comp_targetILNS1_3genE2ELNS1_11target_archE906ELNS1_3gpuE6ELNS1_3repE0EEENS1_30default_config_static_selectorELNS0_4arch9wavefront6targetE0EEEvT1_: ; @_ZN7rocprim17ROCPRIM_400000_NS6detail17trampoline_kernelINS0_14default_configENS1_25transform_config_selectorIdLb1EEEZNS1_14transform_implILb1ES3_S5_PdS7_NS0_8identityIdEEEE10hipError_tT2_T3_mT4_P12ihipStream_tbEUlT_E_NS1_11comp_targetILNS1_3genE2ELNS1_11target_archE906ELNS1_3gpuE6ELNS1_3repE0EEENS1_30default_config_static_selectorELNS0_4arch9wavefront6targetE0EEEvT1_
; %bb.0:
	.section	.rodata,"a",@progbits
	.p2align	6, 0x0
	.amdhsa_kernel _ZN7rocprim17ROCPRIM_400000_NS6detail17trampoline_kernelINS0_14default_configENS1_25transform_config_selectorIdLb1EEEZNS1_14transform_implILb1ES3_S5_PdS7_NS0_8identityIdEEEE10hipError_tT2_T3_mT4_P12ihipStream_tbEUlT_E_NS1_11comp_targetILNS1_3genE2ELNS1_11target_archE906ELNS1_3gpuE6ELNS1_3repE0EEENS1_30default_config_static_selectorELNS0_4arch9wavefront6targetE0EEEvT1_
		.amdhsa_group_segment_fixed_size 0
		.amdhsa_private_segment_fixed_size 0
		.amdhsa_kernarg_size 40
		.amdhsa_user_sgpr_count 6
		.amdhsa_user_sgpr_private_segment_buffer 1
		.amdhsa_user_sgpr_dispatch_ptr 0
		.amdhsa_user_sgpr_queue_ptr 0
		.amdhsa_user_sgpr_kernarg_segment_ptr 1
		.amdhsa_user_sgpr_dispatch_id 0
		.amdhsa_user_sgpr_flat_scratch_init 0
		.amdhsa_user_sgpr_private_segment_size 0
		.amdhsa_wavefront_size32 1
		.amdhsa_uses_dynamic_stack 0
		.amdhsa_system_sgpr_private_segment_wavefront_offset 0
		.amdhsa_system_sgpr_workgroup_id_x 1
		.amdhsa_system_sgpr_workgroup_id_y 0
		.amdhsa_system_sgpr_workgroup_id_z 0
		.amdhsa_system_sgpr_workgroup_info 0
		.amdhsa_system_vgpr_workitem_id 0
		.amdhsa_next_free_vgpr 1
		.amdhsa_next_free_sgpr 1
		.amdhsa_reserve_vcc 0
		.amdhsa_reserve_flat_scratch 0
		.amdhsa_float_round_mode_32 0
		.amdhsa_float_round_mode_16_64 0
		.amdhsa_float_denorm_mode_32 3
		.amdhsa_float_denorm_mode_16_64 3
		.amdhsa_dx10_clamp 1
		.amdhsa_ieee_mode 1
		.amdhsa_fp16_overflow 0
		.amdhsa_workgroup_processor_mode 1
		.amdhsa_memory_ordered 1
		.amdhsa_forward_progress 1
		.amdhsa_shared_vgpr_count 0
		.amdhsa_exception_fp_ieee_invalid_op 0
		.amdhsa_exception_fp_denorm_src 0
		.amdhsa_exception_fp_ieee_div_zero 0
		.amdhsa_exception_fp_ieee_overflow 0
		.amdhsa_exception_fp_ieee_underflow 0
		.amdhsa_exception_fp_ieee_inexact 0
		.amdhsa_exception_int_div_zero 0
	.end_amdhsa_kernel
	.section	.text._ZN7rocprim17ROCPRIM_400000_NS6detail17trampoline_kernelINS0_14default_configENS1_25transform_config_selectorIdLb1EEEZNS1_14transform_implILb1ES3_S5_PdS7_NS0_8identityIdEEEE10hipError_tT2_T3_mT4_P12ihipStream_tbEUlT_E_NS1_11comp_targetILNS1_3genE2ELNS1_11target_archE906ELNS1_3gpuE6ELNS1_3repE0EEENS1_30default_config_static_selectorELNS0_4arch9wavefront6targetE0EEEvT1_,"axG",@progbits,_ZN7rocprim17ROCPRIM_400000_NS6detail17trampoline_kernelINS0_14default_configENS1_25transform_config_selectorIdLb1EEEZNS1_14transform_implILb1ES3_S5_PdS7_NS0_8identityIdEEEE10hipError_tT2_T3_mT4_P12ihipStream_tbEUlT_E_NS1_11comp_targetILNS1_3genE2ELNS1_11target_archE906ELNS1_3gpuE6ELNS1_3repE0EEENS1_30default_config_static_selectorELNS0_4arch9wavefront6targetE0EEEvT1_,comdat
.Lfunc_end15:
	.size	_ZN7rocprim17ROCPRIM_400000_NS6detail17trampoline_kernelINS0_14default_configENS1_25transform_config_selectorIdLb1EEEZNS1_14transform_implILb1ES3_S5_PdS7_NS0_8identityIdEEEE10hipError_tT2_T3_mT4_P12ihipStream_tbEUlT_E_NS1_11comp_targetILNS1_3genE2ELNS1_11target_archE906ELNS1_3gpuE6ELNS1_3repE0EEENS1_30default_config_static_selectorELNS0_4arch9wavefront6targetE0EEEvT1_, .Lfunc_end15-_ZN7rocprim17ROCPRIM_400000_NS6detail17trampoline_kernelINS0_14default_configENS1_25transform_config_selectorIdLb1EEEZNS1_14transform_implILb1ES3_S5_PdS7_NS0_8identityIdEEEE10hipError_tT2_T3_mT4_P12ihipStream_tbEUlT_E_NS1_11comp_targetILNS1_3genE2ELNS1_11target_archE906ELNS1_3gpuE6ELNS1_3repE0EEENS1_30default_config_static_selectorELNS0_4arch9wavefront6targetE0EEEvT1_
                                        ; -- End function
	.set _ZN7rocprim17ROCPRIM_400000_NS6detail17trampoline_kernelINS0_14default_configENS1_25transform_config_selectorIdLb1EEEZNS1_14transform_implILb1ES3_S5_PdS7_NS0_8identityIdEEEE10hipError_tT2_T3_mT4_P12ihipStream_tbEUlT_E_NS1_11comp_targetILNS1_3genE2ELNS1_11target_archE906ELNS1_3gpuE6ELNS1_3repE0EEENS1_30default_config_static_selectorELNS0_4arch9wavefront6targetE0EEEvT1_.num_vgpr, 0
	.set _ZN7rocprim17ROCPRIM_400000_NS6detail17trampoline_kernelINS0_14default_configENS1_25transform_config_selectorIdLb1EEEZNS1_14transform_implILb1ES3_S5_PdS7_NS0_8identityIdEEEE10hipError_tT2_T3_mT4_P12ihipStream_tbEUlT_E_NS1_11comp_targetILNS1_3genE2ELNS1_11target_archE906ELNS1_3gpuE6ELNS1_3repE0EEENS1_30default_config_static_selectorELNS0_4arch9wavefront6targetE0EEEvT1_.num_agpr, 0
	.set _ZN7rocprim17ROCPRIM_400000_NS6detail17trampoline_kernelINS0_14default_configENS1_25transform_config_selectorIdLb1EEEZNS1_14transform_implILb1ES3_S5_PdS7_NS0_8identityIdEEEE10hipError_tT2_T3_mT4_P12ihipStream_tbEUlT_E_NS1_11comp_targetILNS1_3genE2ELNS1_11target_archE906ELNS1_3gpuE6ELNS1_3repE0EEENS1_30default_config_static_selectorELNS0_4arch9wavefront6targetE0EEEvT1_.numbered_sgpr, 0
	.set _ZN7rocprim17ROCPRIM_400000_NS6detail17trampoline_kernelINS0_14default_configENS1_25transform_config_selectorIdLb1EEEZNS1_14transform_implILb1ES3_S5_PdS7_NS0_8identityIdEEEE10hipError_tT2_T3_mT4_P12ihipStream_tbEUlT_E_NS1_11comp_targetILNS1_3genE2ELNS1_11target_archE906ELNS1_3gpuE6ELNS1_3repE0EEENS1_30default_config_static_selectorELNS0_4arch9wavefront6targetE0EEEvT1_.num_named_barrier, 0
	.set _ZN7rocprim17ROCPRIM_400000_NS6detail17trampoline_kernelINS0_14default_configENS1_25transform_config_selectorIdLb1EEEZNS1_14transform_implILb1ES3_S5_PdS7_NS0_8identityIdEEEE10hipError_tT2_T3_mT4_P12ihipStream_tbEUlT_E_NS1_11comp_targetILNS1_3genE2ELNS1_11target_archE906ELNS1_3gpuE6ELNS1_3repE0EEENS1_30default_config_static_selectorELNS0_4arch9wavefront6targetE0EEEvT1_.private_seg_size, 0
	.set _ZN7rocprim17ROCPRIM_400000_NS6detail17trampoline_kernelINS0_14default_configENS1_25transform_config_selectorIdLb1EEEZNS1_14transform_implILb1ES3_S5_PdS7_NS0_8identityIdEEEE10hipError_tT2_T3_mT4_P12ihipStream_tbEUlT_E_NS1_11comp_targetILNS1_3genE2ELNS1_11target_archE906ELNS1_3gpuE6ELNS1_3repE0EEENS1_30default_config_static_selectorELNS0_4arch9wavefront6targetE0EEEvT1_.uses_vcc, 0
	.set _ZN7rocprim17ROCPRIM_400000_NS6detail17trampoline_kernelINS0_14default_configENS1_25transform_config_selectorIdLb1EEEZNS1_14transform_implILb1ES3_S5_PdS7_NS0_8identityIdEEEE10hipError_tT2_T3_mT4_P12ihipStream_tbEUlT_E_NS1_11comp_targetILNS1_3genE2ELNS1_11target_archE906ELNS1_3gpuE6ELNS1_3repE0EEENS1_30default_config_static_selectorELNS0_4arch9wavefront6targetE0EEEvT1_.uses_flat_scratch, 0
	.set _ZN7rocprim17ROCPRIM_400000_NS6detail17trampoline_kernelINS0_14default_configENS1_25transform_config_selectorIdLb1EEEZNS1_14transform_implILb1ES3_S5_PdS7_NS0_8identityIdEEEE10hipError_tT2_T3_mT4_P12ihipStream_tbEUlT_E_NS1_11comp_targetILNS1_3genE2ELNS1_11target_archE906ELNS1_3gpuE6ELNS1_3repE0EEENS1_30default_config_static_selectorELNS0_4arch9wavefront6targetE0EEEvT1_.has_dyn_sized_stack, 0
	.set _ZN7rocprim17ROCPRIM_400000_NS6detail17trampoline_kernelINS0_14default_configENS1_25transform_config_selectorIdLb1EEEZNS1_14transform_implILb1ES3_S5_PdS7_NS0_8identityIdEEEE10hipError_tT2_T3_mT4_P12ihipStream_tbEUlT_E_NS1_11comp_targetILNS1_3genE2ELNS1_11target_archE906ELNS1_3gpuE6ELNS1_3repE0EEENS1_30default_config_static_selectorELNS0_4arch9wavefront6targetE0EEEvT1_.has_recursion, 0
	.set _ZN7rocprim17ROCPRIM_400000_NS6detail17trampoline_kernelINS0_14default_configENS1_25transform_config_selectorIdLb1EEEZNS1_14transform_implILb1ES3_S5_PdS7_NS0_8identityIdEEEE10hipError_tT2_T3_mT4_P12ihipStream_tbEUlT_E_NS1_11comp_targetILNS1_3genE2ELNS1_11target_archE906ELNS1_3gpuE6ELNS1_3repE0EEENS1_30default_config_static_selectorELNS0_4arch9wavefront6targetE0EEEvT1_.has_indirect_call, 0
	.section	.AMDGPU.csdata,"",@progbits
; Kernel info:
; codeLenInByte = 0
; TotalNumSgprs: 0
; NumVgprs: 0
; ScratchSize: 0
; MemoryBound: 0
; FloatMode: 240
; IeeeMode: 1
; LDSByteSize: 0 bytes/workgroup (compile time only)
; SGPRBlocks: 0
; VGPRBlocks: 0
; NumSGPRsForWavesPerEU: 1
; NumVGPRsForWavesPerEU: 1
; Occupancy: 16
; WaveLimiterHint : 0
; COMPUTE_PGM_RSRC2:SCRATCH_EN: 0
; COMPUTE_PGM_RSRC2:USER_SGPR: 6
; COMPUTE_PGM_RSRC2:TRAP_HANDLER: 0
; COMPUTE_PGM_RSRC2:TGID_X_EN: 1
; COMPUTE_PGM_RSRC2:TGID_Y_EN: 0
; COMPUTE_PGM_RSRC2:TGID_Z_EN: 0
; COMPUTE_PGM_RSRC2:TIDIG_COMP_CNT: 0
	.section	.text._ZN7rocprim17ROCPRIM_400000_NS6detail17trampoline_kernelINS0_14default_configENS1_25transform_config_selectorIdLb1EEEZNS1_14transform_implILb1ES3_S5_PdS7_NS0_8identityIdEEEE10hipError_tT2_T3_mT4_P12ihipStream_tbEUlT_E_NS1_11comp_targetILNS1_3genE9ELNS1_11target_archE1100ELNS1_3gpuE3ELNS1_3repE0EEENS1_30default_config_static_selectorELNS0_4arch9wavefront6targetE0EEEvT1_,"axG",@progbits,_ZN7rocprim17ROCPRIM_400000_NS6detail17trampoline_kernelINS0_14default_configENS1_25transform_config_selectorIdLb1EEEZNS1_14transform_implILb1ES3_S5_PdS7_NS0_8identityIdEEEE10hipError_tT2_T3_mT4_P12ihipStream_tbEUlT_E_NS1_11comp_targetILNS1_3genE9ELNS1_11target_archE1100ELNS1_3gpuE3ELNS1_3repE0EEENS1_30default_config_static_selectorELNS0_4arch9wavefront6targetE0EEEvT1_,comdat
	.protected	_ZN7rocprim17ROCPRIM_400000_NS6detail17trampoline_kernelINS0_14default_configENS1_25transform_config_selectorIdLb1EEEZNS1_14transform_implILb1ES3_S5_PdS7_NS0_8identityIdEEEE10hipError_tT2_T3_mT4_P12ihipStream_tbEUlT_E_NS1_11comp_targetILNS1_3genE9ELNS1_11target_archE1100ELNS1_3gpuE3ELNS1_3repE0EEENS1_30default_config_static_selectorELNS0_4arch9wavefront6targetE0EEEvT1_ ; -- Begin function _ZN7rocprim17ROCPRIM_400000_NS6detail17trampoline_kernelINS0_14default_configENS1_25transform_config_selectorIdLb1EEEZNS1_14transform_implILb1ES3_S5_PdS7_NS0_8identityIdEEEE10hipError_tT2_T3_mT4_P12ihipStream_tbEUlT_E_NS1_11comp_targetILNS1_3genE9ELNS1_11target_archE1100ELNS1_3gpuE3ELNS1_3repE0EEENS1_30default_config_static_selectorELNS0_4arch9wavefront6targetE0EEEvT1_
	.globl	_ZN7rocprim17ROCPRIM_400000_NS6detail17trampoline_kernelINS0_14default_configENS1_25transform_config_selectorIdLb1EEEZNS1_14transform_implILb1ES3_S5_PdS7_NS0_8identityIdEEEE10hipError_tT2_T3_mT4_P12ihipStream_tbEUlT_E_NS1_11comp_targetILNS1_3genE9ELNS1_11target_archE1100ELNS1_3gpuE3ELNS1_3repE0EEENS1_30default_config_static_selectorELNS0_4arch9wavefront6targetE0EEEvT1_
	.p2align	8
	.type	_ZN7rocprim17ROCPRIM_400000_NS6detail17trampoline_kernelINS0_14default_configENS1_25transform_config_selectorIdLb1EEEZNS1_14transform_implILb1ES3_S5_PdS7_NS0_8identityIdEEEE10hipError_tT2_T3_mT4_P12ihipStream_tbEUlT_E_NS1_11comp_targetILNS1_3genE9ELNS1_11target_archE1100ELNS1_3gpuE3ELNS1_3repE0EEENS1_30default_config_static_selectorELNS0_4arch9wavefront6targetE0EEEvT1_,@function
_ZN7rocprim17ROCPRIM_400000_NS6detail17trampoline_kernelINS0_14default_configENS1_25transform_config_selectorIdLb1EEEZNS1_14transform_implILb1ES3_S5_PdS7_NS0_8identityIdEEEE10hipError_tT2_T3_mT4_P12ihipStream_tbEUlT_E_NS1_11comp_targetILNS1_3genE9ELNS1_11target_archE1100ELNS1_3gpuE3ELNS1_3repE0EEENS1_30default_config_static_selectorELNS0_4arch9wavefront6targetE0EEEvT1_: ; @_ZN7rocprim17ROCPRIM_400000_NS6detail17trampoline_kernelINS0_14default_configENS1_25transform_config_selectorIdLb1EEEZNS1_14transform_implILb1ES3_S5_PdS7_NS0_8identityIdEEEE10hipError_tT2_T3_mT4_P12ihipStream_tbEUlT_E_NS1_11comp_targetILNS1_3genE9ELNS1_11target_archE1100ELNS1_3gpuE3ELNS1_3repE0EEENS1_30default_config_static_selectorELNS0_4arch9wavefront6targetE0EEEvT1_
; %bb.0:
	.section	.rodata,"a",@progbits
	.p2align	6, 0x0
	.amdhsa_kernel _ZN7rocprim17ROCPRIM_400000_NS6detail17trampoline_kernelINS0_14default_configENS1_25transform_config_selectorIdLb1EEEZNS1_14transform_implILb1ES3_S5_PdS7_NS0_8identityIdEEEE10hipError_tT2_T3_mT4_P12ihipStream_tbEUlT_E_NS1_11comp_targetILNS1_3genE9ELNS1_11target_archE1100ELNS1_3gpuE3ELNS1_3repE0EEENS1_30default_config_static_selectorELNS0_4arch9wavefront6targetE0EEEvT1_
		.amdhsa_group_segment_fixed_size 0
		.amdhsa_private_segment_fixed_size 0
		.amdhsa_kernarg_size 40
		.amdhsa_user_sgpr_count 6
		.amdhsa_user_sgpr_private_segment_buffer 1
		.amdhsa_user_sgpr_dispatch_ptr 0
		.amdhsa_user_sgpr_queue_ptr 0
		.amdhsa_user_sgpr_kernarg_segment_ptr 1
		.amdhsa_user_sgpr_dispatch_id 0
		.amdhsa_user_sgpr_flat_scratch_init 0
		.amdhsa_user_sgpr_private_segment_size 0
		.amdhsa_wavefront_size32 1
		.amdhsa_uses_dynamic_stack 0
		.amdhsa_system_sgpr_private_segment_wavefront_offset 0
		.amdhsa_system_sgpr_workgroup_id_x 1
		.amdhsa_system_sgpr_workgroup_id_y 0
		.amdhsa_system_sgpr_workgroup_id_z 0
		.amdhsa_system_sgpr_workgroup_info 0
		.amdhsa_system_vgpr_workitem_id 0
		.amdhsa_next_free_vgpr 1
		.amdhsa_next_free_sgpr 1
		.amdhsa_reserve_vcc 0
		.amdhsa_reserve_flat_scratch 0
		.amdhsa_float_round_mode_32 0
		.amdhsa_float_round_mode_16_64 0
		.amdhsa_float_denorm_mode_32 3
		.amdhsa_float_denorm_mode_16_64 3
		.amdhsa_dx10_clamp 1
		.amdhsa_ieee_mode 1
		.amdhsa_fp16_overflow 0
		.amdhsa_workgroup_processor_mode 1
		.amdhsa_memory_ordered 1
		.amdhsa_forward_progress 1
		.amdhsa_shared_vgpr_count 0
		.amdhsa_exception_fp_ieee_invalid_op 0
		.amdhsa_exception_fp_denorm_src 0
		.amdhsa_exception_fp_ieee_div_zero 0
		.amdhsa_exception_fp_ieee_overflow 0
		.amdhsa_exception_fp_ieee_underflow 0
		.amdhsa_exception_fp_ieee_inexact 0
		.amdhsa_exception_int_div_zero 0
	.end_amdhsa_kernel
	.section	.text._ZN7rocprim17ROCPRIM_400000_NS6detail17trampoline_kernelINS0_14default_configENS1_25transform_config_selectorIdLb1EEEZNS1_14transform_implILb1ES3_S5_PdS7_NS0_8identityIdEEEE10hipError_tT2_T3_mT4_P12ihipStream_tbEUlT_E_NS1_11comp_targetILNS1_3genE9ELNS1_11target_archE1100ELNS1_3gpuE3ELNS1_3repE0EEENS1_30default_config_static_selectorELNS0_4arch9wavefront6targetE0EEEvT1_,"axG",@progbits,_ZN7rocprim17ROCPRIM_400000_NS6detail17trampoline_kernelINS0_14default_configENS1_25transform_config_selectorIdLb1EEEZNS1_14transform_implILb1ES3_S5_PdS7_NS0_8identityIdEEEE10hipError_tT2_T3_mT4_P12ihipStream_tbEUlT_E_NS1_11comp_targetILNS1_3genE9ELNS1_11target_archE1100ELNS1_3gpuE3ELNS1_3repE0EEENS1_30default_config_static_selectorELNS0_4arch9wavefront6targetE0EEEvT1_,comdat
.Lfunc_end16:
	.size	_ZN7rocprim17ROCPRIM_400000_NS6detail17trampoline_kernelINS0_14default_configENS1_25transform_config_selectorIdLb1EEEZNS1_14transform_implILb1ES3_S5_PdS7_NS0_8identityIdEEEE10hipError_tT2_T3_mT4_P12ihipStream_tbEUlT_E_NS1_11comp_targetILNS1_3genE9ELNS1_11target_archE1100ELNS1_3gpuE3ELNS1_3repE0EEENS1_30default_config_static_selectorELNS0_4arch9wavefront6targetE0EEEvT1_, .Lfunc_end16-_ZN7rocprim17ROCPRIM_400000_NS6detail17trampoline_kernelINS0_14default_configENS1_25transform_config_selectorIdLb1EEEZNS1_14transform_implILb1ES3_S5_PdS7_NS0_8identityIdEEEE10hipError_tT2_T3_mT4_P12ihipStream_tbEUlT_E_NS1_11comp_targetILNS1_3genE9ELNS1_11target_archE1100ELNS1_3gpuE3ELNS1_3repE0EEENS1_30default_config_static_selectorELNS0_4arch9wavefront6targetE0EEEvT1_
                                        ; -- End function
	.set _ZN7rocprim17ROCPRIM_400000_NS6detail17trampoline_kernelINS0_14default_configENS1_25transform_config_selectorIdLb1EEEZNS1_14transform_implILb1ES3_S5_PdS7_NS0_8identityIdEEEE10hipError_tT2_T3_mT4_P12ihipStream_tbEUlT_E_NS1_11comp_targetILNS1_3genE9ELNS1_11target_archE1100ELNS1_3gpuE3ELNS1_3repE0EEENS1_30default_config_static_selectorELNS0_4arch9wavefront6targetE0EEEvT1_.num_vgpr, 0
	.set _ZN7rocprim17ROCPRIM_400000_NS6detail17trampoline_kernelINS0_14default_configENS1_25transform_config_selectorIdLb1EEEZNS1_14transform_implILb1ES3_S5_PdS7_NS0_8identityIdEEEE10hipError_tT2_T3_mT4_P12ihipStream_tbEUlT_E_NS1_11comp_targetILNS1_3genE9ELNS1_11target_archE1100ELNS1_3gpuE3ELNS1_3repE0EEENS1_30default_config_static_selectorELNS0_4arch9wavefront6targetE0EEEvT1_.num_agpr, 0
	.set _ZN7rocprim17ROCPRIM_400000_NS6detail17trampoline_kernelINS0_14default_configENS1_25transform_config_selectorIdLb1EEEZNS1_14transform_implILb1ES3_S5_PdS7_NS0_8identityIdEEEE10hipError_tT2_T3_mT4_P12ihipStream_tbEUlT_E_NS1_11comp_targetILNS1_3genE9ELNS1_11target_archE1100ELNS1_3gpuE3ELNS1_3repE0EEENS1_30default_config_static_selectorELNS0_4arch9wavefront6targetE0EEEvT1_.numbered_sgpr, 0
	.set _ZN7rocprim17ROCPRIM_400000_NS6detail17trampoline_kernelINS0_14default_configENS1_25transform_config_selectorIdLb1EEEZNS1_14transform_implILb1ES3_S5_PdS7_NS0_8identityIdEEEE10hipError_tT2_T3_mT4_P12ihipStream_tbEUlT_E_NS1_11comp_targetILNS1_3genE9ELNS1_11target_archE1100ELNS1_3gpuE3ELNS1_3repE0EEENS1_30default_config_static_selectorELNS0_4arch9wavefront6targetE0EEEvT1_.num_named_barrier, 0
	.set _ZN7rocprim17ROCPRIM_400000_NS6detail17trampoline_kernelINS0_14default_configENS1_25transform_config_selectorIdLb1EEEZNS1_14transform_implILb1ES3_S5_PdS7_NS0_8identityIdEEEE10hipError_tT2_T3_mT4_P12ihipStream_tbEUlT_E_NS1_11comp_targetILNS1_3genE9ELNS1_11target_archE1100ELNS1_3gpuE3ELNS1_3repE0EEENS1_30default_config_static_selectorELNS0_4arch9wavefront6targetE0EEEvT1_.private_seg_size, 0
	.set _ZN7rocprim17ROCPRIM_400000_NS6detail17trampoline_kernelINS0_14default_configENS1_25transform_config_selectorIdLb1EEEZNS1_14transform_implILb1ES3_S5_PdS7_NS0_8identityIdEEEE10hipError_tT2_T3_mT4_P12ihipStream_tbEUlT_E_NS1_11comp_targetILNS1_3genE9ELNS1_11target_archE1100ELNS1_3gpuE3ELNS1_3repE0EEENS1_30default_config_static_selectorELNS0_4arch9wavefront6targetE0EEEvT1_.uses_vcc, 0
	.set _ZN7rocprim17ROCPRIM_400000_NS6detail17trampoline_kernelINS0_14default_configENS1_25transform_config_selectorIdLb1EEEZNS1_14transform_implILb1ES3_S5_PdS7_NS0_8identityIdEEEE10hipError_tT2_T3_mT4_P12ihipStream_tbEUlT_E_NS1_11comp_targetILNS1_3genE9ELNS1_11target_archE1100ELNS1_3gpuE3ELNS1_3repE0EEENS1_30default_config_static_selectorELNS0_4arch9wavefront6targetE0EEEvT1_.uses_flat_scratch, 0
	.set _ZN7rocprim17ROCPRIM_400000_NS6detail17trampoline_kernelINS0_14default_configENS1_25transform_config_selectorIdLb1EEEZNS1_14transform_implILb1ES3_S5_PdS7_NS0_8identityIdEEEE10hipError_tT2_T3_mT4_P12ihipStream_tbEUlT_E_NS1_11comp_targetILNS1_3genE9ELNS1_11target_archE1100ELNS1_3gpuE3ELNS1_3repE0EEENS1_30default_config_static_selectorELNS0_4arch9wavefront6targetE0EEEvT1_.has_dyn_sized_stack, 0
	.set _ZN7rocprim17ROCPRIM_400000_NS6detail17trampoline_kernelINS0_14default_configENS1_25transform_config_selectorIdLb1EEEZNS1_14transform_implILb1ES3_S5_PdS7_NS0_8identityIdEEEE10hipError_tT2_T3_mT4_P12ihipStream_tbEUlT_E_NS1_11comp_targetILNS1_3genE9ELNS1_11target_archE1100ELNS1_3gpuE3ELNS1_3repE0EEENS1_30default_config_static_selectorELNS0_4arch9wavefront6targetE0EEEvT1_.has_recursion, 0
	.set _ZN7rocprim17ROCPRIM_400000_NS6detail17trampoline_kernelINS0_14default_configENS1_25transform_config_selectorIdLb1EEEZNS1_14transform_implILb1ES3_S5_PdS7_NS0_8identityIdEEEE10hipError_tT2_T3_mT4_P12ihipStream_tbEUlT_E_NS1_11comp_targetILNS1_3genE9ELNS1_11target_archE1100ELNS1_3gpuE3ELNS1_3repE0EEENS1_30default_config_static_selectorELNS0_4arch9wavefront6targetE0EEEvT1_.has_indirect_call, 0
	.section	.AMDGPU.csdata,"",@progbits
; Kernel info:
; codeLenInByte = 0
; TotalNumSgprs: 0
; NumVgprs: 0
; ScratchSize: 0
; MemoryBound: 0
; FloatMode: 240
; IeeeMode: 1
; LDSByteSize: 0 bytes/workgroup (compile time only)
; SGPRBlocks: 0
; VGPRBlocks: 0
; NumSGPRsForWavesPerEU: 1
; NumVGPRsForWavesPerEU: 1
; Occupancy: 16
; WaveLimiterHint : 0
; COMPUTE_PGM_RSRC2:SCRATCH_EN: 0
; COMPUTE_PGM_RSRC2:USER_SGPR: 6
; COMPUTE_PGM_RSRC2:TRAP_HANDLER: 0
; COMPUTE_PGM_RSRC2:TGID_X_EN: 1
; COMPUTE_PGM_RSRC2:TGID_Y_EN: 0
; COMPUTE_PGM_RSRC2:TGID_Z_EN: 0
; COMPUTE_PGM_RSRC2:TIDIG_COMP_CNT: 0
	.section	.text._ZN7rocprim17ROCPRIM_400000_NS6detail17trampoline_kernelINS0_14default_configENS1_25transform_config_selectorIdLb1EEEZNS1_14transform_implILb1ES3_S5_PdS7_NS0_8identityIdEEEE10hipError_tT2_T3_mT4_P12ihipStream_tbEUlT_E_NS1_11comp_targetILNS1_3genE8ELNS1_11target_archE1030ELNS1_3gpuE2ELNS1_3repE0EEENS1_30default_config_static_selectorELNS0_4arch9wavefront6targetE0EEEvT1_,"axG",@progbits,_ZN7rocprim17ROCPRIM_400000_NS6detail17trampoline_kernelINS0_14default_configENS1_25transform_config_selectorIdLb1EEEZNS1_14transform_implILb1ES3_S5_PdS7_NS0_8identityIdEEEE10hipError_tT2_T3_mT4_P12ihipStream_tbEUlT_E_NS1_11comp_targetILNS1_3genE8ELNS1_11target_archE1030ELNS1_3gpuE2ELNS1_3repE0EEENS1_30default_config_static_selectorELNS0_4arch9wavefront6targetE0EEEvT1_,comdat
	.protected	_ZN7rocprim17ROCPRIM_400000_NS6detail17trampoline_kernelINS0_14default_configENS1_25transform_config_selectorIdLb1EEEZNS1_14transform_implILb1ES3_S5_PdS7_NS0_8identityIdEEEE10hipError_tT2_T3_mT4_P12ihipStream_tbEUlT_E_NS1_11comp_targetILNS1_3genE8ELNS1_11target_archE1030ELNS1_3gpuE2ELNS1_3repE0EEENS1_30default_config_static_selectorELNS0_4arch9wavefront6targetE0EEEvT1_ ; -- Begin function _ZN7rocprim17ROCPRIM_400000_NS6detail17trampoline_kernelINS0_14default_configENS1_25transform_config_selectorIdLb1EEEZNS1_14transform_implILb1ES3_S5_PdS7_NS0_8identityIdEEEE10hipError_tT2_T3_mT4_P12ihipStream_tbEUlT_E_NS1_11comp_targetILNS1_3genE8ELNS1_11target_archE1030ELNS1_3gpuE2ELNS1_3repE0EEENS1_30default_config_static_selectorELNS0_4arch9wavefront6targetE0EEEvT1_
	.globl	_ZN7rocprim17ROCPRIM_400000_NS6detail17trampoline_kernelINS0_14default_configENS1_25transform_config_selectorIdLb1EEEZNS1_14transform_implILb1ES3_S5_PdS7_NS0_8identityIdEEEE10hipError_tT2_T3_mT4_P12ihipStream_tbEUlT_E_NS1_11comp_targetILNS1_3genE8ELNS1_11target_archE1030ELNS1_3gpuE2ELNS1_3repE0EEENS1_30default_config_static_selectorELNS0_4arch9wavefront6targetE0EEEvT1_
	.p2align	8
	.type	_ZN7rocprim17ROCPRIM_400000_NS6detail17trampoline_kernelINS0_14default_configENS1_25transform_config_selectorIdLb1EEEZNS1_14transform_implILb1ES3_S5_PdS7_NS0_8identityIdEEEE10hipError_tT2_T3_mT4_P12ihipStream_tbEUlT_E_NS1_11comp_targetILNS1_3genE8ELNS1_11target_archE1030ELNS1_3gpuE2ELNS1_3repE0EEENS1_30default_config_static_selectorELNS0_4arch9wavefront6targetE0EEEvT1_,@function
_ZN7rocprim17ROCPRIM_400000_NS6detail17trampoline_kernelINS0_14default_configENS1_25transform_config_selectorIdLb1EEEZNS1_14transform_implILb1ES3_S5_PdS7_NS0_8identityIdEEEE10hipError_tT2_T3_mT4_P12ihipStream_tbEUlT_E_NS1_11comp_targetILNS1_3genE8ELNS1_11target_archE1030ELNS1_3gpuE2ELNS1_3repE0EEENS1_30default_config_static_selectorELNS0_4arch9wavefront6targetE0EEEvT1_: ; @_ZN7rocprim17ROCPRIM_400000_NS6detail17trampoline_kernelINS0_14default_configENS1_25transform_config_selectorIdLb1EEEZNS1_14transform_implILb1ES3_S5_PdS7_NS0_8identityIdEEEE10hipError_tT2_T3_mT4_P12ihipStream_tbEUlT_E_NS1_11comp_targetILNS1_3genE8ELNS1_11target_archE1030ELNS1_3gpuE2ELNS1_3repE0EEENS1_30default_config_static_selectorELNS0_4arch9wavefront6targetE0EEEvT1_
; %bb.0:
	s_clause 0x1
	s_load_dword s0, s[4:5], 0x28
	s_load_dword s1, s[4:5], 0x10
	s_waitcnt lgkmcnt(0)
	s_add_i32 s2, s0, -1
	s_lshl_b32 s0, s6, 10
	s_cmp_lg_u32 s6, s2
	s_cselect_b32 s2, -1, 0
	s_sub_i32 s1, s1, s0
	v_cmp_gt_u32_e32 vcc_lo, s1, v0
	s_or_b32 s1, vcc_lo, s2
	s_and_saveexec_b32 s2, s1
	s_cbranch_execz .LBB17_2
; %bb.1:
	s_clause 0x1
	s_load_dwordx4 s[8:11], s[4:5], 0x0
	s_load_dwordx2 s[2:3], s[4:5], 0x18
	s_mov_b32 s1, 0
	v_lshlrev_b32_e32 v2, 3, v0
	s_waitcnt lgkmcnt(0)
	s_lshl_b64 s[4:5], s[10:11], 3
	s_add_u32 s6, s8, s4
	s_addc_u32 s7, s9, s5
	s_lshl_b64 s[0:1], s[0:1], 3
	s_add_u32 s6, s6, s0
	s_addc_u32 s7, s7, s1
	s_add_u32 s2, s2, s4
	global_load_dwordx2 v[0:1], v2, s[6:7]
	s_addc_u32 s3, s3, s5
	s_add_u32 s0, s2, s0
	s_addc_u32 s1, s3, s1
	s_waitcnt vmcnt(0)
	global_store_dwordx2 v2, v[0:1], s[0:1]
.LBB17_2:
	s_endpgm
	.section	.rodata,"a",@progbits
	.p2align	6, 0x0
	.amdhsa_kernel _ZN7rocprim17ROCPRIM_400000_NS6detail17trampoline_kernelINS0_14default_configENS1_25transform_config_selectorIdLb1EEEZNS1_14transform_implILb1ES3_S5_PdS7_NS0_8identityIdEEEE10hipError_tT2_T3_mT4_P12ihipStream_tbEUlT_E_NS1_11comp_targetILNS1_3genE8ELNS1_11target_archE1030ELNS1_3gpuE2ELNS1_3repE0EEENS1_30default_config_static_selectorELNS0_4arch9wavefront6targetE0EEEvT1_
		.amdhsa_group_segment_fixed_size 0
		.amdhsa_private_segment_fixed_size 0
		.amdhsa_kernarg_size 296
		.amdhsa_user_sgpr_count 6
		.amdhsa_user_sgpr_private_segment_buffer 1
		.amdhsa_user_sgpr_dispatch_ptr 0
		.amdhsa_user_sgpr_queue_ptr 0
		.amdhsa_user_sgpr_kernarg_segment_ptr 1
		.amdhsa_user_sgpr_dispatch_id 0
		.amdhsa_user_sgpr_flat_scratch_init 0
		.amdhsa_user_sgpr_private_segment_size 0
		.amdhsa_wavefront_size32 1
		.amdhsa_uses_dynamic_stack 0
		.amdhsa_system_sgpr_private_segment_wavefront_offset 0
		.amdhsa_system_sgpr_workgroup_id_x 1
		.amdhsa_system_sgpr_workgroup_id_y 0
		.amdhsa_system_sgpr_workgroup_id_z 0
		.amdhsa_system_sgpr_workgroup_info 0
		.amdhsa_system_vgpr_workitem_id 0
		.amdhsa_next_free_vgpr 3
		.amdhsa_next_free_sgpr 12
		.amdhsa_reserve_vcc 1
		.amdhsa_reserve_flat_scratch 0
		.amdhsa_float_round_mode_32 0
		.amdhsa_float_round_mode_16_64 0
		.amdhsa_float_denorm_mode_32 3
		.amdhsa_float_denorm_mode_16_64 3
		.amdhsa_dx10_clamp 1
		.amdhsa_ieee_mode 1
		.amdhsa_fp16_overflow 0
		.amdhsa_workgroup_processor_mode 1
		.amdhsa_memory_ordered 1
		.amdhsa_forward_progress 1
		.amdhsa_shared_vgpr_count 0
		.amdhsa_exception_fp_ieee_invalid_op 0
		.amdhsa_exception_fp_denorm_src 0
		.amdhsa_exception_fp_ieee_div_zero 0
		.amdhsa_exception_fp_ieee_overflow 0
		.amdhsa_exception_fp_ieee_underflow 0
		.amdhsa_exception_fp_ieee_inexact 0
		.amdhsa_exception_int_div_zero 0
	.end_amdhsa_kernel
	.section	.text._ZN7rocprim17ROCPRIM_400000_NS6detail17trampoline_kernelINS0_14default_configENS1_25transform_config_selectorIdLb1EEEZNS1_14transform_implILb1ES3_S5_PdS7_NS0_8identityIdEEEE10hipError_tT2_T3_mT4_P12ihipStream_tbEUlT_E_NS1_11comp_targetILNS1_3genE8ELNS1_11target_archE1030ELNS1_3gpuE2ELNS1_3repE0EEENS1_30default_config_static_selectorELNS0_4arch9wavefront6targetE0EEEvT1_,"axG",@progbits,_ZN7rocprim17ROCPRIM_400000_NS6detail17trampoline_kernelINS0_14default_configENS1_25transform_config_selectorIdLb1EEEZNS1_14transform_implILb1ES3_S5_PdS7_NS0_8identityIdEEEE10hipError_tT2_T3_mT4_P12ihipStream_tbEUlT_E_NS1_11comp_targetILNS1_3genE8ELNS1_11target_archE1030ELNS1_3gpuE2ELNS1_3repE0EEENS1_30default_config_static_selectorELNS0_4arch9wavefront6targetE0EEEvT1_,comdat
.Lfunc_end17:
	.size	_ZN7rocprim17ROCPRIM_400000_NS6detail17trampoline_kernelINS0_14default_configENS1_25transform_config_selectorIdLb1EEEZNS1_14transform_implILb1ES3_S5_PdS7_NS0_8identityIdEEEE10hipError_tT2_T3_mT4_P12ihipStream_tbEUlT_E_NS1_11comp_targetILNS1_3genE8ELNS1_11target_archE1030ELNS1_3gpuE2ELNS1_3repE0EEENS1_30default_config_static_selectorELNS0_4arch9wavefront6targetE0EEEvT1_, .Lfunc_end17-_ZN7rocprim17ROCPRIM_400000_NS6detail17trampoline_kernelINS0_14default_configENS1_25transform_config_selectorIdLb1EEEZNS1_14transform_implILb1ES3_S5_PdS7_NS0_8identityIdEEEE10hipError_tT2_T3_mT4_P12ihipStream_tbEUlT_E_NS1_11comp_targetILNS1_3genE8ELNS1_11target_archE1030ELNS1_3gpuE2ELNS1_3repE0EEENS1_30default_config_static_selectorELNS0_4arch9wavefront6targetE0EEEvT1_
                                        ; -- End function
	.set _ZN7rocprim17ROCPRIM_400000_NS6detail17trampoline_kernelINS0_14default_configENS1_25transform_config_selectorIdLb1EEEZNS1_14transform_implILb1ES3_S5_PdS7_NS0_8identityIdEEEE10hipError_tT2_T3_mT4_P12ihipStream_tbEUlT_E_NS1_11comp_targetILNS1_3genE8ELNS1_11target_archE1030ELNS1_3gpuE2ELNS1_3repE0EEENS1_30default_config_static_selectorELNS0_4arch9wavefront6targetE0EEEvT1_.num_vgpr, 3
	.set _ZN7rocprim17ROCPRIM_400000_NS6detail17trampoline_kernelINS0_14default_configENS1_25transform_config_selectorIdLb1EEEZNS1_14transform_implILb1ES3_S5_PdS7_NS0_8identityIdEEEE10hipError_tT2_T3_mT4_P12ihipStream_tbEUlT_E_NS1_11comp_targetILNS1_3genE8ELNS1_11target_archE1030ELNS1_3gpuE2ELNS1_3repE0EEENS1_30default_config_static_selectorELNS0_4arch9wavefront6targetE0EEEvT1_.num_agpr, 0
	.set _ZN7rocprim17ROCPRIM_400000_NS6detail17trampoline_kernelINS0_14default_configENS1_25transform_config_selectorIdLb1EEEZNS1_14transform_implILb1ES3_S5_PdS7_NS0_8identityIdEEEE10hipError_tT2_T3_mT4_P12ihipStream_tbEUlT_E_NS1_11comp_targetILNS1_3genE8ELNS1_11target_archE1030ELNS1_3gpuE2ELNS1_3repE0EEENS1_30default_config_static_selectorELNS0_4arch9wavefront6targetE0EEEvT1_.numbered_sgpr, 12
	.set _ZN7rocprim17ROCPRIM_400000_NS6detail17trampoline_kernelINS0_14default_configENS1_25transform_config_selectorIdLb1EEEZNS1_14transform_implILb1ES3_S5_PdS7_NS0_8identityIdEEEE10hipError_tT2_T3_mT4_P12ihipStream_tbEUlT_E_NS1_11comp_targetILNS1_3genE8ELNS1_11target_archE1030ELNS1_3gpuE2ELNS1_3repE0EEENS1_30default_config_static_selectorELNS0_4arch9wavefront6targetE0EEEvT1_.num_named_barrier, 0
	.set _ZN7rocprim17ROCPRIM_400000_NS6detail17trampoline_kernelINS0_14default_configENS1_25transform_config_selectorIdLb1EEEZNS1_14transform_implILb1ES3_S5_PdS7_NS0_8identityIdEEEE10hipError_tT2_T3_mT4_P12ihipStream_tbEUlT_E_NS1_11comp_targetILNS1_3genE8ELNS1_11target_archE1030ELNS1_3gpuE2ELNS1_3repE0EEENS1_30default_config_static_selectorELNS0_4arch9wavefront6targetE0EEEvT1_.private_seg_size, 0
	.set _ZN7rocprim17ROCPRIM_400000_NS6detail17trampoline_kernelINS0_14default_configENS1_25transform_config_selectorIdLb1EEEZNS1_14transform_implILb1ES3_S5_PdS7_NS0_8identityIdEEEE10hipError_tT2_T3_mT4_P12ihipStream_tbEUlT_E_NS1_11comp_targetILNS1_3genE8ELNS1_11target_archE1030ELNS1_3gpuE2ELNS1_3repE0EEENS1_30default_config_static_selectorELNS0_4arch9wavefront6targetE0EEEvT1_.uses_vcc, 1
	.set _ZN7rocprim17ROCPRIM_400000_NS6detail17trampoline_kernelINS0_14default_configENS1_25transform_config_selectorIdLb1EEEZNS1_14transform_implILb1ES3_S5_PdS7_NS0_8identityIdEEEE10hipError_tT2_T3_mT4_P12ihipStream_tbEUlT_E_NS1_11comp_targetILNS1_3genE8ELNS1_11target_archE1030ELNS1_3gpuE2ELNS1_3repE0EEENS1_30default_config_static_selectorELNS0_4arch9wavefront6targetE0EEEvT1_.uses_flat_scratch, 0
	.set _ZN7rocprim17ROCPRIM_400000_NS6detail17trampoline_kernelINS0_14default_configENS1_25transform_config_selectorIdLb1EEEZNS1_14transform_implILb1ES3_S5_PdS7_NS0_8identityIdEEEE10hipError_tT2_T3_mT4_P12ihipStream_tbEUlT_E_NS1_11comp_targetILNS1_3genE8ELNS1_11target_archE1030ELNS1_3gpuE2ELNS1_3repE0EEENS1_30default_config_static_selectorELNS0_4arch9wavefront6targetE0EEEvT1_.has_dyn_sized_stack, 0
	.set _ZN7rocprim17ROCPRIM_400000_NS6detail17trampoline_kernelINS0_14default_configENS1_25transform_config_selectorIdLb1EEEZNS1_14transform_implILb1ES3_S5_PdS7_NS0_8identityIdEEEE10hipError_tT2_T3_mT4_P12ihipStream_tbEUlT_E_NS1_11comp_targetILNS1_3genE8ELNS1_11target_archE1030ELNS1_3gpuE2ELNS1_3repE0EEENS1_30default_config_static_selectorELNS0_4arch9wavefront6targetE0EEEvT1_.has_recursion, 0
	.set _ZN7rocprim17ROCPRIM_400000_NS6detail17trampoline_kernelINS0_14default_configENS1_25transform_config_selectorIdLb1EEEZNS1_14transform_implILb1ES3_S5_PdS7_NS0_8identityIdEEEE10hipError_tT2_T3_mT4_P12ihipStream_tbEUlT_E_NS1_11comp_targetILNS1_3genE8ELNS1_11target_archE1030ELNS1_3gpuE2ELNS1_3repE0EEENS1_30default_config_static_selectorELNS0_4arch9wavefront6targetE0EEEvT1_.has_indirect_call, 0
	.section	.AMDGPU.csdata,"",@progbits
; Kernel info:
; codeLenInByte = 156
; TotalNumSgprs: 14
; NumVgprs: 3
; ScratchSize: 0
; MemoryBound: 0
; FloatMode: 240
; IeeeMode: 1
; LDSByteSize: 0 bytes/workgroup (compile time only)
; SGPRBlocks: 0
; VGPRBlocks: 0
; NumSGPRsForWavesPerEU: 14
; NumVGPRsForWavesPerEU: 3
; Occupancy: 16
; WaveLimiterHint : 0
; COMPUTE_PGM_RSRC2:SCRATCH_EN: 0
; COMPUTE_PGM_RSRC2:USER_SGPR: 6
; COMPUTE_PGM_RSRC2:TRAP_HANDLER: 0
; COMPUTE_PGM_RSRC2:TGID_X_EN: 1
; COMPUTE_PGM_RSRC2:TGID_Y_EN: 0
; COMPUTE_PGM_RSRC2:TGID_Z_EN: 0
; COMPUTE_PGM_RSRC2:TIDIG_COMP_CNT: 0
	.section	.text._ZN7rocprim17ROCPRIM_400000_NS6detail17trampoline_kernelINS0_14default_configENS1_20scan_config_selectorIdEEZZNS1_9scan_implILNS1_25lookback_scan_determinismE0ELb0ELb0ES3_PKdPddZZZN2at6native31launch_logcumsumexp_cuda_kernelERKNSB_10TensorBaseESF_lENKUlvE_clEvENKUlvE_clEvEUlddE_dEEDaPvRmT3_T4_T5_mT6_P12ihipStream_tbENKUlT_T0_E_clISt17integral_constantIbLb0EESW_EEDaSR_SS_EUlSR_E0_NS1_11comp_targetILNS1_3genE0ELNS1_11target_archE4294967295ELNS1_3gpuE0ELNS1_3repE0EEENS1_30default_config_static_selectorELNS0_4arch9wavefront6targetE0EEEvT1_,"axG",@progbits,_ZN7rocprim17ROCPRIM_400000_NS6detail17trampoline_kernelINS0_14default_configENS1_20scan_config_selectorIdEEZZNS1_9scan_implILNS1_25lookback_scan_determinismE0ELb0ELb0ES3_PKdPddZZZN2at6native31launch_logcumsumexp_cuda_kernelERKNSB_10TensorBaseESF_lENKUlvE_clEvENKUlvE_clEvEUlddE_dEEDaPvRmT3_T4_T5_mT6_P12ihipStream_tbENKUlT_T0_E_clISt17integral_constantIbLb0EESW_EEDaSR_SS_EUlSR_E0_NS1_11comp_targetILNS1_3genE0ELNS1_11target_archE4294967295ELNS1_3gpuE0ELNS1_3repE0EEENS1_30default_config_static_selectorELNS0_4arch9wavefront6targetE0EEEvT1_,comdat
	.globl	_ZN7rocprim17ROCPRIM_400000_NS6detail17trampoline_kernelINS0_14default_configENS1_20scan_config_selectorIdEEZZNS1_9scan_implILNS1_25lookback_scan_determinismE0ELb0ELb0ES3_PKdPddZZZN2at6native31launch_logcumsumexp_cuda_kernelERKNSB_10TensorBaseESF_lENKUlvE_clEvENKUlvE_clEvEUlddE_dEEDaPvRmT3_T4_T5_mT6_P12ihipStream_tbENKUlT_T0_E_clISt17integral_constantIbLb0EESW_EEDaSR_SS_EUlSR_E0_NS1_11comp_targetILNS1_3genE0ELNS1_11target_archE4294967295ELNS1_3gpuE0ELNS1_3repE0EEENS1_30default_config_static_selectorELNS0_4arch9wavefront6targetE0EEEvT1_ ; -- Begin function _ZN7rocprim17ROCPRIM_400000_NS6detail17trampoline_kernelINS0_14default_configENS1_20scan_config_selectorIdEEZZNS1_9scan_implILNS1_25lookback_scan_determinismE0ELb0ELb0ES3_PKdPddZZZN2at6native31launch_logcumsumexp_cuda_kernelERKNSB_10TensorBaseESF_lENKUlvE_clEvENKUlvE_clEvEUlddE_dEEDaPvRmT3_T4_T5_mT6_P12ihipStream_tbENKUlT_T0_E_clISt17integral_constantIbLb0EESW_EEDaSR_SS_EUlSR_E0_NS1_11comp_targetILNS1_3genE0ELNS1_11target_archE4294967295ELNS1_3gpuE0ELNS1_3repE0EEENS1_30default_config_static_selectorELNS0_4arch9wavefront6targetE0EEEvT1_
	.p2align	8
	.type	_ZN7rocprim17ROCPRIM_400000_NS6detail17trampoline_kernelINS0_14default_configENS1_20scan_config_selectorIdEEZZNS1_9scan_implILNS1_25lookback_scan_determinismE0ELb0ELb0ES3_PKdPddZZZN2at6native31launch_logcumsumexp_cuda_kernelERKNSB_10TensorBaseESF_lENKUlvE_clEvENKUlvE_clEvEUlddE_dEEDaPvRmT3_T4_T5_mT6_P12ihipStream_tbENKUlT_T0_E_clISt17integral_constantIbLb0EESW_EEDaSR_SS_EUlSR_E0_NS1_11comp_targetILNS1_3genE0ELNS1_11target_archE4294967295ELNS1_3gpuE0ELNS1_3repE0EEENS1_30default_config_static_selectorELNS0_4arch9wavefront6targetE0EEEvT1_,@function
_ZN7rocprim17ROCPRIM_400000_NS6detail17trampoline_kernelINS0_14default_configENS1_20scan_config_selectorIdEEZZNS1_9scan_implILNS1_25lookback_scan_determinismE0ELb0ELb0ES3_PKdPddZZZN2at6native31launch_logcumsumexp_cuda_kernelERKNSB_10TensorBaseESF_lENKUlvE_clEvENKUlvE_clEvEUlddE_dEEDaPvRmT3_T4_T5_mT6_P12ihipStream_tbENKUlT_T0_E_clISt17integral_constantIbLb0EESW_EEDaSR_SS_EUlSR_E0_NS1_11comp_targetILNS1_3genE0ELNS1_11target_archE4294967295ELNS1_3gpuE0ELNS1_3repE0EEENS1_30default_config_static_selectorELNS0_4arch9wavefront6targetE0EEEvT1_: ; @_ZN7rocprim17ROCPRIM_400000_NS6detail17trampoline_kernelINS0_14default_configENS1_20scan_config_selectorIdEEZZNS1_9scan_implILNS1_25lookback_scan_determinismE0ELb0ELb0ES3_PKdPddZZZN2at6native31launch_logcumsumexp_cuda_kernelERKNSB_10TensorBaseESF_lENKUlvE_clEvENKUlvE_clEvEUlddE_dEEDaPvRmT3_T4_T5_mT6_P12ihipStream_tbENKUlT_T0_E_clISt17integral_constantIbLb0EESW_EEDaSR_SS_EUlSR_E0_NS1_11comp_targetILNS1_3genE0ELNS1_11target_archE4294967295ELNS1_3gpuE0ELNS1_3repE0EEENS1_30default_config_static_selectorELNS0_4arch9wavefront6targetE0EEEvT1_
; %bb.0:
	.section	.rodata,"a",@progbits
	.p2align	6, 0x0
	.amdhsa_kernel _ZN7rocprim17ROCPRIM_400000_NS6detail17trampoline_kernelINS0_14default_configENS1_20scan_config_selectorIdEEZZNS1_9scan_implILNS1_25lookback_scan_determinismE0ELb0ELb0ES3_PKdPddZZZN2at6native31launch_logcumsumexp_cuda_kernelERKNSB_10TensorBaseESF_lENKUlvE_clEvENKUlvE_clEvEUlddE_dEEDaPvRmT3_T4_T5_mT6_P12ihipStream_tbENKUlT_T0_E_clISt17integral_constantIbLb0EESW_EEDaSR_SS_EUlSR_E0_NS1_11comp_targetILNS1_3genE0ELNS1_11target_archE4294967295ELNS1_3gpuE0ELNS1_3repE0EEENS1_30default_config_static_selectorELNS0_4arch9wavefront6targetE0EEEvT1_
		.amdhsa_group_segment_fixed_size 0
		.amdhsa_private_segment_fixed_size 0
		.amdhsa_kernarg_size 40
		.amdhsa_user_sgpr_count 6
		.amdhsa_user_sgpr_private_segment_buffer 1
		.amdhsa_user_sgpr_dispatch_ptr 0
		.amdhsa_user_sgpr_queue_ptr 0
		.amdhsa_user_sgpr_kernarg_segment_ptr 1
		.amdhsa_user_sgpr_dispatch_id 0
		.amdhsa_user_sgpr_flat_scratch_init 0
		.amdhsa_user_sgpr_private_segment_size 0
		.amdhsa_wavefront_size32 1
		.amdhsa_uses_dynamic_stack 0
		.amdhsa_system_sgpr_private_segment_wavefront_offset 0
		.amdhsa_system_sgpr_workgroup_id_x 1
		.amdhsa_system_sgpr_workgroup_id_y 0
		.amdhsa_system_sgpr_workgroup_id_z 0
		.amdhsa_system_sgpr_workgroup_info 0
		.amdhsa_system_vgpr_workitem_id 0
		.amdhsa_next_free_vgpr 1
		.amdhsa_next_free_sgpr 1
		.amdhsa_reserve_vcc 0
		.amdhsa_reserve_flat_scratch 0
		.amdhsa_float_round_mode_32 0
		.amdhsa_float_round_mode_16_64 0
		.amdhsa_float_denorm_mode_32 3
		.amdhsa_float_denorm_mode_16_64 3
		.amdhsa_dx10_clamp 1
		.amdhsa_ieee_mode 1
		.amdhsa_fp16_overflow 0
		.amdhsa_workgroup_processor_mode 1
		.amdhsa_memory_ordered 1
		.amdhsa_forward_progress 1
		.amdhsa_shared_vgpr_count 0
		.amdhsa_exception_fp_ieee_invalid_op 0
		.amdhsa_exception_fp_denorm_src 0
		.amdhsa_exception_fp_ieee_div_zero 0
		.amdhsa_exception_fp_ieee_overflow 0
		.amdhsa_exception_fp_ieee_underflow 0
		.amdhsa_exception_fp_ieee_inexact 0
		.amdhsa_exception_int_div_zero 0
	.end_amdhsa_kernel
	.section	.text._ZN7rocprim17ROCPRIM_400000_NS6detail17trampoline_kernelINS0_14default_configENS1_20scan_config_selectorIdEEZZNS1_9scan_implILNS1_25lookback_scan_determinismE0ELb0ELb0ES3_PKdPddZZZN2at6native31launch_logcumsumexp_cuda_kernelERKNSB_10TensorBaseESF_lENKUlvE_clEvENKUlvE_clEvEUlddE_dEEDaPvRmT3_T4_T5_mT6_P12ihipStream_tbENKUlT_T0_E_clISt17integral_constantIbLb0EESW_EEDaSR_SS_EUlSR_E0_NS1_11comp_targetILNS1_3genE0ELNS1_11target_archE4294967295ELNS1_3gpuE0ELNS1_3repE0EEENS1_30default_config_static_selectorELNS0_4arch9wavefront6targetE0EEEvT1_,"axG",@progbits,_ZN7rocprim17ROCPRIM_400000_NS6detail17trampoline_kernelINS0_14default_configENS1_20scan_config_selectorIdEEZZNS1_9scan_implILNS1_25lookback_scan_determinismE0ELb0ELb0ES3_PKdPddZZZN2at6native31launch_logcumsumexp_cuda_kernelERKNSB_10TensorBaseESF_lENKUlvE_clEvENKUlvE_clEvEUlddE_dEEDaPvRmT3_T4_T5_mT6_P12ihipStream_tbENKUlT_T0_E_clISt17integral_constantIbLb0EESW_EEDaSR_SS_EUlSR_E0_NS1_11comp_targetILNS1_3genE0ELNS1_11target_archE4294967295ELNS1_3gpuE0ELNS1_3repE0EEENS1_30default_config_static_selectorELNS0_4arch9wavefront6targetE0EEEvT1_,comdat
.Lfunc_end18:
	.size	_ZN7rocprim17ROCPRIM_400000_NS6detail17trampoline_kernelINS0_14default_configENS1_20scan_config_selectorIdEEZZNS1_9scan_implILNS1_25lookback_scan_determinismE0ELb0ELb0ES3_PKdPddZZZN2at6native31launch_logcumsumexp_cuda_kernelERKNSB_10TensorBaseESF_lENKUlvE_clEvENKUlvE_clEvEUlddE_dEEDaPvRmT3_T4_T5_mT6_P12ihipStream_tbENKUlT_T0_E_clISt17integral_constantIbLb0EESW_EEDaSR_SS_EUlSR_E0_NS1_11comp_targetILNS1_3genE0ELNS1_11target_archE4294967295ELNS1_3gpuE0ELNS1_3repE0EEENS1_30default_config_static_selectorELNS0_4arch9wavefront6targetE0EEEvT1_, .Lfunc_end18-_ZN7rocprim17ROCPRIM_400000_NS6detail17trampoline_kernelINS0_14default_configENS1_20scan_config_selectorIdEEZZNS1_9scan_implILNS1_25lookback_scan_determinismE0ELb0ELb0ES3_PKdPddZZZN2at6native31launch_logcumsumexp_cuda_kernelERKNSB_10TensorBaseESF_lENKUlvE_clEvENKUlvE_clEvEUlddE_dEEDaPvRmT3_T4_T5_mT6_P12ihipStream_tbENKUlT_T0_E_clISt17integral_constantIbLb0EESW_EEDaSR_SS_EUlSR_E0_NS1_11comp_targetILNS1_3genE0ELNS1_11target_archE4294967295ELNS1_3gpuE0ELNS1_3repE0EEENS1_30default_config_static_selectorELNS0_4arch9wavefront6targetE0EEEvT1_
                                        ; -- End function
	.set _ZN7rocprim17ROCPRIM_400000_NS6detail17trampoline_kernelINS0_14default_configENS1_20scan_config_selectorIdEEZZNS1_9scan_implILNS1_25lookback_scan_determinismE0ELb0ELb0ES3_PKdPddZZZN2at6native31launch_logcumsumexp_cuda_kernelERKNSB_10TensorBaseESF_lENKUlvE_clEvENKUlvE_clEvEUlddE_dEEDaPvRmT3_T4_T5_mT6_P12ihipStream_tbENKUlT_T0_E_clISt17integral_constantIbLb0EESW_EEDaSR_SS_EUlSR_E0_NS1_11comp_targetILNS1_3genE0ELNS1_11target_archE4294967295ELNS1_3gpuE0ELNS1_3repE0EEENS1_30default_config_static_selectorELNS0_4arch9wavefront6targetE0EEEvT1_.num_vgpr, 0
	.set _ZN7rocprim17ROCPRIM_400000_NS6detail17trampoline_kernelINS0_14default_configENS1_20scan_config_selectorIdEEZZNS1_9scan_implILNS1_25lookback_scan_determinismE0ELb0ELb0ES3_PKdPddZZZN2at6native31launch_logcumsumexp_cuda_kernelERKNSB_10TensorBaseESF_lENKUlvE_clEvENKUlvE_clEvEUlddE_dEEDaPvRmT3_T4_T5_mT6_P12ihipStream_tbENKUlT_T0_E_clISt17integral_constantIbLb0EESW_EEDaSR_SS_EUlSR_E0_NS1_11comp_targetILNS1_3genE0ELNS1_11target_archE4294967295ELNS1_3gpuE0ELNS1_3repE0EEENS1_30default_config_static_selectorELNS0_4arch9wavefront6targetE0EEEvT1_.num_agpr, 0
	.set _ZN7rocprim17ROCPRIM_400000_NS6detail17trampoline_kernelINS0_14default_configENS1_20scan_config_selectorIdEEZZNS1_9scan_implILNS1_25lookback_scan_determinismE0ELb0ELb0ES3_PKdPddZZZN2at6native31launch_logcumsumexp_cuda_kernelERKNSB_10TensorBaseESF_lENKUlvE_clEvENKUlvE_clEvEUlddE_dEEDaPvRmT3_T4_T5_mT6_P12ihipStream_tbENKUlT_T0_E_clISt17integral_constantIbLb0EESW_EEDaSR_SS_EUlSR_E0_NS1_11comp_targetILNS1_3genE0ELNS1_11target_archE4294967295ELNS1_3gpuE0ELNS1_3repE0EEENS1_30default_config_static_selectorELNS0_4arch9wavefront6targetE0EEEvT1_.numbered_sgpr, 0
	.set _ZN7rocprim17ROCPRIM_400000_NS6detail17trampoline_kernelINS0_14default_configENS1_20scan_config_selectorIdEEZZNS1_9scan_implILNS1_25lookback_scan_determinismE0ELb0ELb0ES3_PKdPddZZZN2at6native31launch_logcumsumexp_cuda_kernelERKNSB_10TensorBaseESF_lENKUlvE_clEvENKUlvE_clEvEUlddE_dEEDaPvRmT3_T4_T5_mT6_P12ihipStream_tbENKUlT_T0_E_clISt17integral_constantIbLb0EESW_EEDaSR_SS_EUlSR_E0_NS1_11comp_targetILNS1_3genE0ELNS1_11target_archE4294967295ELNS1_3gpuE0ELNS1_3repE0EEENS1_30default_config_static_selectorELNS0_4arch9wavefront6targetE0EEEvT1_.num_named_barrier, 0
	.set _ZN7rocprim17ROCPRIM_400000_NS6detail17trampoline_kernelINS0_14default_configENS1_20scan_config_selectorIdEEZZNS1_9scan_implILNS1_25lookback_scan_determinismE0ELb0ELb0ES3_PKdPddZZZN2at6native31launch_logcumsumexp_cuda_kernelERKNSB_10TensorBaseESF_lENKUlvE_clEvENKUlvE_clEvEUlddE_dEEDaPvRmT3_T4_T5_mT6_P12ihipStream_tbENKUlT_T0_E_clISt17integral_constantIbLb0EESW_EEDaSR_SS_EUlSR_E0_NS1_11comp_targetILNS1_3genE0ELNS1_11target_archE4294967295ELNS1_3gpuE0ELNS1_3repE0EEENS1_30default_config_static_selectorELNS0_4arch9wavefront6targetE0EEEvT1_.private_seg_size, 0
	.set _ZN7rocprim17ROCPRIM_400000_NS6detail17trampoline_kernelINS0_14default_configENS1_20scan_config_selectorIdEEZZNS1_9scan_implILNS1_25lookback_scan_determinismE0ELb0ELb0ES3_PKdPddZZZN2at6native31launch_logcumsumexp_cuda_kernelERKNSB_10TensorBaseESF_lENKUlvE_clEvENKUlvE_clEvEUlddE_dEEDaPvRmT3_T4_T5_mT6_P12ihipStream_tbENKUlT_T0_E_clISt17integral_constantIbLb0EESW_EEDaSR_SS_EUlSR_E0_NS1_11comp_targetILNS1_3genE0ELNS1_11target_archE4294967295ELNS1_3gpuE0ELNS1_3repE0EEENS1_30default_config_static_selectorELNS0_4arch9wavefront6targetE0EEEvT1_.uses_vcc, 0
	.set _ZN7rocprim17ROCPRIM_400000_NS6detail17trampoline_kernelINS0_14default_configENS1_20scan_config_selectorIdEEZZNS1_9scan_implILNS1_25lookback_scan_determinismE0ELb0ELb0ES3_PKdPddZZZN2at6native31launch_logcumsumexp_cuda_kernelERKNSB_10TensorBaseESF_lENKUlvE_clEvENKUlvE_clEvEUlddE_dEEDaPvRmT3_T4_T5_mT6_P12ihipStream_tbENKUlT_T0_E_clISt17integral_constantIbLb0EESW_EEDaSR_SS_EUlSR_E0_NS1_11comp_targetILNS1_3genE0ELNS1_11target_archE4294967295ELNS1_3gpuE0ELNS1_3repE0EEENS1_30default_config_static_selectorELNS0_4arch9wavefront6targetE0EEEvT1_.uses_flat_scratch, 0
	.set _ZN7rocprim17ROCPRIM_400000_NS6detail17trampoline_kernelINS0_14default_configENS1_20scan_config_selectorIdEEZZNS1_9scan_implILNS1_25lookback_scan_determinismE0ELb0ELb0ES3_PKdPddZZZN2at6native31launch_logcumsumexp_cuda_kernelERKNSB_10TensorBaseESF_lENKUlvE_clEvENKUlvE_clEvEUlddE_dEEDaPvRmT3_T4_T5_mT6_P12ihipStream_tbENKUlT_T0_E_clISt17integral_constantIbLb0EESW_EEDaSR_SS_EUlSR_E0_NS1_11comp_targetILNS1_3genE0ELNS1_11target_archE4294967295ELNS1_3gpuE0ELNS1_3repE0EEENS1_30default_config_static_selectorELNS0_4arch9wavefront6targetE0EEEvT1_.has_dyn_sized_stack, 0
	.set _ZN7rocprim17ROCPRIM_400000_NS6detail17trampoline_kernelINS0_14default_configENS1_20scan_config_selectorIdEEZZNS1_9scan_implILNS1_25lookback_scan_determinismE0ELb0ELb0ES3_PKdPddZZZN2at6native31launch_logcumsumexp_cuda_kernelERKNSB_10TensorBaseESF_lENKUlvE_clEvENKUlvE_clEvEUlddE_dEEDaPvRmT3_T4_T5_mT6_P12ihipStream_tbENKUlT_T0_E_clISt17integral_constantIbLb0EESW_EEDaSR_SS_EUlSR_E0_NS1_11comp_targetILNS1_3genE0ELNS1_11target_archE4294967295ELNS1_3gpuE0ELNS1_3repE0EEENS1_30default_config_static_selectorELNS0_4arch9wavefront6targetE0EEEvT1_.has_recursion, 0
	.set _ZN7rocprim17ROCPRIM_400000_NS6detail17trampoline_kernelINS0_14default_configENS1_20scan_config_selectorIdEEZZNS1_9scan_implILNS1_25lookback_scan_determinismE0ELb0ELb0ES3_PKdPddZZZN2at6native31launch_logcumsumexp_cuda_kernelERKNSB_10TensorBaseESF_lENKUlvE_clEvENKUlvE_clEvEUlddE_dEEDaPvRmT3_T4_T5_mT6_P12ihipStream_tbENKUlT_T0_E_clISt17integral_constantIbLb0EESW_EEDaSR_SS_EUlSR_E0_NS1_11comp_targetILNS1_3genE0ELNS1_11target_archE4294967295ELNS1_3gpuE0ELNS1_3repE0EEENS1_30default_config_static_selectorELNS0_4arch9wavefront6targetE0EEEvT1_.has_indirect_call, 0
	.section	.AMDGPU.csdata,"",@progbits
; Kernel info:
; codeLenInByte = 0
; TotalNumSgprs: 0
; NumVgprs: 0
; ScratchSize: 0
; MemoryBound: 0
; FloatMode: 240
; IeeeMode: 1
; LDSByteSize: 0 bytes/workgroup (compile time only)
; SGPRBlocks: 0
; VGPRBlocks: 0
; NumSGPRsForWavesPerEU: 1
; NumVGPRsForWavesPerEU: 1
; Occupancy: 16
; WaveLimiterHint : 0
; COMPUTE_PGM_RSRC2:SCRATCH_EN: 0
; COMPUTE_PGM_RSRC2:USER_SGPR: 6
; COMPUTE_PGM_RSRC2:TRAP_HANDLER: 0
; COMPUTE_PGM_RSRC2:TGID_X_EN: 1
; COMPUTE_PGM_RSRC2:TGID_Y_EN: 0
; COMPUTE_PGM_RSRC2:TGID_Z_EN: 0
; COMPUTE_PGM_RSRC2:TIDIG_COMP_CNT: 0
	.section	.text._ZN7rocprim17ROCPRIM_400000_NS6detail17trampoline_kernelINS0_14default_configENS1_20scan_config_selectorIdEEZZNS1_9scan_implILNS1_25lookback_scan_determinismE0ELb0ELb0ES3_PKdPddZZZN2at6native31launch_logcumsumexp_cuda_kernelERKNSB_10TensorBaseESF_lENKUlvE_clEvENKUlvE_clEvEUlddE_dEEDaPvRmT3_T4_T5_mT6_P12ihipStream_tbENKUlT_T0_E_clISt17integral_constantIbLb0EESW_EEDaSR_SS_EUlSR_E0_NS1_11comp_targetILNS1_3genE5ELNS1_11target_archE942ELNS1_3gpuE9ELNS1_3repE0EEENS1_30default_config_static_selectorELNS0_4arch9wavefront6targetE0EEEvT1_,"axG",@progbits,_ZN7rocprim17ROCPRIM_400000_NS6detail17trampoline_kernelINS0_14default_configENS1_20scan_config_selectorIdEEZZNS1_9scan_implILNS1_25lookback_scan_determinismE0ELb0ELb0ES3_PKdPddZZZN2at6native31launch_logcumsumexp_cuda_kernelERKNSB_10TensorBaseESF_lENKUlvE_clEvENKUlvE_clEvEUlddE_dEEDaPvRmT3_T4_T5_mT6_P12ihipStream_tbENKUlT_T0_E_clISt17integral_constantIbLb0EESW_EEDaSR_SS_EUlSR_E0_NS1_11comp_targetILNS1_3genE5ELNS1_11target_archE942ELNS1_3gpuE9ELNS1_3repE0EEENS1_30default_config_static_selectorELNS0_4arch9wavefront6targetE0EEEvT1_,comdat
	.globl	_ZN7rocprim17ROCPRIM_400000_NS6detail17trampoline_kernelINS0_14default_configENS1_20scan_config_selectorIdEEZZNS1_9scan_implILNS1_25lookback_scan_determinismE0ELb0ELb0ES3_PKdPddZZZN2at6native31launch_logcumsumexp_cuda_kernelERKNSB_10TensorBaseESF_lENKUlvE_clEvENKUlvE_clEvEUlddE_dEEDaPvRmT3_T4_T5_mT6_P12ihipStream_tbENKUlT_T0_E_clISt17integral_constantIbLb0EESW_EEDaSR_SS_EUlSR_E0_NS1_11comp_targetILNS1_3genE5ELNS1_11target_archE942ELNS1_3gpuE9ELNS1_3repE0EEENS1_30default_config_static_selectorELNS0_4arch9wavefront6targetE0EEEvT1_ ; -- Begin function _ZN7rocprim17ROCPRIM_400000_NS6detail17trampoline_kernelINS0_14default_configENS1_20scan_config_selectorIdEEZZNS1_9scan_implILNS1_25lookback_scan_determinismE0ELb0ELb0ES3_PKdPddZZZN2at6native31launch_logcumsumexp_cuda_kernelERKNSB_10TensorBaseESF_lENKUlvE_clEvENKUlvE_clEvEUlddE_dEEDaPvRmT3_T4_T5_mT6_P12ihipStream_tbENKUlT_T0_E_clISt17integral_constantIbLb0EESW_EEDaSR_SS_EUlSR_E0_NS1_11comp_targetILNS1_3genE5ELNS1_11target_archE942ELNS1_3gpuE9ELNS1_3repE0EEENS1_30default_config_static_selectorELNS0_4arch9wavefront6targetE0EEEvT1_
	.p2align	8
	.type	_ZN7rocprim17ROCPRIM_400000_NS6detail17trampoline_kernelINS0_14default_configENS1_20scan_config_selectorIdEEZZNS1_9scan_implILNS1_25lookback_scan_determinismE0ELb0ELb0ES3_PKdPddZZZN2at6native31launch_logcumsumexp_cuda_kernelERKNSB_10TensorBaseESF_lENKUlvE_clEvENKUlvE_clEvEUlddE_dEEDaPvRmT3_T4_T5_mT6_P12ihipStream_tbENKUlT_T0_E_clISt17integral_constantIbLb0EESW_EEDaSR_SS_EUlSR_E0_NS1_11comp_targetILNS1_3genE5ELNS1_11target_archE942ELNS1_3gpuE9ELNS1_3repE0EEENS1_30default_config_static_selectorELNS0_4arch9wavefront6targetE0EEEvT1_,@function
_ZN7rocprim17ROCPRIM_400000_NS6detail17trampoline_kernelINS0_14default_configENS1_20scan_config_selectorIdEEZZNS1_9scan_implILNS1_25lookback_scan_determinismE0ELb0ELb0ES3_PKdPddZZZN2at6native31launch_logcumsumexp_cuda_kernelERKNSB_10TensorBaseESF_lENKUlvE_clEvENKUlvE_clEvEUlddE_dEEDaPvRmT3_T4_T5_mT6_P12ihipStream_tbENKUlT_T0_E_clISt17integral_constantIbLb0EESW_EEDaSR_SS_EUlSR_E0_NS1_11comp_targetILNS1_3genE5ELNS1_11target_archE942ELNS1_3gpuE9ELNS1_3repE0EEENS1_30default_config_static_selectorELNS0_4arch9wavefront6targetE0EEEvT1_: ; @_ZN7rocprim17ROCPRIM_400000_NS6detail17trampoline_kernelINS0_14default_configENS1_20scan_config_selectorIdEEZZNS1_9scan_implILNS1_25lookback_scan_determinismE0ELb0ELb0ES3_PKdPddZZZN2at6native31launch_logcumsumexp_cuda_kernelERKNSB_10TensorBaseESF_lENKUlvE_clEvENKUlvE_clEvEUlddE_dEEDaPvRmT3_T4_T5_mT6_P12ihipStream_tbENKUlT_T0_E_clISt17integral_constantIbLb0EESW_EEDaSR_SS_EUlSR_E0_NS1_11comp_targetILNS1_3genE5ELNS1_11target_archE942ELNS1_3gpuE9ELNS1_3repE0EEENS1_30default_config_static_selectorELNS0_4arch9wavefront6targetE0EEEvT1_
; %bb.0:
	.section	.rodata,"a",@progbits
	.p2align	6, 0x0
	.amdhsa_kernel _ZN7rocprim17ROCPRIM_400000_NS6detail17trampoline_kernelINS0_14default_configENS1_20scan_config_selectorIdEEZZNS1_9scan_implILNS1_25lookback_scan_determinismE0ELb0ELb0ES3_PKdPddZZZN2at6native31launch_logcumsumexp_cuda_kernelERKNSB_10TensorBaseESF_lENKUlvE_clEvENKUlvE_clEvEUlddE_dEEDaPvRmT3_T4_T5_mT6_P12ihipStream_tbENKUlT_T0_E_clISt17integral_constantIbLb0EESW_EEDaSR_SS_EUlSR_E0_NS1_11comp_targetILNS1_3genE5ELNS1_11target_archE942ELNS1_3gpuE9ELNS1_3repE0EEENS1_30default_config_static_selectorELNS0_4arch9wavefront6targetE0EEEvT1_
		.amdhsa_group_segment_fixed_size 0
		.amdhsa_private_segment_fixed_size 0
		.amdhsa_kernarg_size 40
		.amdhsa_user_sgpr_count 6
		.amdhsa_user_sgpr_private_segment_buffer 1
		.amdhsa_user_sgpr_dispatch_ptr 0
		.amdhsa_user_sgpr_queue_ptr 0
		.amdhsa_user_sgpr_kernarg_segment_ptr 1
		.amdhsa_user_sgpr_dispatch_id 0
		.amdhsa_user_sgpr_flat_scratch_init 0
		.amdhsa_user_sgpr_private_segment_size 0
		.amdhsa_wavefront_size32 1
		.amdhsa_uses_dynamic_stack 0
		.amdhsa_system_sgpr_private_segment_wavefront_offset 0
		.amdhsa_system_sgpr_workgroup_id_x 1
		.amdhsa_system_sgpr_workgroup_id_y 0
		.amdhsa_system_sgpr_workgroup_id_z 0
		.amdhsa_system_sgpr_workgroup_info 0
		.amdhsa_system_vgpr_workitem_id 0
		.amdhsa_next_free_vgpr 1
		.amdhsa_next_free_sgpr 1
		.amdhsa_reserve_vcc 0
		.amdhsa_reserve_flat_scratch 0
		.amdhsa_float_round_mode_32 0
		.amdhsa_float_round_mode_16_64 0
		.amdhsa_float_denorm_mode_32 3
		.amdhsa_float_denorm_mode_16_64 3
		.amdhsa_dx10_clamp 1
		.amdhsa_ieee_mode 1
		.amdhsa_fp16_overflow 0
		.amdhsa_workgroup_processor_mode 1
		.amdhsa_memory_ordered 1
		.amdhsa_forward_progress 1
		.amdhsa_shared_vgpr_count 0
		.amdhsa_exception_fp_ieee_invalid_op 0
		.amdhsa_exception_fp_denorm_src 0
		.amdhsa_exception_fp_ieee_div_zero 0
		.amdhsa_exception_fp_ieee_overflow 0
		.amdhsa_exception_fp_ieee_underflow 0
		.amdhsa_exception_fp_ieee_inexact 0
		.amdhsa_exception_int_div_zero 0
	.end_amdhsa_kernel
	.section	.text._ZN7rocprim17ROCPRIM_400000_NS6detail17trampoline_kernelINS0_14default_configENS1_20scan_config_selectorIdEEZZNS1_9scan_implILNS1_25lookback_scan_determinismE0ELb0ELb0ES3_PKdPddZZZN2at6native31launch_logcumsumexp_cuda_kernelERKNSB_10TensorBaseESF_lENKUlvE_clEvENKUlvE_clEvEUlddE_dEEDaPvRmT3_T4_T5_mT6_P12ihipStream_tbENKUlT_T0_E_clISt17integral_constantIbLb0EESW_EEDaSR_SS_EUlSR_E0_NS1_11comp_targetILNS1_3genE5ELNS1_11target_archE942ELNS1_3gpuE9ELNS1_3repE0EEENS1_30default_config_static_selectorELNS0_4arch9wavefront6targetE0EEEvT1_,"axG",@progbits,_ZN7rocprim17ROCPRIM_400000_NS6detail17trampoline_kernelINS0_14default_configENS1_20scan_config_selectorIdEEZZNS1_9scan_implILNS1_25lookback_scan_determinismE0ELb0ELb0ES3_PKdPddZZZN2at6native31launch_logcumsumexp_cuda_kernelERKNSB_10TensorBaseESF_lENKUlvE_clEvENKUlvE_clEvEUlddE_dEEDaPvRmT3_T4_T5_mT6_P12ihipStream_tbENKUlT_T0_E_clISt17integral_constantIbLb0EESW_EEDaSR_SS_EUlSR_E0_NS1_11comp_targetILNS1_3genE5ELNS1_11target_archE942ELNS1_3gpuE9ELNS1_3repE0EEENS1_30default_config_static_selectorELNS0_4arch9wavefront6targetE0EEEvT1_,comdat
.Lfunc_end19:
	.size	_ZN7rocprim17ROCPRIM_400000_NS6detail17trampoline_kernelINS0_14default_configENS1_20scan_config_selectorIdEEZZNS1_9scan_implILNS1_25lookback_scan_determinismE0ELb0ELb0ES3_PKdPddZZZN2at6native31launch_logcumsumexp_cuda_kernelERKNSB_10TensorBaseESF_lENKUlvE_clEvENKUlvE_clEvEUlddE_dEEDaPvRmT3_T4_T5_mT6_P12ihipStream_tbENKUlT_T0_E_clISt17integral_constantIbLb0EESW_EEDaSR_SS_EUlSR_E0_NS1_11comp_targetILNS1_3genE5ELNS1_11target_archE942ELNS1_3gpuE9ELNS1_3repE0EEENS1_30default_config_static_selectorELNS0_4arch9wavefront6targetE0EEEvT1_, .Lfunc_end19-_ZN7rocprim17ROCPRIM_400000_NS6detail17trampoline_kernelINS0_14default_configENS1_20scan_config_selectorIdEEZZNS1_9scan_implILNS1_25lookback_scan_determinismE0ELb0ELb0ES3_PKdPddZZZN2at6native31launch_logcumsumexp_cuda_kernelERKNSB_10TensorBaseESF_lENKUlvE_clEvENKUlvE_clEvEUlddE_dEEDaPvRmT3_T4_T5_mT6_P12ihipStream_tbENKUlT_T0_E_clISt17integral_constantIbLb0EESW_EEDaSR_SS_EUlSR_E0_NS1_11comp_targetILNS1_3genE5ELNS1_11target_archE942ELNS1_3gpuE9ELNS1_3repE0EEENS1_30default_config_static_selectorELNS0_4arch9wavefront6targetE0EEEvT1_
                                        ; -- End function
	.set _ZN7rocprim17ROCPRIM_400000_NS6detail17trampoline_kernelINS0_14default_configENS1_20scan_config_selectorIdEEZZNS1_9scan_implILNS1_25lookback_scan_determinismE0ELb0ELb0ES3_PKdPddZZZN2at6native31launch_logcumsumexp_cuda_kernelERKNSB_10TensorBaseESF_lENKUlvE_clEvENKUlvE_clEvEUlddE_dEEDaPvRmT3_T4_T5_mT6_P12ihipStream_tbENKUlT_T0_E_clISt17integral_constantIbLb0EESW_EEDaSR_SS_EUlSR_E0_NS1_11comp_targetILNS1_3genE5ELNS1_11target_archE942ELNS1_3gpuE9ELNS1_3repE0EEENS1_30default_config_static_selectorELNS0_4arch9wavefront6targetE0EEEvT1_.num_vgpr, 0
	.set _ZN7rocprim17ROCPRIM_400000_NS6detail17trampoline_kernelINS0_14default_configENS1_20scan_config_selectorIdEEZZNS1_9scan_implILNS1_25lookback_scan_determinismE0ELb0ELb0ES3_PKdPddZZZN2at6native31launch_logcumsumexp_cuda_kernelERKNSB_10TensorBaseESF_lENKUlvE_clEvENKUlvE_clEvEUlddE_dEEDaPvRmT3_T4_T5_mT6_P12ihipStream_tbENKUlT_T0_E_clISt17integral_constantIbLb0EESW_EEDaSR_SS_EUlSR_E0_NS1_11comp_targetILNS1_3genE5ELNS1_11target_archE942ELNS1_3gpuE9ELNS1_3repE0EEENS1_30default_config_static_selectorELNS0_4arch9wavefront6targetE0EEEvT1_.num_agpr, 0
	.set _ZN7rocprim17ROCPRIM_400000_NS6detail17trampoline_kernelINS0_14default_configENS1_20scan_config_selectorIdEEZZNS1_9scan_implILNS1_25lookback_scan_determinismE0ELb0ELb0ES3_PKdPddZZZN2at6native31launch_logcumsumexp_cuda_kernelERKNSB_10TensorBaseESF_lENKUlvE_clEvENKUlvE_clEvEUlddE_dEEDaPvRmT3_T4_T5_mT6_P12ihipStream_tbENKUlT_T0_E_clISt17integral_constantIbLb0EESW_EEDaSR_SS_EUlSR_E0_NS1_11comp_targetILNS1_3genE5ELNS1_11target_archE942ELNS1_3gpuE9ELNS1_3repE0EEENS1_30default_config_static_selectorELNS0_4arch9wavefront6targetE0EEEvT1_.numbered_sgpr, 0
	.set _ZN7rocprim17ROCPRIM_400000_NS6detail17trampoline_kernelINS0_14default_configENS1_20scan_config_selectorIdEEZZNS1_9scan_implILNS1_25lookback_scan_determinismE0ELb0ELb0ES3_PKdPddZZZN2at6native31launch_logcumsumexp_cuda_kernelERKNSB_10TensorBaseESF_lENKUlvE_clEvENKUlvE_clEvEUlddE_dEEDaPvRmT3_T4_T5_mT6_P12ihipStream_tbENKUlT_T0_E_clISt17integral_constantIbLb0EESW_EEDaSR_SS_EUlSR_E0_NS1_11comp_targetILNS1_3genE5ELNS1_11target_archE942ELNS1_3gpuE9ELNS1_3repE0EEENS1_30default_config_static_selectorELNS0_4arch9wavefront6targetE0EEEvT1_.num_named_barrier, 0
	.set _ZN7rocprim17ROCPRIM_400000_NS6detail17trampoline_kernelINS0_14default_configENS1_20scan_config_selectorIdEEZZNS1_9scan_implILNS1_25lookback_scan_determinismE0ELb0ELb0ES3_PKdPddZZZN2at6native31launch_logcumsumexp_cuda_kernelERKNSB_10TensorBaseESF_lENKUlvE_clEvENKUlvE_clEvEUlddE_dEEDaPvRmT3_T4_T5_mT6_P12ihipStream_tbENKUlT_T0_E_clISt17integral_constantIbLb0EESW_EEDaSR_SS_EUlSR_E0_NS1_11comp_targetILNS1_3genE5ELNS1_11target_archE942ELNS1_3gpuE9ELNS1_3repE0EEENS1_30default_config_static_selectorELNS0_4arch9wavefront6targetE0EEEvT1_.private_seg_size, 0
	.set _ZN7rocprim17ROCPRIM_400000_NS6detail17trampoline_kernelINS0_14default_configENS1_20scan_config_selectorIdEEZZNS1_9scan_implILNS1_25lookback_scan_determinismE0ELb0ELb0ES3_PKdPddZZZN2at6native31launch_logcumsumexp_cuda_kernelERKNSB_10TensorBaseESF_lENKUlvE_clEvENKUlvE_clEvEUlddE_dEEDaPvRmT3_T4_T5_mT6_P12ihipStream_tbENKUlT_T0_E_clISt17integral_constantIbLb0EESW_EEDaSR_SS_EUlSR_E0_NS1_11comp_targetILNS1_3genE5ELNS1_11target_archE942ELNS1_3gpuE9ELNS1_3repE0EEENS1_30default_config_static_selectorELNS0_4arch9wavefront6targetE0EEEvT1_.uses_vcc, 0
	.set _ZN7rocprim17ROCPRIM_400000_NS6detail17trampoline_kernelINS0_14default_configENS1_20scan_config_selectorIdEEZZNS1_9scan_implILNS1_25lookback_scan_determinismE0ELb0ELb0ES3_PKdPddZZZN2at6native31launch_logcumsumexp_cuda_kernelERKNSB_10TensorBaseESF_lENKUlvE_clEvENKUlvE_clEvEUlddE_dEEDaPvRmT3_T4_T5_mT6_P12ihipStream_tbENKUlT_T0_E_clISt17integral_constantIbLb0EESW_EEDaSR_SS_EUlSR_E0_NS1_11comp_targetILNS1_3genE5ELNS1_11target_archE942ELNS1_3gpuE9ELNS1_3repE0EEENS1_30default_config_static_selectorELNS0_4arch9wavefront6targetE0EEEvT1_.uses_flat_scratch, 0
	.set _ZN7rocprim17ROCPRIM_400000_NS6detail17trampoline_kernelINS0_14default_configENS1_20scan_config_selectorIdEEZZNS1_9scan_implILNS1_25lookback_scan_determinismE0ELb0ELb0ES3_PKdPddZZZN2at6native31launch_logcumsumexp_cuda_kernelERKNSB_10TensorBaseESF_lENKUlvE_clEvENKUlvE_clEvEUlddE_dEEDaPvRmT3_T4_T5_mT6_P12ihipStream_tbENKUlT_T0_E_clISt17integral_constantIbLb0EESW_EEDaSR_SS_EUlSR_E0_NS1_11comp_targetILNS1_3genE5ELNS1_11target_archE942ELNS1_3gpuE9ELNS1_3repE0EEENS1_30default_config_static_selectorELNS0_4arch9wavefront6targetE0EEEvT1_.has_dyn_sized_stack, 0
	.set _ZN7rocprim17ROCPRIM_400000_NS6detail17trampoline_kernelINS0_14default_configENS1_20scan_config_selectorIdEEZZNS1_9scan_implILNS1_25lookback_scan_determinismE0ELb0ELb0ES3_PKdPddZZZN2at6native31launch_logcumsumexp_cuda_kernelERKNSB_10TensorBaseESF_lENKUlvE_clEvENKUlvE_clEvEUlddE_dEEDaPvRmT3_T4_T5_mT6_P12ihipStream_tbENKUlT_T0_E_clISt17integral_constantIbLb0EESW_EEDaSR_SS_EUlSR_E0_NS1_11comp_targetILNS1_3genE5ELNS1_11target_archE942ELNS1_3gpuE9ELNS1_3repE0EEENS1_30default_config_static_selectorELNS0_4arch9wavefront6targetE0EEEvT1_.has_recursion, 0
	.set _ZN7rocprim17ROCPRIM_400000_NS6detail17trampoline_kernelINS0_14default_configENS1_20scan_config_selectorIdEEZZNS1_9scan_implILNS1_25lookback_scan_determinismE0ELb0ELb0ES3_PKdPddZZZN2at6native31launch_logcumsumexp_cuda_kernelERKNSB_10TensorBaseESF_lENKUlvE_clEvENKUlvE_clEvEUlddE_dEEDaPvRmT3_T4_T5_mT6_P12ihipStream_tbENKUlT_T0_E_clISt17integral_constantIbLb0EESW_EEDaSR_SS_EUlSR_E0_NS1_11comp_targetILNS1_3genE5ELNS1_11target_archE942ELNS1_3gpuE9ELNS1_3repE0EEENS1_30default_config_static_selectorELNS0_4arch9wavefront6targetE0EEEvT1_.has_indirect_call, 0
	.section	.AMDGPU.csdata,"",@progbits
; Kernel info:
; codeLenInByte = 0
; TotalNumSgprs: 0
; NumVgprs: 0
; ScratchSize: 0
; MemoryBound: 0
; FloatMode: 240
; IeeeMode: 1
; LDSByteSize: 0 bytes/workgroup (compile time only)
; SGPRBlocks: 0
; VGPRBlocks: 0
; NumSGPRsForWavesPerEU: 1
; NumVGPRsForWavesPerEU: 1
; Occupancy: 16
; WaveLimiterHint : 0
; COMPUTE_PGM_RSRC2:SCRATCH_EN: 0
; COMPUTE_PGM_RSRC2:USER_SGPR: 6
; COMPUTE_PGM_RSRC2:TRAP_HANDLER: 0
; COMPUTE_PGM_RSRC2:TGID_X_EN: 1
; COMPUTE_PGM_RSRC2:TGID_Y_EN: 0
; COMPUTE_PGM_RSRC2:TGID_Z_EN: 0
; COMPUTE_PGM_RSRC2:TIDIG_COMP_CNT: 0
	.section	.text._ZN7rocprim17ROCPRIM_400000_NS6detail17trampoline_kernelINS0_14default_configENS1_20scan_config_selectorIdEEZZNS1_9scan_implILNS1_25lookback_scan_determinismE0ELb0ELb0ES3_PKdPddZZZN2at6native31launch_logcumsumexp_cuda_kernelERKNSB_10TensorBaseESF_lENKUlvE_clEvENKUlvE_clEvEUlddE_dEEDaPvRmT3_T4_T5_mT6_P12ihipStream_tbENKUlT_T0_E_clISt17integral_constantIbLb0EESW_EEDaSR_SS_EUlSR_E0_NS1_11comp_targetILNS1_3genE4ELNS1_11target_archE910ELNS1_3gpuE8ELNS1_3repE0EEENS1_30default_config_static_selectorELNS0_4arch9wavefront6targetE0EEEvT1_,"axG",@progbits,_ZN7rocprim17ROCPRIM_400000_NS6detail17trampoline_kernelINS0_14default_configENS1_20scan_config_selectorIdEEZZNS1_9scan_implILNS1_25lookback_scan_determinismE0ELb0ELb0ES3_PKdPddZZZN2at6native31launch_logcumsumexp_cuda_kernelERKNSB_10TensorBaseESF_lENKUlvE_clEvENKUlvE_clEvEUlddE_dEEDaPvRmT3_T4_T5_mT6_P12ihipStream_tbENKUlT_T0_E_clISt17integral_constantIbLb0EESW_EEDaSR_SS_EUlSR_E0_NS1_11comp_targetILNS1_3genE4ELNS1_11target_archE910ELNS1_3gpuE8ELNS1_3repE0EEENS1_30default_config_static_selectorELNS0_4arch9wavefront6targetE0EEEvT1_,comdat
	.globl	_ZN7rocprim17ROCPRIM_400000_NS6detail17trampoline_kernelINS0_14default_configENS1_20scan_config_selectorIdEEZZNS1_9scan_implILNS1_25lookback_scan_determinismE0ELb0ELb0ES3_PKdPddZZZN2at6native31launch_logcumsumexp_cuda_kernelERKNSB_10TensorBaseESF_lENKUlvE_clEvENKUlvE_clEvEUlddE_dEEDaPvRmT3_T4_T5_mT6_P12ihipStream_tbENKUlT_T0_E_clISt17integral_constantIbLb0EESW_EEDaSR_SS_EUlSR_E0_NS1_11comp_targetILNS1_3genE4ELNS1_11target_archE910ELNS1_3gpuE8ELNS1_3repE0EEENS1_30default_config_static_selectorELNS0_4arch9wavefront6targetE0EEEvT1_ ; -- Begin function _ZN7rocprim17ROCPRIM_400000_NS6detail17trampoline_kernelINS0_14default_configENS1_20scan_config_selectorIdEEZZNS1_9scan_implILNS1_25lookback_scan_determinismE0ELb0ELb0ES3_PKdPddZZZN2at6native31launch_logcumsumexp_cuda_kernelERKNSB_10TensorBaseESF_lENKUlvE_clEvENKUlvE_clEvEUlddE_dEEDaPvRmT3_T4_T5_mT6_P12ihipStream_tbENKUlT_T0_E_clISt17integral_constantIbLb0EESW_EEDaSR_SS_EUlSR_E0_NS1_11comp_targetILNS1_3genE4ELNS1_11target_archE910ELNS1_3gpuE8ELNS1_3repE0EEENS1_30default_config_static_selectorELNS0_4arch9wavefront6targetE0EEEvT1_
	.p2align	8
	.type	_ZN7rocprim17ROCPRIM_400000_NS6detail17trampoline_kernelINS0_14default_configENS1_20scan_config_selectorIdEEZZNS1_9scan_implILNS1_25lookback_scan_determinismE0ELb0ELb0ES3_PKdPddZZZN2at6native31launch_logcumsumexp_cuda_kernelERKNSB_10TensorBaseESF_lENKUlvE_clEvENKUlvE_clEvEUlddE_dEEDaPvRmT3_T4_T5_mT6_P12ihipStream_tbENKUlT_T0_E_clISt17integral_constantIbLb0EESW_EEDaSR_SS_EUlSR_E0_NS1_11comp_targetILNS1_3genE4ELNS1_11target_archE910ELNS1_3gpuE8ELNS1_3repE0EEENS1_30default_config_static_selectorELNS0_4arch9wavefront6targetE0EEEvT1_,@function
_ZN7rocprim17ROCPRIM_400000_NS6detail17trampoline_kernelINS0_14default_configENS1_20scan_config_selectorIdEEZZNS1_9scan_implILNS1_25lookback_scan_determinismE0ELb0ELb0ES3_PKdPddZZZN2at6native31launch_logcumsumexp_cuda_kernelERKNSB_10TensorBaseESF_lENKUlvE_clEvENKUlvE_clEvEUlddE_dEEDaPvRmT3_T4_T5_mT6_P12ihipStream_tbENKUlT_T0_E_clISt17integral_constantIbLb0EESW_EEDaSR_SS_EUlSR_E0_NS1_11comp_targetILNS1_3genE4ELNS1_11target_archE910ELNS1_3gpuE8ELNS1_3repE0EEENS1_30default_config_static_selectorELNS0_4arch9wavefront6targetE0EEEvT1_: ; @_ZN7rocprim17ROCPRIM_400000_NS6detail17trampoline_kernelINS0_14default_configENS1_20scan_config_selectorIdEEZZNS1_9scan_implILNS1_25lookback_scan_determinismE0ELb0ELb0ES3_PKdPddZZZN2at6native31launch_logcumsumexp_cuda_kernelERKNSB_10TensorBaseESF_lENKUlvE_clEvENKUlvE_clEvEUlddE_dEEDaPvRmT3_T4_T5_mT6_P12ihipStream_tbENKUlT_T0_E_clISt17integral_constantIbLb0EESW_EEDaSR_SS_EUlSR_E0_NS1_11comp_targetILNS1_3genE4ELNS1_11target_archE910ELNS1_3gpuE8ELNS1_3repE0EEENS1_30default_config_static_selectorELNS0_4arch9wavefront6targetE0EEEvT1_
; %bb.0:
	.section	.rodata,"a",@progbits
	.p2align	6, 0x0
	.amdhsa_kernel _ZN7rocprim17ROCPRIM_400000_NS6detail17trampoline_kernelINS0_14default_configENS1_20scan_config_selectorIdEEZZNS1_9scan_implILNS1_25lookback_scan_determinismE0ELb0ELb0ES3_PKdPddZZZN2at6native31launch_logcumsumexp_cuda_kernelERKNSB_10TensorBaseESF_lENKUlvE_clEvENKUlvE_clEvEUlddE_dEEDaPvRmT3_T4_T5_mT6_P12ihipStream_tbENKUlT_T0_E_clISt17integral_constantIbLb0EESW_EEDaSR_SS_EUlSR_E0_NS1_11comp_targetILNS1_3genE4ELNS1_11target_archE910ELNS1_3gpuE8ELNS1_3repE0EEENS1_30default_config_static_selectorELNS0_4arch9wavefront6targetE0EEEvT1_
		.amdhsa_group_segment_fixed_size 0
		.amdhsa_private_segment_fixed_size 0
		.amdhsa_kernarg_size 40
		.amdhsa_user_sgpr_count 6
		.amdhsa_user_sgpr_private_segment_buffer 1
		.amdhsa_user_sgpr_dispatch_ptr 0
		.amdhsa_user_sgpr_queue_ptr 0
		.amdhsa_user_sgpr_kernarg_segment_ptr 1
		.amdhsa_user_sgpr_dispatch_id 0
		.amdhsa_user_sgpr_flat_scratch_init 0
		.amdhsa_user_sgpr_private_segment_size 0
		.amdhsa_wavefront_size32 1
		.amdhsa_uses_dynamic_stack 0
		.amdhsa_system_sgpr_private_segment_wavefront_offset 0
		.amdhsa_system_sgpr_workgroup_id_x 1
		.amdhsa_system_sgpr_workgroup_id_y 0
		.amdhsa_system_sgpr_workgroup_id_z 0
		.amdhsa_system_sgpr_workgroup_info 0
		.amdhsa_system_vgpr_workitem_id 0
		.amdhsa_next_free_vgpr 1
		.amdhsa_next_free_sgpr 1
		.amdhsa_reserve_vcc 0
		.amdhsa_reserve_flat_scratch 0
		.amdhsa_float_round_mode_32 0
		.amdhsa_float_round_mode_16_64 0
		.amdhsa_float_denorm_mode_32 3
		.amdhsa_float_denorm_mode_16_64 3
		.amdhsa_dx10_clamp 1
		.amdhsa_ieee_mode 1
		.amdhsa_fp16_overflow 0
		.amdhsa_workgroup_processor_mode 1
		.amdhsa_memory_ordered 1
		.amdhsa_forward_progress 1
		.amdhsa_shared_vgpr_count 0
		.amdhsa_exception_fp_ieee_invalid_op 0
		.amdhsa_exception_fp_denorm_src 0
		.amdhsa_exception_fp_ieee_div_zero 0
		.amdhsa_exception_fp_ieee_overflow 0
		.amdhsa_exception_fp_ieee_underflow 0
		.amdhsa_exception_fp_ieee_inexact 0
		.amdhsa_exception_int_div_zero 0
	.end_amdhsa_kernel
	.section	.text._ZN7rocprim17ROCPRIM_400000_NS6detail17trampoline_kernelINS0_14default_configENS1_20scan_config_selectorIdEEZZNS1_9scan_implILNS1_25lookback_scan_determinismE0ELb0ELb0ES3_PKdPddZZZN2at6native31launch_logcumsumexp_cuda_kernelERKNSB_10TensorBaseESF_lENKUlvE_clEvENKUlvE_clEvEUlddE_dEEDaPvRmT3_T4_T5_mT6_P12ihipStream_tbENKUlT_T0_E_clISt17integral_constantIbLb0EESW_EEDaSR_SS_EUlSR_E0_NS1_11comp_targetILNS1_3genE4ELNS1_11target_archE910ELNS1_3gpuE8ELNS1_3repE0EEENS1_30default_config_static_selectorELNS0_4arch9wavefront6targetE0EEEvT1_,"axG",@progbits,_ZN7rocprim17ROCPRIM_400000_NS6detail17trampoline_kernelINS0_14default_configENS1_20scan_config_selectorIdEEZZNS1_9scan_implILNS1_25lookback_scan_determinismE0ELb0ELb0ES3_PKdPddZZZN2at6native31launch_logcumsumexp_cuda_kernelERKNSB_10TensorBaseESF_lENKUlvE_clEvENKUlvE_clEvEUlddE_dEEDaPvRmT3_T4_T5_mT6_P12ihipStream_tbENKUlT_T0_E_clISt17integral_constantIbLb0EESW_EEDaSR_SS_EUlSR_E0_NS1_11comp_targetILNS1_3genE4ELNS1_11target_archE910ELNS1_3gpuE8ELNS1_3repE0EEENS1_30default_config_static_selectorELNS0_4arch9wavefront6targetE0EEEvT1_,comdat
.Lfunc_end20:
	.size	_ZN7rocprim17ROCPRIM_400000_NS6detail17trampoline_kernelINS0_14default_configENS1_20scan_config_selectorIdEEZZNS1_9scan_implILNS1_25lookback_scan_determinismE0ELb0ELb0ES3_PKdPddZZZN2at6native31launch_logcumsumexp_cuda_kernelERKNSB_10TensorBaseESF_lENKUlvE_clEvENKUlvE_clEvEUlddE_dEEDaPvRmT3_T4_T5_mT6_P12ihipStream_tbENKUlT_T0_E_clISt17integral_constantIbLb0EESW_EEDaSR_SS_EUlSR_E0_NS1_11comp_targetILNS1_3genE4ELNS1_11target_archE910ELNS1_3gpuE8ELNS1_3repE0EEENS1_30default_config_static_selectorELNS0_4arch9wavefront6targetE0EEEvT1_, .Lfunc_end20-_ZN7rocprim17ROCPRIM_400000_NS6detail17trampoline_kernelINS0_14default_configENS1_20scan_config_selectorIdEEZZNS1_9scan_implILNS1_25lookback_scan_determinismE0ELb0ELb0ES3_PKdPddZZZN2at6native31launch_logcumsumexp_cuda_kernelERKNSB_10TensorBaseESF_lENKUlvE_clEvENKUlvE_clEvEUlddE_dEEDaPvRmT3_T4_T5_mT6_P12ihipStream_tbENKUlT_T0_E_clISt17integral_constantIbLb0EESW_EEDaSR_SS_EUlSR_E0_NS1_11comp_targetILNS1_3genE4ELNS1_11target_archE910ELNS1_3gpuE8ELNS1_3repE0EEENS1_30default_config_static_selectorELNS0_4arch9wavefront6targetE0EEEvT1_
                                        ; -- End function
	.set _ZN7rocprim17ROCPRIM_400000_NS6detail17trampoline_kernelINS0_14default_configENS1_20scan_config_selectorIdEEZZNS1_9scan_implILNS1_25lookback_scan_determinismE0ELb0ELb0ES3_PKdPddZZZN2at6native31launch_logcumsumexp_cuda_kernelERKNSB_10TensorBaseESF_lENKUlvE_clEvENKUlvE_clEvEUlddE_dEEDaPvRmT3_T4_T5_mT6_P12ihipStream_tbENKUlT_T0_E_clISt17integral_constantIbLb0EESW_EEDaSR_SS_EUlSR_E0_NS1_11comp_targetILNS1_3genE4ELNS1_11target_archE910ELNS1_3gpuE8ELNS1_3repE0EEENS1_30default_config_static_selectorELNS0_4arch9wavefront6targetE0EEEvT1_.num_vgpr, 0
	.set _ZN7rocprim17ROCPRIM_400000_NS6detail17trampoline_kernelINS0_14default_configENS1_20scan_config_selectorIdEEZZNS1_9scan_implILNS1_25lookback_scan_determinismE0ELb0ELb0ES3_PKdPddZZZN2at6native31launch_logcumsumexp_cuda_kernelERKNSB_10TensorBaseESF_lENKUlvE_clEvENKUlvE_clEvEUlddE_dEEDaPvRmT3_T4_T5_mT6_P12ihipStream_tbENKUlT_T0_E_clISt17integral_constantIbLb0EESW_EEDaSR_SS_EUlSR_E0_NS1_11comp_targetILNS1_3genE4ELNS1_11target_archE910ELNS1_3gpuE8ELNS1_3repE0EEENS1_30default_config_static_selectorELNS0_4arch9wavefront6targetE0EEEvT1_.num_agpr, 0
	.set _ZN7rocprim17ROCPRIM_400000_NS6detail17trampoline_kernelINS0_14default_configENS1_20scan_config_selectorIdEEZZNS1_9scan_implILNS1_25lookback_scan_determinismE0ELb0ELb0ES3_PKdPddZZZN2at6native31launch_logcumsumexp_cuda_kernelERKNSB_10TensorBaseESF_lENKUlvE_clEvENKUlvE_clEvEUlddE_dEEDaPvRmT3_T4_T5_mT6_P12ihipStream_tbENKUlT_T0_E_clISt17integral_constantIbLb0EESW_EEDaSR_SS_EUlSR_E0_NS1_11comp_targetILNS1_3genE4ELNS1_11target_archE910ELNS1_3gpuE8ELNS1_3repE0EEENS1_30default_config_static_selectorELNS0_4arch9wavefront6targetE0EEEvT1_.numbered_sgpr, 0
	.set _ZN7rocprim17ROCPRIM_400000_NS6detail17trampoline_kernelINS0_14default_configENS1_20scan_config_selectorIdEEZZNS1_9scan_implILNS1_25lookback_scan_determinismE0ELb0ELb0ES3_PKdPddZZZN2at6native31launch_logcumsumexp_cuda_kernelERKNSB_10TensorBaseESF_lENKUlvE_clEvENKUlvE_clEvEUlddE_dEEDaPvRmT3_T4_T5_mT6_P12ihipStream_tbENKUlT_T0_E_clISt17integral_constantIbLb0EESW_EEDaSR_SS_EUlSR_E0_NS1_11comp_targetILNS1_3genE4ELNS1_11target_archE910ELNS1_3gpuE8ELNS1_3repE0EEENS1_30default_config_static_selectorELNS0_4arch9wavefront6targetE0EEEvT1_.num_named_barrier, 0
	.set _ZN7rocprim17ROCPRIM_400000_NS6detail17trampoline_kernelINS0_14default_configENS1_20scan_config_selectorIdEEZZNS1_9scan_implILNS1_25lookback_scan_determinismE0ELb0ELb0ES3_PKdPddZZZN2at6native31launch_logcumsumexp_cuda_kernelERKNSB_10TensorBaseESF_lENKUlvE_clEvENKUlvE_clEvEUlddE_dEEDaPvRmT3_T4_T5_mT6_P12ihipStream_tbENKUlT_T0_E_clISt17integral_constantIbLb0EESW_EEDaSR_SS_EUlSR_E0_NS1_11comp_targetILNS1_3genE4ELNS1_11target_archE910ELNS1_3gpuE8ELNS1_3repE0EEENS1_30default_config_static_selectorELNS0_4arch9wavefront6targetE0EEEvT1_.private_seg_size, 0
	.set _ZN7rocprim17ROCPRIM_400000_NS6detail17trampoline_kernelINS0_14default_configENS1_20scan_config_selectorIdEEZZNS1_9scan_implILNS1_25lookback_scan_determinismE0ELb0ELb0ES3_PKdPddZZZN2at6native31launch_logcumsumexp_cuda_kernelERKNSB_10TensorBaseESF_lENKUlvE_clEvENKUlvE_clEvEUlddE_dEEDaPvRmT3_T4_T5_mT6_P12ihipStream_tbENKUlT_T0_E_clISt17integral_constantIbLb0EESW_EEDaSR_SS_EUlSR_E0_NS1_11comp_targetILNS1_3genE4ELNS1_11target_archE910ELNS1_3gpuE8ELNS1_3repE0EEENS1_30default_config_static_selectorELNS0_4arch9wavefront6targetE0EEEvT1_.uses_vcc, 0
	.set _ZN7rocprim17ROCPRIM_400000_NS6detail17trampoline_kernelINS0_14default_configENS1_20scan_config_selectorIdEEZZNS1_9scan_implILNS1_25lookback_scan_determinismE0ELb0ELb0ES3_PKdPddZZZN2at6native31launch_logcumsumexp_cuda_kernelERKNSB_10TensorBaseESF_lENKUlvE_clEvENKUlvE_clEvEUlddE_dEEDaPvRmT3_T4_T5_mT6_P12ihipStream_tbENKUlT_T0_E_clISt17integral_constantIbLb0EESW_EEDaSR_SS_EUlSR_E0_NS1_11comp_targetILNS1_3genE4ELNS1_11target_archE910ELNS1_3gpuE8ELNS1_3repE0EEENS1_30default_config_static_selectorELNS0_4arch9wavefront6targetE0EEEvT1_.uses_flat_scratch, 0
	.set _ZN7rocprim17ROCPRIM_400000_NS6detail17trampoline_kernelINS0_14default_configENS1_20scan_config_selectorIdEEZZNS1_9scan_implILNS1_25lookback_scan_determinismE0ELb0ELb0ES3_PKdPddZZZN2at6native31launch_logcumsumexp_cuda_kernelERKNSB_10TensorBaseESF_lENKUlvE_clEvENKUlvE_clEvEUlddE_dEEDaPvRmT3_T4_T5_mT6_P12ihipStream_tbENKUlT_T0_E_clISt17integral_constantIbLb0EESW_EEDaSR_SS_EUlSR_E0_NS1_11comp_targetILNS1_3genE4ELNS1_11target_archE910ELNS1_3gpuE8ELNS1_3repE0EEENS1_30default_config_static_selectorELNS0_4arch9wavefront6targetE0EEEvT1_.has_dyn_sized_stack, 0
	.set _ZN7rocprim17ROCPRIM_400000_NS6detail17trampoline_kernelINS0_14default_configENS1_20scan_config_selectorIdEEZZNS1_9scan_implILNS1_25lookback_scan_determinismE0ELb0ELb0ES3_PKdPddZZZN2at6native31launch_logcumsumexp_cuda_kernelERKNSB_10TensorBaseESF_lENKUlvE_clEvENKUlvE_clEvEUlddE_dEEDaPvRmT3_T4_T5_mT6_P12ihipStream_tbENKUlT_T0_E_clISt17integral_constantIbLb0EESW_EEDaSR_SS_EUlSR_E0_NS1_11comp_targetILNS1_3genE4ELNS1_11target_archE910ELNS1_3gpuE8ELNS1_3repE0EEENS1_30default_config_static_selectorELNS0_4arch9wavefront6targetE0EEEvT1_.has_recursion, 0
	.set _ZN7rocprim17ROCPRIM_400000_NS6detail17trampoline_kernelINS0_14default_configENS1_20scan_config_selectorIdEEZZNS1_9scan_implILNS1_25lookback_scan_determinismE0ELb0ELb0ES3_PKdPddZZZN2at6native31launch_logcumsumexp_cuda_kernelERKNSB_10TensorBaseESF_lENKUlvE_clEvENKUlvE_clEvEUlddE_dEEDaPvRmT3_T4_T5_mT6_P12ihipStream_tbENKUlT_T0_E_clISt17integral_constantIbLb0EESW_EEDaSR_SS_EUlSR_E0_NS1_11comp_targetILNS1_3genE4ELNS1_11target_archE910ELNS1_3gpuE8ELNS1_3repE0EEENS1_30default_config_static_selectorELNS0_4arch9wavefront6targetE0EEEvT1_.has_indirect_call, 0
	.section	.AMDGPU.csdata,"",@progbits
; Kernel info:
; codeLenInByte = 0
; TotalNumSgprs: 0
; NumVgprs: 0
; ScratchSize: 0
; MemoryBound: 0
; FloatMode: 240
; IeeeMode: 1
; LDSByteSize: 0 bytes/workgroup (compile time only)
; SGPRBlocks: 0
; VGPRBlocks: 0
; NumSGPRsForWavesPerEU: 1
; NumVGPRsForWavesPerEU: 1
; Occupancy: 16
; WaveLimiterHint : 0
; COMPUTE_PGM_RSRC2:SCRATCH_EN: 0
; COMPUTE_PGM_RSRC2:USER_SGPR: 6
; COMPUTE_PGM_RSRC2:TRAP_HANDLER: 0
; COMPUTE_PGM_RSRC2:TGID_X_EN: 1
; COMPUTE_PGM_RSRC2:TGID_Y_EN: 0
; COMPUTE_PGM_RSRC2:TGID_Z_EN: 0
; COMPUTE_PGM_RSRC2:TIDIG_COMP_CNT: 0
	.section	.text._ZN7rocprim17ROCPRIM_400000_NS6detail17trampoline_kernelINS0_14default_configENS1_20scan_config_selectorIdEEZZNS1_9scan_implILNS1_25lookback_scan_determinismE0ELb0ELb0ES3_PKdPddZZZN2at6native31launch_logcumsumexp_cuda_kernelERKNSB_10TensorBaseESF_lENKUlvE_clEvENKUlvE_clEvEUlddE_dEEDaPvRmT3_T4_T5_mT6_P12ihipStream_tbENKUlT_T0_E_clISt17integral_constantIbLb0EESW_EEDaSR_SS_EUlSR_E0_NS1_11comp_targetILNS1_3genE3ELNS1_11target_archE908ELNS1_3gpuE7ELNS1_3repE0EEENS1_30default_config_static_selectorELNS0_4arch9wavefront6targetE0EEEvT1_,"axG",@progbits,_ZN7rocprim17ROCPRIM_400000_NS6detail17trampoline_kernelINS0_14default_configENS1_20scan_config_selectorIdEEZZNS1_9scan_implILNS1_25lookback_scan_determinismE0ELb0ELb0ES3_PKdPddZZZN2at6native31launch_logcumsumexp_cuda_kernelERKNSB_10TensorBaseESF_lENKUlvE_clEvENKUlvE_clEvEUlddE_dEEDaPvRmT3_T4_T5_mT6_P12ihipStream_tbENKUlT_T0_E_clISt17integral_constantIbLb0EESW_EEDaSR_SS_EUlSR_E0_NS1_11comp_targetILNS1_3genE3ELNS1_11target_archE908ELNS1_3gpuE7ELNS1_3repE0EEENS1_30default_config_static_selectorELNS0_4arch9wavefront6targetE0EEEvT1_,comdat
	.globl	_ZN7rocprim17ROCPRIM_400000_NS6detail17trampoline_kernelINS0_14default_configENS1_20scan_config_selectorIdEEZZNS1_9scan_implILNS1_25lookback_scan_determinismE0ELb0ELb0ES3_PKdPddZZZN2at6native31launch_logcumsumexp_cuda_kernelERKNSB_10TensorBaseESF_lENKUlvE_clEvENKUlvE_clEvEUlddE_dEEDaPvRmT3_T4_T5_mT6_P12ihipStream_tbENKUlT_T0_E_clISt17integral_constantIbLb0EESW_EEDaSR_SS_EUlSR_E0_NS1_11comp_targetILNS1_3genE3ELNS1_11target_archE908ELNS1_3gpuE7ELNS1_3repE0EEENS1_30default_config_static_selectorELNS0_4arch9wavefront6targetE0EEEvT1_ ; -- Begin function _ZN7rocprim17ROCPRIM_400000_NS6detail17trampoline_kernelINS0_14default_configENS1_20scan_config_selectorIdEEZZNS1_9scan_implILNS1_25lookback_scan_determinismE0ELb0ELb0ES3_PKdPddZZZN2at6native31launch_logcumsumexp_cuda_kernelERKNSB_10TensorBaseESF_lENKUlvE_clEvENKUlvE_clEvEUlddE_dEEDaPvRmT3_T4_T5_mT6_P12ihipStream_tbENKUlT_T0_E_clISt17integral_constantIbLb0EESW_EEDaSR_SS_EUlSR_E0_NS1_11comp_targetILNS1_3genE3ELNS1_11target_archE908ELNS1_3gpuE7ELNS1_3repE0EEENS1_30default_config_static_selectorELNS0_4arch9wavefront6targetE0EEEvT1_
	.p2align	8
	.type	_ZN7rocprim17ROCPRIM_400000_NS6detail17trampoline_kernelINS0_14default_configENS1_20scan_config_selectorIdEEZZNS1_9scan_implILNS1_25lookback_scan_determinismE0ELb0ELb0ES3_PKdPddZZZN2at6native31launch_logcumsumexp_cuda_kernelERKNSB_10TensorBaseESF_lENKUlvE_clEvENKUlvE_clEvEUlddE_dEEDaPvRmT3_T4_T5_mT6_P12ihipStream_tbENKUlT_T0_E_clISt17integral_constantIbLb0EESW_EEDaSR_SS_EUlSR_E0_NS1_11comp_targetILNS1_3genE3ELNS1_11target_archE908ELNS1_3gpuE7ELNS1_3repE0EEENS1_30default_config_static_selectorELNS0_4arch9wavefront6targetE0EEEvT1_,@function
_ZN7rocprim17ROCPRIM_400000_NS6detail17trampoline_kernelINS0_14default_configENS1_20scan_config_selectorIdEEZZNS1_9scan_implILNS1_25lookback_scan_determinismE0ELb0ELb0ES3_PKdPddZZZN2at6native31launch_logcumsumexp_cuda_kernelERKNSB_10TensorBaseESF_lENKUlvE_clEvENKUlvE_clEvEUlddE_dEEDaPvRmT3_T4_T5_mT6_P12ihipStream_tbENKUlT_T0_E_clISt17integral_constantIbLb0EESW_EEDaSR_SS_EUlSR_E0_NS1_11comp_targetILNS1_3genE3ELNS1_11target_archE908ELNS1_3gpuE7ELNS1_3repE0EEENS1_30default_config_static_selectorELNS0_4arch9wavefront6targetE0EEEvT1_: ; @_ZN7rocprim17ROCPRIM_400000_NS6detail17trampoline_kernelINS0_14default_configENS1_20scan_config_selectorIdEEZZNS1_9scan_implILNS1_25lookback_scan_determinismE0ELb0ELb0ES3_PKdPddZZZN2at6native31launch_logcumsumexp_cuda_kernelERKNSB_10TensorBaseESF_lENKUlvE_clEvENKUlvE_clEvEUlddE_dEEDaPvRmT3_T4_T5_mT6_P12ihipStream_tbENKUlT_T0_E_clISt17integral_constantIbLb0EESW_EEDaSR_SS_EUlSR_E0_NS1_11comp_targetILNS1_3genE3ELNS1_11target_archE908ELNS1_3gpuE7ELNS1_3repE0EEENS1_30default_config_static_selectorELNS0_4arch9wavefront6targetE0EEEvT1_
; %bb.0:
	.section	.rodata,"a",@progbits
	.p2align	6, 0x0
	.amdhsa_kernel _ZN7rocprim17ROCPRIM_400000_NS6detail17trampoline_kernelINS0_14default_configENS1_20scan_config_selectorIdEEZZNS1_9scan_implILNS1_25lookback_scan_determinismE0ELb0ELb0ES3_PKdPddZZZN2at6native31launch_logcumsumexp_cuda_kernelERKNSB_10TensorBaseESF_lENKUlvE_clEvENKUlvE_clEvEUlddE_dEEDaPvRmT3_T4_T5_mT6_P12ihipStream_tbENKUlT_T0_E_clISt17integral_constantIbLb0EESW_EEDaSR_SS_EUlSR_E0_NS1_11comp_targetILNS1_3genE3ELNS1_11target_archE908ELNS1_3gpuE7ELNS1_3repE0EEENS1_30default_config_static_selectorELNS0_4arch9wavefront6targetE0EEEvT1_
		.amdhsa_group_segment_fixed_size 0
		.amdhsa_private_segment_fixed_size 0
		.amdhsa_kernarg_size 40
		.amdhsa_user_sgpr_count 6
		.amdhsa_user_sgpr_private_segment_buffer 1
		.amdhsa_user_sgpr_dispatch_ptr 0
		.amdhsa_user_sgpr_queue_ptr 0
		.amdhsa_user_sgpr_kernarg_segment_ptr 1
		.amdhsa_user_sgpr_dispatch_id 0
		.amdhsa_user_sgpr_flat_scratch_init 0
		.amdhsa_user_sgpr_private_segment_size 0
		.amdhsa_wavefront_size32 1
		.amdhsa_uses_dynamic_stack 0
		.amdhsa_system_sgpr_private_segment_wavefront_offset 0
		.amdhsa_system_sgpr_workgroup_id_x 1
		.amdhsa_system_sgpr_workgroup_id_y 0
		.amdhsa_system_sgpr_workgroup_id_z 0
		.amdhsa_system_sgpr_workgroup_info 0
		.amdhsa_system_vgpr_workitem_id 0
		.amdhsa_next_free_vgpr 1
		.amdhsa_next_free_sgpr 1
		.amdhsa_reserve_vcc 0
		.amdhsa_reserve_flat_scratch 0
		.amdhsa_float_round_mode_32 0
		.amdhsa_float_round_mode_16_64 0
		.amdhsa_float_denorm_mode_32 3
		.amdhsa_float_denorm_mode_16_64 3
		.amdhsa_dx10_clamp 1
		.amdhsa_ieee_mode 1
		.amdhsa_fp16_overflow 0
		.amdhsa_workgroup_processor_mode 1
		.amdhsa_memory_ordered 1
		.amdhsa_forward_progress 1
		.amdhsa_shared_vgpr_count 0
		.amdhsa_exception_fp_ieee_invalid_op 0
		.amdhsa_exception_fp_denorm_src 0
		.amdhsa_exception_fp_ieee_div_zero 0
		.amdhsa_exception_fp_ieee_overflow 0
		.amdhsa_exception_fp_ieee_underflow 0
		.amdhsa_exception_fp_ieee_inexact 0
		.amdhsa_exception_int_div_zero 0
	.end_amdhsa_kernel
	.section	.text._ZN7rocprim17ROCPRIM_400000_NS6detail17trampoline_kernelINS0_14default_configENS1_20scan_config_selectorIdEEZZNS1_9scan_implILNS1_25lookback_scan_determinismE0ELb0ELb0ES3_PKdPddZZZN2at6native31launch_logcumsumexp_cuda_kernelERKNSB_10TensorBaseESF_lENKUlvE_clEvENKUlvE_clEvEUlddE_dEEDaPvRmT3_T4_T5_mT6_P12ihipStream_tbENKUlT_T0_E_clISt17integral_constantIbLb0EESW_EEDaSR_SS_EUlSR_E0_NS1_11comp_targetILNS1_3genE3ELNS1_11target_archE908ELNS1_3gpuE7ELNS1_3repE0EEENS1_30default_config_static_selectorELNS0_4arch9wavefront6targetE0EEEvT1_,"axG",@progbits,_ZN7rocprim17ROCPRIM_400000_NS6detail17trampoline_kernelINS0_14default_configENS1_20scan_config_selectorIdEEZZNS1_9scan_implILNS1_25lookback_scan_determinismE0ELb0ELb0ES3_PKdPddZZZN2at6native31launch_logcumsumexp_cuda_kernelERKNSB_10TensorBaseESF_lENKUlvE_clEvENKUlvE_clEvEUlddE_dEEDaPvRmT3_T4_T5_mT6_P12ihipStream_tbENKUlT_T0_E_clISt17integral_constantIbLb0EESW_EEDaSR_SS_EUlSR_E0_NS1_11comp_targetILNS1_3genE3ELNS1_11target_archE908ELNS1_3gpuE7ELNS1_3repE0EEENS1_30default_config_static_selectorELNS0_4arch9wavefront6targetE0EEEvT1_,comdat
.Lfunc_end21:
	.size	_ZN7rocprim17ROCPRIM_400000_NS6detail17trampoline_kernelINS0_14default_configENS1_20scan_config_selectorIdEEZZNS1_9scan_implILNS1_25lookback_scan_determinismE0ELb0ELb0ES3_PKdPddZZZN2at6native31launch_logcumsumexp_cuda_kernelERKNSB_10TensorBaseESF_lENKUlvE_clEvENKUlvE_clEvEUlddE_dEEDaPvRmT3_T4_T5_mT6_P12ihipStream_tbENKUlT_T0_E_clISt17integral_constantIbLb0EESW_EEDaSR_SS_EUlSR_E0_NS1_11comp_targetILNS1_3genE3ELNS1_11target_archE908ELNS1_3gpuE7ELNS1_3repE0EEENS1_30default_config_static_selectorELNS0_4arch9wavefront6targetE0EEEvT1_, .Lfunc_end21-_ZN7rocprim17ROCPRIM_400000_NS6detail17trampoline_kernelINS0_14default_configENS1_20scan_config_selectorIdEEZZNS1_9scan_implILNS1_25lookback_scan_determinismE0ELb0ELb0ES3_PKdPddZZZN2at6native31launch_logcumsumexp_cuda_kernelERKNSB_10TensorBaseESF_lENKUlvE_clEvENKUlvE_clEvEUlddE_dEEDaPvRmT3_T4_T5_mT6_P12ihipStream_tbENKUlT_T0_E_clISt17integral_constantIbLb0EESW_EEDaSR_SS_EUlSR_E0_NS1_11comp_targetILNS1_3genE3ELNS1_11target_archE908ELNS1_3gpuE7ELNS1_3repE0EEENS1_30default_config_static_selectorELNS0_4arch9wavefront6targetE0EEEvT1_
                                        ; -- End function
	.set _ZN7rocprim17ROCPRIM_400000_NS6detail17trampoline_kernelINS0_14default_configENS1_20scan_config_selectorIdEEZZNS1_9scan_implILNS1_25lookback_scan_determinismE0ELb0ELb0ES3_PKdPddZZZN2at6native31launch_logcumsumexp_cuda_kernelERKNSB_10TensorBaseESF_lENKUlvE_clEvENKUlvE_clEvEUlddE_dEEDaPvRmT3_T4_T5_mT6_P12ihipStream_tbENKUlT_T0_E_clISt17integral_constantIbLb0EESW_EEDaSR_SS_EUlSR_E0_NS1_11comp_targetILNS1_3genE3ELNS1_11target_archE908ELNS1_3gpuE7ELNS1_3repE0EEENS1_30default_config_static_selectorELNS0_4arch9wavefront6targetE0EEEvT1_.num_vgpr, 0
	.set _ZN7rocprim17ROCPRIM_400000_NS6detail17trampoline_kernelINS0_14default_configENS1_20scan_config_selectorIdEEZZNS1_9scan_implILNS1_25lookback_scan_determinismE0ELb0ELb0ES3_PKdPddZZZN2at6native31launch_logcumsumexp_cuda_kernelERKNSB_10TensorBaseESF_lENKUlvE_clEvENKUlvE_clEvEUlddE_dEEDaPvRmT3_T4_T5_mT6_P12ihipStream_tbENKUlT_T0_E_clISt17integral_constantIbLb0EESW_EEDaSR_SS_EUlSR_E0_NS1_11comp_targetILNS1_3genE3ELNS1_11target_archE908ELNS1_3gpuE7ELNS1_3repE0EEENS1_30default_config_static_selectorELNS0_4arch9wavefront6targetE0EEEvT1_.num_agpr, 0
	.set _ZN7rocprim17ROCPRIM_400000_NS6detail17trampoline_kernelINS0_14default_configENS1_20scan_config_selectorIdEEZZNS1_9scan_implILNS1_25lookback_scan_determinismE0ELb0ELb0ES3_PKdPddZZZN2at6native31launch_logcumsumexp_cuda_kernelERKNSB_10TensorBaseESF_lENKUlvE_clEvENKUlvE_clEvEUlddE_dEEDaPvRmT3_T4_T5_mT6_P12ihipStream_tbENKUlT_T0_E_clISt17integral_constantIbLb0EESW_EEDaSR_SS_EUlSR_E0_NS1_11comp_targetILNS1_3genE3ELNS1_11target_archE908ELNS1_3gpuE7ELNS1_3repE0EEENS1_30default_config_static_selectorELNS0_4arch9wavefront6targetE0EEEvT1_.numbered_sgpr, 0
	.set _ZN7rocprim17ROCPRIM_400000_NS6detail17trampoline_kernelINS0_14default_configENS1_20scan_config_selectorIdEEZZNS1_9scan_implILNS1_25lookback_scan_determinismE0ELb0ELb0ES3_PKdPddZZZN2at6native31launch_logcumsumexp_cuda_kernelERKNSB_10TensorBaseESF_lENKUlvE_clEvENKUlvE_clEvEUlddE_dEEDaPvRmT3_T4_T5_mT6_P12ihipStream_tbENKUlT_T0_E_clISt17integral_constantIbLb0EESW_EEDaSR_SS_EUlSR_E0_NS1_11comp_targetILNS1_3genE3ELNS1_11target_archE908ELNS1_3gpuE7ELNS1_3repE0EEENS1_30default_config_static_selectorELNS0_4arch9wavefront6targetE0EEEvT1_.num_named_barrier, 0
	.set _ZN7rocprim17ROCPRIM_400000_NS6detail17trampoline_kernelINS0_14default_configENS1_20scan_config_selectorIdEEZZNS1_9scan_implILNS1_25lookback_scan_determinismE0ELb0ELb0ES3_PKdPddZZZN2at6native31launch_logcumsumexp_cuda_kernelERKNSB_10TensorBaseESF_lENKUlvE_clEvENKUlvE_clEvEUlddE_dEEDaPvRmT3_T4_T5_mT6_P12ihipStream_tbENKUlT_T0_E_clISt17integral_constantIbLb0EESW_EEDaSR_SS_EUlSR_E0_NS1_11comp_targetILNS1_3genE3ELNS1_11target_archE908ELNS1_3gpuE7ELNS1_3repE0EEENS1_30default_config_static_selectorELNS0_4arch9wavefront6targetE0EEEvT1_.private_seg_size, 0
	.set _ZN7rocprim17ROCPRIM_400000_NS6detail17trampoline_kernelINS0_14default_configENS1_20scan_config_selectorIdEEZZNS1_9scan_implILNS1_25lookback_scan_determinismE0ELb0ELb0ES3_PKdPddZZZN2at6native31launch_logcumsumexp_cuda_kernelERKNSB_10TensorBaseESF_lENKUlvE_clEvENKUlvE_clEvEUlddE_dEEDaPvRmT3_T4_T5_mT6_P12ihipStream_tbENKUlT_T0_E_clISt17integral_constantIbLb0EESW_EEDaSR_SS_EUlSR_E0_NS1_11comp_targetILNS1_3genE3ELNS1_11target_archE908ELNS1_3gpuE7ELNS1_3repE0EEENS1_30default_config_static_selectorELNS0_4arch9wavefront6targetE0EEEvT1_.uses_vcc, 0
	.set _ZN7rocprim17ROCPRIM_400000_NS6detail17trampoline_kernelINS0_14default_configENS1_20scan_config_selectorIdEEZZNS1_9scan_implILNS1_25lookback_scan_determinismE0ELb0ELb0ES3_PKdPddZZZN2at6native31launch_logcumsumexp_cuda_kernelERKNSB_10TensorBaseESF_lENKUlvE_clEvENKUlvE_clEvEUlddE_dEEDaPvRmT3_T4_T5_mT6_P12ihipStream_tbENKUlT_T0_E_clISt17integral_constantIbLb0EESW_EEDaSR_SS_EUlSR_E0_NS1_11comp_targetILNS1_3genE3ELNS1_11target_archE908ELNS1_3gpuE7ELNS1_3repE0EEENS1_30default_config_static_selectorELNS0_4arch9wavefront6targetE0EEEvT1_.uses_flat_scratch, 0
	.set _ZN7rocprim17ROCPRIM_400000_NS6detail17trampoline_kernelINS0_14default_configENS1_20scan_config_selectorIdEEZZNS1_9scan_implILNS1_25lookback_scan_determinismE0ELb0ELb0ES3_PKdPddZZZN2at6native31launch_logcumsumexp_cuda_kernelERKNSB_10TensorBaseESF_lENKUlvE_clEvENKUlvE_clEvEUlddE_dEEDaPvRmT3_T4_T5_mT6_P12ihipStream_tbENKUlT_T0_E_clISt17integral_constantIbLb0EESW_EEDaSR_SS_EUlSR_E0_NS1_11comp_targetILNS1_3genE3ELNS1_11target_archE908ELNS1_3gpuE7ELNS1_3repE0EEENS1_30default_config_static_selectorELNS0_4arch9wavefront6targetE0EEEvT1_.has_dyn_sized_stack, 0
	.set _ZN7rocprim17ROCPRIM_400000_NS6detail17trampoline_kernelINS0_14default_configENS1_20scan_config_selectorIdEEZZNS1_9scan_implILNS1_25lookback_scan_determinismE0ELb0ELb0ES3_PKdPddZZZN2at6native31launch_logcumsumexp_cuda_kernelERKNSB_10TensorBaseESF_lENKUlvE_clEvENKUlvE_clEvEUlddE_dEEDaPvRmT3_T4_T5_mT6_P12ihipStream_tbENKUlT_T0_E_clISt17integral_constantIbLb0EESW_EEDaSR_SS_EUlSR_E0_NS1_11comp_targetILNS1_3genE3ELNS1_11target_archE908ELNS1_3gpuE7ELNS1_3repE0EEENS1_30default_config_static_selectorELNS0_4arch9wavefront6targetE0EEEvT1_.has_recursion, 0
	.set _ZN7rocprim17ROCPRIM_400000_NS6detail17trampoline_kernelINS0_14default_configENS1_20scan_config_selectorIdEEZZNS1_9scan_implILNS1_25lookback_scan_determinismE0ELb0ELb0ES3_PKdPddZZZN2at6native31launch_logcumsumexp_cuda_kernelERKNSB_10TensorBaseESF_lENKUlvE_clEvENKUlvE_clEvEUlddE_dEEDaPvRmT3_T4_T5_mT6_P12ihipStream_tbENKUlT_T0_E_clISt17integral_constantIbLb0EESW_EEDaSR_SS_EUlSR_E0_NS1_11comp_targetILNS1_3genE3ELNS1_11target_archE908ELNS1_3gpuE7ELNS1_3repE0EEENS1_30default_config_static_selectorELNS0_4arch9wavefront6targetE0EEEvT1_.has_indirect_call, 0
	.section	.AMDGPU.csdata,"",@progbits
; Kernel info:
; codeLenInByte = 0
; TotalNumSgprs: 0
; NumVgprs: 0
; ScratchSize: 0
; MemoryBound: 0
; FloatMode: 240
; IeeeMode: 1
; LDSByteSize: 0 bytes/workgroup (compile time only)
; SGPRBlocks: 0
; VGPRBlocks: 0
; NumSGPRsForWavesPerEU: 1
; NumVGPRsForWavesPerEU: 1
; Occupancy: 16
; WaveLimiterHint : 0
; COMPUTE_PGM_RSRC2:SCRATCH_EN: 0
; COMPUTE_PGM_RSRC2:USER_SGPR: 6
; COMPUTE_PGM_RSRC2:TRAP_HANDLER: 0
; COMPUTE_PGM_RSRC2:TGID_X_EN: 1
; COMPUTE_PGM_RSRC2:TGID_Y_EN: 0
; COMPUTE_PGM_RSRC2:TGID_Z_EN: 0
; COMPUTE_PGM_RSRC2:TIDIG_COMP_CNT: 0
	.section	.text._ZN7rocprim17ROCPRIM_400000_NS6detail17trampoline_kernelINS0_14default_configENS1_20scan_config_selectorIdEEZZNS1_9scan_implILNS1_25lookback_scan_determinismE0ELb0ELb0ES3_PKdPddZZZN2at6native31launch_logcumsumexp_cuda_kernelERKNSB_10TensorBaseESF_lENKUlvE_clEvENKUlvE_clEvEUlddE_dEEDaPvRmT3_T4_T5_mT6_P12ihipStream_tbENKUlT_T0_E_clISt17integral_constantIbLb0EESW_EEDaSR_SS_EUlSR_E0_NS1_11comp_targetILNS1_3genE2ELNS1_11target_archE906ELNS1_3gpuE6ELNS1_3repE0EEENS1_30default_config_static_selectorELNS0_4arch9wavefront6targetE0EEEvT1_,"axG",@progbits,_ZN7rocprim17ROCPRIM_400000_NS6detail17trampoline_kernelINS0_14default_configENS1_20scan_config_selectorIdEEZZNS1_9scan_implILNS1_25lookback_scan_determinismE0ELb0ELb0ES3_PKdPddZZZN2at6native31launch_logcumsumexp_cuda_kernelERKNSB_10TensorBaseESF_lENKUlvE_clEvENKUlvE_clEvEUlddE_dEEDaPvRmT3_T4_T5_mT6_P12ihipStream_tbENKUlT_T0_E_clISt17integral_constantIbLb0EESW_EEDaSR_SS_EUlSR_E0_NS1_11comp_targetILNS1_3genE2ELNS1_11target_archE906ELNS1_3gpuE6ELNS1_3repE0EEENS1_30default_config_static_selectorELNS0_4arch9wavefront6targetE0EEEvT1_,comdat
	.globl	_ZN7rocprim17ROCPRIM_400000_NS6detail17trampoline_kernelINS0_14default_configENS1_20scan_config_selectorIdEEZZNS1_9scan_implILNS1_25lookback_scan_determinismE0ELb0ELb0ES3_PKdPddZZZN2at6native31launch_logcumsumexp_cuda_kernelERKNSB_10TensorBaseESF_lENKUlvE_clEvENKUlvE_clEvEUlddE_dEEDaPvRmT3_T4_T5_mT6_P12ihipStream_tbENKUlT_T0_E_clISt17integral_constantIbLb0EESW_EEDaSR_SS_EUlSR_E0_NS1_11comp_targetILNS1_3genE2ELNS1_11target_archE906ELNS1_3gpuE6ELNS1_3repE0EEENS1_30default_config_static_selectorELNS0_4arch9wavefront6targetE0EEEvT1_ ; -- Begin function _ZN7rocprim17ROCPRIM_400000_NS6detail17trampoline_kernelINS0_14default_configENS1_20scan_config_selectorIdEEZZNS1_9scan_implILNS1_25lookback_scan_determinismE0ELb0ELb0ES3_PKdPddZZZN2at6native31launch_logcumsumexp_cuda_kernelERKNSB_10TensorBaseESF_lENKUlvE_clEvENKUlvE_clEvEUlddE_dEEDaPvRmT3_T4_T5_mT6_P12ihipStream_tbENKUlT_T0_E_clISt17integral_constantIbLb0EESW_EEDaSR_SS_EUlSR_E0_NS1_11comp_targetILNS1_3genE2ELNS1_11target_archE906ELNS1_3gpuE6ELNS1_3repE0EEENS1_30default_config_static_selectorELNS0_4arch9wavefront6targetE0EEEvT1_
	.p2align	8
	.type	_ZN7rocprim17ROCPRIM_400000_NS6detail17trampoline_kernelINS0_14default_configENS1_20scan_config_selectorIdEEZZNS1_9scan_implILNS1_25lookback_scan_determinismE0ELb0ELb0ES3_PKdPddZZZN2at6native31launch_logcumsumexp_cuda_kernelERKNSB_10TensorBaseESF_lENKUlvE_clEvENKUlvE_clEvEUlddE_dEEDaPvRmT3_T4_T5_mT6_P12ihipStream_tbENKUlT_T0_E_clISt17integral_constantIbLb0EESW_EEDaSR_SS_EUlSR_E0_NS1_11comp_targetILNS1_3genE2ELNS1_11target_archE906ELNS1_3gpuE6ELNS1_3repE0EEENS1_30default_config_static_selectorELNS0_4arch9wavefront6targetE0EEEvT1_,@function
_ZN7rocprim17ROCPRIM_400000_NS6detail17trampoline_kernelINS0_14default_configENS1_20scan_config_selectorIdEEZZNS1_9scan_implILNS1_25lookback_scan_determinismE0ELb0ELb0ES3_PKdPddZZZN2at6native31launch_logcumsumexp_cuda_kernelERKNSB_10TensorBaseESF_lENKUlvE_clEvENKUlvE_clEvEUlddE_dEEDaPvRmT3_T4_T5_mT6_P12ihipStream_tbENKUlT_T0_E_clISt17integral_constantIbLb0EESW_EEDaSR_SS_EUlSR_E0_NS1_11comp_targetILNS1_3genE2ELNS1_11target_archE906ELNS1_3gpuE6ELNS1_3repE0EEENS1_30default_config_static_selectorELNS0_4arch9wavefront6targetE0EEEvT1_: ; @_ZN7rocprim17ROCPRIM_400000_NS6detail17trampoline_kernelINS0_14default_configENS1_20scan_config_selectorIdEEZZNS1_9scan_implILNS1_25lookback_scan_determinismE0ELb0ELb0ES3_PKdPddZZZN2at6native31launch_logcumsumexp_cuda_kernelERKNSB_10TensorBaseESF_lENKUlvE_clEvENKUlvE_clEvEUlddE_dEEDaPvRmT3_T4_T5_mT6_P12ihipStream_tbENKUlT_T0_E_clISt17integral_constantIbLb0EESW_EEDaSR_SS_EUlSR_E0_NS1_11comp_targetILNS1_3genE2ELNS1_11target_archE906ELNS1_3gpuE6ELNS1_3repE0EEENS1_30default_config_static_selectorELNS0_4arch9wavefront6targetE0EEEvT1_
; %bb.0:
	.section	.rodata,"a",@progbits
	.p2align	6, 0x0
	.amdhsa_kernel _ZN7rocprim17ROCPRIM_400000_NS6detail17trampoline_kernelINS0_14default_configENS1_20scan_config_selectorIdEEZZNS1_9scan_implILNS1_25lookback_scan_determinismE0ELb0ELb0ES3_PKdPddZZZN2at6native31launch_logcumsumexp_cuda_kernelERKNSB_10TensorBaseESF_lENKUlvE_clEvENKUlvE_clEvEUlddE_dEEDaPvRmT3_T4_T5_mT6_P12ihipStream_tbENKUlT_T0_E_clISt17integral_constantIbLb0EESW_EEDaSR_SS_EUlSR_E0_NS1_11comp_targetILNS1_3genE2ELNS1_11target_archE906ELNS1_3gpuE6ELNS1_3repE0EEENS1_30default_config_static_selectorELNS0_4arch9wavefront6targetE0EEEvT1_
		.amdhsa_group_segment_fixed_size 0
		.amdhsa_private_segment_fixed_size 0
		.amdhsa_kernarg_size 40
		.amdhsa_user_sgpr_count 6
		.amdhsa_user_sgpr_private_segment_buffer 1
		.amdhsa_user_sgpr_dispatch_ptr 0
		.amdhsa_user_sgpr_queue_ptr 0
		.amdhsa_user_sgpr_kernarg_segment_ptr 1
		.amdhsa_user_sgpr_dispatch_id 0
		.amdhsa_user_sgpr_flat_scratch_init 0
		.amdhsa_user_sgpr_private_segment_size 0
		.amdhsa_wavefront_size32 1
		.amdhsa_uses_dynamic_stack 0
		.amdhsa_system_sgpr_private_segment_wavefront_offset 0
		.amdhsa_system_sgpr_workgroup_id_x 1
		.amdhsa_system_sgpr_workgroup_id_y 0
		.amdhsa_system_sgpr_workgroup_id_z 0
		.amdhsa_system_sgpr_workgroup_info 0
		.amdhsa_system_vgpr_workitem_id 0
		.amdhsa_next_free_vgpr 1
		.amdhsa_next_free_sgpr 1
		.amdhsa_reserve_vcc 0
		.amdhsa_reserve_flat_scratch 0
		.amdhsa_float_round_mode_32 0
		.amdhsa_float_round_mode_16_64 0
		.amdhsa_float_denorm_mode_32 3
		.amdhsa_float_denorm_mode_16_64 3
		.amdhsa_dx10_clamp 1
		.amdhsa_ieee_mode 1
		.amdhsa_fp16_overflow 0
		.amdhsa_workgroup_processor_mode 1
		.amdhsa_memory_ordered 1
		.amdhsa_forward_progress 1
		.amdhsa_shared_vgpr_count 0
		.amdhsa_exception_fp_ieee_invalid_op 0
		.amdhsa_exception_fp_denorm_src 0
		.amdhsa_exception_fp_ieee_div_zero 0
		.amdhsa_exception_fp_ieee_overflow 0
		.amdhsa_exception_fp_ieee_underflow 0
		.amdhsa_exception_fp_ieee_inexact 0
		.amdhsa_exception_int_div_zero 0
	.end_amdhsa_kernel
	.section	.text._ZN7rocprim17ROCPRIM_400000_NS6detail17trampoline_kernelINS0_14default_configENS1_20scan_config_selectorIdEEZZNS1_9scan_implILNS1_25lookback_scan_determinismE0ELb0ELb0ES3_PKdPddZZZN2at6native31launch_logcumsumexp_cuda_kernelERKNSB_10TensorBaseESF_lENKUlvE_clEvENKUlvE_clEvEUlddE_dEEDaPvRmT3_T4_T5_mT6_P12ihipStream_tbENKUlT_T0_E_clISt17integral_constantIbLb0EESW_EEDaSR_SS_EUlSR_E0_NS1_11comp_targetILNS1_3genE2ELNS1_11target_archE906ELNS1_3gpuE6ELNS1_3repE0EEENS1_30default_config_static_selectorELNS0_4arch9wavefront6targetE0EEEvT1_,"axG",@progbits,_ZN7rocprim17ROCPRIM_400000_NS6detail17trampoline_kernelINS0_14default_configENS1_20scan_config_selectorIdEEZZNS1_9scan_implILNS1_25lookback_scan_determinismE0ELb0ELb0ES3_PKdPddZZZN2at6native31launch_logcumsumexp_cuda_kernelERKNSB_10TensorBaseESF_lENKUlvE_clEvENKUlvE_clEvEUlddE_dEEDaPvRmT3_T4_T5_mT6_P12ihipStream_tbENKUlT_T0_E_clISt17integral_constantIbLb0EESW_EEDaSR_SS_EUlSR_E0_NS1_11comp_targetILNS1_3genE2ELNS1_11target_archE906ELNS1_3gpuE6ELNS1_3repE0EEENS1_30default_config_static_selectorELNS0_4arch9wavefront6targetE0EEEvT1_,comdat
.Lfunc_end22:
	.size	_ZN7rocprim17ROCPRIM_400000_NS6detail17trampoline_kernelINS0_14default_configENS1_20scan_config_selectorIdEEZZNS1_9scan_implILNS1_25lookback_scan_determinismE0ELb0ELb0ES3_PKdPddZZZN2at6native31launch_logcumsumexp_cuda_kernelERKNSB_10TensorBaseESF_lENKUlvE_clEvENKUlvE_clEvEUlddE_dEEDaPvRmT3_T4_T5_mT6_P12ihipStream_tbENKUlT_T0_E_clISt17integral_constantIbLb0EESW_EEDaSR_SS_EUlSR_E0_NS1_11comp_targetILNS1_3genE2ELNS1_11target_archE906ELNS1_3gpuE6ELNS1_3repE0EEENS1_30default_config_static_selectorELNS0_4arch9wavefront6targetE0EEEvT1_, .Lfunc_end22-_ZN7rocprim17ROCPRIM_400000_NS6detail17trampoline_kernelINS0_14default_configENS1_20scan_config_selectorIdEEZZNS1_9scan_implILNS1_25lookback_scan_determinismE0ELb0ELb0ES3_PKdPddZZZN2at6native31launch_logcumsumexp_cuda_kernelERKNSB_10TensorBaseESF_lENKUlvE_clEvENKUlvE_clEvEUlddE_dEEDaPvRmT3_T4_T5_mT6_P12ihipStream_tbENKUlT_T0_E_clISt17integral_constantIbLb0EESW_EEDaSR_SS_EUlSR_E0_NS1_11comp_targetILNS1_3genE2ELNS1_11target_archE906ELNS1_3gpuE6ELNS1_3repE0EEENS1_30default_config_static_selectorELNS0_4arch9wavefront6targetE0EEEvT1_
                                        ; -- End function
	.set _ZN7rocprim17ROCPRIM_400000_NS6detail17trampoline_kernelINS0_14default_configENS1_20scan_config_selectorIdEEZZNS1_9scan_implILNS1_25lookback_scan_determinismE0ELb0ELb0ES3_PKdPddZZZN2at6native31launch_logcumsumexp_cuda_kernelERKNSB_10TensorBaseESF_lENKUlvE_clEvENKUlvE_clEvEUlddE_dEEDaPvRmT3_T4_T5_mT6_P12ihipStream_tbENKUlT_T0_E_clISt17integral_constantIbLb0EESW_EEDaSR_SS_EUlSR_E0_NS1_11comp_targetILNS1_3genE2ELNS1_11target_archE906ELNS1_3gpuE6ELNS1_3repE0EEENS1_30default_config_static_selectorELNS0_4arch9wavefront6targetE0EEEvT1_.num_vgpr, 0
	.set _ZN7rocprim17ROCPRIM_400000_NS6detail17trampoline_kernelINS0_14default_configENS1_20scan_config_selectorIdEEZZNS1_9scan_implILNS1_25lookback_scan_determinismE0ELb0ELb0ES3_PKdPddZZZN2at6native31launch_logcumsumexp_cuda_kernelERKNSB_10TensorBaseESF_lENKUlvE_clEvENKUlvE_clEvEUlddE_dEEDaPvRmT3_T4_T5_mT6_P12ihipStream_tbENKUlT_T0_E_clISt17integral_constantIbLb0EESW_EEDaSR_SS_EUlSR_E0_NS1_11comp_targetILNS1_3genE2ELNS1_11target_archE906ELNS1_3gpuE6ELNS1_3repE0EEENS1_30default_config_static_selectorELNS0_4arch9wavefront6targetE0EEEvT1_.num_agpr, 0
	.set _ZN7rocprim17ROCPRIM_400000_NS6detail17trampoline_kernelINS0_14default_configENS1_20scan_config_selectorIdEEZZNS1_9scan_implILNS1_25lookback_scan_determinismE0ELb0ELb0ES3_PKdPddZZZN2at6native31launch_logcumsumexp_cuda_kernelERKNSB_10TensorBaseESF_lENKUlvE_clEvENKUlvE_clEvEUlddE_dEEDaPvRmT3_T4_T5_mT6_P12ihipStream_tbENKUlT_T0_E_clISt17integral_constantIbLb0EESW_EEDaSR_SS_EUlSR_E0_NS1_11comp_targetILNS1_3genE2ELNS1_11target_archE906ELNS1_3gpuE6ELNS1_3repE0EEENS1_30default_config_static_selectorELNS0_4arch9wavefront6targetE0EEEvT1_.numbered_sgpr, 0
	.set _ZN7rocprim17ROCPRIM_400000_NS6detail17trampoline_kernelINS0_14default_configENS1_20scan_config_selectorIdEEZZNS1_9scan_implILNS1_25lookback_scan_determinismE0ELb0ELb0ES3_PKdPddZZZN2at6native31launch_logcumsumexp_cuda_kernelERKNSB_10TensorBaseESF_lENKUlvE_clEvENKUlvE_clEvEUlddE_dEEDaPvRmT3_T4_T5_mT6_P12ihipStream_tbENKUlT_T0_E_clISt17integral_constantIbLb0EESW_EEDaSR_SS_EUlSR_E0_NS1_11comp_targetILNS1_3genE2ELNS1_11target_archE906ELNS1_3gpuE6ELNS1_3repE0EEENS1_30default_config_static_selectorELNS0_4arch9wavefront6targetE0EEEvT1_.num_named_barrier, 0
	.set _ZN7rocprim17ROCPRIM_400000_NS6detail17trampoline_kernelINS0_14default_configENS1_20scan_config_selectorIdEEZZNS1_9scan_implILNS1_25lookback_scan_determinismE0ELb0ELb0ES3_PKdPddZZZN2at6native31launch_logcumsumexp_cuda_kernelERKNSB_10TensorBaseESF_lENKUlvE_clEvENKUlvE_clEvEUlddE_dEEDaPvRmT3_T4_T5_mT6_P12ihipStream_tbENKUlT_T0_E_clISt17integral_constantIbLb0EESW_EEDaSR_SS_EUlSR_E0_NS1_11comp_targetILNS1_3genE2ELNS1_11target_archE906ELNS1_3gpuE6ELNS1_3repE0EEENS1_30default_config_static_selectorELNS0_4arch9wavefront6targetE0EEEvT1_.private_seg_size, 0
	.set _ZN7rocprim17ROCPRIM_400000_NS6detail17trampoline_kernelINS0_14default_configENS1_20scan_config_selectorIdEEZZNS1_9scan_implILNS1_25lookback_scan_determinismE0ELb0ELb0ES3_PKdPddZZZN2at6native31launch_logcumsumexp_cuda_kernelERKNSB_10TensorBaseESF_lENKUlvE_clEvENKUlvE_clEvEUlddE_dEEDaPvRmT3_T4_T5_mT6_P12ihipStream_tbENKUlT_T0_E_clISt17integral_constantIbLb0EESW_EEDaSR_SS_EUlSR_E0_NS1_11comp_targetILNS1_3genE2ELNS1_11target_archE906ELNS1_3gpuE6ELNS1_3repE0EEENS1_30default_config_static_selectorELNS0_4arch9wavefront6targetE0EEEvT1_.uses_vcc, 0
	.set _ZN7rocprim17ROCPRIM_400000_NS6detail17trampoline_kernelINS0_14default_configENS1_20scan_config_selectorIdEEZZNS1_9scan_implILNS1_25lookback_scan_determinismE0ELb0ELb0ES3_PKdPddZZZN2at6native31launch_logcumsumexp_cuda_kernelERKNSB_10TensorBaseESF_lENKUlvE_clEvENKUlvE_clEvEUlddE_dEEDaPvRmT3_T4_T5_mT6_P12ihipStream_tbENKUlT_T0_E_clISt17integral_constantIbLb0EESW_EEDaSR_SS_EUlSR_E0_NS1_11comp_targetILNS1_3genE2ELNS1_11target_archE906ELNS1_3gpuE6ELNS1_3repE0EEENS1_30default_config_static_selectorELNS0_4arch9wavefront6targetE0EEEvT1_.uses_flat_scratch, 0
	.set _ZN7rocprim17ROCPRIM_400000_NS6detail17trampoline_kernelINS0_14default_configENS1_20scan_config_selectorIdEEZZNS1_9scan_implILNS1_25lookback_scan_determinismE0ELb0ELb0ES3_PKdPddZZZN2at6native31launch_logcumsumexp_cuda_kernelERKNSB_10TensorBaseESF_lENKUlvE_clEvENKUlvE_clEvEUlddE_dEEDaPvRmT3_T4_T5_mT6_P12ihipStream_tbENKUlT_T0_E_clISt17integral_constantIbLb0EESW_EEDaSR_SS_EUlSR_E0_NS1_11comp_targetILNS1_3genE2ELNS1_11target_archE906ELNS1_3gpuE6ELNS1_3repE0EEENS1_30default_config_static_selectorELNS0_4arch9wavefront6targetE0EEEvT1_.has_dyn_sized_stack, 0
	.set _ZN7rocprim17ROCPRIM_400000_NS6detail17trampoline_kernelINS0_14default_configENS1_20scan_config_selectorIdEEZZNS1_9scan_implILNS1_25lookback_scan_determinismE0ELb0ELb0ES3_PKdPddZZZN2at6native31launch_logcumsumexp_cuda_kernelERKNSB_10TensorBaseESF_lENKUlvE_clEvENKUlvE_clEvEUlddE_dEEDaPvRmT3_T4_T5_mT6_P12ihipStream_tbENKUlT_T0_E_clISt17integral_constantIbLb0EESW_EEDaSR_SS_EUlSR_E0_NS1_11comp_targetILNS1_3genE2ELNS1_11target_archE906ELNS1_3gpuE6ELNS1_3repE0EEENS1_30default_config_static_selectorELNS0_4arch9wavefront6targetE0EEEvT1_.has_recursion, 0
	.set _ZN7rocprim17ROCPRIM_400000_NS6detail17trampoline_kernelINS0_14default_configENS1_20scan_config_selectorIdEEZZNS1_9scan_implILNS1_25lookback_scan_determinismE0ELb0ELb0ES3_PKdPddZZZN2at6native31launch_logcumsumexp_cuda_kernelERKNSB_10TensorBaseESF_lENKUlvE_clEvENKUlvE_clEvEUlddE_dEEDaPvRmT3_T4_T5_mT6_P12ihipStream_tbENKUlT_T0_E_clISt17integral_constantIbLb0EESW_EEDaSR_SS_EUlSR_E0_NS1_11comp_targetILNS1_3genE2ELNS1_11target_archE906ELNS1_3gpuE6ELNS1_3repE0EEENS1_30default_config_static_selectorELNS0_4arch9wavefront6targetE0EEEvT1_.has_indirect_call, 0
	.section	.AMDGPU.csdata,"",@progbits
; Kernel info:
; codeLenInByte = 0
; TotalNumSgprs: 0
; NumVgprs: 0
; ScratchSize: 0
; MemoryBound: 0
; FloatMode: 240
; IeeeMode: 1
; LDSByteSize: 0 bytes/workgroup (compile time only)
; SGPRBlocks: 0
; VGPRBlocks: 0
; NumSGPRsForWavesPerEU: 1
; NumVGPRsForWavesPerEU: 1
; Occupancy: 16
; WaveLimiterHint : 0
; COMPUTE_PGM_RSRC2:SCRATCH_EN: 0
; COMPUTE_PGM_RSRC2:USER_SGPR: 6
; COMPUTE_PGM_RSRC2:TRAP_HANDLER: 0
; COMPUTE_PGM_RSRC2:TGID_X_EN: 1
; COMPUTE_PGM_RSRC2:TGID_Y_EN: 0
; COMPUTE_PGM_RSRC2:TGID_Z_EN: 0
; COMPUTE_PGM_RSRC2:TIDIG_COMP_CNT: 0
	.section	.text._ZN7rocprim17ROCPRIM_400000_NS6detail17trampoline_kernelINS0_14default_configENS1_20scan_config_selectorIdEEZZNS1_9scan_implILNS1_25lookback_scan_determinismE0ELb0ELb0ES3_PKdPddZZZN2at6native31launch_logcumsumexp_cuda_kernelERKNSB_10TensorBaseESF_lENKUlvE_clEvENKUlvE_clEvEUlddE_dEEDaPvRmT3_T4_T5_mT6_P12ihipStream_tbENKUlT_T0_E_clISt17integral_constantIbLb0EESW_EEDaSR_SS_EUlSR_E0_NS1_11comp_targetILNS1_3genE10ELNS1_11target_archE1201ELNS1_3gpuE5ELNS1_3repE0EEENS1_30default_config_static_selectorELNS0_4arch9wavefront6targetE0EEEvT1_,"axG",@progbits,_ZN7rocprim17ROCPRIM_400000_NS6detail17trampoline_kernelINS0_14default_configENS1_20scan_config_selectorIdEEZZNS1_9scan_implILNS1_25lookback_scan_determinismE0ELb0ELb0ES3_PKdPddZZZN2at6native31launch_logcumsumexp_cuda_kernelERKNSB_10TensorBaseESF_lENKUlvE_clEvENKUlvE_clEvEUlddE_dEEDaPvRmT3_T4_T5_mT6_P12ihipStream_tbENKUlT_T0_E_clISt17integral_constantIbLb0EESW_EEDaSR_SS_EUlSR_E0_NS1_11comp_targetILNS1_3genE10ELNS1_11target_archE1201ELNS1_3gpuE5ELNS1_3repE0EEENS1_30default_config_static_selectorELNS0_4arch9wavefront6targetE0EEEvT1_,comdat
	.globl	_ZN7rocprim17ROCPRIM_400000_NS6detail17trampoline_kernelINS0_14default_configENS1_20scan_config_selectorIdEEZZNS1_9scan_implILNS1_25lookback_scan_determinismE0ELb0ELb0ES3_PKdPddZZZN2at6native31launch_logcumsumexp_cuda_kernelERKNSB_10TensorBaseESF_lENKUlvE_clEvENKUlvE_clEvEUlddE_dEEDaPvRmT3_T4_T5_mT6_P12ihipStream_tbENKUlT_T0_E_clISt17integral_constantIbLb0EESW_EEDaSR_SS_EUlSR_E0_NS1_11comp_targetILNS1_3genE10ELNS1_11target_archE1201ELNS1_3gpuE5ELNS1_3repE0EEENS1_30default_config_static_selectorELNS0_4arch9wavefront6targetE0EEEvT1_ ; -- Begin function _ZN7rocprim17ROCPRIM_400000_NS6detail17trampoline_kernelINS0_14default_configENS1_20scan_config_selectorIdEEZZNS1_9scan_implILNS1_25lookback_scan_determinismE0ELb0ELb0ES3_PKdPddZZZN2at6native31launch_logcumsumexp_cuda_kernelERKNSB_10TensorBaseESF_lENKUlvE_clEvENKUlvE_clEvEUlddE_dEEDaPvRmT3_T4_T5_mT6_P12ihipStream_tbENKUlT_T0_E_clISt17integral_constantIbLb0EESW_EEDaSR_SS_EUlSR_E0_NS1_11comp_targetILNS1_3genE10ELNS1_11target_archE1201ELNS1_3gpuE5ELNS1_3repE0EEENS1_30default_config_static_selectorELNS0_4arch9wavefront6targetE0EEEvT1_
	.p2align	8
	.type	_ZN7rocprim17ROCPRIM_400000_NS6detail17trampoline_kernelINS0_14default_configENS1_20scan_config_selectorIdEEZZNS1_9scan_implILNS1_25lookback_scan_determinismE0ELb0ELb0ES3_PKdPddZZZN2at6native31launch_logcumsumexp_cuda_kernelERKNSB_10TensorBaseESF_lENKUlvE_clEvENKUlvE_clEvEUlddE_dEEDaPvRmT3_T4_T5_mT6_P12ihipStream_tbENKUlT_T0_E_clISt17integral_constantIbLb0EESW_EEDaSR_SS_EUlSR_E0_NS1_11comp_targetILNS1_3genE10ELNS1_11target_archE1201ELNS1_3gpuE5ELNS1_3repE0EEENS1_30default_config_static_selectorELNS0_4arch9wavefront6targetE0EEEvT1_,@function
_ZN7rocprim17ROCPRIM_400000_NS6detail17trampoline_kernelINS0_14default_configENS1_20scan_config_selectorIdEEZZNS1_9scan_implILNS1_25lookback_scan_determinismE0ELb0ELb0ES3_PKdPddZZZN2at6native31launch_logcumsumexp_cuda_kernelERKNSB_10TensorBaseESF_lENKUlvE_clEvENKUlvE_clEvEUlddE_dEEDaPvRmT3_T4_T5_mT6_P12ihipStream_tbENKUlT_T0_E_clISt17integral_constantIbLb0EESW_EEDaSR_SS_EUlSR_E0_NS1_11comp_targetILNS1_3genE10ELNS1_11target_archE1201ELNS1_3gpuE5ELNS1_3repE0EEENS1_30default_config_static_selectorELNS0_4arch9wavefront6targetE0EEEvT1_: ; @_ZN7rocprim17ROCPRIM_400000_NS6detail17trampoline_kernelINS0_14default_configENS1_20scan_config_selectorIdEEZZNS1_9scan_implILNS1_25lookback_scan_determinismE0ELb0ELb0ES3_PKdPddZZZN2at6native31launch_logcumsumexp_cuda_kernelERKNSB_10TensorBaseESF_lENKUlvE_clEvENKUlvE_clEvEUlddE_dEEDaPvRmT3_T4_T5_mT6_P12ihipStream_tbENKUlT_T0_E_clISt17integral_constantIbLb0EESW_EEDaSR_SS_EUlSR_E0_NS1_11comp_targetILNS1_3genE10ELNS1_11target_archE1201ELNS1_3gpuE5ELNS1_3repE0EEENS1_30default_config_static_selectorELNS0_4arch9wavefront6targetE0EEEvT1_
; %bb.0:
	.section	.rodata,"a",@progbits
	.p2align	6, 0x0
	.amdhsa_kernel _ZN7rocprim17ROCPRIM_400000_NS6detail17trampoline_kernelINS0_14default_configENS1_20scan_config_selectorIdEEZZNS1_9scan_implILNS1_25lookback_scan_determinismE0ELb0ELb0ES3_PKdPddZZZN2at6native31launch_logcumsumexp_cuda_kernelERKNSB_10TensorBaseESF_lENKUlvE_clEvENKUlvE_clEvEUlddE_dEEDaPvRmT3_T4_T5_mT6_P12ihipStream_tbENKUlT_T0_E_clISt17integral_constantIbLb0EESW_EEDaSR_SS_EUlSR_E0_NS1_11comp_targetILNS1_3genE10ELNS1_11target_archE1201ELNS1_3gpuE5ELNS1_3repE0EEENS1_30default_config_static_selectorELNS0_4arch9wavefront6targetE0EEEvT1_
		.amdhsa_group_segment_fixed_size 0
		.amdhsa_private_segment_fixed_size 0
		.amdhsa_kernarg_size 40
		.amdhsa_user_sgpr_count 6
		.amdhsa_user_sgpr_private_segment_buffer 1
		.amdhsa_user_sgpr_dispatch_ptr 0
		.amdhsa_user_sgpr_queue_ptr 0
		.amdhsa_user_sgpr_kernarg_segment_ptr 1
		.amdhsa_user_sgpr_dispatch_id 0
		.amdhsa_user_sgpr_flat_scratch_init 0
		.amdhsa_user_sgpr_private_segment_size 0
		.amdhsa_wavefront_size32 1
		.amdhsa_uses_dynamic_stack 0
		.amdhsa_system_sgpr_private_segment_wavefront_offset 0
		.amdhsa_system_sgpr_workgroup_id_x 1
		.amdhsa_system_sgpr_workgroup_id_y 0
		.amdhsa_system_sgpr_workgroup_id_z 0
		.amdhsa_system_sgpr_workgroup_info 0
		.amdhsa_system_vgpr_workitem_id 0
		.amdhsa_next_free_vgpr 1
		.amdhsa_next_free_sgpr 1
		.amdhsa_reserve_vcc 0
		.amdhsa_reserve_flat_scratch 0
		.amdhsa_float_round_mode_32 0
		.amdhsa_float_round_mode_16_64 0
		.amdhsa_float_denorm_mode_32 3
		.amdhsa_float_denorm_mode_16_64 3
		.amdhsa_dx10_clamp 1
		.amdhsa_ieee_mode 1
		.amdhsa_fp16_overflow 0
		.amdhsa_workgroup_processor_mode 1
		.amdhsa_memory_ordered 1
		.amdhsa_forward_progress 1
		.amdhsa_shared_vgpr_count 0
		.amdhsa_exception_fp_ieee_invalid_op 0
		.amdhsa_exception_fp_denorm_src 0
		.amdhsa_exception_fp_ieee_div_zero 0
		.amdhsa_exception_fp_ieee_overflow 0
		.amdhsa_exception_fp_ieee_underflow 0
		.amdhsa_exception_fp_ieee_inexact 0
		.amdhsa_exception_int_div_zero 0
	.end_amdhsa_kernel
	.section	.text._ZN7rocprim17ROCPRIM_400000_NS6detail17trampoline_kernelINS0_14default_configENS1_20scan_config_selectorIdEEZZNS1_9scan_implILNS1_25lookback_scan_determinismE0ELb0ELb0ES3_PKdPddZZZN2at6native31launch_logcumsumexp_cuda_kernelERKNSB_10TensorBaseESF_lENKUlvE_clEvENKUlvE_clEvEUlddE_dEEDaPvRmT3_T4_T5_mT6_P12ihipStream_tbENKUlT_T0_E_clISt17integral_constantIbLb0EESW_EEDaSR_SS_EUlSR_E0_NS1_11comp_targetILNS1_3genE10ELNS1_11target_archE1201ELNS1_3gpuE5ELNS1_3repE0EEENS1_30default_config_static_selectorELNS0_4arch9wavefront6targetE0EEEvT1_,"axG",@progbits,_ZN7rocprim17ROCPRIM_400000_NS6detail17trampoline_kernelINS0_14default_configENS1_20scan_config_selectorIdEEZZNS1_9scan_implILNS1_25lookback_scan_determinismE0ELb0ELb0ES3_PKdPddZZZN2at6native31launch_logcumsumexp_cuda_kernelERKNSB_10TensorBaseESF_lENKUlvE_clEvENKUlvE_clEvEUlddE_dEEDaPvRmT3_T4_T5_mT6_P12ihipStream_tbENKUlT_T0_E_clISt17integral_constantIbLb0EESW_EEDaSR_SS_EUlSR_E0_NS1_11comp_targetILNS1_3genE10ELNS1_11target_archE1201ELNS1_3gpuE5ELNS1_3repE0EEENS1_30default_config_static_selectorELNS0_4arch9wavefront6targetE0EEEvT1_,comdat
.Lfunc_end23:
	.size	_ZN7rocprim17ROCPRIM_400000_NS6detail17trampoline_kernelINS0_14default_configENS1_20scan_config_selectorIdEEZZNS1_9scan_implILNS1_25lookback_scan_determinismE0ELb0ELb0ES3_PKdPddZZZN2at6native31launch_logcumsumexp_cuda_kernelERKNSB_10TensorBaseESF_lENKUlvE_clEvENKUlvE_clEvEUlddE_dEEDaPvRmT3_T4_T5_mT6_P12ihipStream_tbENKUlT_T0_E_clISt17integral_constantIbLb0EESW_EEDaSR_SS_EUlSR_E0_NS1_11comp_targetILNS1_3genE10ELNS1_11target_archE1201ELNS1_3gpuE5ELNS1_3repE0EEENS1_30default_config_static_selectorELNS0_4arch9wavefront6targetE0EEEvT1_, .Lfunc_end23-_ZN7rocprim17ROCPRIM_400000_NS6detail17trampoline_kernelINS0_14default_configENS1_20scan_config_selectorIdEEZZNS1_9scan_implILNS1_25lookback_scan_determinismE0ELb0ELb0ES3_PKdPddZZZN2at6native31launch_logcumsumexp_cuda_kernelERKNSB_10TensorBaseESF_lENKUlvE_clEvENKUlvE_clEvEUlddE_dEEDaPvRmT3_T4_T5_mT6_P12ihipStream_tbENKUlT_T0_E_clISt17integral_constantIbLb0EESW_EEDaSR_SS_EUlSR_E0_NS1_11comp_targetILNS1_3genE10ELNS1_11target_archE1201ELNS1_3gpuE5ELNS1_3repE0EEENS1_30default_config_static_selectorELNS0_4arch9wavefront6targetE0EEEvT1_
                                        ; -- End function
	.set _ZN7rocprim17ROCPRIM_400000_NS6detail17trampoline_kernelINS0_14default_configENS1_20scan_config_selectorIdEEZZNS1_9scan_implILNS1_25lookback_scan_determinismE0ELb0ELb0ES3_PKdPddZZZN2at6native31launch_logcumsumexp_cuda_kernelERKNSB_10TensorBaseESF_lENKUlvE_clEvENKUlvE_clEvEUlddE_dEEDaPvRmT3_T4_T5_mT6_P12ihipStream_tbENKUlT_T0_E_clISt17integral_constantIbLb0EESW_EEDaSR_SS_EUlSR_E0_NS1_11comp_targetILNS1_3genE10ELNS1_11target_archE1201ELNS1_3gpuE5ELNS1_3repE0EEENS1_30default_config_static_selectorELNS0_4arch9wavefront6targetE0EEEvT1_.num_vgpr, 0
	.set _ZN7rocprim17ROCPRIM_400000_NS6detail17trampoline_kernelINS0_14default_configENS1_20scan_config_selectorIdEEZZNS1_9scan_implILNS1_25lookback_scan_determinismE0ELb0ELb0ES3_PKdPddZZZN2at6native31launch_logcumsumexp_cuda_kernelERKNSB_10TensorBaseESF_lENKUlvE_clEvENKUlvE_clEvEUlddE_dEEDaPvRmT3_T4_T5_mT6_P12ihipStream_tbENKUlT_T0_E_clISt17integral_constantIbLb0EESW_EEDaSR_SS_EUlSR_E0_NS1_11comp_targetILNS1_3genE10ELNS1_11target_archE1201ELNS1_3gpuE5ELNS1_3repE0EEENS1_30default_config_static_selectorELNS0_4arch9wavefront6targetE0EEEvT1_.num_agpr, 0
	.set _ZN7rocprim17ROCPRIM_400000_NS6detail17trampoline_kernelINS0_14default_configENS1_20scan_config_selectorIdEEZZNS1_9scan_implILNS1_25lookback_scan_determinismE0ELb0ELb0ES3_PKdPddZZZN2at6native31launch_logcumsumexp_cuda_kernelERKNSB_10TensorBaseESF_lENKUlvE_clEvENKUlvE_clEvEUlddE_dEEDaPvRmT3_T4_T5_mT6_P12ihipStream_tbENKUlT_T0_E_clISt17integral_constantIbLb0EESW_EEDaSR_SS_EUlSR_E0_NS1_11comp_targetILNS1_3genE10ELNS1_11target_archE1201ELNS1_3gpuE5ELNS1_3repE0EEENS1_30default_config_static_selectorELNS0_4arch9wavefront6targetE0EEEvT1_.numbered_sgpr, 0
	.set _ZN7rocprim17ROCPRIM_400000_NS6detail17trampoline_kernelINS0_14default_configENS1_20scan_config_selectorIdEEZZNS1_9scan_implILNS1_25lookback_scan_determinismE0ELb0ELb0ES3_PKdPddZZZN2at6native31launch_logcumsumexp_cuda_kernelERKNSB_10TensorBaseESF_lENKUlvE_clEvENKUlvE_clEvEUlddE_dEEDaPvRmT3_T4_T5_mT6_P12ihipStream_tbENKUlT_T0_E_clISt17integral_constantIbLb0EESW_EEDaSR_SS_EUlSR_E0_NS1_11comp_targetILNS1_3genE10ELNS1_11target_archE1201ELNS1_3gpuE5ELNS1_3repE0EEENS1_30default_config_static_selectorELNS0_4arch9wavefront6targetE0EEEvT1_.num_named_barrier, 0
	.set _ZN7rocprim17ROCPRIM_400000_NS6detail17trampoline_kernelINS0_14default_configENS1_20scan_config_selectorIdEEZZNS1_9scan_implILNS1_25lookback_scan_determinismE0ELb0ELb0ES3_PKdPddZZZN2at6native31launch_logcumsumexp_cuda_kernelERKNSB_10TensorBaseESF_lENKUlvE_clEvENKUlvE_clEvEUlddE_dEEDaPvRmT3_T4_T5_mT6_P12ihipStream_tbENKUlT_T0_E_clISt17integral_constantIbLb0EESW_EEDaSR_SS_EUlSR_E0_NS1_11comp_targetILNS1_3genE10ELNS1_11target_archE1201ELNS1_3gpuE5ELNS1_3repE0EEENS1_30default_config_static_selectorELNS0_4arch9wavefront6targetE0EEEvT1_.private_seg_size, 0
	.set _ZN7rocprim17ROCPRIM_400000_NS6detail17trampoline_kernelINS0_14default_configENS1_20scan_config_selectorIdEEZZNS1_9scan_implILNS1_25lookback_scan_determinismE0ELb0ELb0ES3_PKdPddZZZN2at6native31launch_logcumsumexp_cuda_kernelERKNSB_10TensorBaseESF_lENKUlvE_clEvENKUlvE_clEvEUlddE_dEEDaPvRmT3_T4_T5_mT6_P12ihipStream_tbENKUlT_T0_E_clISt17integral_constantIbLb0EESW_EEDaSR_SS_EUlSR_E0_NS1_11comp_targetILNS1_3genE10ELNS1_11target_archE1201ELNS1_3gpuE5ELNS1_3repE0EEENS1_30default_config_static_selectorELNS0_4arch9wavefront6targetE0EEEvT1_.uses_vcc, 0
	.set _ZN7rocprim17ROCPRIM_400000_NS6detail17trampoline_kernelINS0_14default_configENS1_20scan_config_selectorIdEEZZNS1_9scan_implILNS1_25lookback_scan_determinismE0ELb0ELb0ES3_PKdPddZZZN2at6native31launch_logcumsumexp_cuda_kernelERKNSB_10TensorBaseESF_lENKUlvE_clEvENKUlvE_clEvEUlddE_dEEDaPvRmT3_T4_T5_mT6_P12ihipStream_tbENKUlT_T0_E_clISt17integral_constantIbLb0EESW_EEDaSR_SS_EUlSR_E0_NS1_11comp_targetILNS1_3genE10ELNS1_11target_archE1201ELNS1_3gpuE5ELNS1_3repE0EEENS1_30default_config_static_selectorELNS0_4arch9wavefront6targetE0EEEvT1_.uses_flat_scratch, 0
	.set _ZN7rocprim17ROCPRIM_400000_NS6detail17trampoline_kernelINS0_14default_configENS1_20scan_config_selectorIdEEZZNS1_9scan_implILNS1_25lookback_scan_determinismE0ELb0ELb0ES3_PKdPddZZZN2at6native31launch_logcumsumexp_cuda_kernelERKNSB_10TensorBaseESF_lENKUlvE_clEvENKUlvE_clEvEUlddE_dEEDaPvRmT3_T4_T5_mT6_P12ihipStream_tbENKUlT_T0_E_clISt17integral_constantIbLb0EESW_EEDaSR_SS_EUlSR_E0_NS1_11comp_targetILNS1_3genE10ELNS1_11target_archE1201ELNS1_3gpuE5ELNS1_3repE0EEENS1_30default_config_static_selectorELNS0_4arch9wavefront6targetE0EEEvT1_.has_dyn_sized_stack, 0
	.set _ZN7rocprim17ROCPRIM_400000_NS6detail17trampoline_kernelINS0_14default_configENS1_20scan_config_selectorIdEEZZNS1_9scan_implILNS1_25lookback_scan_determinismE0ELb0ELb0ES3_PKdPddZZZN2at6native31launch_logcumsumexp_cuda_kernelERKNSB_10TensorBaseESF_lENKUlvE_clEvENKUlvE_clEvEUlddE_dEEDaPvRmT3_T4_T5_mT6_P12ihipStream_tbENKUlT_T0_E_clISt17integral_constantIbLb0EESW_EEDaSR_SS_EUlSR_E0_NS1_11comp_targetILNS1_3genE10ELNS1_11target_archE1201ELNS1_3gpuE5ELNS1_3repE0EEENS1_30default_config_static_selectorELNS0_4arch9wavefront6targetE0EEEvT1_.has_recursion, 0
	.set _ZN7rocprim17ROCPRIM_400000_NS6detail17trampoline_kernelINS0_14default_configENS1_20scan_config_selectorIdEEZZNS1_9scan_implILNS1_25lookback_scan_determinismE0ELb0ELb0ES3_PKdPddZZZN2at6native31launch_logcumsumexp_cuda_kernelERKNSB_10TensorBaseESF_lENKUlvE_clEvENKUlvE_clEvEUlddE_dEEDaPvRmT3_T4_T5_mT6_P12ihipStream_tbENKUlT_T0_E_clISt17integral_constantIbLb0EESW_EEDaSR_SS_EUlSR_E0_NS1_11comp_targetILNS1_3genE10ELNS1_11target_archE1201ELNS1_3gpuE5ELNS1_3repE0EEENS1_30default_config_static_selectorELNS0_4arch9wavefront6targetE0EEEvT1_.has_indirect_call, 0
	.section	.AMDGPU.csdata,"",@progbits
; Kernel info:
; codeLenInByte = 0
; TotalNumSgprs: 0
; NumVgprs: 0
; ScratchSize: 0
; MemoryBound: 0
; FloatMode: 240
; IeeeMode: 1
; LDSByteSize: 0 bytes/workgroup (compile time only)
; SGPRBlocks: 0
; VGPRBlocks: 0
; NumSGPRsForWavesPerEU: 1
; NumVGPRsForWavesPerEU: 1
; Occupancy: 16
; WaveLimiterHint : 0
; COMPUTE_PGM_RSRC2:SCRATCH_EN: 0
; COMPUTE_PGM_RSRC2:USER_SGPR: 6
; COMPUTE_PGM_RSRC2:TRAP_HANDLER: 0
; COMPUTE_PGM_RSRC2:TGID_X_EN: 1
; COMPUTE_PGM_RSRC2:TGID_Y_EN: 0
; COMPUTE_PGM_RSRC2:TGID_Z_EN: 0
; COMPUTE_PGM_RSRC2:TIDIG_COMP_CNT: 0
	.section	.text._ZN7rocprim17ROCPRIM_400000_NS6detail17trampoline_kernelINS0_14default_configENS1_20scan_config_selectorIdEEZZNS1_9scan_implILNS1_25lookback_scan_determinismE0ELb0ELb0ES3_PKdPddZZZN2at6native31launch_logcumsumexp_cuda_kernelERKNSB_10TensorBaseESF_lENKUlvE_clEvENKUlvE_clEvEUlddE_dEEDaPvRmT3_T4_T5_mT6_P12ihipStream_tbENKUlT_T0_E_clISt17integral_constantIbLb0EESW_EEDaSR_SS_EUlSR_E0_NS1_11comp_targetILNS1_3genE10ELNS1_11target_archE1200ELNS1_3gpuE4ELNS1_3repE0EEENS1_30default_config_static_selectorELNS0_4arch9wavefront6targetE0EEEvT1_,"axG",@progbits,_ZN7rocprim17ROCPRIM_400000_NS6detail17trampoline_kernelINS0_14default_configENS1_20scan_config_selectorIdEEZZNS1_9scan_implILNS1_25lookback_scan_determinismE0ELb0ELb0ES3_PKdPddZZZN2at6native31launch_logcumsumexp_cuda_kernelERKNSB_10TensorBaseESF_lENKUlvE_clEvENKUlvE_clEvEUlddE_dEEDaPvRmT3_T4_T5_mT6_P12ihipStream_tbENKUlT_T0_E_clISt17integral_constantIbLb0EESW_EEDaSR_SS_EUlSR_E0_NS1_11comp_targetILNS1_3genE10ELNS1_11target_archE1200ELNS1_3gpuE4ELNS1_3repE0EEENS1_30default_config_static_selectorELNS0_4arch9wavefront6targetE0EEEvT1_,comdat
	.globl	_ZN7rocprim17ROCPRIM_400000_NS6detail17trampoline_kernelINS0_14default_configENS1_20scan_config_selectorIdEEZZNS1_9scan_implILNS1_25lookback_scan_determinismE0ELb0ELb0ES3_PKdPddZZZN2at6native31launch_logcumsumexp_cuda_kernelERKNSB_10TensorBaseESF_lENKUlvE_clEvENKUlvE_clEvEUlddE_dEEDaPvRmT3_T4_T5_mT6_P12ihipStream_tbENKUlT_T0_E_clISt17integral_constantIbLb0EESW_EEDaSR_SS_EUlSR_E0_NS1_11comp_targetILNS1_3genE10ELNS1_11target_archE1200ELNS1_3gpuE4ELNS1_3repE0EEENS1_30default_config_static_selectorELNS0_4arch9wavefront6targetE0EEEvT1_ ; -- Begin function _ZN7rocprim17ROCPRIM_400000_NS6detail17trampoline_kernelINS0_14default_configENS1_20scan_config_selectorIdEEZZNS1_9scan_implILNS1_25lookback_scan_determinismE0ELb0ELb0ES3_PKdPddZZZN2at6native31launch_logcumsumexp_cuda_kernelERKNSB_10TensorBaseESF_lENKUlvE_clEvENKUlvE_clEvEUlddE_dEEDaPvRmT3_T4_T5_mT6_P12ihipStream_tbENKUlT_T0_E_clISt17integral_constantIbLb0EESW_EEDaSR_SS_EUlSR_E0_NS1_11comp_targetILNS1_3genE10ELNS1_11target_archE1200ELNS1_3gpuE4ELNS1_3repE0EEENS1_30default_config_static_selectorELNS0_4arch9wavefront6targetE0EEEvT1_
	.p2align	8
	.type	_ZN7rocprim17ROCPRIM_400000_NS6detail17trampoline_kernelINS0_14default_configENS1_20scan_config_selectorIdEEZZNS1_9scan_implILNS1_25lookback_scan_determinismE0ELb0ELb0ES3_PKdPddZZZN2at6native31launch_logcumsumexp_cuda_kernelERKNSB_10TensorBaseESF_lENKUlvE_clEvENKUlvE_clEvEUlddE_dEEDaPvRmT3_T4_T5_mT6_P12ihipStream_tbENKUlT_T0_E_clISt17integral_constantIbLb0EESW_EEDaSR_SS_EUlSR_E0_NS1_11comp_targetILNS1_3genE10ELNS1_11target_archE1200ELNS1_3gpuE4ELNS1_3repE0EEENS1_30default_config_static_selectorELNS0_4arch9wavefront6targetE0EEEvT1_,@function
_ZN7rocprim17ROCPRIM_400000_NS6detail17trampoline_kernelINS0_14default_configENS1_20scan_config_selectorIdEEZZNS1_9scan_implILNS1_25lookback_scan_determinismE0ELb0ELb0ES3_PKdPddZZZN2at6native31launch_logcumsumexp_cuda_kernelERKNSB_10TensorBaseESF_lENKUlvE_clEvENKUlvE_clEvEUlddE_dEEDaPvRmT3_T4_T5_mT6_P12ihipStream_tbENKUlT_T0_E_clISt17integral_constantIbLb0EESW_EEDaSR_SS_EUlSR_E0_NS1_11comp_targetILNS1_3genE10ELNS1_11target_archE1200ELNS1_3gpuE4ELNS1_3repE0EEENS1_30default_config_static_selectorELNS0_4arch9wavefront6targetE0EEEvT1_: ; @_ZN7rocprim17ROCPRIM_400000_NS6detail17trampoline_kernelINS0_14default_configENS1_20scan_config_selectorIdEEZZNS1_9scan_implILNS1_25lookback_scan_determinismE0ELb0ELb0ES3_PKdPddZZZN2at6native31launch_logcumsumexp_cuda_kernelERKNSB_10TensorBaseESF_lENKUlvE_clEvENKUlvE_clEvEUlddE_dEEDaPvRmT3_T4_T5_mT6_P12ihipStream_tbENKUlT_T0_E_clISt17integral_constantIbLb0EESW_EEDaSR_SS_EUlSR_E0_NS1_11comp_targetILNS1_3genE10ELNS1_11target_archE1200ELNS1_3gpuE4ELNS1_3repE0EEENS1_30default_config_static_selectorELNS0_4arch9wavefront6targetE0EEEvT1_
; %bb.0:
	.section	.rodata,"a",@progbits
	.p2align	6, 0x0
	.amdhsa_kernel _ZN7rocprim17ROCPRIM_400000_NS6detail17trampoline_kernelINS0_14default_configENS1_20scan_config_selectorIdEEZZNS1_9scan_implILNS1_25lookback_scan_determinismE0ELb0ELb0ES3_PKdPddZZZN2at6native31launch_logcumsumexp_cuda_kernelERKNSB_10TensorBaseESF_lENKUlvE_clEvENKUlvE_clEvEUlddE_dEEDaPvRmT3_T4_T5_mT6_P12ihipStream_tbENKUlT_T0_E_clISt17integral_constantIbLb0EESW_EEDaSR_SS_EUlSR_E0_NS1_11comp_targetILNS1_3genE10ELNS1_11target_archE1200ELNS1_3gpuE4ELNS1_3repE0EEENS1_30default_config_static_selectorELNS0_4arch9wavefront6targetE0EEEvT1_
		.amdhsa_group_segment_fixed_size 0
		.amdhsa_private_segment_fixed_size 0
		.amdhsa_kernarg_size 40
		.amdhsa_user_sgpr_count 6
		.amdhsa_user_sgpr_private_segment_buffer 1
		.amdhsa_user_sgpr_dispatch_ptr 0
		.amdhsa_user_sgpr_queue_ptr 0
		.amdhsa_user_sgpr_kernarg_segment_ptr 1
		.amdhsa_user_sgpr_dispatch_id 0
		.amdhsa_user_sgpr_flat_scratch_init 0
		.amdhsa_user_sgpr_private_segment_size 0
		.amdhsa_wavefront_size32 1
		.amdhsa_uses_dynamic_stack 0
		.amdhsa_system_sgpr_private_segment_wavefront_offset 0
		.amdhsa_system_sgpr_workgroup_id_x 1
		.amdhsa_system_sgpr_workgroup_id_y 0
		.amdhsa_system_sgpr_workgroup_id_z 0
		.amdhsa_system_sgpr_workgroup_info 0
		.amdhsa_system_vgpr_workitem_id 0
		.amdhsa_next_free_vgpr 1
		.amdhsa_next_free_sgpr 1
		.amdhsa_reserve_vcc 0
		.amdhsa_reserve_flat_scratch 0
		.amdhsa_float_round_mode_32 0
		.amdhsa_float_round_mode_16_64 0
		.amdhsa_float_denorm_mode_32 3
		.amdhsa_float_denorm_mode_16_64 3
		.amdhsa_dx10_clamp 1
		.amdhsa_ieee_mode 1
		.amdhsa_fp16_overflow 0
		.amdhsa_workgroup_processor_mode 1
		.amdhsa_memory_ordered 1
		.amdhsa_forward_progress 1
		.amdhsa_shared_vgpr_count 0
		.amdhsa_exception_fp_ieee_invalid_op 0
		.amdhsa_exception_fp_denorm_src 0
		.amdhsa_exception_fp_ieee_div_zero 0
		.amdhsa_exception_fp_ieee_overflow 0
		.amdhsa_exception_fp_ieee_underflow 0
		.amdhsa_exception_fp_ieee_inexact 0
		.amdhsa_exception_int_div_zero 0
	.end_amdhsa_kernel
	.section	.text._ZN7rocprim17ROCPRIM_400000_NS6detail17trampoline_kernelINS0_14default_configENS1_20scan_config_selectorIdEEZZNS1_9scan_implILNS1_25lookback_scan_determinismE0ELb0ELb0ES3_PKdPddZZZN2at6native31launch_logcumsumexp_cuda_kernelERKNSB_10TensorBaseESF_lENKUlvE_clEvENKUlvE_clEvEUlddE_dEEDaPvRmT3_T4_T5_mT6_P12ihipStream_tbENKUlT_T0_E_clISt17integral_constantIbLb0EESW_EEDaSR_SS_EUlSR_E0_NS1_11comp_targetILNS1_3genE10ELNS1_11target_archE1200ELNS1_3gpuE4ELNS1_3repE0EEENS1_30default_config_static_selectorELNS0_4arch9wavefront6targetE0EEEvT1_,"axG",@progbits,_ZN7rocprim17ROCPRIM_400000_NS6detail17trampoline_kernelINS0_14default_configENS1_20scan_config_selectorIdEEZZNS1_9scan_implILNS1_25lookback_scan_determinismE0ELb0ELb0ES3_PKdPddZZZN2at6native31launch_logcumsumexp_cuda_kernelERKNSB_10TensorBaseESF_lENKUlvE_clEvENKUlvE_clEvEUlddE_dEEDaPvRmT3_T4_T5_mT6_P12ihipStream_tbENKUlT_T0_E_clISt17integral_constantIbLb0EESW_EEDaSR_SS_EUlSR_E0_NS1_11comp_targetILNS1_3genE10ELNS1_11target_archE1200ELNS1_3gpuE4ELNS1_3repE0EEENS1_30default_config_static_selectorELNS0_4arch9wavefront6targetE0EEEvT1_,comdat
.Lfunc_end24:
	.size	_ZN7rocprim17ROCPRIM_400000_NS6detail17trampoline_kernelINS0_14default_configENS1_20scan_config_selectorIdEEZZNS1_9scan_implILNS1_25lookback_scan_determinismE0ELb0ELb0ES3_PKdPddZZZN2at6native31launch_logcumsumexp_cuda_kernelERKNSB_10TensorBaseESF_lENKUlvE_clEvENKUlvE_clEvEUlddE_dEEDaPvRmT3_T4_T5_mT6_P12ihipStream_tbENKUlT_T0_E_clISt17integral_constantIbLb0EESW_EEDaSR_SS_EUlSR_E0_NS1_11comp_targetILNS1_3genE10ELNS1_11target_archE1200ELNS1_3gpuE4ELNS1_3repE0EEENS1_30default_config_static_selectorELNS0_4arch9wavefront6targetE0EEEvT1_, .Lfunc_end24-_ZN7rocprim17ROCPRIM_400000_NS6detail17trampoline_kernelINS0_14default_configENS1_20scan_config_selectorIdEEZZNS1_9scan_implILNS1_25lookback_scan_determinismE0ELb0ELb0ES3_PKdPddZZZN2at6native31launch_logcumsumexp_cuda_kernelERKNSB_10TensorBaseESF_lENKUlvE_clEvENKUlvE_clEvEUlddE_dEEDaPvRmT3_T4_T5_mT6_P12ihipStream_tbENKUlT_T0_E_clISt17integral_constantIbLb0EESW_EEDaSR_SS_EUlSR_E0_NS1_11comp_targetILNS1_3genE10ELNS1_11target_archE1200ELNS1_3gpuE4ELNS1_3repE0EEENS1_30default_config_static_selectorELNS0_4arch9wavefront6targetE0EEEvT1_
                                        ; -- End function
	.set _ZN7rocprim17ROCPRIM_400000_NS6detail17trampoline_kernelINS0_14default_configENS1_20scan_config_selectorIdEEZZNS1_9scan_implILNS1_25lookback_scan_determinismE0ELb0ELb0ES3_PKdPddZZZN2at6native31launch_logcumsumexp_cuda_kernelERKNSB_10TensorBaseESF_lENKUlvE_clEvENKUlvE_clEvEUlddE_dEEDaPvRmT3_T4_T5_mT6_P12ihipStream_tbENKUlT_T0_E_clISt17integral_constantIbLb0EESW_EEDaSR_SS_EUlSR_E0_NS1_11comp_targetILNS1_3genE10ELNS1_11target_archE1200ELNS1_3gpuE4ELNS1_3repE0EEENS1_30default_config_static_selectorELNS0_4arch9wavefront6targetE0EEEvT1_.num_vgpr, 0
	.set _ZN7rocprim17ROCPRIM_400000_NS6detail17trampoline_kernelINS0_14default_configENS1_20scan_config_selectorIdEEZZNS1_9scan_implILNS1_25lookback_scan_determinismE0ELb0ELb0ES3_PKdPddZZZN2at6native31launch_logcumsumexp_cuda_kernelERKNSB_10TensorBaseESF_lENKUlvE_clEvENKUlvE_clEvEUlddE_dEEDaPvRmT3_T4_T5_mT6_P12ihipStream_tbENKUlT_T0_E_clISt17integral_constantIbLb0EESW_EEDaSR_SS_EUlSR_E0_NS1_11comp_targetILNS1_3genE10ELNS1_11target_archE1200ELNS1_3gpuE4ELNS1_3repE0EEENS1_30default_config_static_selectorELNS0_4arch9wavefront6targetE0EEEvT1_.num_agpr, 0
	.set _ZN7rocprim17ROCPRIM_400000_NS6detail17trampoline_kernelINS0_14default_configENS1_20scan_config_selectorIdEEZZNS1_9scan_implILNS1_25lookback_scan_determinismE0ELb0ELb0ES3_PKdPddZZZN2at6native31launch_logcumsumexp_cuda_kernelERKNSB_10TensorBaseESF_lENKUlvE_clEvENKUlvE_clEvEUlddE_dEEDaPvRmT3_T4_T5_mT6_P12ihipStream_tbENKUlT_T0_E_clISt17integral_constantIbLb0EESW_EEDaSR_SS_EUlSR_E0_NS1_11comp_targetILNS1_3genE10ELNS1_11target_archE1200ELNS1_3gpuE4ELNS1_3repE0EEENS1_30default_config_static_selectorELNS0_4arch9wavefront6targetE0EEEvT1_.numbered_sgpr, 0
	.set _ZN7rocprim17ROCPRIM_400000_NS6detail17trampoline_kernelINS0_14default_configENS1_20scan_config_selectorIdEEZZNS1_9scan_implILNS1_25lookback_scan_determinismE0ELb0ELb0ES3_PKdPddZZZN2at6native31launch_logcumsumexp_cuda_kernelERKNSB_10TensorBaseESF_lENKUlvE_clEvENKUlvE_clEvEUlddE_dEEDaPvRmT3_T4_T5_mT6_P12ihipStream_tbENKUlT_T0_E_clISt17integral_constantIbLb0EESW_EEDaSR_SS_EUlSR_E0_NS1_11comp_targetILNS1_3genE10ELNS1_11target_archE1200ELNS1_3gpuE4ELNS1_3repE0EEENS1_30default_config_static_selectorELNS0_4arch9wavefront6targetE0EEEvT1_.num_named_barrier, 0
	.set _ZN7rocprim17ROCPRIM_400000_NS6detail17trampoline_kernelINS0_14default_configENS1_20scan_config_selectorIdEEZZNS1_9scan_implILNS1_25lookback_scan_determinismE0ELb0ELb0ES3_PKdPddZZZN2at6native31launch_logcumsumexp_cuda_kernelERKNSB_10TensorBaseESF_lENKUlvE_clEvENKUlvE_clEvEUlddE_dEEDaPvRmT3_T4_T5_mT6_P12ihipStream_tbENKUlT_T0_E_clISt17integral_constantIbLb0EESW_EEDaSR_SS_EUlSR_E0_NS1_11comp_targetILNS1_3genE10ELNS1_11target_archE1200ELNS1_3gpuE4ELNS1_3repE0EEENS1_30default_config_static_selectorELNS0_4arch9wavefront6targetE0EEEvT1_.private_seg_size, 0
	.set _ZN7rocprim17ROCPRIM_400000_NS6detail17trampoline_kernelINS0_14default_configENS1_20scan_config_selectorIdEEZZNS1_9scan_implILNS1_25lookback_scan_determinismE0ELb0ELb0ES3_PKdPddZZZN2at6native31launch_logcumsumexp_cuda_kernelERKNSB_10TensorBaseESF_lENKUlvE_clEvENKUlvE_clEvEUlddE_dEEDaPvRmT3_T4_T5_mT6_P12ihipStream_tbENKUlT_T0_E_clISt17integral_constantIbLb0EESW_EEDaSR_SS_EUlSR_E0_NS1_11comp_targetILNS1_3genE10ELNS1_11target_archE1200ELNS1_3gpuE4ELNS1_3repE0EEENS1_30default_config_static_selectorELNS0_4arch9wavefront6targetE0EEEvT1_.uses_vcc, 0
	.set _ZN7rocprim17ROCPRIM_400000_NS6detail17trampoline_kernelINS0_14default_configENS1_20scan_config_selectorIdEEZZNS1_9scan_implILNS1_25lookback_scan_determinismE0ELb0ELb0ES3_PKdPddZZZN2at6native31launch_logcumsumexp_cuda_kernelERKNSB_10TensorBaseESF_lENKUlvE_clEvENKUlvE_clEvEUlddE_dEEDaPvRmT3_T4_T5_mT6_P12ihipStream_tbENKUlT_T0_E_clISt17integral_constantIbLb0EESW_EEDaSR_SS_EUlSR_E0_NS1_11comp_targetILNS1_3genE10ELNS1_11target_archE1200ELNS1_3gpuE4ELNS1_3repE0EEENS1_30default_config_static_selectorELNS0_4arch9wavefront6targetE0EEEvT1_.uses_flat_scratch, 0
	.set _ZN7rocprim17ROCPRIM_400000_NS6detail17trampoline_kernelINS0_14default_configENS1_20scan_config_selectorIdEEZZNS1_9scan_implILNS1_25lookback_scan_determinismE0ELb0ELb0ES3_PKdPddZZZN2at6native31launch_logcumsumexp_cuda_kernelERKNSB_10TensorBaseESF_lENKUlvE_clEvENKUlvE_clEvEUlddE_dEEDaPvRmT3_T4_T5_mT6_P12ihipStream_tbENKUlT_T0_E_clISt17integral_constantIbLb0EESW_EEDaSR_SS_EUlSR_E0_NS1_11comp_targetILNS1_3genE10ELNS1_11target_archE1200ELNS1_3gpuE4ELNS1_3repE0EEENS1_30default_config_static_selectorELNS0_4arch9wavefront6targetE0EEEvT1_.has_dyn_sized_stack, 0
	.set _ZN7rocprim17ROCPRIM_400000_NS6detail17trampoline_kernelINS0_14default_configENS1_20scan_config_selectorIdEEZZNS1_9scan_implILNS1_25lookback_scan_determinismE0ELb0ELb0ES3_PKdPddZZZN2at6native31launch_logcumsumexp_cuda_kernelERKNSB_10TensorBaseESF_lENKUlvE_clEvENKUlvE_clEvEUlddE_dEEDaPvRmT3_T4_T5_mT6_P12ihipStream_tbENKUlT_T0_E_clISt17integral_constantIbLb0EESW_EEDaSR_SS_EUlSR_E0_NS1_11comp_targetILNS1_3genE10ELNS1_11target_archE1200ELNS1_3gpuE4ELNS1_3repE0EEENS1_30default_config_static_selectorELNS0_4arch9wavefront6targetE0EEEvT1_.has_recursion, 0
	.set _ZN7rocprim17ROCPRIM_400000_NS6detail17trampoline_kernelINS0_14default_configENS1_20scan_config_selectorIdEEZZNS1_9scan_implILNS1_25lookback_scan_determinismE0ELb0ELb0ES3_PKdPddZZZN2at6native31launch_logcumsumexp_cuda_kernelERKNSB_10TensorBaseESF_lENKUlvE_clEvENKUlvE_clEvEUlddE_dEEDaPvRmT3_T4_T5_mT6_P12ihipStream_tbENKUlT_T0_E_clISt17integral_constantIbLb0EESW_EEDaSR_SS_EUlSR_E0_NS1_11comp_targetILNS1_3genE10ELNS1_11target_archE1200ELNS1_3gpuE4ELNS1_3repE0EEENS1_30default_config_static_selectorELNS0_4arch9wavefront6targetE0EEEvT1_.has_indirect_call, 0
	.section	.AMDGPU.csdata,"",@progbits
; Kernel info:
; codeLenInByte = 0
; TotalNumSgprs: 0
; NumVgprs: 0
; ScratchSize: 0
; MemoryBound: 0
; FloatMode: 240
; IeeeMode: 1
; LDSByteSize: 0 bytes/workgroup (compile time only)
; SGPRBlocks: 0
; VGPRBlocks: 0
; NumSGPRsForWavesPerEU: 1
; NumVGPRsForWavesPerEU: 1
; Occupancy: 16
; WaveLimiterHint : 0
; COMPUTE_PGM_RSRC2:SCRATCH_EN: 0
; COMPUTE_PGM_RSRC2:USER_SGPR: 6
; COMPUTE_PGM_RSRC2:TRAP_HANDLER: 0
; COMPUTE_PGM_RSRC2:TGID_X_EN: 1
; COMPUTE_PGM_RSRC2:TGID_Y_EN: 0
; COMPUTE_PGM_RSRC2:TGID_Z_EN: 0
; COMPUTE_PGM_RSRC2:TIDIG_COMP_CNT: 0
	.section	.text._ZN7rocprim17ROCPRIM_400000_NS6detail17trampoline_kernelINS0_14default_configENS1_20scan_config_selectorIdEEZZNS1_9scan_implILNS1_25lookback_scan_determinismE0ELb0ELb0ES3_PKdPddZZZN2at6native31launch_logcumsumexp_cuda_kernelERKNSB_10TensorBaseESF_lENKUlvE_clEvENKUlvE_clEvEUlddE_dEEDaPvRmT3_T4_T5_mT6_P12ihipStream_tbENKUlT_T0_E_clISt17integral_constantIbLb0EESW_EEDaSR_SS_EUlSR_E0_NS1_11comp_targetILNS1_3genE9ELNS1_11target_archE1100ELNS1_3gpuE3ELNS1_3repE0EEENS1_30default_config_static_selectorELNS0_4arch9wavefront6targetE0EEEvT1_,"axG",@progbits,_ZN7rocprim17ROCPRIM_400000_NS6detail17trampoline_kernelINS0_14default_configENS1_20scan_config_selectorIdEEZZNS1_9scan_implILNS1_25lookback_scan_determinismE0ELb0ELb0ES3_PKdPddZZZN2at6native31launch_logcumsumexp_cuda_kernelERKNSB_10TensorBaseESF_lENKUlvE_clEvENKUlvE_clEvEUlddE_dEEDaPvRmT3_T4_T5_mT6_P12ihipStream_tbENKUlT_T0_E_clISt17integral_constantIbLb0EESW_EEDaSR_SS_EUlSR_E0_NS1_11comp_targetILNS1_3genE9ELNS1_11target_archE1100ELNS1_3gpuE3ELNS1_3repE0EEENS1_30default_config_static_selectorELNS0_4arch9wavefront6targetE0EEEvT1_,comdat
	.globl	_ZN7rocprim17ROCPRIM_400000_NS6detail17trampoline_kernelINS0_14default_configENS1_20scan_config_selectorIdEEZZNS1_9scan_implILNS1_25lookback_scan_determinismE0ELb0ELb0ES3_PKdPddZZZN2at6native31launch_logcumsumexp_cuda_kernelERKNSB_10TensorBaseESF_lENKUlvE_clEvENKUlvE_clEvEUlddE_dEEDaPvRmT3_T4_T5_mT6_P12ihipStream_tbENKUlT_T0_E_clISt17integral_constantIbLb0EESW_EEDaSR_SS_EUlSR_E0_NS1_11comp_targetILNS1_3genE9ELNS1_11target_archE1100ELNS1_3gpuE3ELNS1_3repE0EEENS1_30default_config_static_selectorELNS0_4arch9wavefront6targetE0EEEvT1_ ; -- Begin function _ZN7rocprim17ROCPRIM_400000_NS6detail17trampoline_kernelINS0_14default_configENS1_20scan_config_selectorIdEEZZNS1_9scan_implILNS1_25lookback_scan_determinismE0ELb0ELb0ES3_PKdPddZZZN2at6native31launch_logcumsumexp_cuda_kernelERKNSB_10TensorBaseESF_lENKUlvE_clEvENKUlvE_clEvEUlddE_dEEDaPvRmT3_T4_T5_mT6_P12ihipStream_tbENKUlT_T0_E_clISt17integral_constantIbLb0EESW_EEDaSR_SS_EUlSR_E0_NS1_11comp_targetILNS1_3genE9ELNS1_11target_archE1100ELNS1_3gpuE3ELNS1_3repE0EEENS1_30default_config_static_selectorELNS0_4arch9wavefront6targetE0EEEvT1_
	.p2align	8
	.type	_ZN7rocprim17ROCPRIM_400000_NS6detail17trampoline_kernelINS0_14default_configENS1_20scan_config_selectorIdEEZZNS1_9scan_implILNS1_25lookback_scan_determinismE0ELb0ELb0ES3_PKdPddZZZN2at6native31launch_logcumsumexp_cuda_kernelERKNSB_10TensorBaseESF_lENKUlvE_clEvENKUlvE_clEvEUlddE_dEEDaPvRmT3_T4_T5_mT6_P12ihipStream_tbENKUlT_T0_E_clISt17integral_constantIbLb0EESW_EEDaSR_SS_EUlSR_E0_NS1_11comp_targetILNS1_3genE9ELNS1_11target_archE1100ELNS1_3gpuE3ELNS1_3repE0EEENS1_30default_config_static_selectorELNS0_4arch9wavefront6targetE0EEEvT1_,@function
_ZN7rocprim17ROCPRIM_400000_NS6detail17trampoline_kernelINS0_14default_configENS1_20scan_config_selectorIdEEZZNS1_9scan_implILNS1_25lookback_scan_determinismE0ELb0ELb0ES3_PKdPddZZZN2at6native31launch_logcumsumexp_cuda_kernelERKNSB_10TensorBaseESF_lENKUlvE_clEvENKUlvE_clEvEUlddE_dEEDaPvRmT3_T4_T5_mT6_P12ihipStream_tbENKUlT_T0_E_clISt17integral_constantIbLb0EESW_EEDaSR_SS_EUlSR_E0_NS1_11comp_targetILNS1_3genE9ELNS1_11target_archE1100ELNS1_3gpuE3ELNS1_3repE0EEENS1_30default_config_static_selectorELNS0_4arch9wavefront6targetE0EEEvT1_: ; @_ZN7rocprim17ROCPRIM_400000_NS6detail17trampoline_kernelINS0_14default_configENS1_20scan_config_selectorIdEEZZNS1_9scan_implILNS1_25lookback_scan_determinismE0ELb0ELb0ES3_PKdPddZZZN2at6native31launch_logcumsumexp_cuda_kernelERKNSB_10TensorBaseESF_lENKUlvE_clEvENKUlvE_clEvEUlddE_dEEDaPvRmT3_T4_T5_mT6_P12ihipStream_tbENKUlT_T0_E_clISt17integral_constantIbLb0EESW_EEDaSR_SS_EUlSR_E0_NS1_11comp_targetILNS1_3genE9ELNS1_11target_archE1100ELNS1_3gpuE3ELNS1_3repE0EEENS1_30default_config_static_selectorELNS0_4arch9wavefront6targetE0EEEvT1_
; %bb.0:
	.section	.rodata,"a",@progbits
	.p2align	6, 0x0
	.amdhsa_kernel _ZN7rocprim17ROCPRIM_400000_NS6detail17trampoline_kernelINS0_14default_configENS1_20scan_config_selectorIdEEZZNS1_9scan_implILNS1_25lookback_scan_determinismE0ELb0ELb0ES3_PKdPddZZZN2at6native31launch_logcumsumexp_cuda_kernelERKNSB_10TensorBaseESF_lENKUlvE_clEvENKUlvE_clEvEUlddE_dEEDaPvRmT3_T4_T5_mT6_P12ihipStream_tbENKUlT_T0_E_clISt17integral_constantIbLb0EESW_EEDaSR_SS_EUlSR_E0_NS1_11comp_targetILNS1_3genE9ELNS1_11target_archE1100ELNS1_3gpuE3ELNS1_3repE0EEENS1_30default_config_static_selectorELNS0_4arch9wavefront6targetE0EEEvT1_
		.amdhsa_group_segment_fixed_size 0
		.amdhsa_private_segment_fixed_size 0
		.amdhsa_kernarg_size 40
		.amdhsa_user_sgpr_count 6
		.amdhsa_user_sgpr_private_segment_buffer 1
		.amdhsa_user_sgpr_dispatch_ptr 0
		.amdhsa_user_sgpr_queue_ptr 0
		.amdhsa_user_sgpr_kernarg_segment_ptr 1
		.amdhsa_user_sgpr_dispatch_id 0
		.amdhsa_user_sgpr_flat_scratch_init 0
		.amdhsa_user_sgpr_private_segment_size 0
		.amdhsa_wavefront_size32 1
		.amdhsa_uses_dynamic_stack 0
		.amdhsa_system_sgpr_private_segment_wavefront_offset 0
		.amdhsa_system_sgpr_workgroup_id_x 1
		.amdhsa_system_sgpr_workgroup_id_y 0
		.amdhsa_system_sgpr_workgroup_id_z 0
		.amdhsa_system_sgpr_workgroup_info 0
		.amdhsa_system_vgpr_workitem_id 0
		.amdhsa_next_free_vgpr 1
		.amdhsa_next_free_sgpr 1
		.amdhsa_reserve_vcc 0
		.amdhsa_reserve_flat_scratch 0
		.amdhsa_float_round_mode_32 0
		.amdhsa_float_round_mode_16_64 0
		.amdhsa_float_denorm_mode_32 3
		.amdhsa_float_denorm_mode_16_64 3
		.amdhsa_dx10_clamp 1
		.amdhsa_ieee_mode 1
		.amdhsa_fp16_overflow 0
		.amdhsa_workgroup_processor_mode 1
		.amdhsa_memory_ordered 1
		.amdhsa_forward_progress 1
		.amdhsa_shared_vgpr_count 0
		.amdhsa_exception_fp_ieee_invalid_op 0
		.amdhsa_exception_fp_denorm_src 0
		.amdhsa_exception_fp_ieee_div_zero 0
		.amdhsa_exception_fp_ieee_overflow 0
		.amdhsa_exception_fp_ieee_underflow 0
		.amdhsa_exception_fp_ieee_inexact 0
		.amdhsa_exception_int_div_zero 0
	.end_amdhsa_kernel
	.section	.text._ZN7rocprim17ROCPRIM_400000_NS6detail17trampoline_kernelINS0_14default_configENS1_20scan_config_selectorIdEEZZNS1_9scan_implILNS1_25lookback_scan_determinismE0ELb0ELb0ES3_PKdPddZZZN2at6native31launch_logcumsumexp_cuda_kernelERKNSB_10TensorBaseESF_lENKUlvE_clEvENKUlvE_clEvEUlddE_dEEDaPvRmT3_T4_T5_mT6_P12ihipStream_tbENKUlT_T0_E_clISt17integral_constantIbLb0EESW_EEDaSR_SS_EUlSR_E0_NS1_11comp_targetILNS1_3genE9ELNS1_11target_archE1100ELNS1_3gpuE3ELNS1_3repE0EEENS1_30default_config_static_selectorELNS0_4arch9wavefront6targetE0EEEvT1_,"axG",@progbits,_ZN7rocprim17ROCPRIM_400000_NS6detail17trampoline_kernelINS0_14default_configENS1_20scan_config_selectorIdEEZZNS1_9scan_implILNS1_25lookback_scan_determinismE0ELb0ELb0ES3_PKdPddZZZN2at6native31launch_logcumsumexp_cuda_kernelERKNSB_10TensorBaseESF_lENKUlvE_clEvENKUlvE_clEvEUlddE_dEEDaPvRmT3_T4_T5_mT6_P12ihipStream_tbENKUlT_T0_E_clISt17integral_constantIbLb0EESW_EEDaSR_SS_EUlSR_E0_NS1_11comp_targetILNS1_3genE9ELNS1_11target_archE1100ELNS1_3gpuE3ELNS1_3repE0EEENS1_30default_config_static_selectorELNS0_4arch9wavefront6targetE0EEEvT1_,comdat
.Lfunc_end25:
	.size	_ZN7rocprim17ROCPRIM_400000_NS6detail17trampoline_kernelINS0_14default_configENS1_20scan_config_selectorIdEEZZNS1_9scan_implILNS1_25lookback_scan_determinismE0ELb0ELb0ES3_PKdPddZZZN2at6native31launch_logcumsumexp_cuda_kernelERKNSB_10TensorBaseESF_lENKUlvE_clEvENKUlvE_clEvEUlddE_dEEDaPvRmT3_T4_T5_mT6_P12ihipStream_tbENKUlT_T0_E_clISt17integral_constantIbLb0EESW_EEDaSR_SS_EUlSR_E0_NS1_11comp_targetILNS1_3genE9ELNS1_11target_archE1100ELNS1_3gpuE3ELNS1_3repE0EEENS1_30default_config_static_selectorELNS0_4arch9wavefront6targetE0EEEvT1_, .Lfunc_end25-_ZN7rocprim17ROCPRIM_400000_NS6detail17trampoline_kernelINS0_14default_configENS1_20scan_config_selectorIdEEZZNS1_9scan_implILNS1_25lookback_scan_determinismE0ELb0ELb0ES3_PKdPddZZZN2at6native31launch_logcumsumexp_cuda_kernelERKNSB_10TensorBaseESF_lENKUlvE_clEvENKUlvE_clEvEUlddE_dEEDaPvRmT3_T4_T5_mT6_P12ihipStream_tbENKUlT_T0_E_clISt17integral_constantIbLb0EESW_EEDaSR_SS_EUlSR_E0_NS1_11comp_targetILNS1_3genE9ELNS1_11target_archE1100ELNS1_3gpuE3ELNS1_3repE0EEENS1_30default_config_static_selectorELNS0_4arch9wavefront6targetE0EEEvT1_
                                        ; -- End function
	.set _ZN7rocprim17ROCPRIM_400000_NS6detail17trampoline_kernelINS0_14default_configENS1_20scan_config_selectorIdEEZZNS1_9scan_implILNS1_25lookback_scan_determinismE0ELb0ELb0ES3_PKdPddZZZN2at6native31launch_logcumsumexp_cuda_kernelERKNSB_10TensorBaseESF_lENKUlvE_clEvENKUlvE_clEvEUlddE_dEEDaPvRmT3_T4_T5_mT6_P12ihipStream_tbENKUlT_T0_E_clISt17integral_constantIbLb0EESW_EEDaSR_SS_EUlSR_E0_NS1_11comp_targetILNS1_3genE9ELNS1_11target_archE1100ELNS1_3gpuE3ELNS1_3repE0EEENS1_30default_config_static_selectorELNS0_4arch9wavefront6targetE0EEEvT1_.num_vgpr, 0
	.set _ZN7rocprim17ROCPRIM_400000_NS6detail17trampoline_kernelINS0_14default_configENS1_20scan_config_selectorIdEEZZNS1_9scan_implILNS1_25lookback_scan_determinismE0ELb0ELb0ES3_PKdPddZZZN2at6native31launch_logcumsumexp_cuda_kernelERKNSB_10TensorBaseESF_lENKUlvE_clEvENKUlvE_clEvEUlddE_dEEDaPvRmT3_T4_T5_mT6_P12ihipStream_tbENKUlT_T0_E_clISt17integral_constantIbLb0EESW_EEDaSR_SS_EUlSR_E0_NS1_11comp_targetILNS1_3genE9ELNS1_11target_archE1100ELNS1_3gpuE3ELNS1_3repE0EEENS1_30default_config_static_selectorELNS0_4arch9wavefront6targetE0EEEvT1_.num_agpr, 0
	.set _ZN7rocprim17ROCPRIM_400000_NS6detail17trampoline_kernelINS0_14default_configENS1_20scan_config_selectorIdEEZZNS1_9scan_implILNS1_25lookback_scan_determinismE0ELb0ELb0ES3_PKdPddZZZN2at6native31launch_logcumsumexp_cuda_kernelERKNSB_10TensorBaseESF_lENKUlvE_clEvENKUlvE_clEvEUlddE_dEEDaPvRmT3_T4_T5_mT6_P12ihipStream_tbENKUlT_T0_E_clISt17integral_constantIbLb0EESW_EEDaSR_SS_EUlSR_E0_NS1_11comp_targetILNS1_3genE9ELNS1_11target_archE1100ELNS1_3gpuE3ELNS1_3repE0EEENS1_30default_config_static_selectorELNS0_4arch9wavefront6targetE0EEEvT1_.numbered_sgpr, 0
	.set _ZN7rocprim17ROCPRIM_400000_NS6detail17trampoline_kernelINS0_14default_configENS1_20scan_config_selectorIdEEZZNS1_9scan_implILNS1_25lookback_scan_determinismE0ELb0ELb0ES3_PKdPddZZZN2at6native31launch_logcumsumexp_cuda_kernelERKNSB_10TensorBaseESF_lENKUlvE_clEvENKUlvE_clEvEUlddE_dEEDaPvRmT3_T4_T5_mT6_P12ihipStream_tbENKUlT_T0_E_clISt17integral_constantIbLb0EESW_EEDaSR_SS_EUlSR_E0_NS1_11comp_targetILNS1_3genE9ELNS1_11target_archE1100ELNS1_3gpuE3ELNS1_3repE0EEENS1_30default_config_static_selectorELNS0_4arch9wavefront6targetE0EEEvT1_.num_named_barrier, 0
	.set _ZN7rocprim17ROCPRIM_400000_NS6detail17trampoline_kernelINS0_14default_configENS1_20scan_config_selectorIdEEZZNS1_9scan_implILNS1_25lookback_scan_determinismE0ELb0ELb0ES3_PKdPddZZZN2at6native31launch_logcumsumexp_cuda_kernelERKNSB_10TensorBaseESF_lENKUlvE_clEvENKUlvE_clEvEUlddE_dEEDaPvRmT3_T4_T5_mT6_P12ihipStream_tbENKUlT_T0_E_clISt17integral_constantIbLb0EESW_EEDaSR_SS_EUlSR_E0_NS1_11comp_targetILNS1_3genE9ELNS1_11target_archE1100ELNS1_3gpuE3ELNS1_3repE0EEENS1_30default_config_static_selectorELNS0_4arch9wavefront6targetE0EEEvT1_.private_seg_size, 0
	.set _ZN7rocprim17ROCPRIM_400000_NS6detail17trampoline_kernelINS0_14default_configENS1_20scan_config_selectorIdEEZZNS1_9scan_implILNS1_25lookback_scan_determinismE0ELb0ELb0ES3_PKdPddZZZN2at6native31launch_logcumsumexp_cuda_kernelERKNSB_10TensorBaseESF_lENKUlvE_clEvENKUlvE_clEvEUlddE_dEEDaPvRmT3_T4_T5_mT6_P12ihipStream_tbENKUlT_T0_E_clISt17integral_constantIbLb0EESW_EEDaSR_SS_EUlSR_E0_NS1_11comp_targetILNS1_3genE9ELNS1_11target_archE1100ELNS1_3gpuE3ELNS1_3repE0EEENS1_30default_config_static_selectorELNS0_4arch9wavefront6targetE0EEEvT1_.uses_vcc, 0
	.set _ZN7rocprim17ROCPRIM_400000_NS6detail17trampoline_kernelINS0_14default_configENS1_20scan_config_selectorIdEEZZNS1_9scan_implILNS1_25lookback_scan_determinismE0ELb0ELb0ES3_PKdPddZZZN2at6native31launch_logcumsumexp_cuda_kernelERKNSB_10TensorBaseESF_lENKUlvE_clEvENKUlvE_clEvEUlddE_dEEDaPvRmT3_T4_T5_mT6_P12ihipStream_tbENKUlT_T0_E_clISt17integral_constantIbLb0EESW_EEDaSR_SS_EUlSR_E0_NS1_11comp_targetILNS1_3genE9ELNS1_11target_archE1100ELNS1_3gpuE3ELNS1_3repE0EEENS1_30default_config_static_selectorELNS0_4arch9wavefront6targetE0EEEvT1_.uses_flat_scratch, 0
	.set _ZN7rocprim17ROCPRIM_400000_NS6detail17trampoline_kernelINS0_14default_configENS1_20scan_config_selectorIdEEZZNS1_9scan_implILNS1_25lookback_scan_determinismE0ELb0ELb0ES3_PKdPddZZZN2at6native31launch_logcumsumexp_cuda_kernelERKNSB_10TensorBaseESF_lENKUlvE_clEvENKUlvE_clEvEUlddE_dEEDaPvRmT3_T4_T5_mT6_P12ihipStream_tbENKUlT_T0_E_clISt17integral_constantIbLb0EESW_EEDaSR_SS_EUlSR_E0_NS1_11comp_targetILNS1_3genE9ELNS1_11target_archE1100ELNS1_3gpuE3ELNS1_3repE0EEENS1_30default_config_static_selectorELNS0_4arch9wavefront6targetE0EEEvT1_.has_dyn_sized_stack, 0
	.set _ZN7rocprim17ROCPRIM_400000_NS6detail17trampoline_kernelINS0_14default_configENS1_20scan_config_selectorIdEEZZNS1_9scan_implILNS1_25lookback_scan_determinismE0ELb0ELb0ES3_PKdPddZZZN2at6native31launch_logcumsumexp_cuda_kernelERKNSB_10TensorBaseESF_lENKUlvE_clEvENKUlvE_clEvEUlddE_dEEDaPvRmT3_T4_T5_mT6_P12ihipStream_tbENKUlT_T0_E_clISt17integral_constantIbLb0EESW_EEDaSR_SS_EUlSR_E0_NS1_11comp_targetILNS1_3genE9ELNS1_11target_archE1100ELNS1_3gpuE3ELNS1_3repE0EEENS1_30default_config_static_selectorELNS0_4arch9wavefront6targetE0EEEvT1_.has_recursion, 0
	.set _ZN7rocprim17ROCPRIM_400000_NS6detail17trampoline_kernelINS0_14default_configENS1_20scan_config_selectorIdEEZZNS1_9scan_implILNS1_25lookback_scan_determinismE0ELb0ELb0ES3_PKdPddZZZN2at6native31launch_logcumsumexp_cuda_kernelERKNSB_10TensorBaseESF_lENKUlvE_clEvENKUlvE_clEvEUlddE_dEEDaPvRmT3_T4_T5_mT6_P12ihipStream_tbENKUlT_T0_E_clISt17integral_constantIbLb0EESW_EEDaSR_SS_EUlSR_E0_NS1_11comp_targetILNS1_3genE9ELNS1_11target_archE1100ELNS1_3gpuE3ELNS1_3repE0EEENS1_30default_config_static_selectorELNS0_4arch9wavefront6targetE0EEEvT1_.has_indirect_call, 0
	.section	.AMDGPU.csdata,"",@progbits
; Kernel info:
; codeLenInByte = 0
; TotalNumSgprs: 0
; NumVgprs: 0
; ScratchSize: 0
; MemoryBound: 0
; FloatMode: 240
; IeeeMode: 1
; LDSByteSize: 0 bytes/workgroup (compile time only)
; SGPRBlocks: 0
; VGPRBlocks: 0
; NumSGPRsForWavesPerEU: 1
; NumVGPRsForWavesPerEU: 1
; Occupancy: 16
; WaveLimiterHint : 0
; COMPUTE_PGM_RSRC2:SCRATCH_EN: 0
; COMPUTE_PGM_RSRC2:USER_SGPR: 6
; COMPUTE_PGM_RSRC2:TRAP_HANDLER: 0
; COMPUTE_PGM_RSRC2:TGID_X_EN: 1
; COMPUTE_PGM_RSRC2:TGID_Y_EN: 0
; COMPUTE_PGM_RSRC2:TGID_Z_EN: 0
; COMPUTE_PGM_RSRC2:TIDIG_COMP_CNT: 0
	.section	.text._ZN7rocprim17ROCPRIM_400000_NS6detail17trampoline_kernelINS0_14default_configENS1_20scan_config_selectorIdEEZZNS1_9scan_implILNS1_25lookback_scan_determinismE0ELb0ELb0ES3_PKdPddZZZN2at6native31launch_logcumsumexp_cuda_kernelERKNSB_10TensorBaseESF_lENKUlvE_clEvENKUlvE_clEvEUlddE_dEEDaPvRmT3_T4_T5_mT6_P12ihipStream_tbENKUlT_T0_E_clISt17integral_constantIbLb0EESW_EEDaSR_SS_EUlSR_E0_NS1_11comp_targetILNS1_3genE8ELNS1_11target_archE1030ELNS1_3gpuE2ELNS1_3repE0EEENS1_30default_config_static_selectorELNS0_4arch9wavefront6targetE0EEEvT1_,"axG",@progbits,_ZN7rocprim17ROCPRIM_400000_NS6detail17trampoline_kernelINS0_14default_configENS1_20scan_config_selectorIdEEZZNS1_9scan_implILNS1_25lookback_scan_determinismE0ELb0ELb0ES3_PKdPddZZZN2at6native31launch_logcumsumexp_cuda_kernelERKNSB_10TensorBaseESF_lENKUlvE_clEvENKUlvE_clEvEUlddE_dEEDaPvRmT3_T4_T5_mT6_P12ihipStream_tbENKUlT_T0_E_clISt17integral_constantIbLb0EESW_EEDaSR_SS_EUlSR_E0_NS1_11comp_targetILNS1_3genE8ELNS1_11target_archE1030ELNS1_3gpuE2ELNS1_3repE0EEENS1_30default_config_static_selectorELNS0_4arch9wavefront6targetE0EEEvT1_,comdat
	.globl	_ZN7rocprim17ROCPRIM_400000_NS6detail17trampoline_kernelINS0_14default_configENS1_20scan_config_selectorIdEEZZNS1_9scan_implILNS1_25lookback_scan_determinismE0ELb0ELb0ES3_PKdPddZZZN2at6native31launch_logcumsumexp_cuda_kernelERKNSB_10TensorBaseESF_lENKUlvE_clEvENKUlvE_clEvEUlddE_dEEDaPvRmT3_T4_T5_mT6_P12ihipStream_tbENKUlT_T0_E_clISt17integral_constantIbLb0EESW_EEDaSR_SS_EUlSR_E0_NS1_11comp_targetILNS1_3genE8ELNS1_11target_archE1030ELNS1_3gpuE2ELNS1_3repE0EEENS1_30default_config_static_selectorELNS0_4arch9wavefront6targetE0EEEvT1_ ; -- Begin function _ZN7rocprim17ROCPRIM_400000_NS6detail17trampoline_kernelINS0_14default_configENS1_20scan_config_selectorIdEEZZNS1_9scan_implILNS1_25lookback_scan_determinismE0ELb0ELb0ES3_PKdPddZZZN2at6native31launch_logcumsumexp_cuda_kernelERKNSB_10TensorBaseESF_lENKUlvE_clEvENKUlvE_clEvEUlddE_dEEDaPvRmT3_T4_T5_mT6_P12ihipStream_tbENKUlT_T0_E_clISt17integral_constantIbLb0EESW_EEDaSR_SS_EUlSR_E0_NS1_11comp_targetILNS1_3genE8ELNS1_11target_archE1030ELNS1_3gpuE2ELNS1_3repE0EEENS1_30default_config_static_selectorELNS0_4arch9wavefront6targetE0EEEvT1_
	.p2align	8
	.type	_ZN7rocprim17ROCPRIM_400000_NS6detail17trampoline_kernelINS0_14default_configENS1_20scan_config_selectorIdEEZZNS1_9scan_implILNS1_25lookback_scan_determinismE0ELb0ELb0ES3_PKdPddZZZN2at6native31launch_logcumsumexp_cuda_kernelERKNSB_10TensorBaseESF_lENKUlvE_clEvENKUlvE_clEvEUlddE_dEEDaPvRmT3_T4_T5_mT6_P12ihipStream_tbENKUlT_T0_E_clISt17integral_constantIbLb0EESW_EEDaSR_SS_EUlSR_E0_NS1_11comp_targetILNS1_3genE8ELNS1_11target_archE1030ELNS1_3gpuE2ELNS1_3repE0EEENS1_30default_config_static_selectorELNS0_4arch9wavefront6targetE0EEEvT1_,@function
_ZN7rocprim17ROCPRIM_400000_NS6detail17trampoline_kernelINS0_14default_configENS1_20scan_config_selectorIdEEZZNS1_9scan_implILNS1_25lookback_scan_determinismE0ELb0ELb0ES3_PKdPddZZZN2at6native31launch_logcumsumexp_cuda_kernelERKNSB_10TensorBaseESF_lENKUlvE_clEvENKUlvE_clEvEUlddE_dEEDaPvRmT3_T4_T5_mT6_P12ihipStream_tbENKUlT_T0_E_clISt17integral_constantIbLb0EESW_EEDaSR_SS_EUlSR_E0_NS1_11comp_targetILNS1_3genE8ELNS1_11target_archE1030ELNS1_3gpuE2ELNS1_3repE0EEENS1_30default_config_static_selectorELNS0_4arch9wavefront6targetE0EEEvT1_: ; @_ZN7rocprim17ROCPRIM_400000_NS6detail17trampoline_kernelINS0_14default_configENS1_20scan_config_selectorIdEEZZNS1_9scan_implILNS1_25lookback_scan_determinismE0ELb0ELb0ES3_PKdPddZZZN2at6native31launch_logcumsumexp_cuda_kernelERKNSB_10TensorBaseESF_lENKUlvE_clEvENKUlvE_clEvEUlddE_dEEDaPvRmT3_T4_T5_mT6_P12ihipStream_tbENKUlT_T0_E_clISt17integral_constantIbLb0EESW_EEDaSR_SS_EUlSR_E0_NS1_11comp_targetILNS1_3genE8ELNS1_11target_archE1030ELNS1_3gpuE2ELNS1_3repE0EEENS1_30default_config_static_selectorELNS0_4arch9wavefront6targetE0EEEvT1_
; %bb.0:
	s_load_dwordx4 s[16:19], s[4:5], 0x0
	v_lshlrev_b32_e32 v69, 3, v0
	s_waitcnt lgkmcnt(0)
	s_load_dwordx2 s[20:21], s[16:17], 0x0
	v_cmp_gt_u32_e32 vcc_lo, s18, v0
	s_waitcnt lgkmcnt(0)
	v_mov_b32_e32 v1, s20
	v_mov_b32_e32 v2, s21
	s_and_saveexec_b32 s0, vcc_lo
	s_cbranch_execz .LBB26_2
; %bb.1:
	global_load_dwordx2 v[1:2], v69, s[16:17]
.LBB26_2:
	s_or_b32 exec_lo, exec_lo, s0
	v_or_b32_e32 v3, 0x80, v0
	v_cmp_gt_u32_e64 s0, s18, v3
	v_mov_b32_e32 v3, s20
	v_mov_b32_e32 v4, s21
	s_and_saveexec_b32 s1, s0
	s_cbranch_execz .LBB26_4
; %bb.3:
	global_load_dwordx2 v[3:4], v69, s[16:17] offset:1024
.LBB26_4:
	s_or_b32 exec_lo, exec_lo, s1
	v_or_b32_e32 v7, 0x100, v0
	v_mov_b32_e32 v5, s20
	v_mov_b32_e32 v6, s21
	v_cmp_gt_u32_e64 s1, s18, v7
	s_and_saveexec_b32 s2, s1
	s_cbranch_execz .LBB26_6
; %bb.5:
	v_lshlrev_b32_e32 v5, 3, v7
	global_load_dwordx2 v[5:6], v5, s[16:17]
.LBB26_6:
	s_or_b32 exec_lo, exec_lo, s2
	v_or_b32_e32 v9, 0x180, v0
	v_mov_b32_e32 v7, s20
	v_mov_b32_e32 v8, s21
	v_cmp_gt_u32_e64 s2, s18, v9
	s_and_saveexec_b32 s3, s2
	s_cbranch_execz .LBB26_8
; %bb.7:
	v_lshlrev_b32_e32 v7, 3, v9
	global_load_dwordx2 v[7:8], v7, s[16:17]
.LBB26_8:
	;; [unrolled: 11-line block ×12, first 2 shown]
	s_or_b32 exec_lo, exec_lo, s15
	s_waitcnt vmcnt(0)
	ds_write2st64_b64 v69, v[1:2], v[3:4] offset1:2
	ds_write2st64_b64 v69, v[5:6], v[7:8] offset0:4 offset1:6
	ds_write2st64_b64 v69, v[9:10], v[11:12] offset0:8 offset1:10
	;; [unrolled: 1-line block ×5, first 2 shown]
	v_mad_u32_u24 v5, 0x68, v0, v69
	ds_write2st64_b64 v69, v[25:26], v[27:28] offset0:24 offset1:26
	s_waitcnt lgkmcnt(0)
	s_barrier
	buffer_gl0_inv
	ds_read_b128 v[1:4], v5
	ds_read_b128 v[25:28], v5 offset:16
	s_waitcnt lgkmcnt(1)
	v_max_f64 v[33:34], v[3:4], v[3:4]
	v_max_f64 v[55:56], v[1:2], v[1:2]
	v_cmp_u_f64_e64 s28, v[1:2], v[1:2]
	v_cmp_u_f64_e64 s15, v[3:4], v[3:4]
	v_mov_b32_e32 v62, v2
	v_mov_b32_e32 v61, v1
	v_min_f64 v[57:58], v[55:56], v[33:34]
	v_max_f64 v[59:60], v[55:56], v[33:34]
	v_cndmask_b32_e64 v6, v57, v1, s28
	v_cndmask_b32_e64 v7, v58, v2, s28
	v_cndmask_b32_e64 v8, v60, v2, s28
	v_cndmask_b32_e64 v9, v59, v1, s28
	v_cndmask_b32_e64 v31, v6, v3, s15
	v_cndmask_b32_e64 v32, v7, v4, s15
	v_cndmask_b32_e64 v30, v8, v4, s15
	v_cndmask_b32_e64 v29, v9, v3, s15
	ds_read_b128 v[21:24], v5 offset:32
	ds_read_b128 v[17:20], v5 offset:48
	;; [unrolled: 1-line block ×5, first 2 shown]
	s_waitcnt lgkmcnt(0)
	v_cmp_class_f64_e64 s17, v[31:32], 0x1f8
	s_barrier
	v_cmp_neq_f64_e64 s16, v[31:32], v[29:30]
	buffer_gl0_inv
	s_or_b32 s16, s16, s17
	s_and_saveexec_b32 s22, s16
	s_cbranch_execz .LBB26_30
; %bb.29:
	v_add_f64 v[31:32], v[31:32], -v[29:30]
	s_mov_b32 s16, 0x652b82fe
	s_mov_b32 s17, 0x3ff71547
	;; [unrolled: 1-line block ×10, first 2 shown]
	v_mul_f64 v[35:36], v[31:32], s[16:17]
	s_mov_b32 s16, 0xfca7ab0c
	s_mov_b32 s17, 0x3e928af3
	v_rndne_f64_e32 v[35:36], v[35:36]
	v_fma_f64 v[37:38], v[35:36], s[18:19], v[31:32]
	v_cvt_i32_f64_e32 v41, v[35:36]
	s_mov_b32 s19, 0x3fe62e42
	v_fma_f64 v[37:38], v[35:36], s[20:21], v[37:38]
	s_mov_b32 s21, 0x3c7abc9e
	v_fma_f64 v[39:40], v[37:38], s[24:25], s[16:17]
	s_mov_b32 s16, 0x623fde64
	s_mov_b32 s17, 0x3ec71dee
	;; [unrolled: 1-line block ×4, first 2 shown]
	v_fma_f64 v[39:40], v[37:38], v[39:40], s[16:17]
	s_mov_b32 s16, 0x7c89e6b0
	s_mov_b32 s17, 0x3efa0199
	v_fma_f64 v[39:40], v[37:38], v[39:40], s[16:17]
	s_mov_b32 s16, 0x14761f6e
	s_mov_b32 s17, 0x3f2a01a0
	;; [unrolled: 3-line block ×7, first 2 shown]
	v_fma_f64 v[39:40], v[37:38], v[39:40], s[16:17]
	v_cmp_nlt_f64_e64 s16, 0x40900000, v[31:32]
	v_cmp_ngt_f64_e64 s17, 0xc090cc00, v[31:32]
	v_fma_f64 v[39:40], v[37:38], v[39:40], 1.0
	v_fma_f64 v[35:36], v[37:38], v[39:40], 1.0
	v_ldexp_f64 v[35:36], v[35:36], v41
	v_cndmask_b32_e64 v36, 0x7ff00000, v36, s16
	s_and_b32 s16, s17, s16
	v_cndmask_b32_e64 v31, 0, v35, s16
	s_mov_b32 s16, 0x55555555
	v_cndmask_b32_e64 v32, 0, v36, s17
	s_mov_b32 s17, 0x3fe55555
	v_add_f64 v[35:36], v[31:32], 1.0
	v_frexp_mant_f64_e32 v[37:38], v[35:36]
	v_frexp_exp_i32_f64_e32 v41, v[35:36]
	v_add_f64 v[39:40], v[35:36], -1.0
	v_cmp_gt_f64_e64 s16, s[16:17], v[37:38]
	v_add_f64 v[37:38], v[39:40], -v[35:36]
	v_add_f64 v[39:40], v[31:32], -v[39:40]
	v_subrev_co_ci_u32_e64 v63, null, 0, v41, s16
	v_add_f64 v[37:38], v[37:38], 1.0
	s_mov_b32 s16, 0x55555780
	v_sub_nc_u32_e32 v43, 0, v63
	v_ldexp_f64 v[35:36], v[35:36], v43
	v_add_f64 v[37:38], v[39:40], v[37:38]
	v_add_f64 v[41:42], v[35:36], 1.0
	v_add_f64 v[47:48], v[35:36], -1.0
	v_ldexp_f64 v[37:38], v[37:38], v43
	v_add_f64 v[39:40], v[41:42], -1.0
	v_add_f64 v[49:50], v[47:48], 1.0
	v_add_f64 v[39:40], v[35:36], -v[39:40]
	v_add_f64 v[35:36], v[35:36], -v[49:50]
	v_add_f64 v[39:40], v[37:38], v[39:40]
	v_add_f64 v[35:36], v[37:38], v[35:36]
	v_add_f64 v[43:44], v[41:42], v[39:40]
	v_add_f64 v[49:50], v[47:48], v[35:36]
	v_rcp_f64_e32 v[45:46], v[43:44]
	v_add_f64 v[41:42], v[43:44], -v[41:42]
	v_add_f64 v[47:48], v[49:50], -v[47:48]
	;; [unrolled: 1-line block ×3, first 2 shown]
	v_fma_f64 v[51:52], -v[43:44], v[45:46], 1.0
	v_add_f64 v[35:36], v[35:36], -v[47:48]
	v_fma_f64 v[45:46], v[51:52], v[45:46], v[45:46]
	v_fma_f64 v[37:38], -v[43:44], v[45:46], 1.0
	v_fma_f64 v[37:38], v[37:38], v[45:46], v[45:46]
	v_mul_f64 v[45:46], v[49:50], v[37:38]
	v_mul_f64 v[51:52], v[43:44], v[45:46]
	v_fma_f64 v[41:42], v[45:46], v[43:44], -v[51:52]
	v_fma_f64 v[41:42], v[45:46], v[39:40], v[41:42]
	v_add_f64 v[53:54], v[51:52], v[41:42]
	v_add_f64 v[61:62], v[49:50], -v[53:54]
	v_add_f64 v[47:48], v[53:54], -v[51:52]
	v_add_f64 v[49:50], v[49:50], -v[61:62]
	v_add_f64 v[41:42], v[47:48], -v[41:42]
	v_add_f64 v[49:50], v[49:50], -v[53:54]
	v_add_f64 v[35:36], v[35:36], v[49:50]
	v_add_f64 v[35:36], v[41:42], v[35:36]
	;; [unrolled: 1-line block ×3, first 2 shown]
	v_mul_f64 v[47:48], v[37:38], v[41:42]
	v_add_f64 v[53:54], v[61:62], -v[41:42]
	v_mul_f64 v[49:50], v[43:44], v[47:48]
	v_add_f64 v[35:36], v[35:36], v[53:54]
	v_fma_f64 v[43:44], v[47:48], v[43:44], -v[49:50]
	v_fma_f64 v[39:40], v[47:48], v[39:40], v[43:44]
	v_add_f64 v[43:44], v[49:50], v[39:40]
	v_add_f64 v[51:52], v[41:42], -v[43:44]
	v_add_f64 v[49:50], v[43:44], -v[49:50]
	;; [unrolled: 1-line block ×5, first 2 shown]
	v_add_f64 v[35:36], v[35:36], v[41:42]
	v_add_f64 v[41:42], v[45:46], v[47:48]
	;; [unrolled: 1-line block ×3, first 2 shown]
	v_add_f64 v[39:40], v[41:42], -v[45:46]
	v_add_f64 v[35:36], v[51:52], v[35:36]
	v_add_f64 v[39:40], v[47:48], -v[39:40]
	v_mul_f64 v[35:36], v[37:38], v[35:36]
	v_add_f64 v[35:36], v[39:40], v[35:36]
	v_add_f64 v[37:38], v[41:42], v[35:36]
	v_mul_f64 v[39:40], v[37:38], v[37:38]
	v_fma_f64 v[43:44], v[39:40], s[26:27], s[24:25]
	s_mov_b32 s24, 0xd7f4df2e
	s_mov_b32 s25, 0x3fc7474d
	v_mul_f64 v[45:46], v[37:38], v[39:40]
	v_fma_f64 v[43:44], v[39:40], v[43:44], s[24:25]
	s_mov_b32 s24, 0x16291751
	s_mov_b32 s25, 0x3fcc71c0
	v_fma_f64 v[43:44], v[39:40], v[43:44], s[24:25]
	s_mov_b32 s24, 0x9b27acf1
	s_mov_b32 s25, 0x3fd24924
	;; [unrolled: 3-line block ×3, first 2 shown]
	v_fma_f64 v[43:44], v[39:40], v[43:44], s[24:25]
	v_fma_f64 v[39:40], v[39:40], v[43:44], s[16:17]
	v_ldexp_f64 v[43:44], v[37:38], 1
	v_add_f64 v[37:38], v[37:38], -v[41:42]
	v_cmp_nge_f64_e64 s16, -1.0, v[31:32]
	v_cmp_neq_f64_e64 s17, 0x7ff00000, v[31:32]
	v_mul_f64 v[39:40], v[45:46], v[39:40]
	v_cvt_f64_i32_e32 v[45:46], v63
	v_add_f64 v[35:36], v[35:36], -v[37:38]
	s_and_b32 s16, s16, s17
	v_add_f64 v[41:42], v[43:44], v[39:40]
	v_mul_f64 v[47:48], v[45:46], s[18:19]
	v_ldexp_f64 v[35:36], v[35:36], 1
	v_add_f64 v[37:38], v[41:42], -v[43:44]
	v_fma_f64 v[43:44], v[45:46], s[18:19], -v[47:48]
	v_cmp_ngt_f64_e64 s18, -1.0, v[31:32]
	v_add_f64 v[37:38], v[39:40], -v[37:38]
	v_fma_f64 v[39:40], v[45:46], s[20:21], v[43:44]
	v_add_f64 v[35:36], v[35:36], v[37:38]
	v_add_f64 v[37:38], v[47:48], v[39:40]
	;; [unrolled: 1-line block ×3, first 2 shown]
	v_add_f64 v[47:48], v[37:38], -v[47:48]
	v_add_f64 v[45:46], v[37:38], v[43:44]
	v_add_f64 v[41:42], v[43:44], -v[41:42]
	v_add_f64 v[39:40], v[39:40], -v[47:48]
	;; [unrolled: 1-line block ×6, first 2 shown]
	v_add_f64 v[43:44], v[39:40], v[35:36]
	v_add_f64 v[37:38], v[37:38], -v[51:52]
	v_add_f64 v[37:38], v[41:42], v[37:38]
	v_add_f64 v[41:42], v[43:44], -v[39:40]
	;; [unrolled: 2-line block ×3, first 2 shown]
	v_add_f64 v[35:36], v[35:36], -v[41:42]
	v_add_f64 v[47:48], v[45:46], v[37:38]
	v_add_f64 v[39:40], v[39:40], -v[43:44]
	v_add_f64 v[41:42], v[47:48], -v[45:46]
	v_add_f64 v[35:36], v[35:36], v[39:40]
	v_add_f64 v[37:38], v[37:38], -v[41:42]
	v_add_f64 v[35:36], v[35:36], v[37:38]
	v_add_f64 v[35:36], v[47:48], v[35:36]
	v_cndmask_b32_e64 v35, 0, v35, s16
	v_cmp_neq_f64_e64 s16, -1.0, v[31:32]
	v_cndmask_b32_e64 v36, 0x7ff00000, v36, s17
	v_cndmask_b32_e64 v36, 0x7ff80000, v36, s18
	;; [unrolled: 1-line block ×3, first 2 shown]
	v_add_f64 v[61:62], v[29:30], v[35:36]
.LBB26_30:
	s_or_b32 exec_lo, exec_lo, s22
	v_max_f64 v[29:30], v[25:26], v[25:26]
	v_max_f64 v[31:32], v[61:62], v[61:62]
	v_cmp_u_f64_e64 s17, v[61:62], v[61:62]
	v_cmp_u_f64_e64 s16, v[25:26], v[25:26]
	v_min_f64 v[35:36], v[31:32], v[29:30]
	v_max_f64 v[31:32], v[31:32], v[29:30]
	v_cndmask_b32_e64 v35, v35, v61, s17
	v_cndmask_b32_e64 v36, v36, v62, s17
	;; [unrolled: 1-line block ×8, first 2 shown]
	v_cmp_class_f64_e64 s18, v[35:36], 0x1f8
	v_cmp_neq_f64_e64 s17, v[35:36], v[31:32]
	s_or_b32 s17, s17, s18
	s_and_saveexec_b32 s24, s17
	s_cbranch_execz .LBB26_32
; %bb.31:
	v_add_f64 v[35:36], v[35:36], -v[31:32]
	s_mov_b32 s18, 0x652b82fe
	s_mov_b32 s19, 0x3ff71547
	;; [unrolled: 1-line block ×10, first 2 shown]
	v_mul_f64 v[37:38], v[35:36], s[18:19]
	s_mov_b32 s18, 0xfca7ab0c
	s_mov_b32 s19, 0x3e928af3
	v_cmp_nlt_f64_e64 s17, 0x40900000, v[35:36]
	v_rndne_f64_e32 v[37:38], v[37:38]
	v_fma_f64 v[39:40], v[37:38], s[20:21], v[35:36]
	v_cvt_i32_f64_e32 v43, v[37:38]
	s_mov_b32 s21, 0x3fe62e42
	v_fma_f64 v[39:40], v[37:38], s[22:23], v[39:40]
	s_mov_b32 s23, 0x3c7abc9e
	v_fma_f64 v[41:42], v[39:40], s[26:27], s[18:19]
	s_mov_b32 s18, 0x623fde64
	s_mov_b32 s19, 0x3ec71dee
	;; [unrolled: 1-line block ×4, first 2 shown]
	v_fma_f64 v[41:42], v[39:40], v[41:42], s[18:19]
	s_mov_b32 s18, 0x7c89e6b0
	s_mov_b32 s19, 0x3efa0199
	v_fma_f64 v[41:42], v[39:40], v[41:42], s[18:19]
	s_mov_b32 s18, 0x14761f6e
	s_mov_b32 s19, 0x3f2a01a0
	;; [unrolled: 3-line block ×7, first 2 shown]
	v_fma_f64 v[41:42], v[39:40], v[41:42], s[18:19]
	v_cmp_ngt_f64_e64 s18, 0xc090cc00, v[35:36]
	s_mov_b32 s19, 0x3fe55555
	v_fma_f64 v[41:42], v[39:40], v[41:42], 1.0
	v_fma_f64 v[37:38], v[39:40], v[41:42], 1.0
	v_ldexp_f64 v[37:38], v[37:38], v43
	v_cndmask_b32_e64 v38, 0x7ff00000, v38, s17
	s_and_b32 s17, s18, s17
	v_cndmask_b32_e64 v35, 0, v37, s17
	v_cndmask_b32_e64 v36, 0, v38, s18
	s_mov_b32 s18, 0x55555555
	v_add_f64 v[37:38], v[35:36], 1.0
	v_frexp_mant_f64_e32 v[39:40], v[37:38]
	v_frexp_exp_i32_f64_e32 v43, v[37:38]
	v_add_f64 v[41:42], v[37:38], -1.0
	v_cmp_gt_f64_e64 s17, s[18:19], v[39:40]
	s_mov_b32 s18, 0x55555780
	v_add_f64 v[39:40], v[41:42], -v[37:38]
	v_add_f64 v[41:42], v[35:36], -v[41:42]
	v_subrev_co_ci_u32_e64 v65, null, 0, v43, s17
	v_add_f64 v[39:40], v[39:40], 1.0
	v_cmp_nge_f64_e64 s17, -1.0, v[35:36]
	v_sub_nc_u32_e32 v45, 0, v65
	v_ldexp_f64 v[37:38], v[37:38], v45
	v_add_f64 v[39:40], v[41:42], v[39:40]
	v_add_f64 v[43:44], v[37:38], 1.0
	v_add_f64 v[49:50], v[37:38], -1.0
	v_ldexp_f64 v[39:40], v[39:40], v45
	v_add_f64 v[41:42], v[43:44], -1.0
	v_add_f64 v[51:52], v[49:50], 1.0
	v_add_f64 v[41:42], v[37:38], -v[41:42]
	v_add_f64 v[37:38], v[37:38], -v[51:52]
	v_add_f64 v[41:42], v[39:40], v[41:42]
	v_add_f64 v[37:38], v[39:40], v[37:38]
	;; [unrolled: 1-line block ×4, first 2 shown]
	v_rcp_f64_e32 v[47:48], v[45:46]
	v_add_f64 v[43:44], v[45:46], -v[43:44]
	v_add_f64 v[49:50], v[51:52], -v[49:50]
	;; [unrolled: 1-line block ×3, first 2 shown]
	v_fma_f64 v[53:54], -v[45:46], v[47:48], 1.0
	v_add_f64 v[37:38], v[37:38], -v[49:50]
	v_fma_f64 v[47:48], v[53:54], v[47:48], v[47:48]
	v_fma_f64 v[39:40], -v[45:46], v[47:48], 1.0
	v_fma_f64 v[39:40], v[39:40], v[47:48], v[47:48]
	v_mul_f64 v[47:48], v[51:52], v[39:40]
	v_mul_f64 v[53:54], v[45:46], v[47:48]
	v_fma_f64 v[43:44], v[47:48], v[45:46], -v[53:54]
	v_fma_f64 v[43:44], v[47:48], v[41:42], v[43:44]
	v_add_f64 v[61:62], v[53:54], v[43:44]
	v_add_f64 v[63:64], v[51:52], -v[61:62]
	v_add_f64 v[49:50], v[61:62], -v[53:54]
	;; [unrolled: 1-line block ×5, first 2 shown]
	v_add_f64 v[37:38], v[37:38], v[51:52]
	v_add_f64 v[37:38], v[43:44], v[37:38]
	;; [unrolled: 1-line block ×3, first 2 shown]
	v_mul_f64 v[49:50], v[39:40], v[43:44]
	v_add_f64 v[61:62], v[63:64], -v[43:44]
	v_mul_f64 v[51:52], v[45:46], v[49:50]
	v_add_f64 v[37:38], v[37:38], v[61:62]
	v_fma_f64 v[45:46], v[49:50], v[45:46], -v[51:52]
	v_fma_f64 v[41:42], v[49:50], v[41:42], v[45:46]
	v_add_f64 v[45:46], v[51:52], v[41:42]
	v_add_f64 v[53:54], v[43:44], -v[45:46]
	v_add_f64 v[51:52], v[45:46], -v[51:52]
	;; [unrolled: 1-line block ×5, first 2 shown]
	v_add_f64 v[37:38], v[37:38], v[43:44]
	v_add_f64 v[43:44], v[47:48], v[49:50]
	;; [unrolled: 1-line block ×3, first 2 shown]
	v_add_f64 v[41:42], v[43:44], -v[47:48]
	v_add_f64 v[37:38], v[53:54], v[37:38]
	v_add_f64 v[41:42], v[49:50], -v[41:42]
	v_mul_f64 v[37:38], v[39:40], v[37:38]
	v_add_f64 v[37:38], v[41:42], v[37:38]
	v_add_f64 v[39:40], v[43:44], v[37:38]
	v_mul_f64 v[41:42], v[39:40], v[39:40]
	v_fma_f64 v[45:46], v[41:42], s[30:31], s[26:27]
	s_mov_b32 s26, 0xd7f4df2e
	s_mov_b32 s27, 0x3fc7474d
	v_mul_f64 v[47:48], v[39:40], v[41:42]
	v_fma_f64 v[45:46], v[41:42], v[45:46], s[26:27]
	s_mov_b32 s26, 0x16291751
	s_mov_b32 s27, 0x3fcc71c0
	v_fma_f64 v[45:46], v[41:42], v[45:46], s[26:27]
	s_mov_b32 s26, 0x9b27acf1
	s_mov_b32 s27, 0x3fd24924
	;; [unrolled: 3-line block ×3, first 2 shown]
	v_fma_f64 v[45:46], v[41:42], v[45:46], s[26:27]
	v_fma_f64 v[41:42], v[41:42], v[45:46], s[18:19]
	v_ldexp_f64 v[45:46], v[39:40], 1
	v_add_f64 v[39:40], v[39:40], -v[43:44]
	v_cmp_neq_f64_e64 s18, 0x7ff00000, v[35:36]
	v_cmp_ngt_f64_e64 s19, -1.0, v[35:36]
	v_mul_f64 v[41:42], v[47:48], v[41:42]
	v_cvt_f64_i32_e32 v[47:48], v65
	v_add_f64 v[37:38], v[37:38], -v[39:40]
	s_and_b32 s17, s17, s18
	v_add_f64 v[43:44], v[45:46], v[41:42]
	v_mul_f64 v[49:50], v[47:48], s[20:21]
	v_ldexp_f64 v[37:38], v[37:38], 1
	v_add_f64 v[39:40], v[43:44], -v[45:46]
	v_fma_f64 v[45:46], v[47:48], s[20:21], -v[49:50]
	v_add_f64 v[39:40], v[41:42], -v[39:40]
	v_fma_f64 v[41:42], v[47:48], s[22:23], v[45:46]
	v_add_f64 v[37:38], v[37:38], v[39:40]
	v_add_f64 v[39:40], v[49:50], v[41:42]
	;; [unrolled: 1-line block ×3, first 2 shown]
	v_add_f64 v[49:50], v[39:40], -v[49:50]
	v_add_f64 v[47:48], v[39:40], v[45:46]
	v_add_f64 v[43:44], v[45:46], -v[43:44]
	v_add_f64 v[41:42], v[41:42], -v[49:50]
	;; [unrolled: 1-line block ×6, first 2 shown]
	v_add_f64 v[45:46], v[41:42], v[37:38]
	v_add_f64 v[39:40], v[39:40], -v[53:54]
	v_add_f64 v[39:40], v[43:44], v[39:40]
	v_add_f64 v[43:44], v[45:46], -v[41:42]
	;; [unrolled: 2-line block ×3, first 2 shown]
	v_add_f64 v[37:38], v[37:38], -v[43:44]
	v_add_f64 v[49:50], v[47:48], v[39:40]
	v_add_f64 v[41:42], v[41:42], -v[45:46]
	v_add_f64 v[43:44], v[49:50], -v[47:48]
	v_add_f64 v[37:38], v[37:38], v[41:42]
	v_add_f64 v[39:40], v[39:40], -v[43:44]
	v_add_f64 v[37:38], v[37:38], v[39:40]
	v_add_f64 v[37:38], v[49:50], v[37:38]
	v_cndmask_b32_e64 v37, 0, v37, s17
	v_cmp_neq_f64_e64 s17, -1.0, v[35:36]
	v_cndmask_b32_e64 v38, 0x7ff00000, v38, s18
	v_cndmask_b32_e64 v38, 0x7ff80000, v38, s19
	;; [unrolled: 1-line block ×3, first 2 shown]
	v_add_f64 v[61:62], v[31:32], v[37:38]
.LBB26_32:
	s_or_b32 exec_lo, exec_lo, s24
	v_max_f64 v[31:32], v[27:28], v[27:28]
	v_max_f64 v[35:36], v[61:62], v[61:62]
	v_cmp_u_f64_e64 s18, v[61:62], v[61:62]
	v_cmp_u_f64_e64 s17, v[27:28], v[27:28]
	v_min_f64 v[37:38], v[35:36], v[31:32]
	v_max_f64 v[35:36], v[35:36], v[31:32]
	v_cndmask_b32_e64 v37, v37, v61, s18
	v_cndmask_b32_e64 v38, v38, v62, s18
	;; [unrolled: 1-line block ×8, first 2 shown]
	v_cmp_class_f64_e64 s19, v[37:38], 0x1f8
	v_cmp_neq_f64_e64 s18, v[37:38], v[35:36]
	s_or_b32 s18, s18, s19
	s_and_saveexec_b32 s24, s18
	s_cbranch_execz .LBB26_34
; %bb.33:
	v_add_f64 v[37:38], v[37:38], -v[35:36]
	s_mov_b32 s18, 0x652b82fe
	s_mov_b32 s19, 0x3ff71547
	;; [unrolled: 1-line block ×10, first 2 shown]
	v_mul_f64 v[39:40], v[37:38], s[18:19]
	s_mov_b32 s18, 0xfca7ab0c
	s_mov_b32 s19, 0x3e928af3
	v_rndne_f64_e32 v[39:40], v[39:40]
	v_fma_f64 v[41:42], v[39:40], s[20:21], v[37:38]
	v_cvt_i32_f64_e32 v45, v[39:40]
	s_mov_b32 s21, 0x3fe62e42
	v_fma_f64 v[41:42], v[39:40], s[22:23], v[41:42]
	s_mov_b32 s23, 0x3c7abc9e
	v_fma_f64 v[43:44], v[41:42], s[26:27], s[18:19]
	s_mov_b32 s18, 0x623fde64
	s_mov_b32 s19, 0x3ec71dee
	;; [unrolled: 1-line block ×4, first 2 shown]
	v_fma_f64 v[43:44], v[41:42], v[43:44], s[18:19]
	s_mov_b32 s18, 0x7c89e6b0
	s_mov_b32 s19, 0x3efa0199
	v_fma_f64 v[43:44], v[41:42], v[43:44], s[18:19]
	s_mov_b32 s18, 0x14761f6e
	s_mov_b32 s19, 0x3f2a01a0
	;; [unrolled: 3-line block ×7, first 2 shown]
	v_fma_f64 v[43:44], v[41:42], v[43:44], s[18:19]
	v_cmp_nlt_f64_e64 s18, 0x40900000, v[37:38]
	v_cmp_ngt_f64_e64 s19, 0xc090cc00, v[37:38]
	v_fma_f64 v[43:44], v[41:42], v[43:44], 1.0
	v_fma_f64 v[39:40], v[41:42], v[43:44], 1.0
	v_ldexp_f64 v[39:40], v[39:40], v45
	v_cndmask_b32_e64 v40, 0x7ff00000, v40, s18
	s_and_b32 s18, s19, s18
	v_cndmask_b32_e64 v37, 0, v39, s18
	s_mov_b32 s18, 0x55555555
	v_cndmask_b32_e64 v38, 0, v40, s19
	s_mov_b32 s19, 0x3fe55555
	v_add_f64 v[39:40], v[37:38], 1.0
	v_frexp_mant_f64_e32 v[41:42], v[39:40]
	v_frexp_exp_i32_f64_e32 v45, v[39:40]
	v_add_f64 v[43:44], v[39:40], -1.0
	v_cmp_gt_f64_e64 s18, s[18:19], v[41:42]
	v_add_f64 v[41:42], v[43:44], -v[39:40]
	v_add_f64 v[43:44], v[37:38], -v[43:44]
	v_subrev_co_ci_u32_e64 v67, null, 0, v45, s18
	v_add_f64 v[41:42], v[41:42], 1.0
	s_mov_b32 s18, 0x55555780
	v_sub_nc_u32_e32 v47, 0, v67
	v_ldexp_f64 v[39:40], v[39:40], v47
	v_add_f64 v[41:42], v[43:44], v[41:42]
	v_add_f64 v[45:46], v[39:40], 1.0
	v_add_f64 v[51:52], v[39:40], -1.0
	v_ldexp_f64 v[41:42], v[41:42], v47
	v_add_f64 v[43:44], v[45:46], -1.0
	v_add_f64 v[53:54], v[51:52], 1.0
	v_add_f64 v[43:44], v[39:40], -v[43:44]
	v_add_f64 v[39:40], v[39:40], -v[53:54]
	v_add_f64 v[43:44], v[41:42], v[43:44]
	v_add_f64 v[39:40], v[41:42], v[39:40]
	;; [unrolled: 1-line block ×4, first 2 shown]
	v_rcp_f64_e32 v[49:50], v[47:48]
	v_add_f64 v[45:46], v[47:48], -v[45:46]
	v_add_f64 v[51:52], v[53:54], -v[51:52]
	;; [unrolled: 1-line block ×3, first 2 shown]
	v_fma_f64 v[61:62], -v[47:48], v[49:50], 1.0
	v_add_f64 v[39:40], v[39:40], -v[51:52]
	v_fma_f64 v[49:50], v[61:62], v[49:50], v[49:50]
	v_fma_f64 v[41:42], -v[47:48], v[49:50], 1.0
	v_fma_f64 v[41:42], v[41:42], v[49:50], v[49:50]
	v_mul_f64 v[49:50], v[53:54], v[41:42]
	v_mul_f64 v[61:62], v[47:48], v[49:50]
	v_fma_f64 v[45:46], v[49:50], v[47:48], -v[61:62]
	v_fma_f64 v[45:46], v[49:50], v[43:44], v[45:46]
	v_add_f64 v[63:64], v[61:62], v[45:46]
	v_add_f64 v[65:66], v[53:54], -v[63:64]
	v_add_f64 v[51:52], v[63:64], -v[61:62]
	;; [unrolled: 1-line block ×5, first 2 shown]
	v_add_f64 v[39:40], v[39:40], v[53:54]
	v_add_f64 v[39:40], v[45:46], v[39:40]
	;; [unrolled: 1-line block ×3, first 2 shown]
	v_mul_f64 v[51:52], v[41:42], v[45:46]
	v_add_f64 v[63:64], v[65:66], -v[45:46]
	v_mul_f64 v[53:54], v[47:48], v[51:52]
	v_add_f64 v[39:40], v[39:40], v[63:64]
	v_fma_f64 v[47:48], v[51:52], v[47:48], -v[53:54]
	v_fma_f64 v[43:44], v[51:52], v[43:44], v[47:48]
	v_add_f64 v[47:48], v[53:54], v[43:44]
	v_add_f64 v[61:62], v[45:46], -v[47:48]
	v_add_f64 v[53:54], v[47:48], -v[53:54]
	;; [unrolled: 1-line block ×5, first 2 shown]
	v_add_f64 v[39:40], v[39:40], v[45:46]
	v_add_f64 v[45:46], v[49:50], v[51:52]
	;; [unrolled: 1-line block ×3, first 2 shown]
	v_add_f64 v[43:44], v[45:46], -v[49:50]
	v_add_f64 v[39:40], v[61:62], v[39:40]
	v_add_f64 v[43:44], v[51:52], -v[43:44]
	v_mul_f64 v[39:40], v[41:42], v[39:40]
	v_add_f64 v[39:40], v[43:44], v[39:40]
	v_add_f64 v[41:42], v[45:46], v[39:40]
	v_mul_f64 v[43:44], v[41:42], v[41:42]
	v_fma_f64 v[47:48], v[43:44], s[30:31], s[26:27]
	s_mov_b32 s26, 0xd7f4df2e
	s_mov_b32 s27, 0x3fc7474d
	v_mul_f64 v[49:50], v[41:42], v[43:44]
	v_fma_f64 v[47:48], v[43:44], v[47:48], s[26:27]
	s_mov_b32 s26, 0x16291751
	s_mov_b32 s27, 0x3fcc71c0
	v_fma_f64 v[47:48], v[43:44], v[47:48], s[26:27]
	s_mov_b32 s26, 0x9b27acf1
	s_mov_b32 s27, 0x3fd24924
	;; [unrolled: 3-line block ×3, first 2 shown]
	v_fma_f64 v[47:48], v[43:44], v[47:48], s[26:27]
	v_fma_f64 v[43:44], v[43:44], v[47:48], s[18:19]
	v_ldexp_f64 v[47:48], v[41:42], 1
	v_add_f64 v[41:42], v[41:42], -v[45:46]
	v_cmp_nge_f64_e64 s18, -1.0, v[37:38]
	v_cmp_neq_f64_e64 s19, 0x7ff00000, v[37:38]
	v_mul_f64 v[43:44], v[49:50], v[43:44]
	v_cvt_f64_i32_e32 v[49:50], v67
	v_add_f64 v[39:40], v[39:40], -v[41:42]
	s_and_b32 s18, s18, s19
	v_add_f64 v[45:46], v[47:48], v[43:44]
	v_mul_f64 v[51:52], v[49:50], s[20:21]
	v_ldexp_f64 v[39:40], v[39:40], 1
	v_add_f64 v[41:42], v[45:46], -v[47:48]
	v_fma_f64 v[47:48], v[49:50], s[20:21], -v[51:52]
	v_cmp_ngt_f64_e64 s20, -1.0, v[37:38]
	v_add_f64 v[41:42], v[43:44], -v[41:42]
	v_fma_f64 v[43:44], v[49:50], s[22:23], v[47:48]
	v_add_f64 v[39:40], v[39:40], v[41:42]
	v_add_f64 v[41:42], v[51:52], v[43:44]
	;; [unrolled: 1-line block ×3, first 2 shown]
	v_add_f64 v[51:52], v[41:42], -v[51:52]
	v_add_f64 v[49:50], v[41:42], v[47:48]
	v_add_f64 v[45:46], v[47:48], -v[45:46]
	v_add_f64 v[43:44], v[43:44], -v[51:52]
	;; [unrolled: 1-line block ×6, first 2 shown]
	v_add_f64 v[47:48], v[43:44], v[39:40]
	v_add_f64 v[41:42], v[41:42], -v[61:62]
	v_add_f64 v[41:42], v[45:46], v[41:42]
	v_add_f64 v[45:46], v[47:48], -v[43:44]
	v_add_f64 v[41:42], v[47:48], v[41:42]
	v_add_f64 v[47:48], v[47:48], -v[45:46]
	v_add_f64 v[39:40], v[39:40], -v[45:46]
	v_add_f64 v[51:52], v[49:50], v[41:42]
	v_add_f64 v[43:44], v[43:44], -v[47:48]
	v_add_f64 v[45:46], v[51:52], -v[49:50]
	v_add_f64 v[39:40], v[39:40], v[43:44]
	v_add_f64 v[41:42], v[41:42], -v[45:46]
	v_add_f64 v[39:40], v[39:40], v[41:42]
	v_add_f64 v[39:40], v[51:52], v[39:40]
	v_cndmask_b32_e64 v39, 0, v39, s18
	v_cmp_neq_f64_e64 s18, -1.0, v[37:38]
	v_cndmask_b32_e64 v40, 0x7ff00000, v40, s19
	v_cndmask_b32_e64 v40, 0x7ff80000, v40, s20
	v_cndmask_b32_e64 v40, 0xfff00000, v40, s18
	v_add_f64 v[61:62], v[35:36], v[39:40]
.LBB26_34:
	s_or_b32 exec_lo, exec_lo, s24
	v_max_f64 v[35:36], v[21:22], v[21:22]
	v_max_f64 v[37:38], v[61:62], v[61:62]
	v_cmp_u_f64_e64 s19, v[61:62], v[61:62]
	v_cmp_u_f64_e64 s18, v[21:22], v[21:22]
	v_min_f64 v[39:40], v[37:38], v[35:36]
	v_max_f64 v[37:38], v[37:38], v[35:36]
	v_cndmask_b32_e64 v39, v39, v61, s19
	v_cndmask_b32_e64 v40, v40, v62, s19
	;; [unrolled: 1-line block ×8, first 2 shown]
	v_cmp_class_f64_e64 s20, v[39:40], 0x1f8
	v_cmp_neq_f64_e64 s19, v[39:40], v[37:38]
	s_or_b32 s19, s19, s20
	s_and_saveexec_b32 s26, s19
	s_cbranch_execz .LBB26_36
; %bb.35:
	v_add_f64 v[39:40], v[39:40], -v[37:38]
	s_mov_b32 s20, 0x652b82fe
	s_mov_b32 s21, 0x3ff71547
	;; [unrolled: 1-line block ×10, first 2 shown]
	v_mul_f64 v[41:42], v[39:40], s[20:21]
	s_mov_b32 s20, 0xfca7ab0c
	s_mov_b32 s21, 0x3e928af3
	v_cmp_nlt_f64_e64 s19, 0x40900000, v[39:40]
	v_rndne_f64_e32 v[41:42], v[41:42]
	v_fma_f64 v[43:44], v[41:42], s[22:23], v[39:40]
	v_cvt_i32_f64_e32 v47, v[41:42]
	s_mov_b32 s23, 0x3fe62e42
	v_fma_f64 v[43:44], v[41:42], s[24:25], v[43:44]
	s_mov_b32 s25, 0x3c7abc9e
	v_fma_f64 v[45:46], v[43:44], s[30:31], s[20:21]
	s_mov_b32 s20, 0x623fde64
	s_mov_b32 s21, 0x3ec71dee
	;; [unrolled: 1-line block ×4, first 2 shown]
	v_fma_f64 v[45:46], v[43:44], v[45:46], s[20:21]
	s_mov_b32 s20, 0x7c89e6b0
	s_mov_b32 s21, 0x3efa0199
	v_fma_f64 v[45:46], v[43:44], v[45:46], s[20:21]
	s_mov_b32 s20, 0x14761f6e
	s_mov_b32 s21, 0x3f2a01a0
	;; [unrolled: 3-line block ×7, first 2 shown]
	v_fma_f64 v[45:46], v[43:44], v[45:46], s[20:21]
	v_cmp_ngt_f64_e64 s20, 0xc090cc00, v[39:40]
	s_mov_b32 s21, 0x3fe55555
	v_fma_f64 v[45:46], v[43:44], v[45:46], 1.0
	v_fma_f64 v[41:42], v[43:44], v[45:46], 1.0
	v_ldexp_f64 v[41:42], v[41:42], v47
	v_cndmask_b32_e64 v42, 0x7ff00000, v42, s19
	s_and_b32 s19, s20, s19
	v_cndmask_b32_e64 v39, 0, v41, s19
	v_cndmask_b32_e64 v40, 0, v42, s20
	s_mov_b32 s20, 0x55555555
	v_add_f64 v[41:42], v[39:40], 1.0
	v_frexp_mant_f64_e32 v[43:44], v[41:42]
	v_frexp_exp_i32_f64_e32 v47, v[41:42]
	v_add_f64 v[45:46], v[41:42], -1.0
	v_cmp_gt_f64_e64 s19, s[20:21], v[43:44]
	s_mov_b32 s20, 0x55555780
	v_add_f64 v[43:44], v[45:46], -v[41:42]
	v_add_f64 v[45:46], v[39:40], -v[45:46]
	v_subrev_co_ci_u32_e64 v70, null, 0, v47, s19
	v_add_f64 v[43:44], v[43:44], 1.0
	v_cmp_nge_f64_e64 s19, -1.0, v[39:40]
	v_sub_nc_u32_e32 v49, 0, v70
	v_ldexp_f64 v[41:42], v[41:42], v49
	v_add_f64 v[43:44], v[45:46], v[43:44]
	v_add_f64 v[47:48], v[41:42], 1.0
	v_add_f64 v[53:54], v[41:42], -1.0
	v_ldexp_f64 v[43:44], v[43:44], v49
	v_add_f64 v[45:46], v[47:48], -1.0
	v_add_f64 v[61:62], v[53:54], 1.0
	v_add_f64 v[45:46], v[41:42], -v[45:46]
	v_add_f64 v[41:42], v[41:42], -v[61:62]
	v_add_f64 v[45:46], v[43:44], v[45:46]
	v_add_f64 v[41:42], v[43:44], v[41:42]
	v_add_f64 v[49:50], v[47:48], v[45:46]
	v_add_f64 v[61:62], v[53:54], v[41:42]
	v_rcp_f64_e32 v[51:52], v[49:50]
	v_add_f64 v[47:48], v[49:50], -v[47:48]
	v_add_f64 v[53:54], v[61:62], -v[53:54]
	;; [unrolled: 1-line block ×3, first 2 shown]
	v_fma_f64 v[63:64], -v[49:50], v[51:52], 1.0
	v_add_f64 v[41:42], v[41:42], -v[53:54]
	v_fma_f64 v[51:52], v[63:64], v[51:52], v[51:52]
	v_fma_f64 v[43:44], -v[49:50], v[51:52], 1.0
	v_fma_f64 v[43:44], v[43:44], v[51:52], v[51:52]
	v_mul_f64 v[51:52], v[61:62], v[43:44]
	v_mul_f64 v[63:64], v[49:50], v[51:52]
	v_fma_f64 v[47:48], v[51:52], v[49:50], -v[63:64]
	v_fma_f64 v[47:48], v[51:52], v[45:46], v[47:48]
	v_add_f64 v[65:66], v[63:64], v[47:48]
	v_add_f64 v[67:68], v[61:62], -v[65:66]
	v_add_f64 v[53:54], v[65:66], -v[63:64]
	;; [unrolled: 1-line block ×5, first 2 shown]
	v_add_f64 v[41:42], v[41:42], v[61:62]
	v_add_f64 v[41:42], v[47:48], v[41:42]
	;; [unrolled: 1-line block ×3, first 2 shown]
	v_mul_f64 v[53:54], v[43:44], v[47:48]
	v_add_f64 v[65:66], v[67:68], -v[47:48]
	v_mul_f64 v[61:62], v[49:50], v[53:54]
	v_add_f64 v[41:42], v[41:42], v[65:66]
	v_fma_f64 v[49:50], v[53:54], v[49:50], -v[61:62]
	v_fma_f64 v[45:46], v[53:54], v[45:46], v[49:50]
	v_add_f64 v[49:50], v[61:62], v[45:46]
	v_add_f64 v[63:64], v[47:48], -v[49:50]
	v_add_f64 v[61:62], v[49:50], -v[61:62]
	;; [unrolled: 1-line block ×5, first 2 shown]
	v_add_f64 v[41:42], v[41:42], v[47:48]
	v_add_f64 v[47:48], v[51:52], v[53:54]
	;; [unrolled: 1-line block ×3, first 2 shown]
	v_add_f64 v[45:46], v[47:48], -v[51:52]
	v_add_f64 v[41:42], v[63:64], v[41:42]
	v_add_f64 v[45:46], v[53:54], -v[45:46]
	v_mul_f64 v[41:42], v[43:44], v[41:42]
	v_add_f64 v[41:42], v[45:46], v[41:42]
	v_add_f64 v[43:44], v[47:48], v[41:42]
	v_mul_f64 v[45:46], v[43:44], v[43:44]
	v_fma_f64 v[49:50], v[45:46], s[34:35], s[30:31]
	s_mov_b32 s30, 0xd7f4df2e
	s_mov_b32 s31, 0x3fc7474d
	v_mul_f64 v[51:52], v[43:44], v[45:46]
	v_fma_f64 v[49:50], v[45:46], v[49:50], s[30:31]
	s_mov_b32 s30, 0x16291751
	s_mov_b32 s31, 0x3fcc71c0
	v_fma_f64 v[49:50], v[45:46], v[49:50], s[30:31]
	s_mov_b32 s30, 0x9b27acf1
	s_mov_b32 s31, 0x3fd24924
	;; [unrolled: 3-line block ×3, first 2 shown]
	v_fma_f64 v[49:50], v[45:46], v[49:50], s[30:31]
	v_fma_f64 v[45:46], v[45:46], v[49:50], s[20:21]
	v_ldexp_f64 v[49:50], v[43:44], 1
	v_add_f64 v[43:44], v[43:44], -v[47:48]
	v_cmp_neq_f64_e64 s20, 0x7ff00000, v[39:40]
	v_cmp_ngt_f64_e64 s21, -1.0, v[39:40]
	v_mul_f64 v[45:46], v[51:52], v[45:46]
	v_cvt_f64_i32_e32 v[51:52], v70
	v_add_f64 v[41:42], v[41:42], -v[43:44]
	s_and_b32 s19, s19, s20
	v_add_f64 v[47:48], v[49:50], v[45:46]
	v_mul_f64 v[53:54], v[51:52], s[22:23]
	v_ldexp_f64 v[41:42], v[41:42], 1
	v_add_f64 v[43:44], v[47:48], -v[49:50]
	v_fma_f64 v[49:50], v[51:52], s[22:23], -v[53:54]
	v_add_f64 v[43:44], v[45:46], -v[43:44]
	v_fma_f64 v[45:46], v[51:52], s[24:25], v[49:50]
	v_add_f64 v[41:42], v[41:42], v[43:44]
	v_add_f64 v[43:44], v[53:54], v[45:46]
	v_add_f64 v[49:50], v[47:48], v[41:42]
	v_add_f64 v[53:54], v[43:44], -v[53:54]
	v_add_f64 v[51:52], v[43:44], v[49:50]
	v_add_f64 v[47:48], v[49:50], -v[47:48]
	v_add_f64 v[45:46], v[45:46], -v[53:54]
	v_add_f64 v[61:62], v[51:52], -v[43:44]
	v_add_f64 v[41:42], v[41:42], -v[47:48]
	v_add_f64 v[63:64], v[51:52], -v[61:62]
	v_add_f64 v[47:48], v[49:50], -v[61:62]
	v_add_f64 v[49:50], v[45:46], v[41:42]
	v_add_f64 v[43:44], v[43:44], -v[63:64]
	v_add_f64 v[43:44], v[47:48], v[43:44]
	v_add_f64 v[47:48], v[49:50], -v[45:46]
	;; [unrolled: 2-line block ×3, first 2 shown]
	v_add_f64 v[41:42], v[41:42], -v[47:48]
	v_add_f64 v[53:54], v[51:52], v[43:44]
	v_add_f64 v[45:46], v[45:46], -v[49:50]
	v_add_f64 v[47:48], v[53:54], -v[51:52]
	v_add_f64 v[41:42], v[41:42], v[45:46]
	v_add_f64 v[43:44], v[43:44], -v[47:48]
	v_add_f64 v[41:42], v[41:42], v[43:44]
	v_add_f64 v[41:42], v[53:54], v[41:42]
	v_cndmask_b32_e64 v41, 0, v41, s19
	v_cmp_neq_f64_e64 s19, -1.0, v[39:40]
	v_cndmask_b32_e64 v42, 0x7ff00000, v42, s20
	v_cndmask_b32_e64 v42, 0x7ff80000, v42, s21
	v_cndmask_b32_e64 v42, 0xfff00000, v42, s19
	v_add_f64 v[61:62], v[37:38], v[41:42]
.LBB26_36:
	s_or_b32 exec_lo, exec_lo, s26
	v_max_f64 v[37:38], v[23:24], v[23:24]
	v_max_f64 v[39:40], v[61:62], v[61:62]
	v_cmp_u_f64_e64 s20, v[61:62], v[61:62]
	v_cmp_u_f64_e64 s19, v[23:24], v[23:24]
	v_min_f64 v[41:42], v[39:40], v[37:38]
	v_max_f64 v[39:40], v[39:40], v[37:38]
	v_cndmask_b32_e64 v41, v41, v61, s20
	v_cndmask_b32_e64 v42, v42, v62, s20
	v_cndmask_b32_e64 v40, v40, v62, s20
	v_cndmask_b32_e64 v39, v39, v61, s20
	v_cndmask_b32_e64 v41, v41, v23, s19
	v_cndmask_b32_e64 v42, v42, v24, s19
	v_cndmask_b32_e64 v40, v40, v24, s19
	v_cndmask_b32_e64 v39, v39, v23, s19
	v_cmp_class_f64_e64 s21, v[41:42], 0x1f8
	v_cmp_neq_f64_e64 s20, v[41:42], v[39:40]
	s_or_b32 s20, s20, s21
	s_and_saveexec_b32 s26, s20
	s_cbranch_execz .LBB26_38
; %bb.37:
	v_add_f64 v[41:42], v[41:42], -v[39:40]
	s_mov_b32 s20, 0x652b82fe
	s_mov_b32 s21, 0x3ff71547
	;; [unrolled: 1-line block ×10, first 2 shown]
	v_mul_f64 v[43:44], v[41:42], s[20:21]
	s_mov_b32 s20, 0xfca7ab0c
	s_mov_b32 s21, 0x3e928af3
	v_rndne_f64_e32 v[43:44], v[43:44]
	v_fma_f64 v[45:46], v[43:44], s[22:23], v[41:42]
	v_cvt_i32_f64_e32 v49, v[43:44]
	s_mov_b32 s23, 0x3fe62e42
	v_fma_f64 v[45:46], v[43:44], s[24:25], v[45:46]
	s_mov_b32 s25, 0x3c7abc9e
	v_fma_f64 v[47:48], v[45:46], s[30:31], s[20:21]
	s_mov_b32 s20, 0x623fde64
	s_mov_b32 s21, 0x3ec71dee
	;; [unrolled: 1-line block ×4, first 2 shown]
	v_fma_f64 v[47:48], v[45:46], v[47:48], s[20:21]
	s_mov_b32 s20, 0x7c89e6b0
	s_mov_b32 s21, 0x3efa0199
	v_fma_f64 v[47:48], v[45:46], v[47:48], s[20:21]
	s_mov_b32 s20, 0x14761f6e
	s_mov_b32 s21, 0x3f2a01a0
	;; [unrolled: 3-line block ×7, first 2 shown]
	v_fma_f64 v[47:48], v[45:46], v[47:48], s[20:21]
	v_cmp_nlt_f64_e64 s20, 0x40900000, v[41:42]
	v_cmp_ngt_f64_e64 s21, 0xc090cc00, v[41:42]
	v_fma_f64 v[47:48], v[45:46], v[47:48], 1.0
	v_fma_f64 v[43:44], v[45:46], v[47:48], 1.0
	v_ldexp_f64 v[43:44], v[43:44], v49
	v_cndmask_b32_e64 v44, 0x7ff00000, v44, s20
	s_and_b32 s20, s21, s20
	v_cndmask_b32_e64 v41, 0, v43, s20
	s_mov_b32 s20, 0x55555555
	v_cndmask_b32_e64 v42, 0, v44, s21
	s_mov_b32 s21, 0x3fe55555
	v_add_f64 v[43:44], v[41:42], 1.0
	v_frexp_mant_f64_e32 v[45:46], v[43:44]
	v_frexp_exp_i32_f64_e32 v49, v[43:44]
	v_add_f64 v[47:48], v[43:44], -1.0
	v_cmp_gt_f64_e64 s20, s[20:21], v[45:46]
	v_add_f64 v[45:46], v[47:48], -v[43:44]
	v_add_f64 v[47:48], v[41:42], -v[47:48]
	v_subrev_co_ci_u32_e64 v72, null, 0, v49, s20
	v_add_f64 v[45:46], v[45:46], 1.0
	s_mov_b32 s20, 0x55555780
	v_sub_nc_u32_e32 v51, 0, v72
	v_ldexp_f64 v[43:44], v[43:44], v51
	v_add_f64 v[45:46], v[47:48], v[45:46]
	v_add_f64 v[49:50], v[43:44], 1.0
	v_add_f64 v[61:62], v[43:44], -1.0
	v_ldexp_f64 v[45:46], v[45:46], v51
	v_add_f64 v[47:48], v[49:50], -1.0
	v_add_f64 v[63:64], v[61:62], 1.0
	v_add_f64 v[47:48], v[43:44], -v[47:48]
	v_add_f64 v[43:44], v[43:44], -v[63:64]
	v_add_f64 v[47:48], v[45:46], v[47:48]
	v_add_f64 v[43:44], v[45:46], v[43:44]
	;; [unrolled: 1-line block ×4, first 2 shown]
	v_rcp_f64_e32 v[53:54], v[51:52]
	v_add_f64 v[49:50], v[51:52], -v[49:50]
	v_add_f64 v[61:62], v[63:64], -v[61:62]
	;; [unrolled: 1-line block ×3, first 2 shown]
	v_fma_f64 v[65:66], -v[51:52], v[53:54], 1.0
	v_add_f64 v[43:44], v[43:44], -v[61:62]
	v_fma_f64 v[53:54], v[65:66], v[53:54], v[53:54]
	v_fma_f64 v[45:46], -v[51:52], v[53:54], 1.0
	v_fma_f64 v[45:46], v[45:46], v[53:54], v[53:54]
	v_mul_f64 v[53:54], v[63:64], v[45:46]
	v_mul_f64 v[65:66], v[51:52], v[53:54]
	v_fma_f64 v[49:50], v[53:54], v[51:52], -v[65:66]
	v_fma_f64 v[49:50], v[53:54], v[47:48], v[49:50]
	v_add_f64 v[67:68], v[65:66], v[49:50]
	v_add_f64 v[70:71], v[63:64], -v[67:68]
	v_add_f64 v[61:62], v[67:68], -v[65:66]
	;; [unrolled: 1-line block ×5, first 2 shown]
	v_add_f64 v[43:44], v[43:44], v[63:64]
	v_add_f64 v[43:44], v[49:50], v[43:44]
	;; [unrolled: 1-line block ×3, first 2 shown]
	v_mul_f64 v[61:62], v[45:46], v[49:50]
	v_add_f64 v[67:68], v[70:71], -v[49:50]
	v_mul_f64 v[63:64], v[51:52], v[61:62]
	v_add_f64 v[43:44], v[43:44], v[67:68]
	v_fma_f64 v[51:52], v[61:62], v[51:52], -v[63:64]
	v_fma_f64 v[47:48], v[61:62], v[47:48], v[51:52]
	v_add_f64 v[51:52], v[63:64], v[47:48]
	v_add_f64 v[65:66], v[49:50], -v[51:52]
	v_add_f64 v[63:64], v[51:52], -v[63:64]
	;; [unrolled: 1-line block ×5, first 2 shown]
	v_add_f64 v[43:44], v[43:44], v[49:50]
	v_add_f64 v[49:50], v[53:54], v[61:62]
	v_add_f64 v[43:44], v[47:48], v[43:44]
	v_add_f64 v[47:48], v[49:50], -v[53:54]
	v_add_f64 v[43:44], v[65:66], v[43:44]
	v_add_f64 v[47:48], v[61:62], -v[47:48]
	v_mul_f64 v[43:44], v[45:46], v[43:44]
	v_add_f64 v[43:44], v[47:48], v[43:44]
	v_add_f64 v[45:46], v[49:50], v[43:44]
	v_mul_f64 v[47:48], v[45:46], v[45:46]
	v_fma_f64 v[51:52], v[47:48], s[34:35], s[30:31]
	s_mov_b32 s30, 0xd7f4df2e
	s_mov_b32 s31, 0x3fc7474d
	v_mul_f64 v[53:54], v[45:46], v[47:48]
	v_fma_f64 v[51:52], v[47:48], v[51:52], s[30:31]
	s_mov_b32 s30, 0x16291751
	s_mov_b32 s31, 0x3fcc71c0
	v_fma_f64 v[51:52], v[47:48], v[51:52], s[30:31]
	s_mov_b32 s30, 0x9b27acf1
	s_mov_b32 s31, 0x3fd24924
	;; [unrolled: 3-line block ×3, first 2 shown]
	v_fma_f64 v[51:52], v[47:48], v[51:52], s[30:31]
	v_fma_f64 v[47:48], v[47:48], v[51:52], s[20:21]
	v_ldexp_f64 v[51:52], v[45:46], 1
	v_add_f64 v[45:46], v[45:46], -v[49:50]
	v_cmp_nge_f64_e64 s20, -1.0, v[41:42]
	v_cmp_neq_f64_e64 s21, 0x7ff00000, v[41:42]
	v_mul_f64 v[47:48], v[53:54], v[47:48]
	v_cvt_f64_i32_e32 v[53:54], v72
	v_add_f64 v[43:44], v[43:44], -v[45:46]
	s_and_b32 s20, s20, s21
	v_add_f64 v[49:50], v[51:52], v[47:48]
	v_mul_f64 v[61:62], v[53:54], s[22:23]
	v_ldexp_f64 v[43:44], v[43:44], 1
	v_add_f64 v[45:46], v[49:50], -v[51:52]
	v_fma_f64 v[51:52], v[53:54], s[22:23], -v[61:62]
	v_cmp_ngt_f64_e64 s22, -1.0, v[41:42]
	v_add_f64 v[45:46], v[47:48], -v[45:46]
	v_fma_f64 v[47:48], v[53:54], s[24:25], v[51:52]
	v_add_f64 v[43:44], v[43:44], v[45:46]
	v_add_f64 v[45:46], v[61:62], v[47:48]
	;; [unrolled: 1-line block ×3, first 2 shown]
	v_add_f64 v[61:62], v[45:46], -v[61:62]
	v_add_f64 v[53:54], v[45:46], v[51:52]
	v_add_f64 v[49:50], v[51:52], -v[49:50]
	v_add_f64 v[47:48], v[47:48], -v[61:62]
	;; [unrolled: 1-line block ×6, first 2 shown]
	v_add_f64 v[51:52], v[47:48], v[43:44]
	v_add_f64 v[45:46], v[45:46], -v[65:66]
	v_add_f64 v[45:46], v[49:50], v[45:46]
	v_add_f64 v[49:50], v[51:52], -v[47:48]
	;; [unrolled: 2-line block ×3, first 2 shown]
	v_add_f64 v[43:44], v[43:44], -v[49:50]
	v_add_f64 v[61:62], v[53:54], v[45:46]
	v_add_f64 v[47:48], v[47:48], -v[51:52]
	v_add_f64 v[49:50], v[61:62], -v[53:54]
	v_add_f64 v[43:44], v[43:44], v[47:48]
	v_add_f64 v[45:46], v[45:46], -v[49:50]
	v_add_f64 v[43:44], v[43:44], v[45:46]
	v_add_f64 v[43:44], v[61:62], v[43:44]
	v_cndmask_b32_e64 v43, 0, v43, s20
	v_cmp_neq_f64_e64 s20, -1.0, v[41:42]
	v_cndmask_b32_e64 v44, 0x7ff00000, v44, s21
	v_cndmask_b32_e64 v44, 0x7ff80000, v44, s22
	v_cndmask_b32_e64 v44, 0xfff00000, v44, s20
	v_add_f64 v[61:62], v[39:40], v[43:44]
.LBB26_38:
	s_or_b32 exec_lo, exec_lo, s26
	v_max_f64 v[39:40], v[17:18], v[17:18]
	v_max_f64 v[41:42], v[61:62], v[61:62]
	v_cmp_u_f64_e64 s21, v[61:62], v[61:62]
	v_cmp_u_f64_e64 s20, v[17:18], v[17:18]
	v_min_f64 v[43:44], v[41:42], v[39:40]
	v_max_f64 v[41:42], v[41:42], v[39:40]
	v_cndmask_b32_e64 v43, v43, v61, s21
	v_cndmask_b32_e64 v44, v44, v62, s21
	;; [unrolled: 1-line block ×8, first 2 shown]
	v_cmp_class_f64_e64 s22, v[43:44], 0x1f8
	v_cmp_neq_f64_e64 s21, v[43:44], v[41:42]
	s_or_b32 s21, s21, s22
	s_and_saveexec_b32 s29, s21
	s_cbranch_execz .LBB26_40
; %bb.39:
	v_add_f64 v[43:44], v[43:44], -v[41:42]
	s_mov_b32 s22, 0x652b82fe
	s_mov_b32 s23, 0x3ff71547
	;; [unrolled: 1-line block ×10, first 2 shown]
	v_mul_f64 v[45:46], v[43:44], s[22:23]
	s_mov_b32 s22, 0xfca7ab0c
	s_mov_b32 s23, 0x3e928af3
	v_cmp_nlt_f64_e64 s21, 0x40900000, v[43:44]
	v_rndne_f64_e32 v[45:46], v[45:46]
	v_fma_f64 v[47:48], v[45:46], s[24:25], v[43:44]
	v_cvt_i32_f64_e32 v51, v[45:46]
	s_mov_b32 s25, 0x3fe62e42
	v_fma_f64 v[47:48], v[45:46], s[26:27], v[47:48]
	s_mov_b32 s27, 0x3c7abc9e
	v_fma_f64 v[49:50], v[47:48], s[30:31], s[22:23]
	s_mov_b32 s22, 0x623fde64
	s_mov_b32 s23, 0x3ec71dee
	;; [unrolled: 1-line block ×4, first 2 shown]
	v_fma_f64 v[49:50], v[47:48], v[49:50], s[22:23]
	s_mov_b32 s22, 0x7c89e6b0
	s_mov_b32 s23, 0x3efa0199
	v_fma_f64 v[49:50], v[47:48], v[49:50], s[22:23]
	s_mov_b32 s22, 0x14761f6e
	s_mov_b32 s23, 0x3f2a01a0
	;; [unrolled: 3-line block ×7, first 2 shown]
	v_fma_f64 v[49:50], v[47:48], v[49:50], s[22:23]
	v_cmp_ngt_f64_e64 s22, 0xc090cc00, v[43:44]
	s_mov_b32 s23, 0x3fe55555
	v_fma_f64 v[49:50], v[47:48], v[49:50], 1.0
	v_fma_f64 v[45:46], v[47:48], v[49:50], 1.0
	v_ldexp_f64 v[45:46], v[45:46], v51
	v_cndmask_b32_e64 v46, 0x7ff00000, v46, s21
	s_and_b32 s21, s22, s21
	v_cndmask_b32_e64 v43, 0, v45, s21
	v_cndmask_b32_e64 v44, 0, v46, s22
	s_mov_b32 s22, 0x55555555
	v_add_f64 v[45:46], v[43:44], 1.0
	v_frexp_mant_f64_e32 v[47:48], v[45:46]
	v_frexp_exp_i32_f64_e32 v51, v[45:46]
	v_add_f64 v[49:50], v[45:46], -1.0
	v_cmp_gt_f64_e64 s21, s[22:23], v[47:48]
	s_mov_b32 s22, 0x55555780
	v_add_f64 v[47:48], v[49:50], -v[45:46]
	v_add_f64 v[49:50], v[43:44], -v[49:50]
	v_subrev_co_ci_u32_e64 v74, null, 0, v51, s21
	v_add_f64 v[47:48], v[47:48], 1.0
	v_cmp_nge_f64_e64 s21, -1.0, v[43:44]
	v_sub_nc_u32_e32 v53, 0, v74
	v_ldexp_f64 v[45:46], v[45:46], v53
	v_add_f64 v[47:48], v[49:50], v[47:48]
	v_add_f64 v[51:52], v[45:46], 1.0
	v_add_f64 v[63:64], v[45:46], -1.0
	v_ldexp_f64 v[47:48], v[47:48], v53
	v_add_f64 v[49:50], v[51:52], -1.0
	v_add_f64 v[65:66], v[63:64], 1.0
	v_add_f64 v[49:50], v[45:46], -v[49:50]
	v_add_f64 v[45:46], v[45:46], -v[65:66]
	v_add_f64 v[49:50], v[47:48], v[49:50]
	v_add_f64 v[45:46], v[47:48], v[45:46]
	;; [unrolled: 1-line block ×4, first 2 shown]
	v_rcp_f64_e32 v[61:62], v[53:54]
	v_add_f64 v[51:52], v[53:54], -v[51:52]
	v_add_f64 v[63:64], v[65:66], -v[63:64]
	;; [unrolled: 1-line block ×3, first 2 shown]
	v_fma_f64 v[67:68], -v[53:54], v[61:62], 1.0
	v_add_f64 v[45:46], v[45:46], -v[63:64]
	v_fma_f64 v[61:62], v[67:68], v[61:62], v[61:62]
	v_fma_f64 v[47:48], -v[53:54], v[61:62], 1.0
	v_fma_f64 v[47:48], v[47:48], v[61:62], v[61:62]
	v_mul_f64 v[61:62], v[65:66], v[47:48]
	v_mul_f64 v[67:68], v[53:54], v[61:62]
	v_fma_f64 v[51:52], v[61:62], v[53:54], -v[67:68]
	v_fma_f64 v[51:52], v[61:62], v[49:50], v[51:52]
	v_add_f64 v[70:71], v[67:68], v[51:52]
	v_add_f64 v[72:73], v[65:66], -v[70:71]
	v_add_f64 v[63:64], v[70:71], -v[67:68]
	;; [unrolled: 1-line block ×5, first 2 shown]
	v_add_f64 v[45:46], v[45:46], v[65:66]
	v_add_f64 v[45:46], v[51:52], v[45:46]
	;; [unrolled: 1-line block ×3, first 2 shown]
	v_mul_f64 v[63:64], v[47:48], v[51:52]
	v_add_f64 v[70:71], v[72:73], -v[51:52]
	v_mul_f64 v[65:66], v[53:54], v[63:64]
	v_add_f64 v[45:46], v[45:46], v[70:71]
	v_fma_f64 v[53:54], v[63:64], v[53:54], -v[65:66]
	v_fma_f64 v[49:50], v[63:64], v[49:50], v[53:54]
	v_add_f64 v[53:54], v[65:66], v[49:50]
	v_add_f64 v[67:68], v[51:52], -v[53:54]
	v_add_f64 v[65:66], v[53:54], -v[65:66]
	;; [unrolled: 1-line block ×5, first 2 shown]
	v_add_f64 v[45:46], v[45:46], v[51:52]
	v_add_f64 v[51:52], v[61:62], v[63:64]
	;; [unrolled: 1-line block ×3, first 2 shown]
	v_add_f64 v[49:50], v[51:52], -v[61:62]
	v_add_f64 v[45:46], v[67:68], v[45:46]
	v_add_f64 v[49:50], v[63:64], -v[49:50]
	v_mul_f64 v[45:46], v[47:48], v[45:46]
	v_add_f64 v[45:46], v[49:50], v[45:46]
	v_add_f64 v[47:48], v[51:52], v[45:46]
	v_mul_f64 v[49:50], v[47:48], v[47:48]
	v_fma_f64 v[53:54], v[49:50], s[34:35], s[30:31]
	s_mov_b32 s30, 0xd7f4df2e
	s_mov_b32 s31, 0x3fc7474d
	v_mul_f64 v[61:62], v[47:48], v[49:50]
	v_fma_f64 v[53:54], v[49:50], v[53:54], s[30:31]
	s_mov_b32 s30, 0x16291751
	s_mov_b32 s31, 0x3fcc71c0
	v_fma_f64 v[53:54], v[49:50], v[53:54], s[30:31]
	s_mov_b32 s30, 0x9b27acf1
	s_mov_b32 s31, 0x3fd24924
	;; [unrolled: 3-line block ×3, first 2 shown]
	v_fma_f64 v[53:54], v[49:50], v[53:54], s[30:31]
	v_fma_f64 v[49:50], v[49:50], v[53:54], s[22:23]
	v_ldexp_f64 v[53:54], v[47:48], 1
	v_add_f64 v[47:48], v[47:48], -v[51:52]
	v_cmp_neq_f64_e64 s22, 0x7ff00000, v[43:44]
	v_cmp_ngt_f64_e64 s23, -1.0, v[43:44]
	v_mul_f64 v[49:50], v[61:62], v[49:50]
	v_cvt_f64_i32_e32 v[61:62], v74
	v_add_f64 v[45:46], v[45:46], -v[47:48]
	s_and_b32 s21, s21, s22
	v_add_f64 v[51:52], v[53:54], v[49:50]
	v_mul_f64 v[63:64], v[61:62], s[24:25]
	v_ldexp_f64 v[45:46], v[45:46], 1
	v_add_f64 v[47:48], v[51:52], -v[53:54]
	v_fma_f64 v[53:54], v[61:62], s[24:25], -v[63:64]
	v_add_f64 v[47:48], v[49:50], -v[47:48]
	v_fma_f64 v[49:50], v[61:62], s[26:27], v[53:54]
	v_add_f64 v[45:46], v[45:46], v[47:48]
	v_add_f64 v[47:48], v[63:64], v[49:50]
	;; [unrolled: 1-line block ×3, first 2 shown]
	v_add_f64 v[63:64], v[47:48], -v[63:64]
	v_add_f64 v[61:62], v[47:48], v[53:54]
	v_add_f64 v[51:52], v[53:54], -v[51:52]
	v_add_f64 v[49:50], v[49:50], -v[63:64]
	;; [unrolled: 1-line block ×6, first 2 shown]
	v_add_f64 v[53:54], v[49:50], v[45:46]
	v_add_f64 v[47:48], v[47:48], -v[67:68]
	v_add_f64 v[47:48], v[51:52], v[47:48]
	v_add_f64 v[51:52], v[53:54], -v[49:50]
	;; [unrolled: 2-line block ×3, first 2 shown]
	v_add_f64 v[45:46], v[45:46], -v[51:52]
	v_add_f64 v[63:64], v[61:62], v[47:48]
	v_add_f64 v[49:50], v[49:50], -v[53:54]
	v_add_f64 v[51:52], v[63:64], -v[61:62]
	v_add_f64 v[45:46], v[45:46], v[49:50]
	v_add_f64 v[47:48], v[47:48], -v[51:52]
	v_add_f64 v[45:46], v[45:46], v[47:48]
	v_add_f64 v[45:46], v[63:64], v[45:46]
	v_cndmask_b32_e64 v45, 0, v45, s21
	v_cmp_neq_f64_e64 s21, -1.0, v[43:44]
	v_cndmask_b32_e64 v46, 0x7ff00000, v46, s22
	v_cndmask_b32_e64 v46, 0x7ff80000, v46, s23
	;; [unrolled: 1-line block ×3, first 2 shown]
	v_add_f64 v[61:62], v[41:42], v[45:46]
.LBB26_40:
	s_or_b32 exec_lo, exec_lo, s29
	v_max_f64 v[41:42], v[19:20], v[19:20]
	v_max_f64 v[43:44], v[61:62], v[61:62]
	v_cmp_u_f64_e64 s22, v[61:62], v[61:62]
	v_cmp_u_f64_e64 s21, v[19:20], v[19:20]
	v_min_f64 v[45:46], v[43:44], v[41:42]
	v_max_f64 v[43:44], v[43:44], v[41:42]
	v_cndmask_b32_e64 v45, v45, v61, s22
	v_cndmask_b32_e64 v46, v46, v62, s22
	v_cndmask_b32_e64 v44, v44, v62, s22
	v_cndmask_b32_e64 v43, v43, v61, s22
	v_cndmask_b32_e64 v45, v45, v19, s21
	v_cndmask_b32_e64 v46, v46, v20, s21
	v_cndmask_b32_e64 v44, v44, v20, s21
	v_cndmask_b32_e64 v43, v43, v19, s21
	v_cmp_class_f64_e64 s23, v[45:46], 0x1f8
	v_cmp_neq_f64_e64 s22, v[45:46], v[43:44]
	s_or_b32 s22, s22, s23
	s_and_saveexec_b32 s29, s22
	s_cbranch_execz .LBB26_42
; %bb.41:
	v_add_f64 v[45:46], v[45:46], -v[43:44]
	s_mov_b32 s22, 0x652b82fe
	s_mov_b32 s23, 0x3ff71547
	;; [unrolled: 1-line block ×10, first 2 shown]
	v_mul_f64 v[47:48], v[45:46], s[22:23]
	s_mov_b32 s22, 0xfca7ab0c
	s_mov_b32 s23, 0x3e928af3
	v_rndne_f64_e32 v[47:48], v[47:48]
	v_fma_f64 v[49:50], v[47:48], s[24:25], v[45:46]
	v_cvt_i32_f64_e32 v53, v[47:48]
	s_mov_b32 s25, 0x3fe62e42
	v_fma_f64 v[49:50], v[47:48], s[26:27], v[49:50]
	s_mov_b32 s27, 0x3c7abc9e
	v_fma_f64 v[51:52], v[49:50], s[30:31], s[22:23]
	s_mov_b32 s22, 0x623fde64
	s_mov_b32 s23, 0x3ec71dee
	;; [unrolled: 1-line block ×4, first 2 shown]
	v_fma_f64 v[51:52], v[49:50], v[51:52], s[22:23]
	s_mov_b32 s22, 0x7c89e6b0
	s_mov_b32 s23, 0x3efa0199
	v_fma_f64 v[51:52], v[49:50], v[51:52], s[22:23]
	s_mov_b32 s22, 0x14761f6e
	s_mov_b32 s23, 0x3f2a01a0
	;; [unrolled: 3-line block ×7, first 2 shown]
	v_fma_f64 v[51:52], v[49:50], v[51:52], s[22:23]
	v_cmp_nlt_f64_e64 s22, 0x40900000, v[45:46]
	v_cmp_ngt_f64_e64 s23, 0xc090cc00, v[45:46]
	v_fma_f64 v[51:52], v[49:50], v[51:52], 1.0
	v_fma_f64 v[47:48], v[49:50], v[51:52], 1.0
	v_ldexp_f64 v[47:48], v[47:48], v53
	v_cndmask_b32_e64 v48, 0x7ff00000, v48, s22
	s_and_b32 s22, s23, s22
	v_cndmask_b32_e64 v45, 0, v47, s22
	s_mov_b32 s22, 0x55555555
	v_cndmask_b32_e64 v46, 0, v48, s23
	s_mov_b32 s23, 0x3fe55555
	v_add_f64 v[47:48], v[45:46], 1.0
	v_frexp_mant_f64_e32 v[49:50], v[47:48]
	v_frexp_exp_i32_f64_e32 v53, v[47:48]
	v_add_f64 v[51:52], v[47:48], -1.0
	v_cmp_gt_f64_e64 s22, s[22:23], v[49:50]
	v_add_f64 v[49:50], v[51:52], -v[47:48]
	v_add_f64 v[51:52], v[45:46], -v[51:52]
	v_subrev_co_ci_u32_e64 v76, null, 0, v53, s22
	v_add_f64 v[49:50], v[49:50], 1.0
	s_mov_b32 s22, 0x55555780
	v_sub_nc_u32_e32 v61, 0, v76
	v_ldexp_f64 v[47:48], v[47:48], v61
	v_add_f64 v[49:50], v[51:52], v[49:50]
	v_add_f64 v[53:54], v[47:48], 1.0
	v_add_f64 v[65:66], v[47:48], -1.0
	v_ldexp_f64 v[49:50], v[49:50], v61
	v_add_f64 v[51:52], v[53:54], -1.0
	v_add_f64 v[67:68], v[65:66], 1.0
	v_add_f64 v[51:52], v[47:48], -v[51:52]
	v_add_f64 v[47:48], v[47:48], -v[67:68]
	v_add_f64 v[51:52], v[49:50], v[51:52]
	v_add_f64 v[47:48], v[49:50], v[47:48]
	;; [unrolled: 1-line block ×4, first 2 shown]
	v_rcp_f64_e32 v[63:64], v[61:62]
	v_add_f64 v[53:54], v[61:62], -v[53:54]
	v_add_f64 v[65:66], v[67:68], -v[65:66]
	;; [unrolled: 1-line block ×3, first 2 shown]
	v_fma_f64 v[70:71], -v[61:62], v[63:64], 1.0
	v_add_f64 v[47:48], v[47:48], -v[65:66]
	v_fma_f64 v[63:64], v[70:71], v[63:64], v[63:64]
	v_fma_f64 v[49:50], -v[61:62], v[63:64], 1.0
	v_fma_f64 v[49:50], v[49:50], v[63:64], v[63:64]
	v_mul_f64 v[63:64], v[67:68], v[49:50]
	v_mul_f64 v[70:71], v[61:62], v[63:64]
	v_fma_f64 v[53:54], v[63:64], v[61:62], -v[70:71]
	v_fma_f64 v[53:54], v[63:64], v[51:52], v[53:54]
	v_add_f64 v[72:73], v[70:71], v[53:54]
	v_add_f64 v[74:75], v[67:68], -v[72:73]
	v_add_f64 v[65:66], v[72:73], -v[70:71]
	;; [unrolled: 1-line block ×5, first 2 shown]
	v_add_f64 v[47:48], v[47:48], v[67:68]
	v_add_f64 v[47:48], v[53:54], v[47:48]
	;; [unrolled: 1-line block ×3, first 2 shown]
	v_mul_f64 v[65:66], v[49:50], v[53:54]
	v_add_f64 v[72:73], v[74:75], -v[53:54]
	v_mul_f64 v[67:68], v[61:62], v[65:66]
	v_add_f64 v[47:48], v[47:48], v[72:73]
	v_fma_f64 v[61:62], v[65:66], v[61:62], -v[67:68]
	v_fma_f64 v[51:52], v[65:66], v[51:52], v[61:62]
	v_add_f64 v[61:62], v[67:68], v[51:52]
	v_add_f64 v[70:71], v[53:54], -v[61:62]
	v_add_f64 v[67:68], v[61:62], -v[67:68]
	;; [unrolled: 1-line block ×5, first 2 shown]
	v_add_f64 v[47:48], v[47:48], v[53:54]
	v_add_f64 v[53:54], v[63:64], v[65:66]
	;; [unrolled: 1-line block ×3, first 2 shown]
	v_add_f64 v[51:52], v[53:54], -v[63:64]
	v_add_f64 v[47:48], v[70:71], v[47:48]
	v_add_f64 v[51:52], v[65:66], -v[51:52]
	v_mul_f64 v[47:48], v[49:50], v[47:48]
	v_add_f64 v[47:48], v[51:52], v[47:48]
	v_add_f64 v[49:50], v[53:54], v[47:48]
	v_mul_f64 v[51:52], v[49:50], v[49:50]
	v_fma_f64 v[61:62], v[51:52], s[34:35], s[30:31]
	s_mov_b32 s30, 0xd7f4df2e
	s_mov_b32 s31, 0x3fc7474d
	v_mul_f64 v[63:64], v[49:50], v[51:52]
	v_fma_f64 v[61:62], v[51:52], v[61:62], s[30:31]
	s_mov_b32 s30, 0x16291751
	s_mov_b32 s31, 0x3fcc71c0
	v_fma_f64 v[61:62], v[51:52], v[61:62], s[30:31]
	s_mov_b32 s30, 0x9b27acf1
	s_mov_b32 s31, 0x3fd24924
	;; [unrolled: 3-line block ×3, first 2 shown]
	v_fma_f64 v[61:62], v[51:52], v[61:62], s[30:31]
	v_fma_f64 v[51:52], v[51:52], v[61:62], s[22:23]
	v_ldexp_f64 v[61:62], v[49:50], 1
	v_add_f64 v[49:50], v[49:50], -v[53:54]
	v_cmp_nge_f64_e64 s22, -1.0, v[45:46]
	v_cmp_neq_f64_e64 s23, 0x7ff00000, v[45:46]
	v_mul_f64 v[51:52], v[63:64], v[51:52]
	v_cvt_f64_i32_e32 v[63:64], v76
	v_add_f64 v[47:48], v[47:48], -v[49:50]
	s_and_b32 s22, s22, s23
	v_add_f64 v[53:54], v[61:62], v[51:52]
	v_mul_f64 v[65:66], v[63:64], s[24:25]
	v_ldexp_f64 v[47:48], v[47:48], 1
	v_add_f64 v[49:50], v[53:54], -v[61:62]
	v_fma_f64 v[61:62], v[63:64], s[24:25], -v[65:66]
	v_cmp_ngt_f64_e64 s24, -1.0, v[45:46]
	v_add_f64 v[49:50], v[51:52], -v[49:50]
	v_fma_f64 v[51:52], v[63:64], s[26:27], v[61:62]
	v_add_f64 v[47:48], v[47:48], v[49:50]
	v_add_f64 v[49:50], v[65:66], v[51:52]
	;; [unrolled: 1-line block ×3, first 2 shown]
	v_add_f64 v[65:66], v[49:50], -v[65:66]
	v_add_f64 v[63:64], v[49:50], v[61:62]
	v_add_f64 v[53:54], v[61:62], -v[53:54]
	v_add_f64 v[51:52], v[51:52], -v[65:66]
	;; [unrolled: 1-line block ×6, first 2 shown]
	v_add_f64 v[61:62], v[51:52], v[47:48]
	v_add_f64 v[49:50], v[49:50], -v[70:71]
	v_add_f64 v[49:50], v[53:54], v[49:50]
	v_add_f64 v[53:54], v[61:62], -v[51:52]
	;; [unrolled: 2-line block ×3, first 2 shown]
	v_add_f64 v[47:48], v[47:48], -v[53:54]
	v_add_f64 v[65:66], v[63:64], v[49:50]
	v_add_f64 v[51:52], v[51:52], -v[61:62]
	v_add_f64 v[53:54], v[65:66], -v[63:64]
	v_add_f64 v[47:48], v[47:48], v[51:52]
	v_add_f64 v[49:50], v[49:50], -v[53:54]
	v_add_f64 v[47:48], v[47:48], v[49:50]
	v_add_f64 v[47:48], v[65:66], v[47:48]
	v_cndmask_b32_e64 v47, 0, v47, s22
	v_cmp_neq_f64_e64 s22, -1.0, v[45:46]
	v_cndmask_b32_e64 v48, 0x7ff00000, v48, s23
	v_cndmask_b32_e64 v48, 0x7ff80000, v48, s24
	;; [unrolled: 1-line block ×3, first 2 shown]
	v_add_f64 v[61:62], v[43:44], v[47:48]
.LBB26_42:
	s_or_b32 exec_lo, exec_lo, s29
	v_max_f64 v[43:44], v[13:14], v[13:14]
	v_max_f64 v[45:46], v[61:62], v[61:62]
	v_cmp_u_f64_e64 s23, v[61:62], v[61:62]
	v_cmp_u_f64_e64 s22, v[13:14], v[13:14]
	v_min_f64 v[47:48], v[45:46], v[43:44]
	v_max_f64 v[45:46], v[45:46], v[43:44]
	v_cndmask_b32_e64 v47, v47, v61, s23
	v_cndmask_b32_e64 v48, v48, v62, s23
	;; [unrolled: 1-line block ×8, first 2 shown]
	v_cmp_class_f64_e64 s24, v[47:48], 0x1f8
	v_cmp_neq_f64_e64 s23, v[47:48], v[45:46]
	s_or_b32 s23, s23, s24
	s_and_saveexec_b32 s29, s23
	s_cbranch_execz .LBB26_44
; %bb.43:
	v_add_f64 v[47:48], v[47:48], -v[45:46]
	s_mov_b32 s24, 0x652b82fe
	s_mov_b32 s25, 0x3ff71547
	;; [unrolled: 1-line block ×10, first 2 shown]
	v_mul_f64 v[49:50], v[47:48], s[24:25]
	s_mov_b32 s24, 0xfca7ab0c
	s_mov_b32 s25, 0x3e928af3
	v_cmp_nlt_f64_e64 s23, 0x40900000, v[47:48]
	v_rndne_f64_e32 v[49:50], v[49:50]
	v_fma_f64 v[51:52], v[49:50], s[26:27], v[47:48]
	v_cvt_i32_f64_e32 v61, v[49:50]
	s_mov_b32 s27, 0x3fe62e42
	v_fma_f64 v[51:52], v[49:50], s[30:31], v[51:52]
	s_mov_b32 s31, 0x3c7abc9e
	v_fma_f64 v[53:54], v[51:52], s[34:35], s[24:25]
	s_mov_b32 s24, 0x623fde64
	s_mov_b32 s25, 0x3ec71dee
	;; [unrolled: 1-line block ×4, first 2 shown]
	v_fma_f64 v[53:54], v[51:52], v[53:54], s[24:25]
	s_mov_b32 s24, 0x7c89e6b0
	s_mov_b32 s25, 0x3efa0199
	v_fma_f64 v[53:54], v[51:52], v[53:54], s[24:25]
	s_mov_b32 s24, 0x14761f6e
	s_mov_b32 s25, 0x3f2a01a0
	;; [unrolled: 3-line block ×7, first 2 shown]
	v_fma_f64 v[53:54], v[51:52], v[53:54], s[24:25]
	v_cmp_ngt_f64_e64 s24, 0xc090cc00, v[47:48]
	s_mov_b32 s25, 0x3fe55555
	v_fma_f64 v[53:54], v[51:52], v[53:54], 1.0
	v_fma_f64 v[49:50], v[51:52], v[53:54], 1.0
	v_ldexp_f64 v[49:50], v[49:50], v61
	v_cndmask_b32_e64 v50, 0x7ff00000, v50, s23
	s_and_b32 s23, s24, s23
	v_cndmask_b32_e64 v47, 0, v49, s23
	v_cndmask_b32_e64 v48, 0, v50, s24
	s_mov_b32 s24, 0x55555555
	v_add_f64 v[49:50], v[47:48], 1.0
	v_frexp_mant_f64_e32 v[51:52], v[49:50]
	v_frexp_exp_i32_f64_e32 v61, v[49:50]
	v_add_f64 v[53:54], v[49:50], -1.0
	v_cmp_gt_f64_e64 s23, s[24:25], v[51:52]
	s_mov_b32 s24, 0x55555780
	v_add_f64 v[51:52], v[53:54], -v[49:50]
	v_add_f64 v[53:54], v[47:48], -v[53:54]
	v_subrev_co_ci_u32_e64 v78, null, 0, v61, s23
	v_add_f64 v[51:52], v[51:52], 1.0
	v_cmp_nge_f64_e64 s23, -1.0, v[47:48]
	v_sub_nc_u32_e32 v63, 0, v78
	v_ldexp_f64 v[49:50], v[49:50], v63
	v_add_f64 v[51:52], v[53:54], v[51:52]
	v_add_f64 v[61:62], v[49:50], 1.0
	v_add_f64 v[67:68], v[49:50], -1.0
	v_ldexp_f64 v[51:52], v[51:52], v63
	v_add_f64 v[53:54], v[61:62], -1.0
	v_add_f64 v[70:71], v[67:68], 1.0
	v_add_f64 v[53:54], v[49:50], -v[53:54]
	v_add_f64 v[49:50], v[49:50], -v[70:71]
	v_add_f64 v[53:54], v[51:52], v[53:54]
	v_add_f64 v[49:50], v[51:52], v[49:50]
	;; [unrolled: 1-line block ×4, first 2 shown]
	v_rcp_f64_e32 v[65:66], v[63:64]
	v_add_f64 v[61:62], v[63:64], -v[61:62]
	v_add_f64 v[67:68], v[70:71], -v[67:68]
	;; [unrolled: 1-line block ×3, first 2 shown]
	v_fma_f64 v[72:73], -v[63:64], v[65:66], 1.0
	v_add_f64 v[49:50], v[49:50], -v[67:68]
	v_fma_f64 v[65:66], v[72:73], v[65:66], v[65:66]
	v_fma_f64 v[51:52], -v[63:64], v[65:66], 1.0
	v_fma_f64 v[51:52], v[51:52], v[65:66], v[65:66]
	v_mul_f64 v[65:66], v[70:71], v[51:52]
	v_mul_f64 v[72:73], v[63:64], v[65:66]
	v_fma_f64 v[61:62], v[65:66], v[63:64], -v[72:73]
	v_fma_f64 v[61:62], v[65:66], v[53:54], v[61:62]
	v_add_f64 v[74:75], v[72:73], v[61:62]
	v_add_f64 v[76:77], v[70:71], -v[74:75]
	v_add_f64 v[67:68], v[74:75], -v[72:73]
	;; [unrolled: 1-line block ×5, first 2 shown]
	v_add_f64 v[49:50], v[49:50], v[70:71]
	v_add_f64 v[49:50], v[61:62], v[49:50]
	;; [unrolled: 1-line block ×3, first 2 shown]
	v_mul_f64 v[67:68], v[51:52], v[61:62]
	v_add_f64 v[74:75], v[76:77], -v[61:62]
	v_mul_f64 v[70:71], v[63:64], v[67:68]
	v_add_f64 v[49:50], v[49:50], v[74:75]
	v_fma_f64 v[63:64], v[67:68], v[63:64], -v[70:71]
	v_fma_f64 v[53:54], v[67:68], v[53:54], v[63:64]
	v_add_f64 v[63:64], v[70:71], v[53:54]
	v_add_f64 v[72:73], v[61:62], -v[63:64]
	v_add_f64 v[70:71], v[63:64], -v[70:71]
	;; [unrolled: 1-line block ×5, first 2 shown]
	v_add_f64 v[49:50], v[49:50], v[61:62]
	v_add_f64 v[61:62], v[65:66], v[67:68]
	;; [unrolled: 1-line block ×3, first 2 shown]
	v_add_f64 v[53:54], v[61:62], -v[65:66]
	v_add_f64 v[49:50], v[72:73], v[49:50]
	v_add_f64 v[53:54], v[67:68], -v[53:54]
	v_mul_f64 v[49:50], v[51:52], v[49:50]
	v_add_f64 v[49:50], v[53:54], v[49:50]
	v_add_f64 v[51:52], v[61:62], v[49:50]
	v_mul_f64 v[53:54], v[51:52], v[51:52]
	v_fma_f64 v[63:64], v[53:54], s[36:37], s[34:35]
	s_mov_b32 s34, 0xd7f4df2e
	s_mov_b32 s35, 0x3fc7474d
	v_mul_f64 v[65:66], v[51:52], v[53:54]
	v_fma_f64 v[63:64], v[53:54], v[63:64], s[34:35]
	s_mov_b32 s34, 0x16291751
	s_mov_b32 s35, 0x3fcc71c0
	v_fma_f64 v[63:64], v[53:54], v[63:64], s[34:35]
	s_mov_b32 s34, 0x9b27acf1
	s_mov_b32 s35, 0x3fd24924
	;; [unrolled: 3-line block ×3, first 2 shown]
	v_fma_f64 v[63:64], v[53:54], v[63:64], s[34:35]
	v_fma_f64 v[53:54], v[53:54], v[63:64], s[24:25]
	v_ldexp_f64 v[63:64], v[51:52], 1
	v_add_f64 v[51:52], v[51:52], -v[61:62]
	v_cmp_neq_f64_e64 s24, 0x7ff00000, v[47:48]
	v_cmp_ngt_f64_e64 s25, -1.0, v[47:48]
	v_mul_f64 v[53:54], v[65:66], v[53:54]
	v_cvt_f64_i32_e32 v[65:66], v78
	v_add_f64 v[49:50], v[49:50], -v[51:52]
	s_and_b32 s23, s23, s24
	v_add_f64 v[61:62], v[63:64], v[53:54]
	v_mul_f64 v[67:68], v[65:66], s[26:27]
	v_ldexp_f64 v[49:50], v[49:50], 1
	v_add_f64 v[51:52], v[61:62], -v[63:64]
	v_fma_f64 v[63:64], v[65:66], s[26:27], -v[67:68]
	v_add_f64 v[51:52], v[53:54], -v[51:52]
	v_fma_f64 v[53:54], v[65:66], s[30:31], v[63:64]
	v_add_f64 v[49:50], v[49:50], v[51:52]
	v_add_f64 v[51:52], v[67:68], v[53:54]
	;; [unrolled: 1-line block ×3, first 2 shown]
	v_add_f64 v[67:68], v[51:52], -v[67:68]
	v_add_f64 v[65:66], v[51:52], v[63:64]
	v_add_f64 v[61:62], v[63:64], -v[61:62]
	v_add_f64 v[53:54], v[53:54], -v[67:68]
	;; [unrolled: 1-line block ×6, first 2 shown]
	v_add_f64 v[63:64], v[53:54], v[49:50]
	v_add_f64 v[51:52], v[51:52], -v[72:73]
	v_add_f64 v[51:52], v[61:62], v[51:52]
	v_add_f64 v[61:62], v[63:64], -v[53:54]
	;; [unrolled: 2-line block ×3, first 2 shown]
	v_add_f64 v[49:50], v[49:50], -v[61:62]
	v_add_f64 v[67:68], v[65:66], v[51:52]
	v_add_f64 v[53:54], v[53:54], -v[63:64]
	v_add_f64 v[61:62], v[67:68], -v[65:66]
	v_add_f64 v[49:50], v[49:50], v[53:54]
	v_add_f64 v[51:52], v[51:52], -v[61:62]
	v_add_f64 v[49:50], v[49:50], v[51:52]
	v_add_f64 v[49:50], v[67:68], v[49:50]
	v_cndmask_b32_e64 v49, 0, v49, s23
	v_cmp_neq_f64_e64 s23, -1.0, v[47:48]
	v_cndmask_b32_e64 v50, 0x7ff00000, v50, s24
	v_cndmask_b32_e64 v50, 0x7ff80000, v50, s25
	;; [unrolled: 1-line block ×3, first 2 shown]
	v_add_f64 v[61:62], v[45:46], v[49:50]
.LBB26_44:
	s_or_b32 exec_lo, exec_lo, s29
	v_max_f64 v[45:46], v[15:16], v[15:16]
	v_max_f64 v[47:48], v[61:62], v[61:62]
	v_cmp_u_f64_e64 s24, v[61:62], v[61:62]
	v_cmp_u_f64_e64 s23, v[15:16], v[15:16]
	v_min_f64 v[49:50], v[47:48], v[45:46]
	v_max_f64 v[47:48], v[47:48], v[45:46]
	v_cndmask_b32_e64 v49, v49, v61, s24
	v_cndmask_b32_e64 v50, v50, v62, s24
	;; [unrolled: 1-line block ×8, first 2 shown]
	v_cmp_class_f64_e64 s25, v[49:50], 0x1f8
	v_cmp_neq_f64_e64 s24, v[49:50], v[47:48]
	s_or_b32 s24, s24, s25
	s_and_saveexec_b32 s29, s24
	s_cbranch_execz .LBB26_46
; %bb.45:
	v_add_f64 v[49:50], v[49:50], -v[47:48]
	s_mov_b32 s24, 0x652b82fe
	s_mov_b32 s25, 0x3ff71547
	;; [unrolled: 1-line block ×10, first 2 shown]
	v_mul_f64 v[51:52], v[49:50], s[24:25]
	s_mov_b32 s24, 0xfca7ab0c
	s_mov_b32 s25, 0x3e928af3
	v_rndne_f64_e32 v[51:52], v[51:52]
	v_fma_f64 v[53:54], v[51:52], s[26:27], v[49:50]
	v_cvt_i32_f64_e32 v63, v[51:52]
	s_mov_b32 s27, 0x3fe62e42
	v_fma_f64 v[53:54], v[51:52], s[30:31], v[53:54]
	s_mov_b32 s31, 0x3c7abc9e
	v_fma_f64 v[61:62], v[53:54], s[34:35], s[24:25]
	s_mov_b32 s24, 0x623fde64
	s_mov_b32 s25, 0x3ec71dee
	;; [unrolled: 1-line block ×4, first 2 shown]
	v_fma_f64 v[61:62], v[53:54], v[61:62], s[24:25]
	s_mov_b32 s24, 0x7c89e6b0
	s_mov_b32 s25, 0x3efa0199
	v_fma_f64 v[61:62], v[53:54], v[61:62], s[24:25]
	s_mov_b32 s24, 0x14761f6e
	s_mov_b32 s25, 0x3f2a01a0
	;; [unrolled: 3-line block ×7, first 2 shown]
	v_fma_f64 v[61:62], v[53:54], v[61:62], s[24:25]
	v_cmp_nlt_f64_e64 s24, 0x40900000, v[49:50]
	v_cmp_ngt_f64_e64 s25, 0xc090cc00, v[49:50]
	v_fma_f64 v[61:62], v[53:54], v[61:62], 1.0
	v_fma_f64 v[51:52], v[53:54], v[61:62], 1.0
	v_ldexp_f64 v[51:52], v[51:52], v63
	v_cndmask_b32_e64 v52, 0x7ff00000, v52, s24
	s_and_b32 s24, s25, s24
	v_cndmask_b32_e64 v49, 0, v51, s24
	s_mov_b32 s24, 0x55555555
	v_cndmask_b32_e64 v50, 0, v52, s25
	s_mov_b32 s25, 0x3fe55555
	v_add_f64 v[51:52], v[49:50], 1.0
	v_frexp_mant_f64_e32 v[53:54], v[51:52]
	v_frexp_exp_i32_f64_e32 v63, v[51:52]
	v_add_f64 v[61:62], v[51:52], -1.0
	v_cmp_gt_f64_e64 s24, s[24:25], v[53:54]
	v_add_f64 v[53:54], v[61:62], -v[51:52]
	v_add_f64 v[61:62], v[49:50], -v[61:62]
	v_subrev_co_ci_u32_e64 v80, null, 0, v63, s24
	v_add_f64 v[53:54], v[53:54], 1.0
	s_mov_b32 s24, 0x55555780
	v_sub_nc_u32_e32 v65, 0, v80
	v_ldexp_f64 v[51:52], v[51:52], v65
	v_add_f64 v[53:54], v[61:62], v[53:54]
	v_add_f64 v[63:64], v[51:52], 1.0
	v_add_f64 v[70:71], v[51:52], -1.0
	v_ldexp_f64 v[53:54], v[53:54], v65
	v_add_f64 v[61:62], v[63:64], -1.0
	v_add_f64 v[72:73], v[70:71], 1.0
	v_add_f64 v[61:62], v[51:52], -v[61:62]
	v_add_f64 v[51:52], v[51:52], -v[72:73]
	v_add_f64 v[61:62], v[53:54], v[61:62]
	v_add_f64 v[51:52], v[53:54], v[51:52]
	;; [unrolled: 1-line block ×4, first 2 shown]
	v_rcp_f64_e32 v[67:68], v[65:66]
	v_add_f64 v[63:64], v[65:66], -v[63:64]
	v_add_f64 v[70:71], v[72:73], -v[70:71]
	;; [unrolled: 1-line block ×3, first 2 shown]
	v_fma_f64 v[74:75], -v[65:66], v[67:68], 1.0
	v_add_f64 v[51:52], v[51:52], -v[70:71]
	v_fma_f64 v[67:68], v[74:75], v[67:68], v[67:68]
	v_fma_f64 v[53:54], -v[65:66], v[67:68], 1.0
	v_fma_f64 v[53:54], v[53:54], v[67:68], v[67:68]
	v_mul_f64 v[67:68], v[72:73], v[53:54]
	v_mul_f64 v[74:75], v[65:66], v[67:68]
	v_fma_f64 v[63:64], v[67:68], v[65:66], -v[74:75]
	v_fma_f64 v[63:64], v[67:68], v[61:62], v[63:64]
	v_add_f64 v[76:77], v[74:75], v[63:64]
	v_add_f64 v[78:79], v[72:73], -v[76:77]
	v_add_f64 v[70:71], v[76:77], -v[74:75]
	;; [unrolled: 1-line block ×5, first 2 shown]
	v_add_f64 v[51:52], v[51:52], v[72:73]
	v_add_f64 v[51:52], v[63:64], v[51:52]
	;; [unrolled: 1-line block ×3, first 2 shown]
	v_mul_f64 v[70:71], v[53:54], v[63:64]
	v_add_f64 v[76:77], v[78:79], -v[63:64]
	v_mul_f64 v[72:73], v[65:66], v[70:71]
	v_add_f64 v[51:52], v[51:52], v[76:77]
	v_fma_f64 v[65:66], v[70:71], v[65:66], -v[72:73]
	v_fma_f64 v[61:62], v[70:71], v[61:62], v[65:66]
	v_add_f64 v[65:66], v[72:73], v[61:62]
	v_add_f64 v[74:75], v[63:64], -v[65:66]
	v_add_f64 v[72:73], v[65:66], -v[72:73]
	;; [unrolled: 1-line block ×5, first 2 shown]
	v_add_f64 v[51:52], v[51:52], v[63:64]
	v_add_f64 v[63:64], v[67:68], v[70:71]
	;; [unrolled: 1-line block ×3, first 2 shown]
	v_add_f64 v[61:62], v[63:64], -v[67:68]
	v_add_f64 v[51:52], v[74:75], v[51:52]
	v_add_f64 v[61:62], v[70:71], -v[61:62]
	v_mul_f64 v[51:52], v[53:54], v[51:52]
	v_add_f64 v[51:52], v[61:62], v[51:52]
	v_add_f64 v[53:54], v[63:64], v[51:52]
	v_mul_f64 v[61:62], v[53:54], v[53:54]
	v_fma_f64 v[65:66], v[61:62], s[36:37], s[34:35]
	s_mov_b32 s34, 0xd7f4df2e
	s_mov_b32 s35, 0x3fc7474d
	v_mul_f64 v[67:68], v[53:54], v[61:62]
	v_fma_f64 v[65:66], v[61:62], v[65:66], s[34:35]
	s_mov_b32 s34, 0x16291751
	s_mov_b32 s35, 0x3fcc71c0
	v_fma_f64 v[65:66], v[61:62], v[65:66], s[34:35]
	s_mov_b32 s34, 0x9b27acf1
	s_mov_b32 s35, 0x3fd24924
	;; [unrolled: 3-line block ×3, first 2 shown]
	v_fma_f64 v[65:66], v[61:62], v[65:66], s[34:35]
	v_fma_f64 v[61:62], v[61:62], v[65:66], s[24:25]
	v_ldexp_f64 v[65:66], v[53:54], 1
	v_add_f64 v[53:54], v[53:54], -v[63:64]
	v_cmp_nge_f64_e64 s24, -1.0, v[49:50]
	v_cmp_neq_f64_e64 s25, 0x7ff00000, v[49:50]
	v_mul_f64 v[61:62], v[67:68], v[61:62]
	v_cvt_f64_i32_e32 v[67:68], v80
	v_add_f64 v[51:52], v[51:52], -v[53:54]
	s_and_b32 s24, s24, s25
	v_add_f64 v[63:64], v[65:66], v[61:62]
	v_mul_f64 v[70:71], v[67:68], s[26:27]
	v_ldexp_f64 v[51:52], v[51:52], 1
	v_add_f64 v[53:54], v[63:64], -v[65:66]
	v_fma_f64 v[65:66], v[67:68], s[26:27], -v[70:71]
	v_cmp_ngt_f64_e64 s26, -1.0, v[49:50]
	v_add_f64 v[53:54], v[61:62], -v[53:54]
	v_fma_f64 v[61:62], v[67:68], s[30:31], v[65:66]
	v_add_f64 v[51:52], v[51:52], v[53:54]
	v_add_f64 v[53:54], v[70:71], v[61:62]
	;; [unrolled: 1-line block ×3, first 2 shown]
	v_add_f64 v[70:71], v[53:54], -v[70:71]
	v_add_f64 v[67:68], v[53:54], v[65:66]
	v_add_f64 v[63:64], v[65:66], -v[63:64]
	v_add_f64 v[61:62], v[61:62], -v[70:71]
	v_add_f64 v[72:73], v[67:68], -v[53:54]
	v_add_f64 v[51:52], v[51:52], -v[63:64]
	v_add_f64 v[74:75], v[67:68], -v[72:73]
	v_add_f64 v[63:64], v[65:66], -v[72:73]
	v_add_f64 v[65:66], v[61:62], v[51:52]
	v_add_f64 v[53:54], v[53:54], -v[74:75]
	v_add_f64 v[53:54], v[63:64], v[53:54]
	v_add_f64 v[63:64], v[65:66], -v[61:62]
	;; [unrolled: 2-line block ×3, first 2 shown]
	v_add_f64 v[51:52], v[51:52], -v[63:64]
	v_add_f64 v[70:71], v[67:68], v[53:54]
	v_add_f64 v[61:62], v[61:62], -v[65:66]
	v_add_f64 v[63:64], v[70:71], -v[67:68]
	v_add_f64 v[51:52], v[51:52], v[61:62]
	v_add_f64 v[53:54], v[53:54], -v[63:64]
	v_add_f64 v[51:52], v[51:52], v[53:54]
	v_add_f64 v[51:52], v[70:71], v[51:52]
	v_cndmask_b32_e64 v51, 0, v51, s24
	v_cmp_neq_f64_e64 s24, -1.0, v[49:50]
	v_cndmask_b32_e64 v52, 0x7ff00000, v52, s25
	v_cndmask_b32_e64 v52, 0x7ff80000, v52, s26
	;; [unrolled: 1-line block ×3, first 2 shown]
	v_add_f64 v[61:62], v[47:48], v[51:52]
.LBB26_46:
	s_or_b32 exec_lo, exec_lo, s29
	v_max_f64 v[47:48], v[9:10], v[9:10]
	v_max_f64 v[49:50], v[61:62], v[61:62]
	v_cmp_u_f64_e64 s25, v[61:62], v[61:62]
	v_cmp_u_f64_e64 s24, v[9:10], v[9:10]
	v_min_f64 v[51:52], v[49:50], v[47:48]
	v_max_f64 v[49:50], v[49:50], v[47:48]
	v_cndmask_b32_e64 v51, v51, v61, s25
	v_cndmask_b32_e64 v52, v52, v62, s25
	;; [unrolled: 1-line block ×8, first 2 shown]
	v_cmp_class_f64_e64 s26, v[51:52], 0x1f8
	v_cmp_neq_f64_e64 s25, v[51:52], v[49:50]
	s_or_b32 s25, s25, s26
	s_and_saveexec_b32 s29, s25
	s_cbranch_execz .LBB26_48
; %bb.47:
	v_add_f64 v[51:52], v[51:52], -v[49:50]
	s_mov_b32 s26, 0x652b82fe
	s_mov_b32 s27, 0x3ff71547
	;; [unrolled: 1-line block ×10, first 2 shown]
	v_mul_f64 v[53:54], v[51:52], s[26:27]
	s_mov_b32 s26, 0xfca7ab0c
	s_mov_b32 s27, 0x3e928af3
	v_cmp_nlt_f64_e64 s25, 0x40900000, v[51:52]
	v_rndne_f64_e32 v[53:54], v[53:54]
	v_fma_f64 v[61:62], v[53:54], s[30:31], v[51:52]
	v_cvt_i32_f64_e32 v65, v[53:54]
	s_mov_b32 s31, 0x3fe62e42
	v_fma_f64 v[61:62], v[53:54], s[34:35], v[61:62]
	s_mov_b32 s35, 0x3c7abc9e
	v_fma_f64 v[63:64], v[61:62], s[36:37], s[26:27]
	s_mov_b32 s26, 0x623fde64
	s_mov_b32 s27, 0x3ec71dee
	;; [unrolled: 1-line block ×4, first 2 shown]
	v_fma_f64 v[63:64], v[61:62], v[63:64], s[26:27]
	s_mov_b32 s26, 0x7c89e6b0
	s_mov_b32 s27, 0x3efa0199
	v_fma_f64 v[63:64], v[61:62], v[63:64], s[26:27]
	s_mov_b32 s26, 0x14761f6e
	s_mov_b32 s27, 0x3f2a01a0
	v_fma_f64 v[63:64], v[61:62], v[63:64], s[26:27]
	s_mov_b32 s26, 0x1852b7b0
	s_mov_b32 s27, 0x3f56c16c
	v_fma_f64 v[63:64], v[61:62], v[63:64], s[26:27]
	s_mov_b32 s26, 0x11122322
	s_mov_b32 s27, 0x3f811111
	v_fma_f64 v[63:64], v[61:62], v[63:64], s[26:27]
	s_mov_b32 s26, 0x555502a1
	s_mov_b32 s27, 0x3fa55555
	v_fma_f64 v[63:64], v[61:62], v[63:64], s[26:27]
	s_mov_b32 s26, 0x55555511
	s_mov_b32 s27, 0x3fc55555
	v_fma_f64 v[63:64], v[61:62], v[63:64], s[26:27]
	s_mov_b32 s26, 11
	s_mov_b32 s27, 0x3fe00000
	v_fma_f64 v[63:64], v[61:62], v[63:64], s[26:27]
	v_cmp_ngt_f64_e64 s26, 0xc090cc00, v[51:52]
	s_mov_b32 s27, 0x3fe55555
	v_fma_f64 v[63:64], v[61:62], v[63:64], 1.0
	v_fma_f64 v[53:54], v[61:62], v[63:64], 1.0
	v_ldexp_f64 v[53:54], v[53:54], v65
	v_cndmask_b32_e64 v54, 0x7ff00000, v54, s25
	s_and_b32 s25, s26, s25
	v_cndmask_b32_e64 v51, 0, v53, s25
	v_cndmask_b32_e64 v52, 0, v54, s26
	s_mov_b32 s26, 0x55555555
	v_add_f64 v[53:54], v[51:52], 1.0
	v_frexp_mant_f64_e32 v[61:62], v[53:54]
	v_frexp_exp_i32_f64_e32 v65, v[53:54]
	v_add_f64 v[63:64], v[53:54], -1.0
	v_cmp_gt_f64_e64 s25, s[26:27], v[61:62]
	s_mov_b32 s26, 0x55555780
	v_add_f64 v[61:62], v[63:64], -v[53:54]
	v_add_f64 v[63:64], v[51:52], -v[63:64]
	v_subrev_co_ci_u32_e64 v82, null, 0, v65, s25
	v_add_f64 v[61:62], v[61:62], 1.0
	v_cmp_nge_f64_e64 s25, -1.0, v[51:52]
	v_sub_nc_u32_e32 v67, 0, v82
	v_ldexp_f64 v[53:54], v[53:54], v67
	v_add_f64 v[61:62], v[63:64], v[61:62]
	v_add_f64 v[65:66], v[53:54], 1.0
	v_add_f64 v[72:73], v[53:54], -1.0
	v_ldexp_f64 v[61:62], v[61:62], v67
	v_add_f64 v[63:64], v[65:66], -1.0
	v_add_f64 v[74:75], v[72:73], 1.0
	v_add_f64 v[63:64], v[53:54], -v[63:64]
	v_add_f64 v[53:54], v[53:54], -v[74:75]
	v_add_f64 v[63:64], v[61:62], v[63:64]
	v_add_f64 v[53:54], v[61:62], v[53:54]
	v_add_f64 v[67:68], v[65:66], v[63:64]
	v_add_f64 v[74:75], v[72:73], v[53:54]
	v_rcp_f64_e32 v[70:71], v[67:68]
	v_add_f64 v[65:66], v[67:68], -v[65:66]
	v_add_f64 v[72:73], v[74:75], -v[72:73]
	;; [unrolled: 1-line block ×3, first 2 shown]
	v_fma_f64 v[76:77], -v[67:68], v[70:71], 1.0
	v_add_f64 v[53:54], v[53:54], -v[72:73]
	v_fma_f64 v[70:71], v[76:77], v[70:71], v[70:71]
	v_fma_f64 v[61:62], -v[67:68], v[70:71], 1.0
	v_fma_f64 v[61:62], v[61:62], v[70:71], v[70:71]
	v_mul_f64 v[70:71], v[74:75], v[61:62]
	v_mul_f64 v[76:77], v[67:68], v[70:71]
	v_fma_f64 v[65:66], v[70:71], v[67:68], -v[76:77]
	v_fma_f64 v[65:66], v[70:71], v[63:64], v[65:66]
	v_add_f64 v[78:79], v[76:77], v[65:66]
	v_add_f64 v[80:81], v[74:75], -v[78:79]
	v_add_f64 v[72:73], v[78:79], -v[76:77]
	;; [unrolled: 1-line block ×5, first 2 shown]
	v_add_f64 v[53:54], v[53:54], v[74:75]
	v_add_f64 v[53:54], v[65:66], v[53:54]
	;; [unrolled: 1-line block ×3, first 2 shown]
	v_mul_f64 v[72:73], v[61:62], v[65:66]
	v_add_f64 v[78:79], v[80:81], -v[65:66]
	v_mul_f64 v[74:75], v[67:68], v[72:73]
	v_add_f64 v[53:54], v[53:54], v[78:79]
	v_fma_f64 v[67:68], v[72:73], v[67:68], -v[74:75]
	v_fma_f64 v[63:64], v[72:73], v[63:64], v[67:68]
	v_add_f64 v[67:68], v[74:75], v[63:64]
	v_add_f64 v[76:77], v[65:66], -v[67:68]
	v_add_f64 v[74:75], v[67:68], -v[74:75]
	v_add_f64 v[65:66], v[65:66], -v[76:77]
	v_add_f64 v[63:64], v[74:75], -v[63:64]
	v_add_f64 v[65:66], v[65:66], -v[67:68]
	v_add_f64 v[53:54], v[53:54], v[65:66]
	v_add_f64 v[65:66], v[70:71], v[72:73]
	;; [unrolled: 1-line block ×3, first 2 shown]
	v_add_f64 v[63:64], v[65:66], -v[70:71]
	v_add_f64 v[53:54], v[76:77], v[53:54]
	v_add_f64 v[63:64], v[72:73], -v[63:64]
	v_mul_f64 v[53:54], v[61:62], v[53:54]
	v_add_f64 v[53:54], v[63:64], v[53:54]
	v_add_f64 v[61:62], v[65:66], v[53:54]
	v_mul_f64 v[63:64], v[61:62], v[61:62]
	v_fma_f64 v[67:68], v[63:64], s[38:39], s[36:37]
	s_mov_b32 s36, 0xd7f4df2e
	s_mov_b32 s37, 0x3fc7474d
	v_mul_f64 v[70:71], v[61:62], v[63:64]
	v_fma_f64 v[67:68], v[63:64], v[67:68], s[36:37]
	s_mov_b32 s36, 0x16291751
	s_mov_b32 s37, 0x3fcc71c0
	v_fma_f64 v[67:68], v[63:64], v[67:68], s[36:37]
	s_mov_b32 s36, 0x9b27acf1
	s_mov_b32 s37, 0x3fd24924
	v_fma_f64 v[67:68], v[63:64], v[67:68], s[36:37]
	s_mov_b32 s36, 0x998ef7b6
	s_mov_b32 s37, 0x3fd99999
	v_fma_f64 v[67:68], v[63:64], v[67:68], s[36:37]
	v_fma_f64 v[63:64], v[63:64], v[67:68], s[26:27]
	v_ldexp_f64 v[67:68], v[61:62], 1
	v_add_f64 v[61:62], v[61:62], -v[65:66]
	v_cmp_neq_f64_e64 s26, 0x7ff00000, v[51:52]
	v_cmp_ngt_f64_e64 s27, -1.0, v[51:52]
	v_mul_f64 v[63:64], v[70:71], v[63:64]
	v_cvt_f64_i32_e32 v[70:71], v82
	v_add_f64 v[53:54], v[53:54], -v[61:62]
	s_and_b32 s25, s25, s26
	v_add_f64 v[65:66], v[67:68], v[63:64]
	v_mul_f64 v[72:73], v[70:71], s[30:31]
	v_ldexp_f64 v[53:54], v[53:54], 1
	v_add_f64 v[61:62], v[65:66], -v[67:68]
	v_fma_f64 v[67:68], v[70:71], s[30:31], -v[72:73]
	v_add_f64 v[61:62], v[63:64], -v[61:62]
	v_fma_f64 v[63:64], v[70:71], s[34:35], v[67:68]
	v_add_f64 v[53:54], v[53:54], v[61:62]
	v_add_f64 v[61:62], v[72:73], v[63:64]
	;; [unrolled: 1-line block ×3, first 2 shown]
	v_add_f64 v[72:73], v[61:62], -v[72:73]
	v_add_f64 v[70:71], v[61:62], v[67:68]
	v_add_f64 v[65:66], v[67:68], -v[65:66]
	v_add_f64 v[63:64], v[63:64], -v[72:73]
	;; [unrolled: 1-line block ×6, first 2 shown]
	v_add_f64 v[67:68], v[63:64], v[53:54]
	v_add_f64 v[61:62], v[61:62], -v[76:77]
	v_add_f64 v[61:62], v[65:66], v[61:62]
	v_add_f64 v[65:66], v[67:68], -v[63:64]
	;; [unrolled: 2-line block ×3, first 2 shown]
	v_add_f64 v[53:54], v[53:54], -v[65:66]
	v_add_f64 v[72:73], v[70:71], v[61:62]
	v_add_f64 v[63:64], v[63:64], -v[67:68]
	v_add_f64 v[65:66], v[72:73], -v[70:71]
	v_add_f64 v[53:54], v[53:54], v[63:64]
	v_add_f64 v[61:62], v[61:62], -v[65:66]
	v_add_f64 v[53:54], v[53:54], v[61:62]
	v_add_f64 v[53:54], v[72:73], v[53:54]
	v_cndmask_b32_e64 v53, 0, v53, s25
	v_cmp_neq_f64_e64 s25, -1.0, v[51:52]
	v_cndmask_b32_e64 v54, 0x7ff00000, v54, s26
	v_cndmask_b32_e64 v54, 0x7ff80000, v54, s27
	;; [unrolled: 1-line block ×3, first 2 shown]
	v_add_f64 v[61:62], v[49:50], v[53:54]
.LBB26_48:
	s_or_b32 exec_lo, exec_lo, s29
	v_max_f64 v[49:50], v[11:12], v[11:12]
	v_max_f64 v[51:52], v[61:62], v[61:62]
	v_cmp_u_f64_e64 s26, v[61:62], v[61:62]
	v_cmp_u_f64_e64 s25, v[11:12], v[11:12]
	v_min_f64 v[53:54], v[51:52], v[49:50]
	v_max_f64 v[51:52], v[51:52], v[49:50]
	v_cndmask_b32_e64 v53, v53, v61, s26
	v_cndmask_b32_e64 v54, v54, v62, s26
	v_cndmask_b32_e64 v52, v52, v62, s26
	v_cndmask_b32_e64 v51, v51, v61, s26
	v_cndmask_b32_e64 v53, v53, v11, s25
	v_cndmask_b32_e64 v54, v54, v12, s25
	v_cndmask_b32_e64 v52, v52, v12, s25
	v_cndmask_b32_e64 v51, v51, v11, s25
	v_cmp_class_f64_e64 s27, v[53:54], 0x1f8
	v_cmp_neq_f64_e64 s26, v[53:54], v[51:52]
	s_or_b32 s26, s26, s27
	s_and_saveexec_b32 s33, s26
	s_cbranch_execz .LBB26_50
; %bb.49:
	v_add_f64 v[53:54], v[53:54], -v[51:52]
	s_mov_b32 s26, 0x652b82fe
	s_mov_b32 s27, 0x3ff71547
	;; [unrolled: 1-line block ×10, first 2 shown]
	v_mul_f64 v[61:62], v[53:54], s[26:27]
	s_mov_b32 s26, 0xfca7ab0c
	s_mov_b32 s27, 0x3e928af3
	v_rndne_f64_e32 v[61:62], v[61:62]
	v_fma_f64 v[63:64], v[61:62], s[30:31], v[53:54]
	v_cvt_i32_f64_e32 v67, v[61:62]
	s_mov_b32 s31, 0x3fe62e42
	v_fma_f64 v[63:64], v[61:62], s[34:35], v[63:64]
	s_mov_b32 s35, 0x3c7abc9e
	v_fma_f64 v[65:66], v[63:64], s[36:37], s[26:27]
	s_mov_b32 s26, 0x623fde64
	s_mov_b32 s27, 0x3ec71dee
	;; [unrolled: 1-line block ×4, first 2 shown]
	v_fma_f64 v[65:66], v[63:64], v[65:66], s[26:27]
	s_mov_b32 s26, 0x7c89e6b0
	s_mov_b32 s27, 0x3efa0199
	v_fma_f64 v[65:66], v[63:64], v[65:66], s[26:27]
	s_mov_b32 s26, 0x14761f6e
	s_mov_b32 s27, 0x3f2a01a0
	;; [unrolled: 3-line block ×7, first 2 shown]
	v_fma_f64 v[65:66], v[63:64], v[65:66], s[26:27]
	v_cmp_nlt_f64_e64 s26, 0x40900000, v[53:54]
	v_cmp_ngt_f64_e64 s27, 0xc090cc00, v[53:54]
	v_fma_f64 v[65:66], v[63:64], v[65:66], 1.0
	v_fma_f64 v[61:62], v[63:64], v[65:66], 1.0
	v_ldexp_f64 v[61:62], v[61:62], v67
	v_cndmask_b32_e64 v62, 0x7ff00000, v62, s26
	s_and_b32 s26, s27, s26
	v_cndmask_b32_e64 v53, 0, v61, s26
	s_mov_b32 s26, 0x55555555
	v_cndmask_b32_e64 v54, 0, v62, s27
	s_mov_b32 s27, 0x3fe55555
	v_add_f64 v[61:62], v[53:54], 1.0
	v_cmp_ngt_f64_e64 s29, -1.0, v[53:54]
	v_frexp_mant_f64_e32 v[63:64], v[61:62]
	v_frexp_exp_i32_f64_e32 v67, v[61:62]
	v_add_f64 v[65:66], v[61:62], -1.0
	v_cmp_gt_f64_e64 s26, s[26:27], v[63:64]
	v_add_f64 v[63:64], v[65:66], -v[61:62]
	v_add_f64 v[65:66], v[53:54], -v[65:66]
	v_subrev_co_ci_u32_e64 v84, null, 0, v67, s26
	v_add_f64 v[63:64], v[63:64], 1.0
	s_mov_b32 s26, 0x55555780
	v_sub_nc_u32_e32 v70, 0, v84
	v_ldexp_f64 v[61:62], v[61:62], v70
	v_add_f64 v[63:64], v[65:66], v[63:64]
	v_add_f64 v[67:68], v[61:62], 1.0
	v_add_f64 v[74:75], v[61:62], -1.0
	v_ldexp_f64 v[63:64], v[63:64], v70
	v_add_f64 v[65:66], v[67:68], -1.0
	v_add_f64 v[76:77], v[74:75], 1.0
	v_add_f64 v[65:66], v[61:62], -v[65:66]
	v_add_f64 v[61:62], v[61:62], -v[76:77]
	v_add_f64 v[65:66], v[63:64], v[65:66]
	v_add_f64 v[61:62], v[63:64], v[61:62]
	;; [unrolled: 1-line block ×4, first 2 shown]
	v_rcp_f64_e32 v[72:73], v[70:71]
	v_add_f64 v[67:68], v[70:71], -v[67:68]
	v_add_f64 v[74:75], v[76:77], -v[74:75]
	;; [unrolled: 1-line block ×3, first 2 shown]
	v_fma_f64 v[78:79], -v[70:71], v[72:73], 1.0
	v_add_f64 v[61:62], v[61:62], -v[74:75]
	v_fma_f64 v[72:73], v[78:79], v[72:73], v[72:73]
	v_fma_f64 v[63:64], -v[70:71], v[72:73], 1.0
	v_fma_f64 v[63:64], v[63:64], v[72:73], v[72:73]
	v_mul_f64 v[72:73], v[76:77], v[63:64]
	v_mul_f64 v[78:79], v[70:71], v[72:73]
	v_fma_f64 v[67:68], v[72:73], v[70:71], -v[78:79]
	v_fma_f64 v[67:68], v[72:73], v[65:66], v[67:68]
	v_add_f64 v[80:81], v[78:79], v[67:68]
	v_add_f64 v[82:83], v[76:77], -v[80:81]
	v_add_f64 v[74:75], v[80:81], -v[78:79]
	;; [unrolled: 1-line block ×5, first 2 shown]
	v_add_f64 v[61:62], v[61:62], v[76:77]
	v_add_f64 v[61:62], v[67:68], v[61:62]
	v_add_f64 v[67:68], v[82:83], v[61:62]
	v_mul_f64 v[74:75], v[63:64], v[67:68]
	v_add_f64 v[80:81], v[82:83], -v[67:68]
	v_mul_f64 v[76:77], v[70:71], v[74:75]
	v_add_f64 v[61:62], v[61:62], v[80:81]
	v_fma_f64 v[70:71], v[74:75], v[70:71], -v[76:77]
	v_fma_f64 v[65:66], v[74:75], v[65:66], v[70:71]
	v_add_f64 v[70:71], v[76:77], v[65:66]
	v_add_f64 v[78:79], v[67:68], -v[70:71]
	v_add_f64 v[76:77], v[70:71], -v[76:77]
	;; [unrolled: 1-line block ×5, first 2 shown]
	v_add_f64 v[61:62], v[61:62], v[67:68]
	v_add_f64 v[67:68], v[72:73], v[74:75]
	;; [unrolled: 1-line block ×3, first 2 shown]
	v_add_f64 v[65:66], v[67:68], -v[72:73]
	v_add_f64 v[61:62], v[78:79], v[61:62]
	v_add_f64 v[65:66], v[74:75], -v[65:66]
	v_mul_f64 v[61:62], v[63:64], v[61:62]
	v_add_f64 v[61:62], v[65:66], v[61:62]
	v_add_f64 v[63:64], v[67:68], v[61:62]
	v_mul_f64 v[65:66], v[63:64], v[63:64]
	v_fma_f64 v[70:71], v[65:66], s[38:39], s[36:37]
	s_mov_b32 s36, 0xd7f4df2e
	s_mov_b32 s37, 0x3fc7474d
	v_mul_f64 v[72:73], v[63:64], v[65:66]
	v_fma_f64 v[70:71], v[65:66], v[70:71], s[36:37]
	s_mov_b32 s36, 0x16291751
	s_mov_b32 s37, 0x3fcc71c0
	v_fma_f64 v[70:71], v[65:66], v[70:71], s[36:37]
	s_mov_b32 s36, 0x9b27acf1
	s_mov_b32 s37, 0x3fd24924
	;; [unrolled: 3-line block ×3, first 2 shown]
	v_fma_f64 v[70:71], v[65:66], v[70:71], s[36:37]
	v_fma_f64 v[65:66], v[65:66], v[70:71], s[26:27]
	v_ldexp_f64 v[70:71], v[63:64], 1
	v_add_f64 v[63:64], v[63:64], -v[67:68]
	v_cmp_nge_f64_e64 s26, -1.0, v[53:54]
	v_cmp_neq_f64_e64 s27, 0x7ff00000, v[53:54]
	v_mul_f64 v[65:66], v[72:73], v[65:66]
	v_cvt_f64_i32_e32 v[72:73], v84
	v_add_f64 v[61:62], v[61:62], -v[63:64]
	s_and_b32 s26, s26, s27
	v_add_f64 v[67:68], v[70:71], v[65:66]
	v_mul_f64 v[74:75], v[72:73], s[30:31]
	v_ldexp_f64 v[61:62], v[61:62], 1
	v_add_f64 v[63:64], v[67:68], -v[70:71]
	v_fma_f64 v[70:71], v[72:73], s[30:31], -v[74:75]
	v_add_f64 v[63:64], v[65:66], -v[63:64]
	v_fma_f64 v[65:66], v[72:73], s[34:35], v[70:71]
	v_add_f64 v[61:62], v[61:62], v[63:64]
	v_add_f64 v[63:64], v[74:75], v[65:66]
	;; [unrolled: 1-line block ×3, first 2 shown]
	v_add_f64 v[74:75], v[63:64], -v[74:75]
	v_add_f64 v[72:73], v[63:64], v[70:71]
	v_add_f64 v[67:68], v[70:71], -v[67:68]
	v_add_f64 v[65:66], v[65:66], -v[74:75]
	v_add_f64 v[76:77], v[72:73], -v[63:64]
	v_add_f64 v[61:62], v[61:62], -v[67:68]
	v_add_f64 v[78:79], v[72:73], -v[76:77]
	v_add_f64 v[67:68], v[70:71], -v[76:77]
	v_add_f64 v[70:71], v[65:66], v[61:62]
	v_add_f64 v[63:64], v[63:64], -v[78:79]
	v_add_f64 v[63:64], v[67:68], v[63:64]
	v_add_f64 v[67:68], v[70:71], -v[65:66]
	;; [unrolled: 2-line block ×3, first 2 shown]
	v_add_f64 v[61:62], v[61:62], -v[67:68]
	v_add_f64 v[74:75], v[72:73], v[63:64]
	v_add_f64 v[65:66], v[65:66], -v[70:71]
	v_add_f64 v[67:68], v[74:75], -v[72:73]
	v_add_f64 v[61:62], v[61:62], v[65:66]
	v_add_f64 v[63:64], v[63:64], -v[67:68]
	v_add_f64 v[61:62], v[61:62], v[63:64]
	v_add_f64 v[61:62], v[74:75], v[61:62]
	v_cndmask_b32_e64 v61, 0, v61, s26
	v_cmp_neq_f64_e64 s26, -1.0, v[53:54]
	v_cndmask_b32_e64 v62, 0x7ff00000, v62, s27
	v_cndmask_b32_e64 v62, 0x7ff80000, v62, s29
	;; [unrolled: 1-line block ×3, first 2 shown]
	v_add_f64 v[61:62], v[51:52], v[61:62]
.LBB26_50:
	s_or_b32 exec_lo, exec_lo, s33
	v_max_f64 v[51:52], v[5:6], v[5:6]
	v_max_f64 v[53:54], v[61:62], v[61:62]
	v_cmp_u_f64_e64 s27, v[61:62], v[61:62]
	v_cmp_u_f64_e64 s26, v[5:6], v[5:6]
	v_min_f64 v[63:64], v[53:54], v[51:52]
	v_max_f64 v[53:54], v[53:54], v[51:52]
	v_cndmask_b32_e64 v63, v63, v61, s27
	v_cndmask_b32_e64 v64, v64, v62, s27
	;; [unrolled: 1-line block ×8, first 2 shown]
	v_cmp_class_f64_e64 s29, v[63:64], 0x1f8
	v_cmp_neq_f64_e64 s27, v[63:64], v[53:54]
	s_or_b32 s27, s27, s29
	s_and_saveexec_b32 s33, s27
	s_cbranch_execz .LBB26_52
; %bb.51:
	v_add_f64 v[61:62], v[63:64], -v[53:54]
	s_mov_b32 s30, 0x652b82fe
	s_mov_b32 s31, 0x3ff71547
	;; [unrolled: 1-line block ×10, first 2 shown]
	v_mul_f64 v[63:64], v[61:62], s[30:31]
	s_mov_b32 s31, 0xbfe62e42
	s_mov_b32 s30, 0xfefa39ef
	v_cmp_nlt_f64_e64 s27, 0x40900000, v[61:62]
	v_cmp_ngt_f64_e64 s29, 0xc090cc00, v[61:62]
	v_rndne_f64_e32 v[63:64], v[63:64]
	v_fma_f64 v[65:66], v[63:64], s[30:31], v[61:62]
	v_cvt_i32_f64_e32 v70, v[63:64]
	s_mov_b32 s31, 0x3fe62e42
	v_fma_f64 v[65:66], v[63:64], s[34:35], v[65:66]
	s_mov_b32 s35, 0x3c7abc9e
	v_fma_f64 v[67:68], v[65:66], s[38:39], s[36:37]
	s_mov_b32 s36, 0x623fde64
	s_mov_b32 s37, 0x3ec71dee
	s_mov_b32 s38, 0x6b47b09a
	s_mov_b32 s39, 0x3fc38538
	v_fma_f64 v[67:68], v[65:66], v[67:68], s[36:37]
	s_mov_b32 s36, 0x7c89e6b0
	s_mov_b32 s37, 0x3efa0199
	v_fma_f64 v[67:68], v[65:66], v[67:68], s[36:37]
	s_mov_b32 s36, 0x14761f6e
	s_mov_b32 s37, 0x3f2a01a0
	;; [unrolled: 3-line block ×8, first 2 shown]
	v_fma_f64 v[67:68], v[65:66], v[67:68], 1.0
	v_fma_f64 v[63:64], v[65:66], v[67:68], 1.0
	v_ldexp_f64 v[63:64], v[63:64], v70
	v_cndmask_b32_e64 v64, 0x7ff00000, v64, s27
	s_and_b32 s27, s29, s27
	v_cndmask_b32_e64 v61, 0, v63, s27
	v_cndmask_b32_e64 v62, 0, v64, s29
	v_add_f64 v[63:64], v[61:62], 1.0
	v_cmp_neq_f64_e64 s29, 0x7ff00000, v[61:62]
	v_frexp_mant_f64_e32 v[65:66], v[63:64]
	v_frexp_exp_i32_f64_e32 v70, v[63:64]
	v_add_f64 v[67:68], v[63:64], -1.0
	v_cmp_gt_f64_e64 s27, s[36:37], v[65:66]
	s_mov_b32 s36, 0x55555780
	v_add_f64 v[65:66], v[67:68], -v[63:64]
	v_add_f64 v[67:68], v[61:62], -v[67:68]
	v_subrev_co_ci_u32_e64 v86, null, 0, v70, s27
	v_add_f64 v[65:66], v[65:66], 1.0
	v_cmp_nge_f64_e64 s27, -1.0, v[61:62]
	v_sub_nc_u32_e32 v72, 0, v86
	v_ldexp_f64 v[63:64], v[63:64], v72
	v_add_f64 v[65:66], v[67:68], v[65:66]
	s_and_b32 s27, s27, s29
	v_add_f64 v[70:71], v[63:64], 1.0
	v_add_f64 v[76:77], v[63:64], -1.0
	v_ldexp_f64 v[65:66], v[65:66], v72
	v_add_f64 v[67:68], v[70:71], -1.0
	v_add_f64 v[78:79], v[76:77], 1.0
	v_add_f64 v[67:68], v[63:64], -v[67:68]
	v_add_f64 v[63:64], v[63:64], -v[78:79]
	v_add_f64 v[67:68], v[65:66], v[67:68]
	v_add_f64 v[63:64], v[65:66], v[63:64]
	;; [unrolled: 1-line block ×4, first 2 shown]
	v_rcp_f64_e32 v[74:75], v[72:73]
	v_add_f64 v[70:71], v[72:73], -v[70:71]
	v_add_f64 v[76:77], v[78:79], -v[76:77]
	;; [unrolled: 1-line block ×3, first 2 shown]
	v_fma_f64 v[80:81], -v[72:73], v[74:75], 1.0
	v_add_f64 v[63:64], v[63:64], -v[76:77]
	v_fma_f64 v[74:75], v[80:81], v[74:75], v[74:75]
	v_fma_f64 v[65:66], -v[72:73], v[74:75], 1.0
	v_fma_f64 v[65:66], v[65:66], v[74:75], v[74:75]
	v_mul_f64 v[74:75], v[78:79], v[65:66]
	v_mul_f64 v[80:81], v[72:73], v[74:75]
	v_fma_f64 v[70:71], v[74:75], v[72:73], -v[80:81]
	v_fma_f64 v[70:71], v[74:75], v[67:68], v[70:71]
	v_add_f64 v[82:83], v[80:81], v[70:71]
	v_add_f64 v[84:85], v[78:79], -v[82:83]
	v_add_f64 v[76:77], v[82:83], -v[80:81]
	;; [unrolled: 1-line block ×5, first 2 shown]
	v_add_f64 v[63:64], v[63:64], v[78:79]
	v_add_f64 v[63:64], v[70:71], v[63:64]
	;; [unrolled: 1-line block ×3, first 2 shown]
	v_mul_f64 v[76:77], v[65:66], v[70:71]
	v_add_f64 v[82:83], v[84:85], -v[70:71]
	v_mul_f64 v[78:79], v[72:73], v[76:77]
	v_add_f64 v[63:64], v[63:64], v[82:83]
	v_fma_f64 v[72:73], v[76:77], v[72:73], -v[78:79]
	v_fma_f64 v[67:68], v[76:77], v[67:68], v[72:73]
	v_add_f64 v[72:73], v[78:79], v[67:68]
	v_add_f64 v[80:81], v[70:71], -v[72:73]
	v_add_f64 v[78:79], v[72:73], -v[78:79]
	;; [unrolled: 1-line block ×5, first 2 shown]
	v_add_f64 v[63:64], v[63:64], v[70:71]
	v_add_f64 v[70:71], v[74:75], v[76:77]
	;; [unrolled: 1-line block ×3, first 2 shown]
	v_add_f64 v[67:68], v[70:71], -v[74:75]
	v_add_f64 v[63:64], v[80:81], v[63:64]
	v_add_f64 v[67:68], v[76:77], -v[67:68]
	v_mul_f64 v[63:64], v[65:66], v[63:64]
	v_add_f64 v[63:64], v[67:68], v[63:64]
	v_add_f64 v[65:66], v[70:71], v[63:64]
	v_mul_f64 v[67:68], v[65:66], v[65:66]
	v_fma_f64 v[72:73], v[67:68], s[40:41], s[38:39]
	s_mov_b32 s38, 0xd7f4df2e
	s_mov_b32 s39, 0x3fc7474d
	v_mul_f64 v[74:75], v[65:66], v[67:68]
	v_fma_f64 v[72:73], v[67:68], v[72:73], s[38:39]
	s_mov_b32 s38, 0x16291751
	s_mov_b32 s39, 0x3fcc71c0
	v_fma_f64 v[72:73], v[67:68], v[72:73], s[38:39]
	s_mov_b32 s38, 0x9b27acf1
	s_mov_b32 s39, 0x3fd24924
	;; [unrolled: 3-line block ×3, first 2 shown]
	v_fma_f64 v[72:73], v[67:68], v[72:73], s[38:39]
	v_fma_f64 v[67:68], v[67:68], v[72:73], s[36:37]
	v_ldexp_f64 v[72:73], v[65:66], 1
	v_add_f64 v[65:66], v[65:66], -v[70:71]
	v_mul_f64 v[67:68], v[74:75], v[67:68]
	v_cvt_f64_i32_e32 v[74:75], v86
	v_add_f64 v[63:64], v[63:64], -v[65:66]
	v_add_f64 v[70:71], v[72:73], v[67:68]
	v_mul_f64 v[76:77], v[74:75], s[30:31]
	v_ldexp_f64 v[63:64], v[63:64], 1
	v_add_f64 v[65:66], v[70:71], -v[72:73]
	v_fma_f64 v[72:73], v[74:75], s[30:31], -v[76:77]
	v_cmp_ngt_f64_e64 s30, -1.0, v[61:62]
	v_add_f64 v[65:66], v[67:68], -v[65:66]
	v_fma_f64 v[67:68], v[74:75], s[34:35], v[72:73]
	v_add_f64 v[63:64], v[63:64], v[65:66]
	v_add_f64 v[65:66], v[76:77], v[67:68]
	;; [unrolled: 1-line block ×3, first 2 shown]
	v_add_f64 v[76:77], v[65:66], -v[76:77]
	v_add_f64 v[74:75], v[65:66], v[72:73]
	v_add_f64 v[70:71], v[72:73], -v[70:71]
	v_add_f64 v[67:68], v[67:68], -v[76:77]
	;; [unrolled: 1-line block ×6, first 2 shown]
	v_add_f64 v[72:73], v[67:68], v[63:64]
	v_add_f64 v[65:66], v[65:66], -v[80:81]
	v_add_f64 v[65:66], v[70:71], v[65:66]
	v_add_f64 v[70:71], v[72:73], -v[67:68]
	;; [unrolled: 2-line block ×3, first 2 shown]
	v_add_f64 v[63:64], v[63:64], -v[70:71]
	v_add_f64 v[76:77], v[74:75], v[65:66]
	v_add_f64 v[67:68], v[67:68], -v[72:73]
	v_add_f64 v[70:71], v[76:77], -v[74:75]
	v_add_f64 v[63:64], v[63:64], v[67:68]
	v_add_f64 v[65:66], v[65:66], -v[70:71]
	v_add_f64 v[63:64], v[63:64], v[65:66]
	v_add_f64 v[63:64], v[76:77], v[63:64]
	v_cndmask_b32_e64 v63, 0, v63, s27
	v_cmp_neq_f64_e64 s27, -1.0, v[61:62]
	v_cndmask_b32_e64 v64, 0x7ff00000, v64, s29
	v_cndmask_b32_e64 v64, 0x7ff80000, v64, s30
	;; [unrolled: 1-line block ×3, first 2 shown]
	v_add_f64 v[61:62], v[53:54], v[63:64]
.LBB26_52:
	s_or_b32 exec_lo, exec_lo, s33
	v_max_f64 v[53:54], v[7:8], v[7:8]
	v_max_f64 v[63:64], v[61:62], v[61:62]
	v_cmp_u_f64_e64 s29, v[61:62], v[61:62]
	v_cmp_u_f64_e64 s27, v[7:8], v[7:8]
	v_min_f64 v[65:66], v[63:64], v[53:54]
	v_max_f64 v[63:64], v[63:64], v[53:54]
	v_cndmask_b32_e64 v65, v65, v61, s29
	v_cndmask_b32_e64 v66, v66, v62, s29
	;; [unrolled: 1-line block ×8, first 2 shown]
	v_cmp_class_f64_e64 s30, v[65:66], 0x1f8
	v_cmp_neq_f64_e64 s29, v[65:66], v[63:64]
	s_or_b32 s29, s29, s30
	s_and_saveexec_b32 s33, s29
	s_cbranch_execz .LBB26_54
; %bb.53:
	v_add_f64 v[61:62], v[65:66], -v[63:64]
	s_mov_b32 s30, 0x652b82fe
	s_mov_b32 s31, 0x3ff71547
	;; [unrolled: 1-line block ×10, first 2 shown]
	v_mul_f64 v[65:66], v[61:62], s[30:31]
	s_mov_b32 s30, 0xfca7ab0c
	s_mov_b32 s31, 0x3e928af3
	v_cmp_nlt_f64_e64 s29, 0x40900000, v[61:62]
	v_rndne_f64_e32 v[65:66], v[65:66]
	v_fma_f64 v[67:68], v[65:66], s[34:35], v[61:62]
	v_cvt_i32_f64_e32 v72, v[65:66]
	s_mov_b32 s35, 0x3fe62e42
	v_fma_f64 v[67:68], v[65:66], s[36:37], v[67:68]
	s_mov_b32 s37, 0x3c7abc9e
	v_fma_f64 v[70:71], v[67:68], s[38:39], s[30:31]
	s_mov_b32 s30, 0x623fde64
	s_mov_b32 s31, 0x3ec71dee
	;; [unrolled: 1-line block ×4, first 2 shown]
	v_fma_f64 v[70:71], v[67:68], v[70:71], s[30:31]
	s_mov_b32 s30, 0x7c89e6b0
	s_mov_b32 s31, 0x3efa0199
	v_fma_f64 v[70:71], v[67:68], v[70:71], s[30:31]
	s_mov_b32 s30, 0x14761f6e
	s_mov_b32 s31, 0x3f2a01a0
	;; [unrolled: 3-line block ×7, first 2 shown]
	v_fma_f64 v[70:71], v[67:68], v[70:71], s[30:31]
	v_cmp_ngt_f64_e64 s30, 0xc090cc00, v[61:62]
	s_mov_b32 s31, 0x3fe55555
	v_fma_f64 v[70:71], v[67:68], v[70:71], 1.0
	v_fma_f64 v[65:66], v[67:68], v[70:71], 1.0
	v_ldexp_f64 v[65:66], v[65:66], v72
	v_cndmask_b32_e64 v66, 0x7ff00000, v66, s29
	s_and_b32 s29, s30, s29
	v_cndmask_b32_e64 v61, 0, v65, s29
	v_cndmask_b32_e64 v62, 0, v66, s30
	s_mov_b32 s30, 0x55555555
	v_add_f64 v[65:66], v[61:62], 1.0
	v_frexp_mant_f64_e32 v[67:68], v[65:66]
	v_frexp_exp_i32_f64_e32 v72, v[65:66]
	v_add_f64 v[70:71], v[65:66], -1.0
	v_cmp_gt_f64_e64 s29, s[30:31], v[67:68]
	s_mov_b32 s30, 0x55555780
	v_add_f64 v[67:68], v[70:71], -v[65:66]
	v_add_f64 v[70:71], v[61:62], -v[70:71]
	v_subrev_co_ci_u32_e64 v88, null, 0, v72, s29
	v_add_f64 v[67:68], v[67:68], 1.0
	v_cmp_nge_f64_e64 s29, -1.0, v[61:62]
	v_sub_nc_u32_e32 v74, 0, v88
	v_ldexp_f64 v[65:66], v[65:66], v74
	v_add_f64 v[67:68], v[70:71], v[67:68]
	v_add_f64 v[72:73], v[65:66], 1.0
	v_add_f64 v[78:79], v[65:66], -1.0
	v_ldexp_f64 v[67:68], v[67:68], v74
	v_add_f64 v[70:71], v[72:73], -1.0
	v_add_f64 v[80:81], v[78:79], 1.0
	v_add_f64 v[70:71], v[65:66], -v[70:71]
	v_add_f64 v[65:66], v[65:66], -v[80:81]
	v_add_f64 v[70:71], v[67:68], v[70:71]
	v_add_f64 v[65:66], v[67:68], v[65:66]
	;; [unrolled: 1-line block ×4, first 2 shown]
	v_rcp_f64_e32 v[76:77], v[74:75]
	v_add_f64 v[72:73], v[74:75], -v[72:73]
	v_add_f64 v[78:79], v[80:81], -v[78:79]
	;; [unrolled: 1-line block ×3, first 2 shown]
	v_fma_f64 v[82:83], -v[74:75], v[76:77], 1.0
	v_add_f64 v[65:66], v[65:66], -v[78:79]
	v_fma_f64 v[76:77], v[82:83], v[76:77], v[76:77]
	v_fma_f64 v[67:68], -v[74:75], v[76:77], 1.0
	v_fma_f64 v[67:68], v[67:68], v[76:77], v[76:77]
	v_mul_f64 v[76:77], v[80:81], v[67:68]
	v_mul_f64 v[82:83], v[74:75], v[76:77]
	v_fma_f64 v[72:73], v[76:77], v[74:75], -v[82:83]
	v_fma_f64 v[72:73], v[76:77], v[70:71], v[72:73]
	v_add_f64 v[84:85], v[82:83], v[72:73]
	v_add_f64 v[86:87], v[80:81], -v[84:85]
	v_add_f64 v[78:79], v[84:85], -v[82:83]
	;; [unrolled: 1-line block ×5, first 2 shown]
	v_add_f64 v[65:66], v[65:66], v[80:81]
	v_add_f64 v[65:66], v[72:73], v[65:66]
	;; [unrolled: 1-line block ×3, first 2 shown]
	v_mul_f64 v[78:79], v[67:68], v[72:73]
	v_add_f64 v[84:85], v[86:87], -v[72:73]
	v_mul_f64 v[80:81], v[74:75], v[78:79]
	v_add_f64 v[65:66], v[65:66], v[84:85]
	v_fma_f64 v[74:75], v[78:79], v[74:75], -v[80:81]
	v_fma_f64 v[70:71], v[78:79], v[70:71], v[74:75]
	v_add_f64 v[74:75], v[80:81], v[70:71]
	v_add_f64 v[82:83], v[72:73], -v[74:75]
	v_add_f64 v[80:81], v[74:75], -v[80:81]
	;; [unrolled: 1-line block ×5, first 2 shown]
	v_add_f64 v[65:66], v[65:66], v[72:73]
	v_add_f64 v[72:73], v[76:77], v[78:79]
	;; [unrolled: 1-line block ×3, first 2 shown]
	v_add_f64 v[70:71], v[72:73], -v[76:77]
	v_add_f64 v[65:66], v[82:83], v[65:66]
	v_add_f64 v[70:71], v[78:79], -v[70:71]
	v_mul_f64 v[65:66], v[67:68], v[65:66]
	v_add_f64 v[65:66], v[70:71], v[65:66]
	v_add_f64 v[67:68], v[72:73], v[65:66]
	v_mul_f64 v[70:71], v[67:68], v[67:68]
	v_fma_f64 v[74:75], v[70:71], s[40:41], s[38:39]
	s_mov_b32 s38, 0xd7f4df2e
	s_mov_b32 s39, 0x3fc7474d
	v_mul_f64 v[76:77], v[67:68], v[70:71]
	v_fma_f64 v[74:75], v[70:71], v[74:75], s[38:39]
	s_mov_b32 s38, 0x16291751
	s_mov_b32 s39, 0x3fcc71c0
	v_fma_f64 v[74:75], v[70:71], v[74:75], s[38:39]
	s_mov_b32 s38, 0x9b27acf1
	s_mov_b32 s39, 0x3fd24924
	;; [unrolled: 3-line block ×3, first 2 shown]
	v_fma_f64 v[74:75], v[70:71], v[74:75], s[38:39]
	v_fma_f64 v[70:71], v[70:71], v[74:75], s[30:31]
	v_ldexp_f64 v[74:75], v[67:68], 1
	v_add_f64 v[67:68], v[67:68], -v[72:73]
	v_cmp_neq_f64_e64 s30, 0x7ff00000, v[61:62]
	v_cmp_ngt_f64_e64 s31, -1.0, v[61:62]
	v_mul_f64 v[70:71], v[76:77], v[70:71]
	v_cvt_f64_i32_e32 v[76:77], v88
	v_add_f64 v[65:66], v[65:66], -v[67:68]
	s_and_b32 s29, s29, s30
	v_add_f64 v[72:73], v[74:75], v[70:71]
	v_mul_f64 v[78:79], v[76:77], s[34:35]
	v_ldexp_f64 v[65:66], v[65:66], 1
	v_add_f64 v[67:68], v[72:73], -v[74:75]
	v_fma_f64 v[74:75], v[76:77], s[34:35], -v[78:79]
	v_add_f64 v[67:68], v[70:71], -v[67:68]
	v_fma_f64 v[70:71], v[76:77], s[36:37], v[74:75]
	v_add_f64 v[65:66], v[65:66], v[67:68]
	v_add_f64 v[67:68], v[78:79], v[70:71]
	;; [unrolled: 1-line block ×3, first 2 shown]
	v_add_f64 v[78:79], v[67:68], -v[78:79]
	v_add_f64 v[76:77], v[67:68], v[74:75]
	v_add_f64 v[72:73], v[74:75], -v[72:73]
	v_add_f64 v[70:71], v[70:71], -v[78:79]
	;; [unrolled: 1-line block ×6, first 2 shown]
	v_add_f64 v[74:75], v[70:71], v[65:66]
	v_add_f64 v[67:68], v[67:68], -v[82:83]
	v_add_f64 v[67:68], v[72:73], v[67:68]
	v_add_f64 v[72:73], v[74:75], -v[70:71]
	;; [unrolled: 2-line block ×3, first 2 shown]
	v_add_f64 v[65:66], v[65:66], -v[72:73]
	v_add_f64 v[78:79], v[76:77], v[67:68]
	v_add_f64 v[70:71], v[70:71], -v[74:75]
	v_add_f64 v[72:73], v[78:79], -v[76:77]
	v_add_f64 v[65:66], v[65:66], v[70:71]
	v_add_f64 v[67:68], v[67:68], -v[72:73]
	v_add_f64 v[65:66], v[65:66], v[67:68]
	v_add_f64 v[65:66], v[78:79], v[65:66]
	v_cndmask_b32_e64 v65, 0, v65, s29
	v_cmp_neq_f64_e64 s29, -1.0, v[61:62]
	v_cndmask_b32_e64 v66, 0x7ff00000, v66, s30
	v_cndmask_b32_e64 v66, 0x7ff80000, v66, s31
	;; [unrolled: 1-line block ×3, first 2 shown]
	v_add_f64 v[61:62], v[63:64], v[65:66]
.LBB26_54:
	s_or_b32 exec_lo, exec_lo, s33
	s_load_dwordx2 s[30:31], s[4:5], 0x20
	v_mbcnt_lo_u32_b32 v71, -1, 0
	v_mov_b32_dpp v63, v61 row_shr:1 row_mask:0xf bank_mask:0xf
	v_mov_b32_dpp v64, v62 row_shr:1 row_mask:0xf bank_mask:0xf
	v_mov_b32_e32 v65, v61
	v_mov_b32_e32 v66, v62
	v_and_b32_e32 v67, 15, v71
	s_mov_b32 s33, exec_lo
	v_cmpx_ne_u32_e32 0, v67
	s_cbranch_execz .LBB26_58
; %bb.55:
	v_max_f64 v[65:66], v[63:64], v[63:64]
	v_max_f64 v[72:73], v[61:62], v[61:62]
	v_cmp_u_f64_e64 s4, v[63:64], v[63:64]
	v_cmp_u_f64_e64 s5, v[61:62], v[61:62]
	v_min_f64 v[74:75], v[65:66], v[72:73]
	v_max_f64 v[65:66], v[65:66], v[72:73]
	v_cndmask_b32_e64 v68, v75, v64, s4
	v_cndmask_b32_e64 v70, v74, v63, s4
	;; [unrolled: 1-line block ×8, first 2 shown]
	v_cmp_class_f64_e64 s5, v[65:66], 0x1f8
	v_cmp_neq_f64_e64 s4, v[65:66], v[61:62]
	s_or_b32 s4, s4, s5
	s_and_saveexec_b32 s38, s4
	s_cbranch_execz .LBB26_57
; %bb.56:
	v_add_f64 v[63:64], v[65:66], -v[61:62]
	s_mov_b32 s4, 0x652b82fe
	s_mov_b32 s5, 0x3ff71547
	;; [unrolled: 1-line block ×10, first 2 shown]
	v_mul_f64 v[65:66], v[63:64], s[4:5]
	s_mov_b32 s4, 0xfca7ab0c
	s_mov_b32 s5, 0x3e928af3
	v_rndne_f64_e32 v[65:66], v[65:66]
	v_fma_f64 v[72:73], v[65:66], s[34:35], v[63:64]
	v_cvt_i32_f64_e32 v68, v[65:66]
	s_mov_b32 s35, 0x3fe62e42
	v_fma_f64 v[72:73], v[65:66], s[36:37], v[72:73]
	s_mov_b32 s37, 0x3c7abc9e
	v_fma_f64 v[74:75], v[72:73], s[40:41], s[4:5]
	s_mov_b32 s4, 0x623fde64
	s_mov_b32 s5, 0x3ec71dee
	;; [unrolled: 1-line block ×4, first 2 shown]
	v_fma_f64 v[74:75], v[72:73], v[74:75], s[4:5]
	s_mov_b32 s4, 0x7c89e6b0
	s_mov_b32 s5, 0x3efa0199
	v_fma_f64 v[74:75], v[72:73], v[74:75], s[4:5]
	s_mov_b32 s4, 0x14761f6e
	s_mov_b32 s5, 0x3f2a01a0
	;; [unrolled: 3-line block ×7, first 2 shown]
	v_fma_f64 v[74:75], v[72:73], v[74:75], s[4:5]
	v_cmp_nlt_f64_e64 s4, 0x40900000, v[63:64]
	v_cmp_ngt_f64_e64 s5, 0xc090cc00, v[63:64]
	v_fma_f64 v[74:75], v[72:73], v[74:75], 1.0
	v_fma_f64 v[65:66], v[72:73], v[74:75], 1.0
	v_ldexp_f64 v[65:66], v[65:66], v68
	v_cndmask_b32_e64 v66, 0x7ff00000, v66, s4
	s_and_b32 s4, s5, s4
	v_cndmask_b32_e64 v63, 0, v65, s4
	s_mov_b32 s4, 0x55555555
	v_cndmask_b32_e64 v64, 0, v66, s5
	s_mov_b32 s5, 0x3fe55555
	v_add_f64 v[65:66], v[63:64], 1.0
	v_cmp_ngt_f64_e64 s29, -1.0, v[63:64]
	v_frexp_mant_f64_e32 v[72:73], v[65:66]
	v_frexp_exp_i32_f64_e32 v68, v[65:66]
	v_add_f64 v[74:75], v[65:66], -1.0
	v_cmp_gt_f64_e64 s4, s[4:5], v[72:73]
	v_add_f64 v[72:73], v[74:75], -v[65:66]
	v_add_f64 v[74:75], v[63:64], -v[74:75]
	v_subrev_co_ci_u32_e64 v68, null, 0, v68, s4
	v_add_f64 v[72:73], v[72:73], 1.0
	s_mov_b32 s4, 0x55555780
	v_sub_nc_u32_e32 v70, 0, v68
	v_ldexp_f64 v[65:66], v[65:66], v70
	v_add_f64 v[72:73], v[74:75], v[72:73]
	v_add_f64 v[76:77], v[65:66], 1.0
	v_add_f64 v[82:83], v[65:66], -1.0
	v_ldexp_f64 v[72:73], v[72:73], v70
	v_add_f64 v[74:75], v[76:77], -1.0
	v_add_f64 v[84:85], v[82:83], 1.0
	v_add_f64 v[74:75], v[65:66], -v[74:75]
	v_add_f64 v[65:66], v[65:66], -v[84:85]
	v_add_f64 v[74:75], v[72:73], v[74:75]
	v_add_f64 v[65:66], v[72:73], v[65:66]
	;; [unrolled: 1-line block ×4, first 2 shown]
	v_rcp_f64_e32 v[80:81], v[78:79]
	v_add_f64 v[76:77], v[78:79], -v[76:77]
	v_add_f64 v[82:83], v[84:85], -v[82:83]
	;; [unrolled: 1-line block ×3, first 2 shown]
	v_fma_f64 v[86:87], -v[78:79], v[80:81], 1.0
	v_add_f64 v[65:66], v[65:66], -v[82:83]
	v_fma_f64 v[80:81], v[86:87], v[80:81], v[80:81]
	v_fma_f64 v[72:73], -v[78:79], v[80:81], 1.0
	v_fma_f64 v[72:73], v[72:73], v[80:81], v[80:81]
	v_mul_f64 v[80:81], v[84:85], v[72:73]
	v_mul_f64 v[86:87], v[78:79], v[80:81]
	v_fma_f64 v[76:77], v[80:81], v[78:79], -v[86:87]
	v_fma_f64 v[76:77], v[80:81], v[74:75], v[76:77]
	v_add_f64 v[88:89], v[86:87], v[76:77]
	v_add_f64 v[90:91], v[84:85], -v[88:89]
	v_add_f64 v[82:83], v[88:89], -v[86:87]
	v_add_f64 v[84:85], v[84:85], -v[90:91]
	v_add_f64 v[76:77], v[82:83], -v[76:77]
	v_add_f64 v[84:85], v[84:85], -v[88:89]
	v_add_f64 v[65:66], v[65:66], v[84:85]
	v_add_f64 v[65:66], v[76:77], v[65:66]
	;; [unrolled: 1-line block ×3, first 2 shown]
	v_mul_f64 v[82:83], v[72:73], v[76:77]
	v_add_f64 v[88:89], v[90:91], -v[76:77]
	v_mul_f64 v[84:85], v[78:79], v[82:83]
	v_add_f64 v[65:66], v[65:66], v[88:89]
	v_fma_f64 v[78:79], v[82:83], v[78:79], -v[84:85]
	v_fma_f64 v[74:75], v[82:83], v[74:75], v[78:79]
	v_add_f64 v[78:79], v[84:85], v[74:75]
	v_add_f64 v[86:87], v[76:77], -v[78:79]
	v_add_f64 v[84:85], v[78:79], -v[84:85]
	v_add_f64 v[76:77], v[76:77], -v[86:87]
	v_add_f64 v[74:75], v[84:85], -v[74:75]
	v_add_f64 v[76:77], v[76:77], -v[78:79]
	v_add_f64 v[65:66], v[65:66], v[76:77]
	v_add_f64 v[76:77], v[80:81], v[82:83]
	;; [unrolled: 1-line block ×3, first 2 shown]
	v_add_f64 v[74:75], v[76:77], -v[80:81]
	v_add_f64 v[65:66], v[86:87], v[65:66]
	v_add_f64 v[74:75], v[82:83], -v[74:75]
	v_mul_f64 v[65:66], v[72:73], v[65:66]
	v_add_f64 v[65:66], v[74:75], v[65:66]
	v_add_f64 v[72:73], v[76:77], v[65:66]
	v_mul_f64 v[74:75], v[72:73], v[72:73]
	v_fma_f64 v[78:79], v[74:75], s[42:43], s[40:41]
	s_mov_b32 s40, 0xd7f4df2e
	s_mov_b32 s41, 0x3fc7474d
	v_mul_f64 v[80:81], v[72:73], v[74:75]
	v_fma_f64 v[78:79], v[74:75], v[78:79], s[40:41]
	s_mov_b32 s40, 0x16291751
	s_mov_b32 s41, 0x3fcc71c0
	v_fma_f64 v[78:79], v[74:75], v[78:79], s[40:41]
	s_mov_b32 s40, 0x9b27acf1
	s_mov_b32 s41, 0x3fd24924
	;; [unrolled: 3-line block ×3, first 2 shown]
	v_fma_f64 v[78:79], v[74:75], v[78:79], s[40:41]
	v_fma_f64 v[74:75], v[74:75], v[78:79], s[4:5]
	v_ldexp_f64 v[78:79], v[72:73], 1
	v_add_f64 v[72:73], v[72:73], -v[76:77]
	v_cmp_nge_f64_e64 s4, -1.0, v[63:64]
	v_cmp_neq_f64_e64 s5, 0x7ff00000, v[63:64]
	v_mul_f64 v[74:75], v[80:81], v[74:75]
	v_cvt_f64_i32_e32 v[80:81], v68
	v_add_f64 v[65:66], v[65:66], -v[72:73]
	s_and_b32 s4, s4, s5
	v_add_f64 v[76:77], v[78:79], v[74:75]
	v_mul_f64 v[82:83], v[80:81], s[34:35]
	v_ldexp_f64 v[65:66], v[65:66], 1
	v_add_f64 v[72:73], v[76:77], -v[78:79]
	v_fma_f64 v[78:79], v[80:81], s[34:35], -v[82:83]
	v_add_f64 v[72:73], v[74:75], -v[72:73]
	v_fma_f64 v[74:75], v[80:81], s[36:37], v[78:79]
	v_add_f64 v[65:66], v[65:66], v[72:73]
	v_add_f64 v[72:73], v[82:83], v[74:75]
	;; [unrolled: 1-line block ×3, first 2 shown]
	v_add_f64 v[82:83], v[72:73], -v[82:83]
	v_add_f64 v[80:81], v[72:73], v[78:79]
	v_add_f64 v[76:77], v[78:79], -v[76:77]
	v_add_f64 v[74:75], v[74:75], -v[82:83]
	;; [unrolled: 1-line block ×6, first 2 shown]
	v_add_f64 v[78:79], v[74:75], v[65:66]
	v_add_f64 v[72:73], v[72:73], -v[86:87]
	v_add_f64 v[72:73], v[76:77], v[72:73]
	v_add_f64 v[76:77], v[78:79], -v[74:75]
	;; [unrolled: 2-line block ×3, first 2 shown]
	v_add_f64 v[65:66], v[65:66], -v[76:77]
	v_add_f64 v[82:83], v[80:81], v[72:73]
	v_add_f64 v[74:75], v[74:75], -v[78:79]
	v_add_f64 v[76:77], v[82:83], -v[80:81]
	v_add_f64 v[65:66], v[65:66], v[74:75]
	v_add_f64 v[72:73], v[72:73], -v[76:77]
	v_add_f64 v[65:66], v[65:66], v[72:73]
	v_add_f64 v[65:66], v[82:83], v[65:66]
	v_cndmask_b32_e64 v65, 0, v65, s4
	v_cmp_neq_f64_e64 s4, -1.0, v[63:64]
	v_cndmask_b32_e64 v66, 0x7ff00000, v66, s5
	v_cndmask_b32_e64 v66, 0x7ff80000, v66, s29
	;; [unrolled: 1-line block ×3, first 2 shown]
	v_add_f64 v[63:64], v[61:62], v[65:66]
.LBB26_57:
	s_or_b32 exec_lo, exec_lo, s38
	v_mov_b32_e32 v61, v63
	v_mov_b32_e32 v65, v63
	;; [unrolled: 1-line block ×4, first 2 shown]
.LBB26_58:
	s_or_b32 exec_lo, exec_lo, s33
	v_mul_u32_u24_e32 v70, 0x68, v0
	v_mov_b32_dpp v63, v65 row_shr:2 row_mask:0xf bank_mask:0xf
	v_mov_b32_dpp v64, v66 row_shr:2 row_mask:0xf bank_mask:0xf
	s_mov_b32 s33, exec_lo
	v_cmpx_lt_u32_e32 1, v67
	s_cbranch_execz .LBB26_62
; %bb.59:
	v_max_f64 v[65:66], v[63:64], v[63:64]
	v_max_f64 v[72:73], v[61:62], v[61:62]
	v_cmp_u_f64_e64 s4, v[63:64], v[63:64]
	v_cmp_u_f64_e64 s5, v[61:62], v[61:62]
	v_min_f64 v[74:75], v[65:66], v[72:73]
	v_max_f64 v[65:66], v[65:66], v[72:73]
	v_cndmask_b32_e64 v68, v75, v64, s4
	v_cndmask_b32_e64 v72, v74, v63, s4
	;; [unrolled: 1-line block ×8, first 2 shown]
	v_cmp_class_f64_e64 s5, v[65:66], 0x1f8
	v_cmp_neq_f64_e64 s4, v[65:66], v[61:62]
	s_or_b32 s4, s4, s5
	s_and_saveexec_b32 s38, s4
	s_cbranch_execz .LBB26_61
; %bb.60:
	v_add_f64 v[63:64], v[65:66], -v[61:62]
	s_mov_b32 s4, 0x652b82fe
	s_mov_b32 s5, 0x3ff71547
	;; [unrolled: 1-line block ×10, first 2 shown]
	v_mul_f64 v[65:66], v[63:64], s[4:5]
	s_mov_b32 s4, 0xfca7ab0c
	s_mov_b32 s5, 0x3e928af3
	v_rndne_f64_e32 v[65:66], v[65:66]
	v_fma_f64 v[72:73], v[65:66], s[34:35], v[63:64]
	v_cvt_i32_f64_e32 v68, v[65:66]
	s_mov_b32 s35, 0x3fe62e42
	v_fma_f64 v[72:73], v[65:66], s[36:37], v[72:73]
	s_mov_b32 s37, 0x3c7abc9e
	v_fma_f64 v[74:75], v[72:73], s[40:41], s[4:5]
	s_mov_b32 s4, 0x623fde64
	s_mov_b32 s5, 0x3ec71dee
	;; [unrolled: 1-line block ×4, first 2 shown]
	v_fma_f64 v[74:75], v[72:73], v[74:75], s[4:5]
	s_mov_b32 s4, 0x7c89e6b0
	s_mov_b32 s5, 0x3efa0199
	v_fma_f64 v[74:75], v[72:73], v[74:75], s[4:5]
	s_mov_b32 s4, 0x14761f6e
	s_mov_b32 s5, 0x3f2a01a0
	;; [unrolled: 3-line block ×7, first 2 shown]
	v_fma_f64 v[74:75], v[72:73], v[74:75], s[4:5]
	v_cmp_nlt_f64_e64 s4, 0x40900000, v[63:64]
	v_cmp_ngt_f64_e64 s5, 0xc090cc00, v[63:64]
	v_fma_f64 v[74:75], v[72:73], v[74:75], 1.0
	v_fma_f64 v[65:66], v[72:73], v[74:75], 1.0
	v_ldexp_f64 v[65:66], v[65:66], v68
	v_cndmask_b32_e64 v66, 0x7ff00000, v66, s4
	s_and_b32 s4, s5, s4
	v_cndmask_b32_e64 v63, 0, v65, s4
	s_mov_b32 s4, 0x55555555
	v_cndmask_b32_e64 v64, 0, v66, s5
	s_mov_b32 s5, 0x3fe55555
	v_add_f64 v[65:66], v[63:64], 1.0
	v_cmp_ngt_f64_e64 s29, -1.0, v[63:64]
	v_frexp_mant_f64_e32 v[72:73], v[65:66]
	v_frexp_exp_i32_f64_e32 v68, v[65:66]
	v_add_f64 v[74:75], v[65:66], -1.0
	v_cmp_gt_f64_e64 s4, s[4:5], v[72:73]
	v_add_f64 v[72:73], v[74:75], -v[65:66]
	v_add_f64 v[74:75], v[63:64], -v[74:75]
	v_subrev_co_ci_u32_e64 v68, null, 0, v68, s4
	v_add_f64 v[72:73], v[72:73], 1.0
	s_mov_b32 s4, 0x55555780
	v_sub_nc_u32_e32 v78, 0, v68
	v_ldexp_f64 v[65:66], v[65:66], v78
	v_add_f64 v[72:73], v[74:75], v[72:73]
	v_add_f64 v[76:77], v[65:66], 1.0
	v_add_f64 v[82:83], v[65:66], -1.0
	v_ldexp_f64 v[72:73], v[72:73], v78
	v_add_f64 v[74:75], v[76:77], -1.0
	v_add_f64 v[84:85], v[82:83], 1.0
	v_add_f64 v[74:75], v[65:66], -v[74:75]
	v_add_f64 v[65:66], v[65:66], -v[84:85]
	v_add_f64 v[74:75], v[72:73], v[74:75]
	v_add_f64 v[65:66], v[72:73], v[65:66]
	;; [unrolled: 1-line block ×4, first 2 shown]
	v_rcp_f64_e32 v[80:81], v[78:79]
	v_add_f64 v[76:77], v[78:79], -v[76:77]
	v_add_f64 v[82:83], v[84:85], -v[82:83]
	;; [unrolled: 1-line block ×3, first 2 shown]
	v_fma_f64 v[86:87], -v[78:79], v[80:81], 1.0
	v_add_f64 v[65:66], v[65:66], -v[82:83]
	v_fma_f64 v[80:81], v[86:87], v[80:81], v[80:81]
	v_fma_f64 v[72:73], -v[78:79], v[80:81], 1.0
	v_fma_f64 v[72:73], v[72:73], v[80:81], v[80:81]
	v_mul_f64 v[80:81], v[84:85], v[72:73]
	v_mul_f64 v[86:87], v[78:79], v[80:81]
	v_fma_f64 v[76:77], v[80:81], v[78:79], -v[86:87]
	v_fma_f64 v[76:77], v[80:81], v[74:75], v[76:77]
	v_add_f64 v[88:89], v[86:87], v[76:77]
	v_add_f64 v[90:91], v[84:85], -v[88:89]
	v_add_f64 v[82:83], v[88:89], -v[86:87]
	v_add_f64 v[84:85], v[84:85], -v[90:91]
	v_add_f64 v[76:77], v[82:83], -v[76:77]
	v_add_f64 v[84:85], v[84:85], -v[88:89]
	v_add_f64 v[65:66], v[65:66], v[84:85]
	v_add_f64 v[65:66], v[76:77], v[65:66]
	;; [unrolled: 1-line block ×3, first 2 shown]
	v_mul_f64 v[82:83], v[72:73], v[76:77]
	v_add_f64 v[88:89], v[90:91], -v[76:77]
	v_mul_f64 v[84:85], v[78:79], v[82:83]
	v_add_f64 v[65:66], v[65:66], v[88:89]
	v_fma_f64 v[78:79], v[82:83], v[78:79], -v[84:85]
	v_fma_f64 v[74:75], v[82:83], v[74:75], v[78:79]
	v_add_f64 v[78:79], v[84:85], v[74:75]
	v_add_f64 v[86:87], v[76:77], -v[78:79]
	v_add_f64 v[84:85], v[78:79], -v[84:85]
	;; [unrolled: 1-line block ×5, first 2 shown]
	v_add_f64 v[65:66], v[65:66], v[76:77]
	v_add_f64 v[76:77], v[80:81], v[82:83]
	;; [unrolled: 1-line block ×3, first 2 shown]
	v_add_f64 v[74:75], v[76:77], -v[80:81]
	v_add_f64 v[65:66], v[86:87], v[65:66]
	v_add_f64 v[74:75], v[82:83], -v[74:75]
	v_mul_f64 v[65:66], v[72:73], v[65:66]
	v_add_f64 v[65:66], v[74:75], v[65:66]
	v_add_f64 v[72:73], v[76:77], v[65:66]
	v_mul_f64 v[74:75], v[72:73], v[72:73]
	v_fma_f64 v[78:79], v[74:75], s[42:43], s[40:41]
	s_mov_b32 s40, 0xd7f4df2e
	s_mov_b32 s41, 0x3fc7474d
	v_mul_f64 v[80:81], v[72:73], v[74:75]
	v_fma_f64 v[78:79], v[74:75], v[78:79], s[40:41]
	s_mov_b32 s40, 0x16291751
	s_mov_b32 s41, 0x3fcc71c0
	v_fma_f64 v[78:79], v[74:75], v[78:79], s[40:41]
	s_mov_b32 s40, 0x9b27acf1
	s_mov_b32 s41, 0x3fd24924
	;; [unrolled: 3-line block ×3, first 2 shown]
	v_fma_f64 v[78:79], v[74:75], v[78:79], s[40:41]
	v_fma_f64 v[74:75], v[74:75], v[78:79], s[4:5]
	v_ldexp_f64 v[78:79], v[72:73], 1
	v_add_f64 v[72:73], v[72:73], -v[76:77]
	v_cmp_nge_f64_e64 s4, -1.0, v[63:64]
	v_cmp_neq_f64_e64 s5, 0x7ff00000, v[63:64]
	v_mul_f64 v[74:75], v[80:81], v[74:75]
	v_cvt_f64_i32_e32 v[80:81], v68
	v_add_f64 v[65:66], v[65:66], -v[72:73]
	s_and_b32 s4, s4, s5
	v_add_f64 v[76:77], v[78:79], v[74:75]
	v_mul_f64 v[82:83], v[80:81], s[34:35]
	v_ldexp_f64 v[65:66], v[65:66], 1
	v_add_f64 v[72:73], v[76:77], -v[78:79]
	v_fma_f64 v[78:79], v[80:81], s[34:35], -v[82:83]
	v_add_f64 v[72:73], v[74:75], -v[72:73]
	v_fma_f64 v[74:75], v[80:81], s[36:37], v[78:79]
	v_add_f64 v[65:66], v[65:66], v[72:73]
	v_add_f64 v[72:73], v[82:83], v[74:75]
	;; [unrolled: 1-line block ×3, first 2 shown]
	v_add_f64 v[82:83], v[72:73], -v[82:83]
	v_add_f64 v[80:81], v[72:73], v[78:79]
	v_add_f64 v[76:77], v[78:79], -v[76:77]
	v_add_f64 v[74:75], v[74:75], -v[82:83]
	;; [unrolled: 1-line block ×6, first 2 shown]
	v_add_f64 v[78:79], v[74:75], v[65:66]
	v_add_f64 v[72:73], v[72:73], -v[86:87]
	v_add_f64 v[72:73], v[76:77], v[72:73]
	v_add_f64 v[76:77], v[78:79], -v[74:75]
	;; [unrolled: 2-line block ×3, first 2 shown]
	v_add_f64 v[65:66], v[65:66], -v[76:77]
	v_add_f64 v[82:83], v[80:81], v[72:73]
	v_add_f64 v[74:75], v[74:75], -v[78:79]
	v_add_f64 v[76:77], v[82:83], -v[80:81]
	v_add_f64 v[65:66], v[65:66], v[74:75]
	v_add_f64 v[72:73], v[72:73], -v[76:77]
	v_add_f64 v[65:66], v[65:66], v[72:73]
	v_add_f64 v[65:66], v[82:83], v[65:66]
	v_cndmask_b32_e64 v65, 0, v65, s4
	v_cmp_neq_f64_e64 s4, -1.0, v[63:64]
	v_cndmask_b32_e64 v66, 0x7ff00000, v66, s5
	v_cndmask_b32_e64 v66, 0x7ff80000, v66, s29
	;; [unrolled: 1-line block ×3, first 2 shown]
	v_add_f64 v[63:64], v[61:62], v[65:66]
.LBB26_61:
	s_or_b32 exec_lo, exec_lo, s38
	v_mov_b32_e32 v61, v63
	v_mov_b32_e32 v62, v64
	;; [unrolled: 1-line block ×4, first 2 shown]
.LBB26_62:
	s_or_b32 exec_lo, exec_lo, s33
	v_mov_b32_dpp v63, v65 row_shr:4 row_mask:0xf bank_mask:0xf
	v_mov_b32_dpp v64, v66 row_shr:4 row_mask:0xf bank_mask:0xf
	s_mov_b32 s33, exec_lo
	v_cmpx_lt_u32_e32 3, v67
	s_cbranch_execz .LBB26_66
; %bb.63:
	v_max_f64 v[65:66], v[63:64], v[63:64]
	v_max_f64 v[72:73], v[61:62], v[61:62]
	v_cmp_u_f64_e64 s4, v[63:64], v[63:64]
	v_cmp_u_f64_e64 s5, v[61:62], v[61:62]
	v_min_f64 v[74:75], v[65:66], v[72:73]
	v_max_f64 v[65:66], v[65:66], v[72:73]
	v_cndmask_b32_e64 v68, v75, v64, s4
	v_cndmask_b32_e64 v72, v74, v63, s4
	;; [unrolled: 1-line block ×8, first 2 shown]
	v_cmp_class_f64_e64 s5, v[65:66], 0x1f8
	v_cmp_neq_f64_e64 s4, v[65:66], v[61:62]
	s_or_b32 s4, s4, s5
	s_and_saveexec_b32 s38, s4
	s_cbranch_execz .LBB26_65
; %bb.64:
	v_add_f64 v[63:64], v[65:66], -v[61:62]
	s_mov_b32 s4, 0x652b82fe
	s_mov_b32 s5, 0x3ff71547
	;; [unrolled: 1-line block ×10, first 2 shown]
	v_mul_f64 v[65:66], v[63:64], s[4:5]
	s_mov_b32 s4, 0xfca7ab0c
	s_mov_b32 s5, 0x3e928af3
	v_rndne_f64_e32 v[65:66], v[65:66]
	v_fma_f64 v[72:73], v[65:66], s[34:35], v[63:64]
	v_cvt_i32_f64_e32 v68, v[65:66]
	s_mov_b32 s35, 0x3fe62e42
	v_fma_f64 v[72:73], v[65:66], s[36:37], v[72:73]
	s_mov_b32 s37, 0x3c7abc9e
	v_fma_f64 v[74:75], v[72:73], s[40:41], s[4:5]
	s_mov_b32 s4, 0x623fde64
	s_mov_b32 s5, 0x3ec71dee
	;; [unrolled: 1-line block ×4, first 2 shown]
	v_fma_f64 v[74:75], v[72:73], v[74:75], s[4:5]
	s_mov_b32 s4, 0x7c89e6b0
	s_mov_b32 s5, 0x3efa0199
	v_fma_f64 v[74:75], v[72:73], v[74:75], s[4:5]
	s_mov_b32 s4, 0x14761f6e
	s_mov_b32 s5, 0x3f2a01a0
	;; [unrolled: 3-line block ×7, first 2 shown]
	v_fma_f64 v[74:75], v[72:73], v[74:75], s[4:5]
	v_cmp_nlt_f64_e64 s4, 0x40900000, v[63:64]
	v_cmp_ngt_f64_e64 s5, 0xc090cc00, v[63:64]
	v_fma_f64 v[74:75], v[72:73], v[74:75], 1.0
	v_fma_f64 v[65:66], v[72:73], v[74:75], 1.0
	v_ldexp_f64 v[65:66], v[65:66], v68
	v_cndmask_b32_e64 v66, 0x7ff00000, v66, s4
	s_and_b32 s4, s5, s4
	v_cndmask_b32_e64 v63, 0, v65, s4
	s_mov_b32 s4, 0x55555555
	v_cndmask_b32_e64 v64, 0, v66, s5
	s_mov_b32 s5, 0x3fe55555
	v_add_f64 v[65:66], v[63:64], 1.0
	v_cmp_ngt_f64_e64 s29, -1.0, v[63:64]
	v_frexp_mant_f64_e32 v[72:73], v[65:66]
	v_frexp_exp_i32_f64_e32 v68, v[65:66]
	v_add_f64 v[74:75], v[65:66], -1.0
	v_cmp_gt_f64_e64 s4, s[4:5], v[72:73]
	v_add_f64 v[72:73], v[74:75], -v[65:66]
	v_add_f64 v[74:75], v[63:64], -v[74:75]
	v_subrev_co_ci_u32_e64 v68, null, 0, v68, s4
	v_add_f64 v[72:73], v[72:73], 1.0
	s_mov_b32 s4, 0x55555780
	v_sub_nc_u32_e32 v78, 0, v68
	v_ldexp_f64 v[65:66], v[65:66], v78
	v_add_f64 v[72:73], v[74:75], v[72:73]
	v_add_f64 v[76:77], v[65:66], 1.0
	v_add_f64 v[82:83], v[65:66], -1.0
	v_ldexp_f64 v[72:73], v[72:73], v78
	v_add_f64 v[74:75], v[76:77], -1.0
	v_add_f64 v[84:85], v[82:83], 1.0
	v_add_f64 v[74:75], v[65:66], -v[74:75]
	v_add_f64 v[65:66], v[65:66], -v[84:85]
	v_add_f64 v[74:75], v[72:73], v[74:75]
	v_add_f64 v[65:66], v[72:73], v[65:66]
	;; [unrolled: 1-line block ×4, first 2 shown]
	v_rcp_f64_e32 v[80:81], v[78:79]
	v_add_f64 v[76:77], v[78:79], -v[76:77]
	v_add_f64 v[82:83], v[84:85], -v[82:83]
	;; [unrolled: 1-line block ×3, first 2 shown]
	v_fma_f64 v[86:87], -v[78:79], v[80:81], 1.0
	v_add_f64 v[65:66], v[65:66], -v[82:83]
	v_fma_f64 v[80:81], v[86:87], v[80:81], v[80:81]
	v_fma_f64 v[72:73], -v[78:79], v[80:81], 1.0
	v_fma_f64 v[72:73], v[72:73], v[80:81], v[80:81]
	v_mul_f64 v[80:81], v[84:85], v[72:73]
	v_mul_f64 v[86:87], v[78:79], v[80:81]
	v_fma_f64 v[76:77], v[80:81], v[78:79], -v[86:87]
	v_fma_f64 v[76:77], v[80:81], v[74:75], v[76:77]
	v_add_f64 v[88:89], v[86:87], v[76:77]
	v_add_f64 v[90:91], v[84:85], -v[88:89]
	v_add_f64 v[82:83], v[88:89], -v[86:87]
	;; [unrolled: 1-line block ×5, first 2 shown]
	v_add_f64 v[65:66], v[65:66], v[84:85]
	v_add_f64 v[65:66], v[76:77], v[65:66]
	;; [unrolled: 1-line block ×3, first 2 shown]
	v_mul_f64 v[82:83], v[72:73], v[76:77]
	v_add_f64 v[88:89], v[90:91], -v[76:77]
	v_mul_f64 v[84:85], v[78:79], v[82:83]
	v_add_f64 v[65:66], v[65:66], v[88:89]
	v_fma_f64 v[78:79], v[82:83], v[78:79], -v[84:85]
	v_fma_f64 v[74:75], v[82:83], v[74:75], v[78:79]
	v_add_f64 v[78:79], v[84:85], v[74:75]
	v_add_f64 v[86:87], v[76:77], -v[78:79]
	v_add_f64 v[84:85], v[78:79], -v[84:85]
	;; [unrolled: 1-line block ×5, first 2 shown]
	v_add_f64 v[65:66], v[65:66], v[76:77]
	v_add_f64 v[76:77], v[80:81], v[82:83]
	;; [unrolled: 1-line block ×3, first 2 shown]
	v_add_f64 v[74:75], v[76:77], -v[80:81]
	v_add_f64 v[65:66], v[86:87], v[65:66]
	v_add_f64 v[74:75], v[82:83], -v[74:75]
	v_mul_f64 v[65:66], v[72:73], v[65:66]
	v_add_f64 v[65:66], v[74:75], v[65:66]
	v_add_f64 v[72:73], v[76:77], v[65:66]
	v_mul_f64 v[74:75], v[72:73], v[72:73]
	v_fma_f64 v[78:79], v[74:75], s[42:43], s[40:41]
	s_mov_b32 s40, 0xd7f4df2e
	s_mov_b32 s41, 0x3fc7474d
	v_mul_f64 v[80:81], v[72:73], v[74:75]
	v_fma_f64 v[78:79], v[74:75], v[78:79], s[40:41]
	s_mov_b32 s40, 0x16291751
	s_mov_b32 s41, 0x3fcc71c0
	v_fma_f64 v[78:79], v[74:75], v[78:79], s[40:41]
	s_mov_b32 s40, 0x9b27acf1
	s_mov_b32 s41, 0x3fd24924
	;; [unrolled: 3-line block ×3, first 2 shown]
	v_fma_f64 v[78:79], v[74:75], v[78:79], s[40:41]
	v_fma_f64 v[74:75], v[74:75], v[78:79], s[4:5]
	v_ldexp_f64 v[78:79], v[72:73], 1
	v_add_f64 v[72:73], v[72:73], -v[76:77]
	v_cmp_nge_f64_e64 s4, -1.0, v[63:64]
	v_cmp_neq_f64_e64 s5, 0x7ff00000, v[63:64]
	v_mul_f64 v[74:75], v[80:81], v[74:75]
	v_cvt_f64_i32_e32 v[80:81], v68
	v_add_f64 v[65:66], v[65:66], -v[72:73]
	s_and_b32 s4, s4, s5
	v_add_f64 v[76:77], v[78:79], v[74:75]
	v_mul_f64 v[82:83], v[80:81], s[34:35]
	v_ldexp_f64 v[65:66], v[65:66], 1
	v_add_f64 v[72:73], v[76:77], -v[78:79]
	v_fma_f64 v[78:79], v[80:81], s[34:35], -v[82:83]
	v_add_f64 v[72:73], v[74:75], -v[72:73]
	v_fma_f64 v[74:75], v[80:81], s[36:37], v[78:79]
	v_add_f64 v[65:66], v[65:66], v[72:73]
	v_add_f64 v[72:73], v[82:83], v[74:75]
	;; [unrolled: 1-line block ×3, first 2 shown]
	v_add_f64 v[82:83], v[72:73], -v[82:83]
	v_add_f64 v[80:81], v[72:73], v[78:79]
	v_add_f64 v[76:77], v[78:79], -v[76:77]
	v_add_f64 v[74:75], v[74:75], -v[82:83]
	;; [unrolled: 1-line block ×6, first 2 shown]
	v_add_f64 v[78:79], v[74:75], v[65:66]
	v_add_f64 v[72:73], v[72:73], -v[86:87]
	v_add_f64 v[72:73], v[76:77], v[72:73]
	v_add_f64 v[76:77], v[78:79], -v[74:75]
	;; [unrolled: 2-line block ×3, first 2 shown]
	v_add_f64 v[65:66], v[65:66], -v[76:77]
	v_add_f64 v[82:83], v[80:81], v[72:73]
	v_add_f64 v[74:75], v[74:75], -v[78:79]
	v_add_f64 v[76:77], v[82:83], -v[80:81]
	v_add_f64 v[65:66], v[65:66], v[74:75]
	v_add_f64 v[72:73], v[72:73], -v[76:77]
	v_add_f64 v[65:66], v[65:66], v[72:73]
	v_add_f64 v[65:66], v[82:83], v[65:66]
	v_cndmask_b32_e64 v65, 0, v65, s4
	v_cmp_neq_f64_e64 s4, -1.0, v[63:64]
	v_cndmask_b32_e64 v66, 0x7ff00000, v66, s5
	v_cndmask_b32_e64 v66, 0x7ff80000, v66, s29
	;; [unrolled: 1-line block ×3, first 2 shown]
	v_add_f64 v[63:64], v[61:62], v[65:66]
.LBB26_65:
	s_or_b32 exec_lo, exec_lo, s38
	v_mov_b32_e32 v61, v63
	v_mov_b32_e32 v62, v64
	;; [unrolled: 1-line block ×4, first 2 shown]
.LBB26_66:
	s_or_b32 exec_lo, exec_lo, s33
	v_mov_b32_dpp v63, v65 row_shr:8 row_mask:0xf bank_mask:0xf
	v_mov_b32_dpp v64, v66 row_shr:8 row_mask:0xf bank_mask:0xf
	s_mov_b32 s33, exec_lo
	v_cmpx_lt_u32_e32 7, v67
	s_cbranch_execz .LBB26_70
; %bb.67:
	v_max_f64 v[65:66], v[63:64], v[63:64]
	v_max_f64 v[67:68], v[61:62], v[61:62]
	v_cmp_u_f64_e64 s4, v[63:64], v[63:64]
	v_cmp_u_f64_e64 s5, v[61:62], v[61:62]
	v_min_f64 v[72:73], v[65:66], v[67:68]
	v_max_f64 v[65:66], v[65:66], v[67:68]
	v_cndmask_b32_e64 v67, v73, v64, s4
	v_cndmask_b32_e64 v68, v72, v63, s4
	v_cndmask_b32_e64 v72, v66, v64, s4
	v_cndmask_b32_e64 v73, v65, v63, s4
	v_cndmask_b32_e64 v66, v67, v62, s5
	v_cndmask_b32_e64 v65, v68, v61, s5
	v_cndmask_b32_e64 v62, v72, v62, s5
	v_cndmask_b32_e64 v61, v73, v61, s5
	v_cmp_class_f64_e64 s5, v[65:66], 0x1f8
	v_cmp_neq_f64_e64 s4, v[65:66], v[61:62]
	s_or_b32 s4, s4, s5
	s_and_saveexec_b32 s38, s4
	s_cbranch_execz .LBB26_69
; %bb.68:
	v_add_f64 v[63:64], v[65:66], -v[61:62]
	s_mov_b32 s4, 0x652b82fe
	s_mov_b32 s5, 0x3ff71547
	;; [unrolled: 1-line block ×10, first 2 shown]
	v_mul_f64 v[65:66], v[63:64], s[4:5]
	s_mov_b32 s4, 0xfca7ab0c
	s_mov_b32 s5, 0x3e928af3
	v_rndne_f64_e32 v[65:66], v[65:66]
	v_fma_f64 v[67:68], v[65:66], s[34:35], v[63:64]
	v_cvt_i32_f64_e32 v74, v[65:66]
	s_mov_b32 s35, 0x3fe62e42
	v_fma_f64 v[67:68], v[65:66], s[36:37], v[67:68]
	s_mov_b32 s37, 0x3c7abc9e
	v_fma_f64 v[72:73], v[67:68], s[40:41], s[4:5]
	s_mov_b32 s4, 0x623fde64
	s_mov_b32 s5, 0x3ec71dee
	;; [unrolled: 1-line block ×4, first 2 shown]
	v_fma_f64 v[72:73], v[67:68], v[72:73], s[4:5]
	s_mov_b32 s4, 0x7c89e6b0
	s_mov_b32 s5, 0x3efa0199
	v_fma_f64 v[72:73], v[67:68], v[72:73], s[4:5]
	s_mov_b32 s4, 0x14761f6e
	s_mov_b32 s5, 0x3f2a01a0
	;; [unrolled: 3-line block ×7, first 2 shown]
	v_fma_f64 v[72:73], v[67:68], v[72:73], s[4:5]
	v_cmp_nlt_f64_e64 s4, 0x40900000, v[63:64]
	v_cmp_ngt_f64_e64 s5, 0xc090cc00, v[63:64]
	v_fma_f64 v[72:73], v[67:68], v[72:73], 1.0
	v_fma_f64 v[65:66], v[67:68], v[72:73], 1.0
	v_ldexp_f64 v[65:66], v[65:66], v74
	v_cndmask_b32_e64 v66, 0x7ff00000, v66, s4
	s_and_b32 s4, s5, s4
	v_cndmask_b32_e64 v63, 0, v65, s4
	s_mov_b32 s4, 0x55555555
	v_cndmask_b32_e64 v64, 0, v66, s5
	s_mov_b32 s5, 0x3fe55555
	v_add_f64 v[65:66], v[63:64], 1.0
	v_cmp_ngt_f64_e64 s29, -1.0, v[63:64]
	v_frexp_mant_f64_e32 v[67:68], v[65:66]
	v_frexp_exp_i32_f64_e32 v74, v[65:66]
	v_add_f64 v[72:73], v[65:66], -1.0
	v_cmp_gt_f64_e64 s4, s[4:5], v[67:68]
	v_add_f64 v[67:68], v[72:73], -v[65:66]
	v_add_f64 v[72:73], v[63:64], -v[72:73]
	v_subrev_co_ci_u32_e64 v90, null, 0, v74, s4
	v_add_f64 v[67:68], v[67:68], 1.0
	s_mov_b32 s4, 0x55555780
	v_sub_nc_u32_e32 v76, 0, v90
	v_ldexp_f64 v[65:66], v[65:66], v76
	v_add_f64 v[67:68], v[72:73], v[67:68]
	v_add_f64 v[74:75], v[65:66], 1.0
	v_add_f64 v[80:81], v[65:66], -1.0
	v_ldexp_f64 v[67:68], v[67:68], v76
	v_add_f64 v[72:73], v[74:75], -1.0
	v_add_f64 v[82:83], v[80:81], 1.0
	v_add_f64 v[72:73], v[65:66], -v[72:73]
	v_add_f64 v[65:66], v[65:66], -v[82:83]
	v_add_f64 v[72:73], v[67:68], v[72:73]
	v_add_f64 v[65:66], v[67:68], v[65:66]
	;; [unrolled: 1-line block ×4, first 2 shown]
	v_rcp_f64_e32 v[78:79], v[76:77]
	v_add_f64 v[74:75], v[76:77], -v[74:75]
	v_add_f64 v[80:81], v[82:83], -v[80:81]
	;; [unrolled: 1-line block ×3, first 2 shown]
	v_fma_f64 v[84:85], -v[76:77], v[78:79], 1.0
	v_add_f64 v[65:66], v[65:66], -v[80:81]
	v_fma_f64 v[78:79], v[84:85], v[78:79], v[78:79]
	v_fma_f64 v[67:68], -v[76:77], v[78:79], 1.0
	v_fma_f64 v[67:68], v[67:68], v[78:79], v[78:79]
	v_mul_f64 v[78:79], v[82:83], v[67:68]
	v_mul_f64 v[84:85], v[76:77], v[78:79]
	v_fma_f64 v[74:75], v[78:79], v[76:77], -v[84:85]
	v_fma_f64 v[74:75], v[78:79], v[72:73], v[74:75]
	v_add_f64 v[86:87], v[84:85], v[74:75]
	v_add_f64 v[88:89], v[82:83], -v[86:87]
	v_add_f64 v[80:81], v[86:87], -v[84:85]
	v_add_f64 v[82:83], v[82:83], -v[88:89]
	v_add_f64 v[74:75], v[80:81], -v[74:75]
	v_add_f64 v[82:83], v[82:83], -v[86:87]
	v_add_f64 v[65:66], v[65:66], v[82:83]
	v_add_f64 v[65:66], v[74:75], v[65:66]
	;; [unrolled: 1-line block ×3, first 2 shown]
	v_mul_f64 v[80:81], v[67:68], v[74:75]
	v_add_f64 v[86:87], v[88:89], -v[74:75]
	v_mul_f64 v[82:83], v[76:77], v[80:81]
	v_add_f64 v[65:66], v[65:66], v[86:87]
	v_fma_f64 v[76:77], v[80:81], v[76:77], -v[82:83]
	v_fma_f64 v[72:73], v[80:81], v[72:73], v[76:77]
	v_add_f64 v[76:77], v[82:83], v[72:73]
	v_add_f64 v[84:85], v[74:75], -v[76:77]
	v_add_f64 v[82:83], v[76:77], -v[82:83]
	;; [unrolled: 1-line block ×5, first 2 shown]
	v_add_f64 v[65:66], v[65:66], v[74:75]
	v_add_f64 v[74:75], v[78:79], v[80:81]
	;; [unrolled: 1-line block ×3, first 2 shown]
	v_add_f64 v[72:73], v[74:75], -v[78:79]
	v_add_f64 v[65:66], v[84:85], v[65:66]
	v_add_f64 v[72:73], v[80:81], -v[72:73]
	v_mul_f64 v[65:66], v[67:68], v[65:66]
	v_add_f64 v[65:66], v[72:73], v[65:66]
	v_add_f64 v[67:68], v[74:75], v[65:66]
	v_mul_f64 v[72:73], v[67:68], v[67:68]
	v_fma_f64 v[76:77], v[72:73], s[42:43], s[40:41]
	s_mov_b32 s40, 0xd7f4df2e
	s_mov_b32 s41, 0x3fc7474d
	v_mul_f64 v[78:79], v[67:68], v[72:73]
	v_fma_f64 v[76:77], v[72:73], v[76:77], s[40:41]
	s_mov_b32 s40, 0x16291751
	s_mov_b32 s41, 0x3fcc71c0
	v_fma_f64 v[76:77], v[72:73], v[76:77], s[40:41]
	s_mov_b32 s40, 0x9b27acf1
	s_mov_b32 s41, 0x3fd24924
	;; [unrolled: 3-line block ×3, first 2 shown]
	v_fma_f64 v[76:77], v[72:73], v[76:77], s[40:41]
	v_fma_f64 v[72:73], v[72:73], v[76:77], s[4:5]
	v_ldexp_f64 v[76:77], v[67:68], 1
	v_add_f64 v[67:68], v[67:68], -v[74:75]
	v_cmp_nge_f64_e64 s4, -1.0, v[63:64]
	v_cmp_neq_f64_e64 s5, 0x7ff00000, v[63:64]
	v_mul_f64 v[72:73], v[78:79], v[72:73]
	v_cvt_f64_i32_e32 v[78:79], v90
	v_add_f64 v[65:66], v[65:66], -v[67:68]
	s_and_b32 s4, s4, s5
	v_add_f64 v[74:75], v[76:77], v[72:73]
	v_mul_f64 v[80:81], v[78:79], s[34:35]
	v_ldexp_f64 v[65:66], v[65:66], 1
	v_add_f64 v[67:68], v[74:75], -v[76:77]
	v_fma_f64 v[76:77], v[78:79], s[34:35], -v[80:81]
	v_add_f64 v[67:68], v[72:73], -v[67:68]
	v_fma_f64 v[72:73], v[78:79], s[36:37], v[76:77]
	v_add_f64 v[65:66], v[65:66], v[67:68]
	v_add_f64 v[67:68], v[80:81], v[72:73]
	v_add_f64 v[76:77], v[74:75], v[65:66]
	v_add_f64 v[80:81], v[67:68], -v[80:81]
	v_add_f64 v[78:79], v[67:68], v[76:77]
	v_add_f64 v[74:75], v[76:77], -v[74:75]
	v_add_f64 v[72:73], v[72:73], -v[80:81]
	;; [unrolled: 1-line block ×6, first 2 shown]
	v_add_f64 v[76:77], v[72:73], v[65:66]
	v_add_f64 v[67:68], v[67:68], -v[84:85]
	v_add_f64 v[67:68], v[74:75], v[67:68]
	v_add_f64 v[74:75], v[76:77], -v[72:73]
	;; [unrolled: 2-line block ×3, first 2 shown]
	v_add_f64 v[65:66], v[65:66], -v[74:75]
	v_add_f64 v[80:81], v[78:79], v[67:68]
	v_add_f64 v[72:73], v[72:73], -v[76:77]
	v_add_f64 v[74:75], v[80:81], -v[78:79]
	v_add_f64 v[65:66], v[65:66], v[72:73]
	v_add_f64 v[67:68], v[67:68], -v[74:75]
	v_add_f64 v[65:66], v[65:66], v[67:68]
	v_add_f64 v[65:66], v[80:81], v[65:66]
	v_cndmask_b32_e64 v65, 0, v65, s4
	v_cmp_neq_f64_e64 s4, -1.0, v[63:64]
	v_cndmask_b32_e64 v66, 0x7ff00000, v66, s5
	v_cndmask_b32_e64 v66, 0x7ff80000, v66, s29
	;; [unrolled: 1-line block ×3, first 2 shown]
	v_add_f64 v[63:64], v[61:62], v[65:66]
.LBB26_69:
	s_or_b32 exec_lo, exec_lo, s38
	v_mov_b32_e32 v61, v63
	v_mov_b32_e32 v65, v63
	;; [unrolled: 1-line block ×4, first 2 shown]
.LBB26_70:
	s_or_b32 exec_lo, exec_lo, s33
	ds_swizzle_b32 v63, v65 offset:swizzle(BROADCAST,32,15)
	ds_swizzle_b32 v64, v66 offset:swizzle(BROADCAST,32,15)
	v_and_b32_e32 v65, 16, v71
	s_mov_b32 s33, exec_lo
	v_cmpx_ne_u32_e32 0, v65
	s_cbranch_execz .LBB26_74
; %bb.71:
	s_waitcnt lgkmcnt(0)
	v_max_f64 v[65:66], v[63:64], v[63:64]
	v_max_f64 v[67:68], v[61:62], v[61:62]
	v_cmp_u_f64_e64 s4, v[63:64], v[63:64]
	v_cmp_u_f64_e64 s5, v[61:62], v[61:62]
	v_min_f64 v[72:73], v[65:66], v[67:68]
	v_max_f64 v[65:66], v[65:66], v[67:68]
	v_cndmask_b32_e64 v67, v73, v64, s4
	v_cndmask_b32_e64 v68, v72, v63, s4
	;; [unrolled: 1-line block ×8, first 2 shown]
	v_cmp_class_f64_e64 s5, v[65:66], 0x1f8
	v_cmp_neq_f64_e64 s4, v[65:66], v[61:62]
	s_or_b32 s4, s4, s5
	s_and_saveexec_b32 s38, s4
	s_cbranch_execz .LBB26_73
; %bb.72:
	v_add_f64 v[63:64], v[65:66], -v[61:62]
	s_mov_b32 s4, 0x652b82fe
	s_mov_b32 s5, 0x3ff71547
	;; [unrolled: 1-line block ×10, first 2 shown]
	v_mul_f64 v[65:66], v[63:64], s[4:5]
	s_mov_b32 s4, 0xfca7ab0c
	s_mov_b32 s5, 0x3e928af3
	v_rndne_f64_e32 v[65:66], v[65:66]
	v_fma_f64 v[67:68], v[65:66], s[34:35], v[63:64]
	v_cvt_i32_f64_e32 v74, v[65:66]
	s_mov_b32 s35, 0x3fe62e42
	v_fma_f64 v[67:68], v[65:66], s[36:37], v[67:68]
	s_mov_b32 s37, 0x3c7abc9e
	v_fma_f64 v[72:73], v[67:68], s[40:41], s[4:5]
	s_mov_b32 s4, 0x623fde64
	s_mov_b32 s5, 0x3ec71dee
	;; [unrolled: 1-line block ×4, first 2 shown]
	v_fma_f64 v[72:73], v[67:68], v[72:73], s[4:5]
	s_mov_b32 s4, 0x7c89e6b0
	s_mov_b32 s5, 0x3efa0199
	v_fma_f64 v[72:73], v[67:68], v[72:73], s[4:5]
	s_mov_b32 s4, 0x14761f6e
	s_mov_b32 s5, 0x3f2a01a0
	;; [unrolled: 3-line block ×7, first 2 shown]
	v_fma_f64 v[72:73], v[67:68], v[72:73], s[4:5]
	v_cmp_nlt_f64_e64 s4, 0x40900000, v[63:64]
	v_cmp_ngt_f64_e64 s5, 0xc090cc00, v[63:64]
	v_fma_f64 v[72:73], v[67:68], v[72:73], 1.0
	v_fma_f64 v[65:66], v[67:68], v[72:73], 1.0
	v_ldexp_f64 v[65:66], v[65:66], v74
	v_cndmask_b32_e64 v66, 0x7ff00000, v66, s4
	s_and_b32 s4, s5, s4
	v_cndmask_b32_e64 v63, 0, v65, s4
	s_mov_b32 s4, 0x55555555
	v_cndmask_b32_e64 v64, 0, v66, s5
	s_mov_b32 s5, 0x3fe55555
	v_add_f64 v[65:66], v[63:64], 1.0
	v_cmp_ngt_f64_e64 s29, -1.0, v[63:64]
	v_frexp_mant_f64_e32 v[67:68], v[65:66]
	v_frexp_exp_i32_f64_e32 v74, v[65:66]
	v_add_f64 v[72:73], v[65:66], -1.0
	v_cmp_gt_f64_e64 s4, s[4:5], v[67:68]
	v_add_f64 v[67:68], v[72:73], -v[65:66]
	v_add_f64 v[72:73], v[63:64], -v[72:73]
	v_subrev_co_ci_u32_e64 v90, null, 0, v74, s4
	v_add_f64 v[67:68], v[67:68], 1.0
	s_mov_b32 s4, 0x55555780
	v_sub_nc_u32_e32 v76, 0, v90
	v_ldexp_f64 v[65:66], v[65:66], v76
	v_add_f64 v[67:68], v[72:73], v[67:68]
	v_add_f64 v[74:75], v[65:66], 1.0
	v_add_f64 v[80:81], v[65:66], -1.0
	v_ldexp_f64 v[67:68], v[67:68], v76
	v_add_f64 v[72:73], v[74:75], -1.0
	v_add_f64 v[82:83], v[80:81], 1.0
	v_add_f64 v[72:73], v[65:66], -v[72:73]
	v_add_f64 v[65:66], v[65:66], -v[82:83]
	v_add_f64 v[72:73], v[67:68], v[72:73]
	v_add_f64 v[65:66], v[67:68], v[65:66]
	v_add_f64 v[76:77], v[74:75], v[72:73]
	v_add_f64 v[82:83], v[80:81], v[65:66]
	v_rcp_f64_e32 v[78:79], v[76:77]
	v_add_f64 v[74:75], v[76:77], -v[74:75]
	v_add_f64 v[80:81], v[82:83], -v[80:81]
	;; [unrolled: 1-line block ×3, first 2 shown]
	v_fma_f64 v[84:85], -v[76:77], v[78:79], 1.0
	v_add_f64 v[65:66], v[65:66], -v[80:81]
	v_fma_f64 v[78:79], v[84:85], v[78:79], v[78:79]
	v_fma_f64 v[67:68], -v[76:77], v[78:79], 1.0
	v_fma_f64 v[67:68], v[67:68], v[78:79], v[78:79]
	v_mul_f64 v[78:79], v[82:83], v[67:68]
	v_mul_f64 v[84:85], v[76:77], v[78:79]
	v_fma_f64 v[74:75], v[78:79], v[76:77], -v[84:85]
	v_fma_f64 v[74:75], v[78:79], v[72:73], v[74:75]
	v_add_f64 v[86:87], v[84:85], v[74:75]
	v_add_f64 v[88:89], v[82:83], -v[86:87]
	v_add_f64 v[80:81], v[86:87], -v[84:85]
	;; [unrolled: 1-line block ×5, first 2 shown]
	v_add_f64 v[65:66], v[65:66], v[82:83]
	v_add_f64 v[65:66], v[74:75], v[65:66]
	;; [unrolled: 1-line block ×3, first 2 shown]
	v_mul_f64 v[80:81], v[67:68], v[74:75]
	v_add_f64 v[86:87], v[88:89], -v[74:75]
	v_mul_f64 v[82:83], v[76:77], v[80:81]
	v_add_f64 v[65:66], v[65:66], v[86:87]
	v_fma_f64 v[76:77], v[80:81], v[76:77], -v[82:83]
	v_fma_f64 v[72:73], v[80:81], v[72:73], v[76:77]
	v_add_f64 v[76:77], v[82:83], v[72:73]
	v_add_f64 v[84:85], v[74:75], -v[76:77]
	v_add_f64 v[82:83], v[76:77], -v[82:83]
	;; [unrolled: 1-line block ×5, first 2 shown]
	v_add_f64 v[65:66], v[65:66], v[74:75]
	v_add_f64 v[74:75], v[78:79], v[80:81]
	;; [unrolled: 1-line block ×3, first 2 shown]
	v_add_f64 v[72:73], v[74:75], -v[78:79]
	v_add_f64 v[65:66], v[84:85], v[65:66]
	v_add_f64 v[72:73], v[80:81], -v[72:73]
	v_mul_f64 v[65:66], v[67:68], v[65:66]
	v_add_f64 v[65:66], v[72:73], v[65:66]
	v_add_f64 v[67:68], v[74:75], v[65:66]
	v_mul_f64 v[72:73], v[67:68], v[67:68]
	v_fma_f64 v[76:77], v[72:73], s[42:43], s[40:41]
	s_mov_b32 s40, 0xd7f4df2e
	s_mov_b32 s41, 0x3fc7474d
	v_mul_f64 v[78:79], v[67:68], v[72:73]
	v_fma_f64 v[76:77], v[72:73], v[76:77], s[40:41]
	s_mov_b32 s40, 0x16291751
	s_mov_b32 s41, 0x3fcc71c0
	v_fma_f64 v[76:77], v[72:73], v[76:77], s[40:41]
	s_mov_b32 s40, 0x9b27acf1
	s_mov_b32 s41, 0x3fd24924
	;; [unrolled: 3-line block ×3, first 2 shown]
	v_fma_f64 v[76:77], v[72:73], v[76:77], s[40:41]
	v_fma_f64 v[72:73], v[72:73], v[76:77], s[4:5]
	v_ldexp_f64 v[76:77], v[67:68], 1
	v_add_f64 v[67:68], v[67:68], -v[74:75]
	v_cmp_nge_f64_e64 s4, -1.0, v[63:64]
	v_cmp_neq_f64_e64 s5, 0x7ff00000, v[63:64]
	v_mul_f64 v[72:73], v[78:79], v[72:73]
	v_cvt_f64_i32_e32 v[78:79], v90
	v_add_f64 v[65:66], v[65:66], -v[67:68]
	s_and_b32 s4, s4, s5
	v_add_f64 v[74:75], v[76:77], v[72:73]
	v_mul_f64 v[80:81], v[78:79], s[34:35]
	v_ldexp_f64 v[65:66], v[65:66], 1
	v_add_f64 v[67:68], v[74:75], -v[76:77]
	v_fma_f64 v[76:77], v[78:79], s[34:35], -v[80:81]
	v_add_f64 v[67:68], v[72:73], -v[67:68]
	v_fma_f64 v[72:73], v[78:79], s[36:37], v[76:77]
	v_add_f64 v[65:66], v[65:66], v[67:68]
	v_add_f64 v[67:68], v[80:81], v[72:73]
	;; [unrolled: 1-line block ×3, first 2 shown]
	v_add_f64 v[80:81], v[67:68], -v[80:81]
	v_add_f64 v[78:79], v[67:68], v[76:77]
	v_add_f64 v[74:75], v[76:77], -v[74:75]
	v_add_f64 v[72:73], v[72:73], -v[80:81]
	;; [unrolled: 1-line block ×6, first 2 shown]
	v_add_f64 v[76:77], v[72:73], v[65:66]
	v_add_f64 v[67:68], v[67:68], -v[84:85]
	v_add_f64 v[67:68], v[74:75], v[67:68]
	v_add_f64 v[74:75], v[76:77], -v[72:73]
	;; [unrolled: 2-line block ×3, first 2 shown]
	v_add_f64 v[65:66], v[65:66], -v[74:75]
	v_add_f64 v[80:81], v[78:79], v[67:68]
	v_add_f64 v[72:73], v[72:73], -v[76:77]
	v_add_f64 v[74:75], v[80:81], -v[78:79]
	v_add_f64 v[65:66], v[65:66], v[72:73]
	v_add_f64 v[67:68], v[67:68], -v[74:75]
	v_add_f64 v[65:66], v[65:66], v[67:68]
	v_add_f64 v[65:66], v[80:81], v[65:66]
	v_cndmask_b32_e64 v65, 0, v65, s4
	v_cmp_neq_f64_e64 s4, -1.0, v[63:64]
	v_cndmask_b32_e64 v66, 0x7ff00000, v66, s5
	v_cndmask_b32_e64 v66, 0x7ff80000, v66, s29
	;; [unrolled: 1-line block ×3, first 2 shown]
	v_add_f64 v[63:64], v[61:62], v[65:66]
.LBB26_73:
	s_or_b32 exec_lo, exec_lo, s38
	v_mov_b32_e32 v61, v63
	v_mov_b32_e32 v62, v64
.LBB26_74:
	s_or_b32 exec_lo, exec_lo, s33
	s_waitcnt lgkmcnt(0)
	v_or_b32_e32 v63, 31, v0
	v_lshrrev_b32_e32 v72, 5, v0
	s_mov_b32 s5, exec_lo
	v_cmpx_eq_u32_e64 v0, v63
; %bb.75:
	v_lshlrev_b32_e32 v63, 3, v72
	ds_write_b64 v63, v[61:62]
; %bb.76:
	s_or_b32 exec_lo, exec_lo, s5
	s_mov_b32 s33, exec_lo
	s_waitcnt lgkmcnt(0)
	s_barrier
	buffer_gl0_inv
	v_cmpx_gt_u32_e32 4, v0
	s_cbranch_execz .LBB26_86
; %bb.77:
	ds_read_b64 v[63:64], v69
	v_and_b32_e32 v73, 3, v71
	s_mov_b32 s38, exec_lo
	s_waitcnt lgkmcnt(0)
	v_mov_b32_dpp v65, v63 row_shr:1 row_mask:0xf bank_mask:0xf
	v_mov_b32_dpp v66, v64 row_shr:1 row_mask:0xf bank_mask:0xf
	v_mov_b32_e32 v67, v63
	v_mov_b32_e32 v68, v64
	v_cmpx_ne_u32_e32 0, v73
	s_cbranch_execz .LBB26_81
; %bb.78:
	v_max_f64 v[67:68], v[65:66], v[65:66]
	v_max_f64 v[74:75], v[63:64], v[63:64]
	v_cmp_u_f64_e64 s4, v[65:66], v[65:66]
	v_cmp_u_f64_e64 s5, v[63:64], v[63:64]
	v_min_f64 v[76:77], v[67:68], v[74:75]
	v_max_f64 v[67:68], v[67:68], v[74:75]
	v_cndmask_b32_e64 v74, v77, v66, s4
	v_cndmask_b32_e64 v75, v76, v65, s4
	;; [unrolled: 1-line block ×8, first 2 shown]
	v_cmp_class_f64_e64 s5, v[67:68], 0x1f8
	v_cmp_neq_f64_e64 s4, v[67:68], v[63:64]
	s_or_b32 s4, s4, s5
	s_and_saveexec_b32 s39, s4
	s_cbranch_execz .LBB26_80
; %bb.79:
	v_add_f64 v[65:66], v[67:68], -v[63:64]
	s_mov_b32 s4, 0x652b82fe
	s_mov_b32 s5, 0x3ff71547
	;; [unrolled: 1-line block ×10, first 2 shown]
	v_mul_f64 v[67:68], v[65:66], s[4:5]
	s_mov_b32 s4, 0xfca7ab0c
	s_mov_b32 s5, 0x3e928af3
	v_rndne_f64_e32 v[67:68], v[67:68]
	v_fma_f64 v[74:75], v[67:68], s[34:35], v[65:66]
	v_cvt_i32_f64_e32 v78, v[67:68]
	s_mov_b32 s35, 0x3fe62e42
	v_fma_f64 v[74:75], v[67:68], s[36:37], v[74:75]
	s_mov_b32 s37, 0x3c7abc9e
	v_fma_f64 v[76:77], v[74:75], s[40:41], s[4:5]
	s_mov_b32 s4, 0x623fde64
	s_mov_b32 s5, 0x3ec71dee
	;; [unrolled: 1-line block ×4, first 2 shown]
	v_fma_f64 v[76:77], v[74:75], v[76:77], s[4:5]
	s_mov_b32 s4, 0x7c89e6b0
	s_mov_b32 s5, 0x3efa0199
	v_fma_f64 v[76:77], v[74:75], v[76:77], s[4:5]
	s_mov_b32 s4, 0x14761f6e
	s_mov_b32 s5, 0x3f2a01a0
	;; [unrolled: 3-line block ×7, first 2 shown]
	v_fma_f64 v[76:77], v[74:75], v[76:77], s[4:5]
	v_cmp_nlt_f64_e64 s4, 0x40900000, v[65:66]
	v_cmp_ngt_f64_e64 s5, 0xc090cc00, v[65:66]
	v_fma_f64 v[76:77], v[74:75], v[76:77], 1.0
	v_fma_f64 v[67:68], v[74:75], v[76:77], 1.0
	v_ldexp_f64 v[67:68], v[67:68], v78
	v_cndmask_b32_e64 v68, 0x7ff00000, v68, s4
	s_and_b32 s4, s5, s4
	v_cndmask_b32_e64 v65, 0, v67, s4
	s_mov_b32 s4, 0x55555555
	v_cndmask_b32_e64 v66, 0, v68, s5
	s_mov_b32 s5, 0x3fe55555
	v_add_f64 v[67:68], v[65:66], 1.0
	v_cmp_ngt_f64_e64 s29, -1.0, v[65:66]
	v_frexp_mant_f64_e32 v[74:75], v[67:68]
	v_frexp_exp_i32_f64_e32 v78, v[67:68]
	v_add_f64 v[76:77], v[67:68], -1.0
	v_cmp_gt_f64_e64 s4, s[4:5], v[74:75]
	v_add_f64 v[74:75], v[76:77], -v[67:68]
	v_add_f64 v[76:77], v[65:66], -v[76:77]
	v_subrev_co_ci_u32_e64 v94, null, 0, v78, s4
	v_add_f64 v[74:75], v[74:75], 1.0
	s_mov_b32 s4, 0x55555780
	v_sub_nc_u32_e32 v80, 0, v94
	v_ldexp_f64 v[67:68], v[67:68], v80
	v_add_f64 v[74:75], v[76:77], v[74:75]
	v_add_f64 v[78:79], v[67:68], 1.0
	v_add_f64 v[84:85], v[67:68], -1.0
	v_ldexp_f64 v[74:75], v[74:75], v80
	v_add_f64 v[76:77], v[78:79], -1.0
	v_add_f64 v[86:87], v[84:85], 1.0
	v_add_f64 v[76:77], v[67:68], -v[76:77]
	v_add_f64 v[67:68], v[67:68], -v[86:87]
	v_add_f64 v[76:77], v[74:75], v[76:77]
	v_add_f64 v[67:68], v[74:75], v[67:68]
	;; [unrolled: 1-line block ×4, first 2 shown]
	v_rcp_f64_e32 v[82:83], v[80:81]
	v_add_f64 v[78:79], v[80:81], -v[78:79]
	v_add_f64 v[84:85], v[86:87], -v[84:85]
	;; [unrolled: 1-line block ×3, first 2 shown]
	v_fma_f64 v[88:89], -v[80:81], v[82:83], 1.0
	v_add_f64 v[67:68], v[67:68], -v[84:85]
	v_fma_f64 v[82:83], v[88:89], v[82:83], v[82:83]
	v_fma_f64 v[74:75], -v[80:81], v[82:83], 1.0
	v_fma_f64 v[74:75], v[74:75], v[82:83], v[82:83]
	v_mul_f64 v[82:83], v[86:87], v[74:75]
	v_mul_f64 v[88:89], v[80:81], v[82:83]
	v_fma_f64 v[78:79], v[82:83], v[80:81], -v[88:89]
	v_fma_f64 v[78:79], v[82:83], v[76:77], v[78:79]
	v_add_f64 v[90:91], v[88:89], v[78:79]
	v_add_f64 v[92:93], v[86:87], -v[90:91]
	v_add_f64 v[84:85], v[90:91], -v[88:89]
	;; [unrolled: 1-line block ×5, first 2 shown]
	v_add_f64 v[67:68], v[67:68], v[86:87]
	v_add_f64 v[67:68], v[78:79], v[67:68]
	;; [unrolled: 1-line block ×3, first 2 shown]
	v_mul_f64 v[84:85], v[74:75], v[78:79]
	v_add_f64 v[90:91], v[92:93], -v[78:79]
	v_mul_f64 v[86:87], v[80:81], v[84:85]
	v_add_f64 v[67:68], v[67:68], v[90:91]
	v_fma_f64 v[80:81], v[84:85], v[80:81], -v[86:87]
	v_fma_f64 v[76:77], v[84:85], v[76:77], v[80:81]
	v_add_f64 v[80:81], v[86:87], v[76:77]
	v_add_f64 v[88:89], v[78:79], -v[80:81]
	v_add_f64 v[86:87], v[80:81], -v[86:87]
	;; [unrolled: 1-line block ×5, first 2 shown]
	v_add_f64 v[67:68], v[67:68], v[78:79]
	v_add_f64 v[78:79], v[82:83], v[84:85]
	;; [unrolled: 1-line block ×3, first 2 shown]
	v_add_f64 v[76:77], v[78:79], -v[82:83]
	v_add_f64 v[67:68], v[88:89], v[67:68]
	v_add_f64 v[76:77], v[84:85], -v[76:77]
	v_mul_f64 v[67:68], v[74:75], v[67:68]
	v_add_f64 v[67:68], v[76:77], v[67:68]
	v_add_f64 v[74:75], v[78:79], v[67:68]
	v_mul_f64 v[76:77], v[74:75], v[74:75]
	v_fma_f64 v[80:81], v[76:77], s[42:43], s[40:41]
	s_mov_b32 s40, 0xd7f4df2e
	s_mov_b32 s41, 0x3fc7474d
	v_mul_f64 v[82:83], v[74:75], v[76:77]
	v_fma_f64 v[80:81], v[76:77], v[80:81], s[40:41]
	s_mov_b32 s40, 0x16291751
	s_mov_b32 s41, 0x3fcc71c0
	v_fma_f64 v[80:81], v[76:77], v[80:81], s[40:41]
	s_mov_b32 s40, 0x9b27acf1
	s_mov_b32 s41, 0x3fd24924
	;; [unrolled: 3-line block ×3, first 2 shown]
	v_fma_f64 v[80:81], v[76:77], v[80:81], s[40:41]
	v_fma_f64 v[76:77], v[76:77], v[80:81], s[4:5]
	v_ldexp_f64 v[80:81], v[74:75], 1
	v_add_f64 v[74:75], v[74:75], -v[78:79]
	v_cmp_nge_f64_e64 s4, -1.0, v[65:66]
	v_cmp_neq_f64_e64 s5, 0x7ff00000, v[65:66]
	v_mul_f64 v[76:77], v[82:83], v[76:77]
	v_cvt_f64_i32_e32 v[82:83], v94
	v_add_f64 v[67:68], v[67:68], -v[74:75]
	s_and_b32 s4, s4, s5
	v_add_f64 v[78:79], v[80:81], v[76:77]
	v_mul_f64 v[84:85], v[82:83], s[34:35]
	v_ldexp_f64 v[67:68], v[67:68], 1
	v_add_f64 v[74:75], v[78:79], -v[80:81]
	v_fma_f64 v[80:81], v[82:83], s[34:35], -v[84:85]
	v_add_f64 v[74:75], v[76:77], -v[74:75]
	v_fma_f64 v[76:77], v[82:83], s[36:37], v[80:81]
	v_add_f64 v[67:68], v[67:68], v[74:75]
	v_add_f64 v[74:75], v[84:85], v[76:77]
	;; [unrolled: 1-line block ×3, first 2 shown]
	v_add_f64 v[84:85], v[74:75], -v[84:85]
	v_add_f64 v[82:83], v[74:75], v[80:81]
	v_add_f64 v[78:79], v[80:81], -v[78:79]
	v_add_f64 v[76:77], v[76:77], -v[84:85]
	;; [unrolled: 1-line block ×6, first 2 shown]
	v_add_f64 v[80:81], v[76:77], v[67:68]
	v_add_f64 v[74:75], v[74:75], -v[88:89]
	v_add_f64 v[74:75], v[78:79], v[74:75]
	v_add_f64 v[78:79], v[80:81], -v[76:77]
	;; [unrolled: 2-line block ×3, first 2 shown]
	v_add_f64 v[67:68], v[67:68], -v[78:79]
	v_add_f64 v[84:85], v[82:83], v[74:75]
	v_add_f64 v[76:77], v[76:77], -v[80:81]
	v_add_f64 v[78:79], v[84:85], -v[82:83]
	v_add_f64 v[67:68], v[67:68], v[76:77]
	v_add_f64 v[74:75], v[74:75], -v[78:79]
	v_add_f64 v[67:68], v[67:68], v[74:75]
	v_add_f64 v[67:68], v[84:85], v[67:68]
	v_cndmask_b32_e64 v67, 0, v67, s4
	v_cmp_neq_f64_e64 s4, -1.0, v[65:66]
	v_cndmask_b32_e64 v68, 0x7ff00000, v68, s5
	v_cndmask_b32_e64 v68, 0x7ff80000, v68, s29
	;; [unrolled: 1-line block ×3, first 2 shown]
	v_add_f64 v[65:66], v[63:64], v[67:68]
.LBB26_80:
	s_or_b32 exec_lo, exec_lo, s39
	v_mov_b32_e32 v63, v65
	v_mov_b32_e32 v67, v65
	;; [unrolled: 1-line block ×4, first 2 shown]
.LBB26_81:
	s_or_b32 exec_lo, exec_lo, s38
	v_mov_b32_dpp v65, v67 row_shr:2 row_mask:0xf bank_mask:0xf
	v_mov_b32_dpp v66, v68 row_shr:2 row_mask:0xf bank_mask:0xf
	s_mov_b32 s38, exec_lo
	v_cmpx_lt_u32_e32 1, v73
	s_cbranch_execz .LBB26_85
; %bb.82:
	v_max_f64 v[67:68], v[65:66], v[65:66]
	v_max_f64 v[73:74], v[63:64], v[63:64]
	v_cmp_u_f64_e64 s4, v[65:66], v[65:66]
	v_cmp_u_f64_e64 s5, v[63:64], v[63:64]
	v_min_f64 v[75:76], v[67:68], v[73:74]
	v_max_f64 v[67:68], v[67:68], v[73:74]
	v_cndmask_b32_e64 v73, v76, v66, s4
	v_cndmask_b32_e64 v74, v75, v65, s4
	;; [unrolled: 1-line block ×8, first 2 shown]
	v_cmp_class_f64_e64 s5, v[67:68], 0x1f8
	v_cmp_neq_f64_e64 s4, v[67:68], v[63:64]
	s_or_b32 s4, s4, s5
	s_and_saveexec_b32 s39, s4
	s_cbranch_execz .LBB26_84
; %bb.83:
	v_add_f64 v[65:66], v[67:68], -v[63:64]
	s_mov_b32 s4, 0x652b82fe
	s_mov_b32 s5, 0x3ff71547
	;; [unrolled: 1-line block ×10, first 2 shown]
	v_mul_f64 v[67:68], v[65:66], s[4:5]
	s_mov_b32 s4, 0xfca7ab0c
	s_mov_b32 s5, 0x3e928af3
	v_rndne_f64_e32 v[67:68], v[67:68]
	v_fma_f64 v[73:74], v[67:68], s[34:35], v[65:66]
	v_cvt_i32_f64_e32 v77, v[67:68]
	s_mov_b32 s35, 0x3fe62e42
	v_fma_f64 v[73:74], v[67:68], s[36:37], v[73:74]
	s_mov_b32 s37, 0x3c7abc9e
	v_fma_f64 v[75:76], v[73:74], s[40:41], s[4:5]
	s_mov_b32 s4, 0x623fde64
	s_mov_b32 s5, 0x3ec71dee
	;; [unrolled: 1-line block ×4, first 2 shown]
	v_fma_f64 v[75:76], v[73:74], v[75:76], s[4:5]
	s_mov_b32 s4, 0x7c89e6b0
	s_mov_b32 s5, 0x3efa0199
	v_fma_f64 v[75:76], v[73:74], v[75:76], s[4:5]
	s_mov_b32 s4, 0x14761f6e
	s_mov_b32 s5, 0x3f2a01a0
	;; [unrolled: 3-line block ×7, first 2 shown]
	v_fma_f64 v[75:76], v[73:74], v[75:76], s[4:5]
	v_cmp_nlt_f64_e64 s4, 0x40900000, v[65:66]
	v_cmp_ngt_f64_e64 s5, 0xc090cc00, v[65:66]
	v_fma_f64 v[75:76], v[73:74], v[75:76], 1.0
	v_fma_f64 v[67:68], v[73:74], v[75:76], 1.0
	v_ldexp_f64 v[67:68], v[67:68], v77
	v_cndmask_b32_e64 v68, 0x7ff00000, v68, s4
	s_and_b32 s4, s5, s4
	v_cndmask_b32_e64 v65, 0, v67, s4
	s_mov_b32 s4, 0x55555555
	v_cndmask_b32_e64 v66, 0, v68, s5
	s_mov_b32 s5, 0x3fe55555
	v_add_f64 v[67:68], v[65:66], 1.0
	v_cmp_ngt_f64_e64 s29, -1.0, v[65:66]
	v_frexp_mant_f64_e32 v[73:74], v[67:68]
	v_frexp_exp_i32_f64_e32 v77, v[67:68]
	v_add_f64 v[75:76], v[67:68], -1.0
	v_cmp_gt_f64_e64 s4, s[4:5], v[73:74]
	v_add_f64 v[73:74], v[75:76], -v[67:68]
	v_add_f64 v[75:76], v[65:66], -v[75:76]
	v_subrev_co_ci_u32_e64 v93, null, 0, v77, s4
	v_add_f64 v[73:74], v[73:74], 1.0
	s_mov_b32 s4, 0x55555780
	v_sub_nc_u32_e32 v79, 0, v93
	v_ldexp_f64 v[67:68], v[67:68], v79
	v_add_f64 v[73:74], v[75:76], v[73:74]
	v_add_f64 v[77:78], v[67:68], 1.0
	v_add_f64 v[83:84], v[67:68], -1.0
	v_ldexp_f64 v[73:74], v[73:74], v79
	v_add_f64 v[75:76], v[77:78], -1.0
	v_add_f64 v[85:86], v[83:84], 1.0
	v_add_f64 v[75:76], v[67:68], -v[75:76]
	v_add_f64 v[67:68], v[67:68], -v[85:86]
	v_add_f64 v[75:76], v[73:74], v[75:76]
	v_add_f64 v[67:68], v[73:74], v[67:68]
	;; [unrolled: 1-line block ×4, first 2 shown]
	v_rcp_f64_e32 v[81:82], v[79:80]
	v_add_f64 v[77:78], v[79:80], -v[77:78]
	v_add_f64 v[83:84], v[85:86], -v[83:84]
	;; [unrolled: 1-line block ×3, first 2 shown]
	v_fma_f64 v[87:88], -v[79:80], v[81:82], 1.0
	v_add_f64 v[67:68], v[67:68], -v[83:84]
	v_fma_f64 v[81:82], v[87:88], v[81:82], v[81:82]
	v_fma_f64 v[73:74], -v[79:80], v[81:82], 1.0
	v_fma_f64 v[73:74], v[73:74], v[81:82], v[81:82]
	v_mul_f64 v[81:82], v[85:86], v[73:74]
	v_mul_f64 v[87:88], v[79:80], v[81:82]
	v_fma_f64 v[77:78], v[81:82], v[79:80], -v[87:88]
	v_fma_f64 v[77:78], v[81:82], v[75:76], v[77:78]
	v_add_f64 v[89:90], v[87:88], v[77:78]
	v_add_f64 v[91:92], v[85:86], -v[89:90]
	v_add_f64 v[83:84], v[89:90], -v[87:88]
	;; [unrolled: 1-line block ×5, first 2 shown]
	v_add_f64 v[67:68], v[67:68], v[85:86]
	v_add_f64 v[67:68], v[77:78], v[67:68]
	;; [unrolled: 1-line block ×3, first 2 shown]
	v_mul_f64 v[83:84], v[73:74], v[77:78]
	v_add_f64 v[89:90], v[91:92], -v[77:78]
	v_mul_f64 v[85:86], v[79:80], v[83:84]
	v_add_f64 v[67:68], v[67:68], v[89:90]
	v_fma_f64 v[79:80], v[83:84], v[79:80], -v[85:86]
	v_fma_f64 v[75:76], v[83:84], v[75:76], v[79:80]
	v_add_f64 v[79:80], v[85:86], v[75:76]
	v_add_f64 v[87:88], v[77:78], -v[79:80]
	v_add_f64 v[85:86], v[79:80], -v[85:86]
	v_add_f64 v[77:78], v[77:78], -v[87:88]
	v_add_f64 v[75:76], v[85:86], -v[75:76]
	v_add_f64 v[77:78], v[77:78], -v[79:80]
	v_add_f64 v[67:68], v[67:68], v[77:78]
	v_add_f64 v[77:78], v[81:82], v[83:84]
	;; [unrolled: 1-line block ×3, first 2 shown]
	v_add_f64 v[75:76], v[77:78], -v[81:82]
	v_add_f64 v[67:68], v[87:88], v[67:68]
	v_add_f64 v[75:76], v[83:84], -v[75:76]
	v_mul_f64 v[67:68], v[73:74], v[67:68]
	v_add_f64 v[67:68], v[75:76], v[67:68]
	v_add_f64 v[73:74], v[77:78], v[67:68]
	v_mul_f64 v[75:76], v[73:74], v[73:74]
	v_fma_f64 v[79:80], v[75:76], s[42:43], s[40:41]
	s_mov_b32 s40, 0xd7f4df2e
	s_mov_b32 s41, 0x3fc7474d
	v_mul_f64 v[81:82], v[73:74], v[75:76]
	v_fma_f64 v[79:80], v[75:76], v[79:80], s[40:41]
	s_mov_b32 s40, 0x16291751
	s_mov_b32 s41, 0x3fcc71c0
	v_fma_f64 v[79:80], v[75:76], v[79:80], s[40:41]
	s_mov_b32 s40, 0x9b27acf1
	s_mov_b32 s41, 0x3fd24924
	;; [unrolled: 3-line block ×3, first 2 shown]
	v_fma_f64 v[79:80], v[75:76], v[79:80], s[40:41]
	v_fma_f64 v[75:76], v[75:76], v[79:80], s[4:5]
	v_ldexp_f64 v[79:80], v[73:74], 1
	v_add_f64 v[73:74], v[73:74], -v[77:78]
	v_cmp_nge_f64_e64 s4, -1.0, v[65:66]
	v_cmp_neq_f64_e64 s5, 0x7ff00000, v[65:66]
	v_mul_f64 v[75:76], v[81:82], v[75:76]
	v_cvt_f64_i32_e32 v[81:82], v93
	v_add_f64 v[67:68], v[67:68], -v[73:74]
	s_and_b32 s4, s4, s5
	v_add_f64 v[77:78], v[79:80], v[75:76]
	v_mul_f64 v[83:84], v[81:82], s[34:35]
	v_ldexp_f64 v[67:68], v[67:68], 1
	v_add_f64 v[73:74], v[77:78], -v[79:80]
	v_fma_f64 v[79:80], v[81:82], s[34:35], -v[83:84]
	v_add_f64 v[73:74], v[75:76], -v[73:74]
	v_fma_f64 v[75:76], v[81:82], s[36:37], v[79:80]
	v_add_f64 v[67:68], v[67:68], v[73:74]
	v_add_f64 v[73:74], v[83:84], v[75:76]
	;; [unrolled: 1-line block ×3, first 2 shown]
	v_add_f64 v[83:84], v[73:74], -v[83:84]
	v_add_f64 v[81:82], v[73:74], v[79:80]
	v_add_f64 v[77:78], v[79:80], -v[77:78]
	v_add_f64 v[75:76], v[75:76], -v[83:84]
	;; [unrolled: 1-line block ×6, first 2 shown]
	v_add_f64 v[79:80], v[75:76], v[67:68]
	v_add_f64 v[73:74], v[73:74], -v[87:88]
	v_add_f64 v[73:74], v[77:78], v[73:74]
	v_add_f64 v[77:78], v[79:80], -v[75:76]
	;; [unrolled: 2-line block ×3, first 2 shown]
	v_add_f64 v[67:68], v[67:68], -v[77:78]
	v_add_f64 v[83:84], v[81:82], v[73:74]
	v_add_f64 v[75:76], v[75:76], -v[79:80]
	v_add_f64 v[77:78], v[83:84], -v[81:82]
	v_add_f64 v[67:68], v[67:68], v[75:76]
	v_add_f64 v[73:74], v[73:74], -v[77:78]
	v_add_f64 v[67:68], v[67:68], v[73:74]
	v_add_f64 v[67:68], v[83:84], v[67:68]
	v_cndmask_b32_e64 v67, 0, v67, s4
	v_cmp_neq_f64_e64 s4, -1.0, v[65:66]
	v_cndmask_b32_e64 v68, 0x7ff00000, v68, s5
	v_cndmask_b32_e64 v68, 0x7ff80000, v68, s29
	v_cndmask_b32_e64 v68, 0xfff00000, v68, s4
	v_add_f64 v[65:66], v[63:64], v[67:68]
.LBB26_84:
	s_or_b32 exec_lo, exec_lo, s39
	v_mov_b32_e32 v63, v65
	v_mov_b32_e32 v64, v66
.LBB26_85:
	s_or_b32 exec_lo, exec_lo, s38
	ds_write_b64 v69, v[63:64]
.LBB26_86:
	s_or_b32 exec_lo, exec_lo, s33
	s_mov_b32 s33, exec_lo
	s_waitcnt lgkmcnt(0)
	s_barrier
	buffer_gl0_inv
                                        ; implicit-def: $vgpr63_vgpr64
	v_cmpx_lt_u32_e32 31, v0
	s_cbranch_execz .LBB26_90
; %bb.87:
	v_lshl_add_u32 v63, v72, 3, -8
	v_max_f64 v[65:66], v[61:62], v[61:62]
	v_cmp_u_f64_e64 s5, v[61:62], v[61:62]
	ds_read_b64 v[63:64], v63
	s_waitcnt lgkmcnt(0)
	v_max_f64 v[67:68], v[63:64], v[63:64]
	v_cmp_u_f64_e64 s4, v[63:64], v[63:64]
	v_min_f64 v[72:73], v[67:68], v[65:66]
	v_max_f64 v[65:66], v[67:68], v[65:66]
	v_cndmask_b32_e64 v67, v72, v63, s4
	v_cndmask_b32_e64 v68, v73, v64, s4
	;; [unrolled: 1-line block ×8, first 2 shown]
	v_mov_b32_e32 v61, v63
	v_mov_b32_e32 v62, v64
	v_cmp_class_f64_e64 s5, v[67:68], 0x1f8
	v_cmp_neq_f64_e64 s4, v[67:68], v[65:66]
	s_or_b32 s4, s4, s5
	s_and_saveexec_b32 s38, s4
	s_cbranch_execz .LBB26_89
; %bb.88:
	v_add_f64 v[61:62], v[67:68], -v[65:66]
	s_mov_b32 s4, 0x652b82fe
	s_mov_b32 s5, 0x3ff71547
	;; [unrolled: 1-line block ×10, first 2 shown]
	v_mul_f64 v[67:68], v[61:62], s[4:5]
	s_mov_b32 s4, 0xfca7ab0c
	s_mov_b32 s5, 0x3e928af3
	v_rndne_f64_e32 v[67:68], v[67:68]
	v_fma_f64 v[72:73], v[67:68], s[34:35], v[61:62]
	v_cvt_i32_f64_e32 v76, v[67:68]
	s_mov_b32 s35, 0x3fe62e42
	v_fma_f64 v[72:73], v[67:68], s[36:37], v[72:73]
	s_mov_b32 s37, 0x3c7abc9e
	v_fma_f64 v[74:75], v[72:73], s[40:41], s[4:5]
	s_mov_b32 s4, 0x623fde64
	s_mov_b32 s5, 0x3ec71dee
	;; [unrolled: 1-line block ×4, first 2 shown]
	v_fma_f64 v[74:75], v[72:73], v[74:75], s[4:5]
	s_mov_b32 s4, 0x7c89e6b0
	s_mov_b32 s5, 0x3efa0199
	v_fma_f64 v[74:75], v[72:73], v[74:75], s[4:5]
	s_mov_b32 s4, 0x14761f6e
	s_mov_b32 s5, 0x3f2a01a0
	;; [unrolled: 3-line block ×7, first 2 shown]
	v_fma_f64 v[74:75], v[72:73], v[74:75], s[4:5]
	v_cmp_nlt_f64_e64 s4, 0x40900000, v[61:62]
	v_cmp_ngt_f64_e64 s5, 0xc090cc00, v[61:62]
	v_fma_f64 v[74:75], v[72:73], v[74:75], 1.0
	v_fma_f64 v[67:68], v[72:73], v[74:75], 1.0
	v_ldexp_f64 v[67:68], v[67:68], v76
	v_cndmask_b32_e64 v68, 0x7ff00000, v68, s4
	s_and_b32 s4, s5, s4
	v_cndmask_b32_e64 v61, 0, v67, s4
	s_mov_b32 s4, 0x55555555
	v_cndmask_b32_e64 v62, 0, v68, s5
	s_mov_b32 s5, 0x3fe55555
	v_add_f64 v[67:68], v[61:62], 1.0
	v_cmp_ngt_f64_e64 s29, -1.0, v[61:62]
	v_frexp_mant_f64_e32 v[72:73], v[67:68]
	v_frexp_exp_i32_f64_e32 v76, v[67:68]
	v_add_f64 v[74:75], v[67:68], -1.0
	v_cmp_gt_f64_e64 s4, s[4:5], v[72:73]
	v_add_f64 v[72:73], v[74:75], -v[67:68]
	v_add_f64 v[74:75], v[61:62], -v[74:75]
	v_subrev_co_ci_u32_e64 v92, null, 0, v76, s4
	v_add_f64 v[72:73], v[72:73], 1.0
	s_mov_b32 s4, 0x55555780
	v_sub_nc_u32_e32 v78, 0, v92
	v_ldexp_f64 v[67:68], v[67:68], v78
	v_add_f64 v[72:73], v[74:75], v[72:73]
	v_add_f64 v[76:77], v[67:68], 1.0
	v_add_f64 v[82:83], v[67:68], -1.0
	v_ldexp_f64 v[72:73], v[72:73], v78
	v_add_f64 v[74:75], v[76:77], -1.0
	v_add_f64 v[84:85], v[82:83], 1.0
	v_add_f64 v[74:75], v[67:68], -v[74:75]
	v_add_f64 v[67:68], v[67:68], -v[84:85]
	v_add_f64 v[74:75], v[72:73], v[74:75]
	v_add_f64 v[67:68], v[72:73], v[67:68]
	;; [unrolled: 1-line block ×4, first 2 shown]
	v_rcp_f64_e32 v[80:81], v[78:79]
	v_add_f64 v[76:77], v[78:79], -v[76:77]
	v_add_f64 v[82:83], v[84:85], -v[82:83]
	;; [unrolled: 1-line block ×3, first 2 shown]
	v_fma_f64 v[86:87], -v[78:79], v[80:81], 1.0
	v_add_f64 v[67:68], v[67:68], -v[82:83]
	v_fma_f64 v[80:81], v[86:87], v[80:81], v[80:81]
	v_fma_f64 v[72:73], -v[78:79], v[80:81], 1.0
	v_fma_f64 v[72:73], v[72:73], v[80:81], v[80:81]
	v_mul_f64 v[80:81], v[84:85], v[72:73]
	v_mul_f64 v[86:87], v[78:79], v[80:81]
	v_fma_f64 v[76:77], v[80:81], v[78:79], -v[86:87]
	v_fma_f64 v[76:77], v[80:81], v[74:75], v[76:77]
	v_add_f64 v[88:89], v[86:87], v[76:77]
	v_add_f64 v[90:91], v[84:85], -v[88:89]
	v_add_f64 v[82:83], v[88:89], -v[86:87]
	;; [unrolled: 1-line block ×5, first 2 shown]
	v_add_f64 v[67:68], v[67:68], v[84:85]
	v_add_f64 v[67:68], v[76:77], v[67:68]
	;; [unrolled: 1-line block ×3, first 2 shown]
	v_mul_f64 v[82:83], v[72:73], v[76:77]
	v_add_f64 v[88:89], v[90:91], -v[76:77]
	v_mul_f64 v[84:85], v[78:79], v[82:83]
	v_add_f64 v[67:68], v[67:68], v[88:89]
	v_fma_f64 v[78:79], v[82:83], v[78:79], -v[84:85]
	v_fma_f64 v[74:75], v[82:83], v[74:75], v[78:79]
	v_add_f64 v[78:79], v[84:85], v[74:75]
	v_add_f64 v[86:87], v[76:77], -v[78:79]
	v_add_f64 v[84:85], v[78:79], -v[84:85]
	v_add_f64 v[76:77], v[76:77], -v[86:87]
	v_add_f64 v[74:75], v[84:85], -v[74:75]
	v_add_f64 v[76:77], v[76:77], -v[78:79]
	v_add_f64 v[67:68], v[67:68], v[76:77]
	v_add_f64 v[76:77], v[80:81], v[82:83]
	;; [unrolled: 1-line block ×3, first 2 shown]
	v_add_f64 v[74:75], v[76:77], -v[80:81]
	v_add_f64 v[67:68], v[86:87], v[67:68]
	v_add_f64 v[74:75], v[82:83], -v[74:75]
	v_mul_f64 v[67:68], v[72:73], v[67:68]
	v_add_f64 v[67:68], v[74:75], v[67:68]
	v_add_f64 v[72:73], v[76:77], v[67:68]
	v_mul_f64 v[74:75], v[72:73], v[72:73]
	v_fma_f64 v[78:79], v[74:75], s[42:43], s[40:41]
	s_mov_b32 s40, 0xd7f4df2e
	s_mov_b32 s41, 0x3fc7474d
	v_mul_f64 v[80:81], v[72:73], v[74:75]
	v_fma_f64 v[78:79], v[74:75], v[78:79], s[40:41]
	s_mov_b32 s40, 0x16291751
	s_mov_b32 s41, 0x3fcc71c0
	v_fma_f64 v[78:79], v[74:75], v[78:79], s[40:41]
	s_mov_b32 s40, 0x9b27acf1
	s_mov_b32 s41, 0x3fd24924
	;; [unrolled: 3-line block ×3, first 2 shown]
	v_fma_f64 v[78:79], v[74:75], v[78:79], s[40:41]
	v_fma_f64 v[74:75], v[74:75], v[78:79], s[4:5]
	v_ldexp_f64 v[78:79], v[72:73], 1
	v_add_f64 v[72:73], v[72:73], -v[76:77]
	v_cmp_nge_f64_e64 s4, -1.0, v[61:62]
	v_cmp_neq_f64_e64 s5, 0x7ff00000, v[61:62]
	v_mul_f64 v[74:75], v[80:81], v[74:75]
	v_cvt_f64_i32_e32 v[80:81], v92
	v_add_f64 v[67:68], v[67:68], -v[72:73]
	s_and_b32 s4, s4, s5
	v_add_f64 v[76:77], v[78:79], v[74:75]
	v_mul_f64 v[82:83], v[80:81], s[34:35]
	v_ldexp_f64 v[67:68], v[67:68], 1
	v_add_f64 v[72:73], v[76:77], -v[78:79]
	v_fma_f64 v[78:79], v[80:81], s[34:35], -v[82:83]
	v_add_f64 v[72:73], v[74:75], -v[72:73]
	v_fma_f64 v[74:75], v[80:81], s[36:37], v[78:79]
	v_add_f64 v[67:68], v[67:68], v[72:73]
	v_add_f64 v[72:73], v[82:83], v[74:75]
	;; [unrolled: 1-line block ×3, first 2 shown]
	v_add_f64 v[82:83], v[72:73], -v[82:83]
	v_add_f64 v[80:81], v[72:73], v[78:79]
	v_add_f64 v[76:77], v[78:79], -v[76:77]
	v_add_f64 v[74:75], v[74:75], -v[82:83]
	;; [unrolled: 1-line block ×6, first 2 shown]
	v_add_f64 v[78:79], v[74:75], v[67:68]
	v_add_f64 v[72:73], v[72:73], -v[86:87]
	v_add_f64 v[72:73], v[76:77], v[72:73]
	v_add_f64 v[76:77], v[78:79], -v[74:75]
	;; [unrolled: 2-line block ×3, first 2 shown]
	v_add_f64 v[67:68], v[67:68], -v[76:77]
	v_add_f64 v[82:83], v[80:81], v[72:73]
	v_add_f64 v[74:75], v[74:75], -v[78:79]
	v_add_f64 v[76:77], v[82:83], -v[80:81]
	v_add_f64 v[67:68], v[67:68], v[74:75]
	v_add_f64 v[72:73], v[72:73], -v[76:77]
	v_add_f64 v[67:68], v[67:68], v[72:73]
	v_add_f64 v[67:68], v[82:83], v[67:68]
	v_cndmask_b32_e64 v67, 0, v67, s4
	v_cmp_neq_f64_e64 s4, -1.0, v[61:62]
	v_cndmask_b32_e64 v68, 0x7ff00000, v68, s5
	v_cndmask_b32_e64 v68, 0x7ff80000, v68, s29
	;; [unrolled: 1-line block ×3, first 2 shown]
	v_add_f64 v[61:62], v[65:66], v[67:68]
.LBB26_89:
	s_or_b32 exec_lo, exec_lo, s38
.LBB26_90:
	s_or_b32 exec_lo, exec_lo, s33
	v_add_nc_u32_e32 v65, -1, v71
	s_mov_b32 s33, exec_lo
	v_cmp_gt_i32_e64 s4, 0, v65
	v_cndmask_b32_e64 v65, v65, v71, s4
	v_lshlrev_b32_e32 v65, 2, v65
	ds_bpermute_b32 v61, v65, v61
	ds_bpermute_b32 v62, v65, v62
	v_cmpx_ne_u32_e32 0, v0
	s_cbranch_execz .LBB26_94
; %bb.91:
	v_cmp_eq_u32_e64 s4, 0, v71
	s_waitcnt lgkmcnt(0)
	v_cndmask_b32_e64 v62, v62, v64, s4
	v_cndmask_b32_e64 v61, v61, v63, s4
	v_max_f64 v[57:58], v[61:62], v[61:62]
	v_cmp_u_f64_e64 s4, v[61:62], v[61:62]
	v_min_f64 v[59:60], v[57:58], v[55:56]
	v_max_f64 v[55:56], v[57:58], v[55:56]
	v_cndmask_b32_e64 v0, v60, v62, s4
	v_cndmask_b32_e64 v57, v59, v61, s4
	;; [unrolled: 1-line block ×8, first 2 shown]
	v_cmp_class_f64_e64 s5, v[55:56], 0x1f8
	v_cmp_neq_f64_e64 s4, v[55:56], v[1:2]
	s_or_b32 s4, s4, s5
	s_and_saveexec_b32 s36, s4
	s_cbranch_execz .LBB26_93
; %bb.92:
	v_add_f64 v[55:56], v[55:56], -v[1:2]
	s_mov_b32 s4, 0x652b82fe
	s_mov_b32 s5, 0x3ff71547
	s_mov_b32 s29, 0xbfe62e42
	s_mov_b32 s28, 0xfefa39ef
	s_mov_b32 s35, 0xbc7abc9e
	s_mov_b32 s34, 0x3b39803f
	s_mov_b32 s38, 0x6a5dcb37
	s_mov_b32 s39, 0x3e5ade15
	s_mov_b32 s40, 0xbf559e2b
	s_mov_b32 s41, 0x3fc3ab76
	v_mul_f64 v[57:58], v[55:56], s[4:5]
	s_mov_b32 s4, 0xfca7ab0c
	s_mov_b32 s5, 0x3e928af3
	v_rndne_f64_e32 v[57:58], v[57:58]
	v_fma_f64 v[59:60], v[57:58], s[28:29], v[55:56]
	v_cvt_i32_f64_e32 v0, v[57:58]
	s_mov_b32 s29, 0x3fe62e42
	v_fma_f64 v[59:60], v[57:58], s[34:35], v[59:60]
	s_mov_b32 s35, 0x3c7abc9e
	v_fma_f64 v[61:62], v[59:60], s[38:39], s[4:5]
	s_mov_b32 s4, 0x623fde64
	s_mov_b32 s5, 0x3ec71dee
	;; [unrolled: 1-line block ×4, first 2 shown]
	v_fma_f64 v[61:62], v[59:60], v[61:62], s[4:5]
	s_mov_b32 s4, 0x7c89e6b0
	s_mov_b32 s5, 0x3efa0199
	v_fma_f64 v[61:62], v[59:60], v[61:62], s[4:5]
	s_mov_b32 s4, 0x14761f6e
	s_mov_b32 s5, 0x3f2a01a0
	;; [unrolled: 3-line block ×7, first 2 shown]
	v_fma_f64 v[61:62], v[59:60], v[61:62], s[4:5]
	v_cmp_nlt_f64_e64 s4, 0x40900000, v[55:56]
	v_cmp_ngt_f64_e64 s5, 0xc090cc00, v[55:56]
	v_fma_f64 v[61:62], v[59:60], v[61:62], 1.0
	v_fma_f64 v[57:58], v[59:60], v[61:62], 1.0
	v_ldexp_f64 v[57:58], v[57:58], v0
	v_cndmask_b32_e64 v0, 0x7ff00000, v58, s4
	s_and_b32 s4, s5, s4
	v_cndmask_b32_e64 v55, 0, v57, s4
	s_mov_b32 s4, 0x55555555
	v_cndmask_b32_e64 v56, 0, v0, s5
	s_mov_b32 s5, 0x3fe55555
	v_add_f64 v[57:58], v[55:56], 1.0
	v_frexp_mant_f64_e32 v[59:60], v[57:58]
	v_frexp_exp_i32_f64_e32 v0, v[57:58]
	v_add_f64 v[61:62], v[57:58], -1.0
	v_cmp_gt_f64_e64 s4, s[4:5], v[59:60]
	v_add_f64 v[59:60], v[61:62], -v[57:58]
	v_add_f64 v[61:62], v[55:56], -v[61:62]
	v_subrev_co_ci_u32_e64 v0, null, 0, v0, s4
	v_add_f64 v[59:60], v[59:60], 1.0
	s_mov_b32 s4, 0x55555780
	v_sub_nc_u32_e32 v65, 0, v0
	v_ldexp_f64 v[57:58], v[57:58], v65
	v_add_f64 v[59:60], v[61:62], v[59:60]
	v_add_f64 v[63:64], v[57:58], 1.0
	v_add_f64 v[71:72], v[57:58], -1.0
	v_ldexp_f64 v[59:60], v[59:60], v65
	v_add_f64 v[61:62], v[63:64], -1.0
	v_add_f64 v[73:74], v[71:72], 1.0
	v_add_f64 v[61:62], v[57:58], -v[61:62]
	v_add_f64 v[57:58], v[57:58], -v[73:74]
	v_add_f64 v[61:62], v[59:60], v[61:62]
	v_add_f64 v[57:58], v[59:60], v[57:58]
	;; [unrolled: 1-line block ×4, first 2 shown]
	v_rcp_f64_e32 v[67:68], v[65:66]
	v_add_f64 v[63:64], v[65:66], -v[63:64]
	v_add_f64 v[71:72], v[73:74], -v[71:72]
	;; [unrolled: 1-line block ×3, first 2 shown]
	v_fma_f64 v[75:76], -v[65:66], v[67:68], 1.0
	v_add_f64 v[57:58], v[57:58], -v[71:72]
	v_fma_f64 v[67:68], v[75:76], v[67:68], v[67:68]
	v_fma_f64 v[59:60], -v[65:66], v[67:68], 1.0
	v_fma_f64 v[59:60], v[59:60], v[67:68], v[67:68]
	v_mul_f64 v[67:68], v[73:74], v[59:60]
	v_mul_f64 v[75:76], v[65:66], v[67:68]
	v_fma_f64 v[63:64], v[67:68], v[65:66], -v[75:76]
	v_fma_f64 v[63:64], v[67:68], v[61:62], v[63:64]
	v_add_f64 v[77:78], v[75:76], v[63:64]
	v_add_f64 v[79:80], v[73:74], -v[77:78]
	v_add_f64 v[71:72], v[77:78], -v[75:76]
	;; [unrolled: 1-line block ×5, first 2 shown]
	v_add_f64 v[57:58], v[57:58], v[73:74]
	v_add_f64 v[57:58], v[63:64], v[57:58]
	;; [unrolled: 1-line block ×3, first 2 shown]
	v_mul_f64 v[71:72], v[59:60], v[63:64]
	v_add_f64 v[77:78], v[79:80], -v[63:64]
	v_mul_f64 v[73:74], v[65:66], v[71:72]
	v_add_f64 v[57:58], v[57:58], v[77:78]
	v_fma_f64 v[65:66], v[71:72], v[65:66], -v[73:74]
	v_fma_f64 v[61:62], v[71:72], v[61:62], v[65:66]
	v_add_f64 v[65:66], v[73:74], v[61:62]
	v_add_f64 v[75:76], v[63:64], -v[65:66]
	v_add_f64 v[73:74], v[65:66], -v[73:74]
	;; [unrolled: 1-line block ×5, first 2 shown]
	v_add_f64 v[57:58], v[57:58], v[63:64]
	v_add_f64 v[63:64], v[67:68], v[71:72]
	;; [unrolled: 1-line block ×3, first 2 shown]
	v_add_f64 v[61:62], v[63:64], -v[67:68]
	v_add_f64 v[57:58], v[75:76], v[57:58]
	v_add_f64 v[61:62], v[71:72], -v[61:62]
	v_mul_f64 v[57:58], v[59:60], v[57:58]
	v_add_f64 v[57:58], v[61:62], v[57:58]
	v_add_f64 v[59:60], v[63:64], v[57:58]
	v_mul_f64 v[61:62], v[59:60], v[59:60]
	v_fma_f64 v[65:66], v[61:62], s[40:41], s[38:39]
	s_mov_b32 s38, 0xd7f4df2e
	s_mov_b32 s39, 0x3fc7474d
	v_mul_f64 v[67:68], v[59:60], v[61:62]
	v_fma_f64 v[65:66], v[61:62], v[65:66], s[38:39]
	s_mov_b32 s38, 0x16291751
	s_mov_b32 s39, 0x3fcc71c0
	v_fma_f64 v[65:66], v[61:62], v[65:66], s[38:39]
	s_mov_b32 s38, 0x9b27acf1
	s_mov_b32 s39, 0x3fd24924
	;; [unrolled: 3-line block ×3, first 2 shown]
	v_fma_f64 v[65:66], v[61:62], v[65:66], s[38:39]
	v_fma_f64 v[61:62], v[61:62], v[65:66], s[4:5]
	v_ldexp_f64 v[65:66], v[59:60], 1
	v_add_f64 v[59:60], v[59:60], -v[63:64]
	v_cmp_nge_f64_e64 s4, -1.0, v[55:56]
	v_cmp_neq_f64_e64 s5, 0x7ff00000, v[55:56]
	v_mul_f64 v[61:62], v[67:68], v[61:62]
	v_cvt_f64_i32_e32 v[67:68], v0
	v_add_f64 v[57:58], v[57:58], -v[59:60]
	s_and_b32 s4, s4, s5
	v_add_f64 v[63:64], v[65:66], v[61:62]
	v_mul_f64 v[71:72], v[67:68], s[28:29]
	v_ldexp_f64 v[57:58], v[57:58], 1
	v_add_f64 v[59:60], v[63:64], -v[65:66]
	v_fma_f64 v[65:66], v[67:68], s[28:29], -v[71:72]
	v_cmp_ngt_f64_e64 s28, -1.0, v[55:56]
	v_add_f64 v[59:60], v[61:62], -v[59:60]
	v_fma_f64 v[61:62], v[67:68], s[34:35], v[65:66]
	v_add_f64 v[57:58], v[57:58], v[59:60]
	v_add_f64 v[59:60], v[71:72], v[61:62]
	;; [unrolled: 1-line block ×3, first 2 shown]
	v_add_f64 v[71:72], v[59:60], -v[71:72]
	v_add_f64 v[67:68], v[59:60], v[65:66]
	v_add_f64 v[63:64], v[65:66], -v[63:64]
	v_add_f64 v[61:62], v[61:62], -v[71:72]
	;; [unrolled: 1-line block ×6, first 2 shown]
	v_add_f64 v[65:66], v[61:62], v[57:58]
	v_add_f64 v[59:60], v[59:60], -v[75:76]
	v_add_f64 v[59:60], v[63:64], v[59:60]
	v_add_f64 v[63:64], v[65:66], -v[61:62]
	;; [unrolled: 2-line block ×3, first 2 shown]
	v_add_f64 v[57:58], v[57:58], -v[63:64]
	v_add_f64 v[71:72], v[67:68], v[59:60]
	v_add_f64 v[61:62], v[61:62], -v[65:66]
	v_add_f64 v[63:64], v[71:72], -v[67:68]
	v_add_f64 v[57:58], v[57:58], v[61:62]
	v_add_f64 v[59:60], v[59:60], -v[63:64]
	v_add_f64 v[57:58], v[57:58], v[59:60]
	v_add_f64 v[57:58], v[71:72], v[57:58]
	v_cndmask_b32_e64 v57, 0, v57, s4
	v_cmp_neq_f64_e64 s4, -1.0, v[55:56]
	v_cndmask_b32_e64 v0, 0x7ff00000, v58, s5
	v_cndmask_b32_e64 v0, 0x7ff80000, v0, s28
	v_cndmask_b32_e64 v58, 0xfff00000, v0, s4
	v_add_f64 v[61:62], v[1:2], v[57:58]
.LBB26_93:
	s_or_b32 exec_lo, exec_lo, s36
	v_max_f64 v[0:1], v[61:62], v[61:62]
	;;#ASMSTART
	;;#ASMEND
	v_min_f64 v[57:58], v[0:1], v[33:34]
	v_max_f64 v[59:60], v[0:1], v[33:34]
	v_mov_b32_e32 v1, v61
	v_mov_b32_e32 v2, v62
.LBB26_94:
	s_or_b32 exec_lo, exec_lo, s33
	v_cmp_u_f64_e64 s4, v[1:2], v[1:2]
	v_cndmask_b32_e64 v0, v57, v1, s4
	v_cndmask_b32_e64 v33, v58, v2, s4
	v_cndmask_b32_e64 v34, v60, v2, s4
	v_cndmask_b32_e64 v57, v59, v1, s4
	v_cndmask_b32_e64 v55, v0, v3, s15
	v_cndmask_b32_e64 v56, v33, v4, s15
	v_cndmask_b32_e64 v34, v34, v4, s15
	v_cndmask_b32_e64 v33, v57, v3, s15
	v_mov_b32_e32 v4, v2
	v_mov_b32_e32 v3, v1
	v_cmp_class_f64_e64 s5, v[55:56], 0x1f8
	v_cmp_neq_f64_e64 s4, v[55:56], v[33:34]
	s_or_b32 s4, s4, s5
	s_and_saveexec_b32 s33, s4
	s_cbranch_execz .LBB26_96
; %bb.95:
	v_add_f64 v[3:4], v[55:56], -v[33:34]
	s_mov_b32 s4, 0x652b82fe
	s_mov_b32 s5, 0x3ff71547
	;; [unrolled: 1-line block ×10, first 2 shown]
	v_mul_f64 v[55:56], v[3:4], s[4:5]
	s_mov_b32 s4, 0xfca7ab0c
	s_mov_b32 s5, 0x3e928af3
	v_rndne_f64_e32 v[55:56], v[55:56]
	v_fma_f64 v[57:58], v[55:56], s[28:29], v[3:4]
	v_cvt_i32_f64_e32 v0, v[55:56]
	s_mov_b32 s29, 0x3fe62e42
	v_fma_f64 v[57:58], v[55:56], s[34:35], v[57:58]
	s_mov_b32 s35, 0x3c7abc9e
	v_fma_f64 v[59:60], v[57:58], s[36:37], s[4:5]
	s_mov_b32 s4, 0x623fde64
	s_mov_b32 s5, 0x3ec71dee
	;; [unrolled: 1-line block ×4, first 2 shown]
	v_fma_f64 v[59:60], v[57:58], v[59:60], s[4:5]
	s_mov_b32 s4, 0x7c89e6b0
	s_mov_b32 s5, 0x3efa0199
	v_fma_f64 v[59:60], v[57:58], v[59:60], s[4:5]
	s_mov_b32 s4, 0x14761f6e
	s_mov_b32 s5, 0x3f2a01a0
	;; [unrolled: 3-line block ×7, first 2 shown]
	v_fma_f64 v[59:60], v[57:58], v[59:60], s[4:5]
	v_cmp_nlt_f64_e64 s4, 0x40900000, v[3:4]
	v_cmp_ngt_f64_e64 s5, 0xc090cc00, v[3:4]
	v_fma_f64 v[59:60], v[57:58], v[59:60], 1.0
	v_fma_f64 v[55:56], v[57:58], v[59:60], 1.0
	v_ldexp_f64 v[55:56], v[55:56], v0
	v_cndmask_b32_e64 v0, 0x7ff00000, v56, s4
	s_and_b32 s4, s5, s4
	v_cndmask_b32_e64 v3, 0, v55, s4
	s_mov_b32 s4, 0x55555555
	v_cndmask_b32_e64 v4, 0, v0, s5
	s_mov_b32 s5, 0x3fe55555
	v_add_f64 v[55:56], v[3:4], 1.0
	v_cmp_ngt_f64_e64 s15, -1.0, v[3:4]
	v_frexp_mant_f64_e32 v[57:58], v[55:56]
	v_frexp_exp_i32_f64_e32 v0, v[55:56]
	v_add_f64 v[59:60], v[55:56], -1.0
	v_cmp_gt_f64_e64 s4, s[4:5], v[57:58]
	v_add_f64 v[57:58], v[59:60], -v[55:56]
	v_add_f64 v[59:60], v[3:4], -v[59:60]
	v_subrev_co_ci_u32_e64 v0, null, 0, v0, s4
	v_add_f64 v[57:58], v[57:58], 1.0
	s_mov_b32 s4, 0x55555780
	v_sub_nc_u32_e32 v63, 0, v0
	v_ldexp_f64 v[55:56], v[55:56], v63
	v_add_f64 v[57:58], v[59:60], v[57:58]
	s_waitcnt lgkmcnt(0)
	v_add_f64 v[61:62], v[55:56], 1.0
	v_add_f64 v[67:68], v[55:56], -1.0
	v_ldexp_f64 v[57:58], v[57:58], v63
	v_add_f64 v[59:60], v[61:62], -1.0
	v_add_f64 v[71:72], v[67:68], 1.0
	v_add_f64 v[59:60], v[55:56], -v[59:60]
	v_add_f64 v[55:56], v[55:56], -v[71:72]
	v_add_f64 v[59:60], v[57:58], v[59:60]
	v_add_f64 v[55:56], v[57:58], v[55:56]
	;; [unrolled: 1-line block ×4, first 2 shown]
	v_rcp_f64_e32 v[65:66], v[63:64]
	v_add_f64 v[61:62], v[63:64], -v[61:62]
	v_add_f64 v[67:68], v[71:72], -v[67:68]
	;; [unrolled: 1-line block ×3, first 2 shown]
	v_fma_f64 v[73:74], -v[63:64], v[65:66], 1.0
	v_add_f64 v[55:56], v[55:56], -v[67:68]
	v_fma_f64 v[65:66], v[73:74], v[65:66], v[65:66]
	v_fma_f64 v[57:58], -v[63:64], v[65:66], 1.0
	v_fma_f64 v[57:58], v[57:58], v[65:66], v[65:66]
	v_mul_f64 v[65:66], v[71:72], v[57:58]
	v_mul_f64 v[73:74], v[63:64], v[65:66]
	v_fma_f64 v[61:62], v[65:66], v[63:64], -v[73:74]
	v_fma_f64 v[61:62], v[65:66], v[59:60], v[61:62]
	v_add_f64 v[75:76], v[73:74], v[61:62]
	v_add_f64 v[77:78], v[71:72], -v[75:76]
	v_add_f64 v[67:68], v[75:76], -v[73:74]
	;; [unrolled: 1-line block ×5, first 2 shown]
	v_add_f64 v[55:56], v[55:56], v[71:72]
	v_add_f64 v[55:56], v[61:62], v[55:56]
	;; [unrolled: 1-line block ×3, first 2 shown]
	v_mul_f64 v[67:68], v[57:58], v[61:62]
	v_add_f64 v[75:76], v[77:78], -v[61:62]
	v_mul_f64 v[71:72], v[63:64], v[67:68]
	v_add_f64 v[55:56], v[55:56], v[75:76]
	v_fma_f64 v[63:64], v[67:68], v[63:64], -v[71:72]
	v_fma_f64 v[59:60], v[67:68], v[59:60], v[63:64]
	v_add_f64 v[63:64], v[71:72], v[59:60]
	v_add_f64 v[73:74], v[61:62], -v[63:64]
	v_add_f64 v[71:72], v[63:64], -v[71:72]
	v_add_f64 v[61:62], v[61:62], -v[73:74]
	v_add_f64 v[59:60], v[71:72], -v[59:60]
	v_add_f64 v[61:62], v[61:62], -v[63:64]
	v_add_f64 v[55:56], v[55:56], v[61:62]
	v_add_f64 v[61:62], v[65:66], v[67:68]
	;; [unrolled: 1-line block ×3, first 2 shown]
	v_add_f64 v[59:60], v[61:62], -v[65:66]
	v_add_f64 v[55:56], v[73:74], v[55:56]
	v_add_f64 v[59:60], v[67:68], -v[59:60]
	v_mul_f64 v[55:56], v[57:58], v[55:56]
	v_add_f64 v[55:56], v[59:60], v[55:56]
	v_add_f64 v[57:58], v[61:62], v[55:56]
	v_mul_f64 v[59:60], v[57:58], v[57:58]
	v_fma_f64 v[63:64], v[59:60], s[38:39], s[36:37]
	s_mov_b32 s36, 0xd7f4df2e
	s_mov_b32 s37, 0x3fc7474d
	v_mul_f64 v[65:66], v[57:58], v[59:60]
	v_fma_f64 v[63:64], v[59:60], v[63:64], s[36:37]
	s_mov_b32 s36, 0x16291751
	s_mov_b32 s37, 0x3fcc71c0
	v_fma_f64 v[63:64], v[59:60], v[63:64], s[36:37]
	s_mov_b32 s36, 0x9b27acf1
	s_mov_b32 s37, 0x3fd24924
	;; [unrolled: 3-line block ×3, first 2 shown]
	v_fma_f64 v[63:64], v[59:60], v[63:64], s[36:37]
	v_fma_f64 v[59:60], v[59:60], v[63:64], s[4:5]
	v_ldexp_f64 v[63:64], v[57:58], 1
	v_add_f64 v[57:58], v[57:58], -v[61:62]
	v_cmp_nge_f64_e64 s4, -1.0, v[3:4]
	v_cmp_neq_f64_e64 s5, 0x7ff00000, v[3:4]
	v_mul_f64 v[59:60], v[65:66], v[59:60]
	v_cvt_f64_i32_e32 v[65:66], v0
	v_add_f64 v[55:56], v[55:56], -v[57:58]
	s_and_b32 s4, s4, s5
	v_add_f64 v[61:62], v[63:64], v[59:60]
	v_mul_f64 v[67:68], v[65:66], s[28:29]
	v_ldexp_f64 v[55:56], v[55:56], 1
	v_add_f64 v[57:58], v[61:62], -v[63:64]
	v_fma_f64 v[63:64], v[65:66], s[28:29], -v[67:68]
	v_add_f64 v[57:58], v[59:60], -v[57:58]
	v_fma_f64 v[59:60], v[65:66], s[34:35], v[63:64]
	v_add_f64 v[55:56], v[55:56], v[57:58]
	v_add_f64 v[57:58], v[67:68], v[59:60]
	;; [unrolled: 1-line block ×3, first 2 shown]
	v_add_f64 v[67:68], v[57:58], -v[67:68]
	v_add_f64 v[65:66], v[57:58], v[63:64]
	v_add_f64 v[61:62], v[63:64], -v[61:62]
	v_add_f64 v[59:60], v[59:60], -v[67:68]
	;; [unrolled: 1-line block ×6, first 2 shown]
	v_add_f64 v[63:64], v[59:60], v[55:56]
	v_add_f64 v[57:58], v[57:58], -v[73:74]
	v_add_f64 v[57:58], v[61:62], v[57:58]
	v_add_f64 v[61:62], v[63:64], -v[59:60]
	v_add_f64 v[57:58], v[63:64], v[57:58]
	v_add_f64 v[63:64], v[63:64], -v[61:62]
	v_add_f64 v[55:56], v[55:56], -v[61:62]
	v_add_f64 v[67:68], v[65:66], v[57:58]
	v_add_f64 v[59:60], v[59:60], -v[63:64]
	v_add_f64 v[61:62], v[67:68], -v[65:66]
	v_add_f64 v[55:56], v[55:56], v[59:60]
	v_add_f64 v[57:58], v[57:58], -v[61:62]
	v_add_f64 v[55:56], v[55:56], v[57:58]
	v_add_f64 v[55:56], v[67:68], v[55:56]
	v_cndmask_b32_e64 v55, 0, v55, s4
	v_cmp_neq_f64_e64 s4, -1.0, v[3:4]
	v_cndmask_b32_e64 v0, 0x7ff00000, v56, s5
	v_cndmask_b32_e64 v0, 0x7ff80000, v0, s15
	;; [unrolled: 1-line block ×3, first 2 shown]
	v_add_f64 v[3:4], v[33:34], v[55:56]
.LBB26_96:
	s_or_b32 exec_lo, exec_lo, s33
	v_max_f64 v[33:34], v[3:4], v[3:4]
	v_cmp_u_f64_e64 s4, v[3:4], v[3:4]
	v_min_f64 v[55:56], v[33:34], v[29:30]
	v_max_f64 v[29:30], v[33:34], v[29:30]
	v_cndmask_b32_e64 v0, v55, v3, s4
	v_cndmask_b32_e64 v33, v56, v4, s4
	;; [unrolled: 1-line block ×8, first 2 shown]
	v_mov_b32_e32 v26, v4
	v_mov_b32_e32 v25, v3
	v_cmp_class_f64_e64 s5, v[33:34], 0x1f8
	v_cmp_neq_f64_e64 s4, v[33:34], v[29:30]
	s_or_b32 s4, s4, s5
	s_and_saveexec_b32 s16, s4
	s_cbranch_execz .LBB26_98
; %bb.97:
	v_add_f64 v[25:26], v[33:34], -v[29:30]
	s_mov_b32 s4, 0x652b82fe
	s_mov_b32 s5, 0x3ff71547
	;; [unrolled: 1-line block ×10, first 2 shown]
	v_mul_f64 v[33:34], v[25:26], s[4:5]
	s_mov_b32 s4, 0xfca7ab0c
	s_mov_b32 s5, 0x3e928af3
	v_rndne_f64_e32 v[33:34], v[33:34]
	v_fma_f64 v[55:56], v[33:34], s[28:29], v[25:26]
	v_cvt_i32_f64_e32 v0, v[33:34]
	s_mov_b32 s29, 0x3fe62e42
	v_fma_f64 v[55:56], v[33:34], s[34:35], v[55:56]
	s_mov_b32 s35, 0x3c7abc9e
	v_fma_f64 v[57:58], v[55:56], s[36:37], s[4:5]
	s_mov_b32 s4, 0x623fde64
	s_mov_b32 s5, 0x3ec71dee
	;; [unrolled: 1-line block ×4, first 2 shown]
	v_fma_f64 v[57:58], v[55:56], v[57:58], s[4:5]
	s_mov_b32 s4, 0x7c89e6b0
	s_mov_b32 s5, 0x3efa0199
	v_fma_f64 v[57:58], v[55:56], v[57:58], s[4:5]
	s_mov_b32 s4, 0x14761f6e
	s_mov_b32 s5, 0x3f2a01a0
	;; [unrolled: 3-line block ×7, first 2 shown]
	v_fma_f64 v[57:58], v[55:56], v[57:58], s[4:5]
	v_cmp_nlt_f64_e64 s4, 0x40900000, v[25:26]
	v_cmp_ngt_f64_e64 s5, 0xc090cc00, v[25:26]
	v_fma_f64 v[57:58], v[55:56], v[57:58], 1.0
	v_fma_f64 v[33:34], v[55:56], v[57:58], 1.0
	v_ldexp_f64 v[33:34], v[33:34], v0
	v_cndmask_b32_e64 v0, 0x7ff00000, v34, s4
	s_and_b32 s4, s5, s4
	v_cndmask_b32_e64 v25, 0, v33, s4
	s_mov_b32 s4, 0x55555555
	v_cndmask_b32_e64 v26, 0, v0, s5
	s_mov_b32 s5, 0x3fe55555
	v_add_f64 v[33:34], v[25:26], 1.0
	v_cmp_ngt_f64_e64 s15, -1.0, v[25:26]
	v_frexp_mant_f64_e32 v[55:56], v[33:34]
	v_frexp_exp_i32_f64_e32 v0, v[33:34]
	v_add_f64 v[57:58], v[33:34], -1.0
	v_cmp_gt_f64_e64 s4, s[4:5], v[55:56]
	v_add_f64 v[55:56], v[57:58], -v[33:34]
	v_add_f64 v[57:58], v[25:26], -v[57:58]
	v_subrev_co_ci_u32_e64 v0, null, 0, v0, s4
	v_add_f64 v[55:56], v[55:56], 1.0
	s_mov_b32 s4, 0x55555780
	s_waitcnt lgkmcnt(1)
	v_sub_nc_u32_e32 v61, 0, v0
	v_ldexp_f64 v[33:34], v[33:34], v61
	v_add_f64 v[55:56], v[57:58], v[55:56]
	v_add_f64 v[59:60], v[33:34], 1.0
	v_add_f64 v[65:66], v[33:34], -1.0
	v_ldexp_f64 v[55:56], v[55:56], v61
	v_add_f64 v[57:58], v[59:60], -1.0
	v_add_f64 v[67:68], v[65:66], 1.0
	v_add_f64 v[57:58], v[33:34], -v[57:58]
	v_add_f64 v[33:34], v[33:34], -v[67:68]
	v_add_f64 v[57:58], v[55:56], v[57:58]
	v_add_f64 v[33:34], v[55:56], v[33:34]
	s_waitcnt lgkmcnt(0)
	v_add_f64 v[61:62], v[59:60], v[57:58]
	v_add_f64 v[67:68], v[65:66], v[33:34]
	v_rcp_f64_e32 v[63:64], v[61:62]
	v_add_f64 v[59:60], v[61:62], -v[59:60]
	v_add_f64 v[65:66], v[67:68], -v[65:66]
	;; [unrolled: 1-line block ×3, first 2 shown]
	v_fma_f64 v[71:72], -v[61:62], v[63:64], 1.0
	v_add_f64 v[33:34], v[33:34], -v[65:66]
	v_fma_f64 v[63:64], v[71:72], v[63:64], v[63:64]
	v_fma_f64 v[55:56], -v[61:62], v[63:64], 1.0
	v_fma_f64 v[55:56], v[55:56], v[63:64], v[63:64]
	v_mul_f64 v[63:64], v[67:68], v[55:56]
	v_mul_f64 v[71:72], v[61:62], v[63:64]
	v_fma_f64 v[59:60], v[63:64], v[61:62], -v[71:72]
	v_fma_f64 v[59:60], v[63:64], v[57:58], v[59:60]
	v_add_f64 v[73:74], v[71:72], v[59:60]
	v_add_f64 v[75:76], v[67:68], -v[73:74]
	v_add_f64 v[65:66], v[73:74], -v[71:72]
	;; [unrolled: 1-line block ×5, first 2 shown]
	v_add_f64 v[33:34], v[33:34], v[67:68]
	v_add_f64 v[33:34], v[59:60], v[33:34]
	;; [unrolled: 1-line block ×3, first 2 shown]
	v_mul_f64 v[65:66], v[55:56], v[59:60]
	v_add_f64 v[73:74], v[75:76], -v[59:60]
	v_mul_f64 v[67:68], v[61:62], v[65:66]
	v_add_f64 v[33:34], v[33:34], v[73:74]
	v_fma_f64 v[61:62], v[65:66], v[61:62], -v[67:68]
	v_fma_f64 v[57:58], v[65:66], v[57:58], v[61:62]
	v_add_f64 v[61:62], v[67:68], v[57:58]
	v_add_f64 v[71:72], v[59:60], -v[61:62]
	v_add_f64 v[67:68], v[61:62], -v[67:68]
	;; [unrolled: 1-line block ×5, first 2 shown]
	v_add_f64 v[33:34], v[33:34], v[59:60]
	v_add_f64 v[59:60], v[63:64], v[65:66]
	;; [unrolled: 1-line block ×3, first 2 shown]
	v_add_f64 v[57:58], v[59:60], -v[63:64]
	v_add_f64 v[33:34], v[71:72], v[33:34]
	v_add_f64 v[57:58], v[65:66], -v[57:58]
	v_mul_f64 v[33:34], v[55:56], v[33:34]
	v_add_f64 v[33:34], v[57:58], v[33:34]
	v_add_f64 v[55:56], v[59:60], v[33:34]
	v_mul_f64 v[57:58], v[55:56], v[55:56]
	v_fma_f64 v[61:62], v[57:58], s[38:39], s[36:37]
	s_mov_b32 s36, 0xd7f4df2e
	s_mov_b32 s37, 0x3fc7474d
	v_mul_f64 v[63:64], v[55:56], v[57:58]
	v_fma_f64 v[61:62], v[57:58], v[61:62], s[36:37]
	s_mov_b32 s36, 0x16291751
	s_mov_b32 s37, 0x3fcc71c0
	v_fma_f64 v[61:62], v[57:58], v[61:62], s[36:37]
	s_mov_b32 s36, 0x9b27acf1
	s_mov_b32 s37, 0x3fd24924
	;; [unrolled: 3-line block ×3, first 2 shown]
	v_fma_f64 v[61:62], v[57:58], v[61:62], s[36:37]
	v_fma_f64 v[57:58], v[57:58], v[61:62], s[4:5]
	v_ldexp_f64 v[61:62], v[55:56], 1
	v_add_f64 v[55:56], v[55:56], -v[59:60]
	v_cmp_nge_f64_e64 s4, -1.0, v[25:26]
	v_cmp_neq_f64_e64 s5, 0x7ff00000, v[25:26]
	v_mul_f64 v[57:58], v[63:64], v[57:58]
	v_cvt_f64_i32_e32 v[63:64], v0
	v_add_f64 v[33:34], v[33:34], -v[55:56]
	s_and_b32 s4, s4, s5
	v_add_f64 v[59:60], v[61:62], v[57:58]
	v_mul_f64 v[65:66], v[63:64], s[28:29]
	v_ldexp_f64 v[33:34], v[33:34], 1
	v_add_f64 v[55:56], v[59:60], -v[61:62]
	v_fma_f64 v[61:62], v[63:64], s[28:29], -v[65:66]
	v_add_f64 v[55:56], v[57:58], -v[55:56]
	v_fma_f64 v[57:58], v[63:64], s[34:35], v[61:62]
	v_add_f64 v[33:34], v[33:34], v[55:56]
	v_add_f64 v[55:56], v[65:66], v[57:58]
	;; [unrolled: 1-line block ×3, first 2 shown]
	v_add_f64 v[65:66], v[55:56], -v[65:66]
	v_add_f64 v[63:64], v[55:56], v[61:62]
	v_add_f64 v[59:60], v[61:62], -v[59:60]
	v_add_f64 v[57:58], v[57:58], -v[65:66]
	;; [unrolled: 1-line block ×6, first 2 shown]
	v_add_f64 v[61:62], v[57:58], v[33:34]
	v_add_f64 v[55:56], v[55:56], -v[71:72]
	v_add_f64 v[55:56], v[59:60], v[55:56]
	v_add_f64 v[59:60], v[61:62], -v[57:58]
	;; [unrolled: 2-line block ×3, first 2 shown]
	v_add_f64 v[33:34], v[33:34], -v[59:60]
	v_add_f64 v[65:66], v[63:64], v[55:56]
	v_add_f64 v[57:58], v[57:58], -v[61:62]
	v_add_f64 v[59:60], v[65:66], -v[63:64]
	v_add_f64 v[33:34], v[33:34], v[57:58]
	v_add_f64 v[55:56], v[55:56], -v[59:60]
	v_add_f64 v[33:34], v[33:34], v[55:56]
	v_add_f64 v[33:34], v[65:66], v[33:34]
	v_cndmask_b32_e64 v33, 0, v33, s4
	v_cmp_neq_f64_e64 s4, -1.0, v[25:26]
	v_cndmask_b32_e64 v0, 0x7ff00000, v34, s5
	v_cndmask_b32_e64 v0, 0x7ff80000, v0, s15
	;; [unrolled: 1-line block ×3, first 2 shown]
	v_add_f64 v[25:26], v[29:30], v[33:34]
.LBB26_98:
	s_or_b32 exec_lo, exec_lo, s16
	v_max_f64 v[29:30], v[25:26], v[25:26]
	v_cmp_u_f64_e64 s4, v[25:26], v[25:26]
	v_min_f64 v[33:34], v[29:30], v[31:32]
	v_max_f64 v[29:30], v[29:30], v[31:32]
	v_cndmask_b32_e64 v0, v33, v25, s4
	v_cndmask_b32_e64 v31, v34, v26, s4
	;; [unrolled: 1-line block ×8, first 2 shown]
	v_mov_b32_e32 v28, v26
	v_mov_b32_e32 v27, v25
	v_cmp_class_f64_e64 s5, v[31:32], 0x1f8
	v_cmp_neq_f64_e64 s4, v[31:32], v[29:30]
	s_or_b32 s4, s4, s5
	s_and_saveexec_b32 s33, s4
	s_cbranch_execz .LBB26_100
; %bb.99:
	v_add_f64 v[27:28], v[31:32], -v[29:30]
	s_mov_b32 s4, 0x652b82fe
	s_mov_b32 s5, 0x3ff71547
	;; [unrolled: 1-line block ×10, first 2 shown]
	v_mul_f64 v[31:32], v[27:28], s[4:5]
	s_mov_b32 s4, 0xfca7ab0c
	s_mov_b32 s5, 0x3e928af3
	v_rndne_f64_e32 v[31:32], v[31:32]
	v_fma_f64 v[33:34], v[31:32], s[16:17], v[27:28]
	v_cvt_i32_f64_e32 v0, v[31:32]
	s_mov_b32 s17, 0x3fe62e42
	v_fma_f64 v[33:34], v[31:32], s[28:29], v[33:34]
	s_mov_b32 s29, 0x3c7abc9e
	v_fma_f64 v[55:56], v[33:34], s[34:35], s[4:5]
	s_mov_b32 s4, 0x623fde64
	s_mov_b32 s5, 0x3ec71dee
	;; [unrolled: 1-line block ×4, first 2 shown]
	v_fma_f64 v[55:56], v[33:34], v[55:56], s[4:5]
	s_mov_b32 s4, 0x7c89e6b0
	s_mov_b32 s5, 0x3efa0199
	v_fma_f64 v[55:56], v[33:34], v[55:56], s[4:5]
	s_mov_b32 s4, 0x14761f6e
	s_mov_b32 s5, 0x3f2a01a0
	;; [unrolled: 3-line block ×7, first 2 shown]
	v_fma_f64 v[55:56], v[33:34], v[55:56], s[4:5]
	v_cmp_nlt_f64_e64 s4, 0x40900000, v[27:28]
	v_cmp_ngt_f64_e64 s5, 0xc090cc00, v[27:28]
	v_fma_f64 v[55:56], v[33:34], v[55:56], 1.0
	v_fma_f64 v[31:32], v[33:34], v[55:56], 1.0
	v_ldexp_f64 v[31:32], v[31:32], v0
	v_cndmask_b32_e64 v0, 0x7ff00000, v32, s4
	s_and_b32 s4, s5, s4
	v_cndmask_b32_e64 v27, 0, v31, s4
	s_mov_b32 s4, 0x55555555
	v_cndmask_b32_e64 v28, 0, v0, s5
	s_mov_b32 s5, 0x3fe55555
	v_add_f64 v[31:32], v[27:28], 1.0
	v_cmp_ngt_f64_e64 s15, -1.0, v[27:28]
	v_frexp_mant_f64_e32 v[33:34], v[31:32]
	v_frexp_exp_i32_f64_e32 v0, v[31:32]
	v_add_f64 v[55:56], v[31:32], -1.0
	v_cmp_gt_f64_e64 s4, s[4:5], v[33:34]
	v_add_f64 v[33:34], v[55:56], -v[31:32]
	v_add_f64 v[55:56], v[27:28], -v[55:56]
	v_subrev_co_ci_u32_e64 v0, null, 0, v0, s4
	v_add_f64 v[33:34], v[33:34], 1.0
	s_mov_b32 s4, 0x55555780
	v_sub_nc_u32_e32 v59, 0, v0
	v_ldexp_f64 v[31:32], v[31:32], v59
	v_add_f64 v[33:34], v[55:56], v[33:34]
	v_add_f64 v[57:58], v[31:32], 1.0
	v_add_f64 v[63:64], v[31:32], -1.0
	v_ldexp_f64 v[33:34], v[33:34], v59
	v_add_f64 v[55:56], v[57:58], -1.0
	v_add_f64 v[65:66], v[63:64], 1.0
	v_add_f64 v[55:56], v[31:32], -v[55:56]
	v_add_f64 v[31:32], v[31:32], -v[65:66]
	v_add_f64 v[55:56], v[33:34], v[55:56]
	v_add_f64 v[31:32], v[33:34], v[31:32]
	;; [unrolled: 1-line block ×4, first 2 shown]
	s_waitcnt lgkmcnt(0)
	v_rcp_f64_e32 v[61:62], v[59:60]
	v_add_f64 v[57:58], v[59:60], -v[57:58]
	v_add_f64 v[63:64], v[65:66], -v[63:64]
	;; [unrolled: 1-line block ×3, first 2 shown]
	v_fma_f64 v[67:68], -v[59:60], v[61:62], 1.0
	v_add_f64 v[31:32], v[31:32], -v[63:64]
	v_fma_f64 v[61:62], v[67:68], v[61:62], v[61:62]
	v_fma_f64 v[33:34], -v[59:60], v[61:62], 1.0
	v_fma_f64 v[33:34], v[33:34], v[61:62], v[61:62]
	v_mul_f64 v[61:62], v[65:66], v[33:34]
	v_mul_f64 v[67:68], v[59:60], v[61:62]
	v_fma_f64 v[57:58], v[61:62], v[59:60], -v[67:68]
	v_fma_f64 v[57:58], v[61:62], v[55:56], v[57:58]
	v_add_f64 v[71:72], v[67:68], v[57:58]
	v_add_f64 v[73:74], v[65:66], -v[71:72]
	v_add_f64 v[63:64], v[71:72], -v[67:68]
	;; [unrolled: 1-line block ×5, first 2 shown]
	v_add_f64 v[31:32], v[31:32], v[65:66]
	v_add_f64 v[31:32], v[57:58], v[31:32]
	;; [unrolled: 1-line block ×3, first 2 shown]
	v_mul_f64 v[63:64], v[33:34], v[57:58]
	v_add_f64 v[71:72], v[73:74], -v[57:58]
	v_mul_f64 v[65:66], v[59:60], v[63:64]
	v_add_f64 v[31:32], v[31:32], v[71:72]
	v_fma_f64 v[59:60], v[63:64], v[59:60], -v[65:66]
	v_fma_f64 v[55:56], v[63:64], v[55:56], v[59:60]
	v_add_f64 v[59:60], v[65:66], v[55:56]
	v_add_f64 v[67:68], v[57:58], -v[59:60]
	v_add_f64 v[65:66], v[59:60], -v[65:66]
	;; [unrolled: 1-line block ×5, first 2 shown]
	v_add_f64 v[31:32], v[31:32], v[57:58]
	v_add_f64 v[57:58], v[61:62], v[63:64]
	v_add_f64 v[31:32], v[55:56], v[31:32]
	v_add_f64 v[55:56], v[57:58], -v[61:62]
	v_add_f64 v[31:32], v[67:68], v[31:32]
	v_add_f64 v[55:56], v[63:64], -v[55:56]
	v_mul_f64 v[31:32], v[33:34], v[31:32]
	v_add_f64 v[31:32], v[55:56], v[31:32]
	v_add_f64 v[33:34], v[57:58], v[31:32]
	v_mul_f64 v[55:56], v[33:34], v[33:34]
	v_fma_f64 v[59:60], v[55:56], s[36:37], s[34:35]
	s_mov_b32 s34, 0xd7f4df2e
	s_mov_b32 s35, 0x3fc7474d
	v_mul_f64 v[61:62], v[33:34], v[55:56]
	v_fma_f64 v[59:60], v[55:56], v[59:60], s[34:35]
	s_mov_b32 s34, 0x16291751
	s_mov_b32 s35, 0x3fcc71c0
	v_fma_f64 v[59:60], v[55:56], v[59:60], s[34:35]
	s_mov_b32 s34, 0x9b27acf1
	s_mov_b32 s35, 0x3fd24924
	;; [unrolled: 3-line block ×3, first 2 shown]
	v_fma_f64 v[59:60], v[55:56], v[59:60], s[34:35]
	v_fma_f64 v[55:56], v[55:56], v[59:60], s[4:5]
	v_ldexp_f64 v[59:60], v[33:34], 1
	v_add_f64 v[33:34], v[33:34], -v[57:58]
	v_cmp_nge_f64_e64 s4, -1.0, v[27:28]
	v_cmp_neq_f64_e64 s5, 0x7ff00000, v[27:28]
	v_mul_f64 v[55:56], v[61:62], v[55:56]
	v_cvt_f64_i32_e32 v[61:62], v0
	v_add_f64 v[31:32], v[31:32], -v[33:34]
	s_and_b32 s4, s4, s5
	v_add_f64 v[57:58], v[59:60], v[55:56]
	v_mul_f64 v[63:64], v[61:62], s[16:17]
	v_ldexp_f64 v[31:32], v[31:32], 1
	v_add_f64 v[33:34], v[57:58], -v[59:60]
	v_fma_f64 v[59:60], v[61:62], s[16:17], -v[63:64]
	v_add_f64 v[33:34], v[55:56], -v[33:34]
	v_fma_f64 v[55:56], v[61:62], s[28:29], v[59:60]
	v_add_f64 v[31:32], v[31:32], v[33:34]
	v_add_f64 v[33:34], v[63:64], v[55:56]
	;; [unrolled: 1-line block ×3, first 2 shown]
	v_add_f64 v[63:64], v[33:34], -v[63:64]
	v_add_f64 v[61:62], v[33:34], v[59:60]
	v_add_f64 v[57:58], v[59:60], -v[57:58]
	v_add_f64 v[55:56], v[55:56], -v[63:64]
	;; [unrolled: 1-line block ×6, first 2 shown]
	v_add_f64 v[59:60], v[55:56], v[31:32]
	v_add_f64 v[33:34], v[33:34], -v[67:68]
	v_add_f64 v[33:34], v[57:58], v[33:34]
	v_add_f64 v[57:58], v[59:60], -v[55:56]
	v_add_f64 v[33:34], v[59:60], v[33:34]
	v_add_f64 v[59:60], v[59:60], -v[57:58]
	v_add_f64 v[31:32], v[31:32], -v[57:58]
	v_add_f64 v[63:64], v[61:62], v[33:34]
	v_add_f64 v[55:56], v[55:56], -v[59:60]
	v_add_f64 v[57:58], v[63:64], -v[61:62]
	v_add_f64 v[31:32], v[31:32], v[55:56]
	v_add_f64 v[33:34], v[33:34], -v[57:58]
	v_add_f64 v[31:32], v[31:32], v[33:34]
	v_add_f64 v[31:32], v[63:64], v[31:32]
	v_cndmask_b32_e64 v31, 0, v31, s4
	v_cmp_neq_f64_e64 s4, -1.0, v[27:28]
	v_cndmask_b32_e64 v0, 0x7ff00000, v32, s5
	v_cndmask_b32_e64 v0, 0x7ff80000, v0, s15
	;; [unrolled: 1-line block ×3, first 2 shown]
	v_add_f64 v[27:28], v[29:30], v[31:32]
.LBB26_100:
	s_or_b32 exec_lo, exec_lo, s33
	v_max_f64 v[29:30], v[27:28], v[27:28]
	v_cmp_u_f64_e64 s4, v[27:28], v[27:28]
	v_min_f64 v[31:32], v[29:30], v[35:36]
	v_max_f64 v[29:30], v[29:30], v[35:36]
	v_cndmask_b32_e64 v0, v31, v27, s4
	v_cndmask_b32_e64 v31, v32, v28, s4
	;; [unrolled: 1-line block ×8, first 2 shown]
	v_mov_b32_e32 v21, v27
	v_mov_b32_e32 v22, v28
	v_cmp_class_f64_e64 s5, v[31:32], 0x1f8
	v_cmp_neq_f64_e64 s4, v[31:32], v[29:30]
	s_or_b32 s4, s4, s5
	s_and_saveexec_b32 s18, s4
	s_cbranch_execz .LBB26_102
; %bb.101:
	v_add_f64 v[21:22], v[31:32], -v[29:30]
	s_mov_b32 s4, 0x652b82fe
	s_mov_b32 s5, 0x3ff71547
	;; [unrolled: 1-line block ×10, first 2 shown]
	v_mul_f64 v[31:32], v[21:22], s[4:5]
	s_mov_b32 s4, 0xfca7ab0c
	s_mov_b32 s5, 0x3e928af3
	v_rndne_f64_e32 v[31:32], v[31:32]
	v_fma_f64 v[33:34], v[31:32], s[16:17], v[21:22]
	v_cvt_i32_f64_e32 v0, v[31:32]
	s_mov_b32 s17, 0x3fe62e42
	v_fma_f64 v[33:34], v[31:32], s[28:29], v[33:34]
	s_mov_b32 s29, 0x3c7abc9e
	v_fma_f64 v[35:36], v[33:34], s[34:35], s[4:5]
	s_mov_b32 s4, 0x623fde64
	s_mov_b32 s5, 0x3ec71dee
	;; [unrolled: 1-line block ×4, first 2 shown]
	v_fma_f64 v[35:36], v[33:34], v[35:36], s[4:5]
	s_mov_b32 s4, 0x7c89e6b0
	s_mov_b32 s5, 0x3efa0199
	v_fma_f64 v[35:36], v[33:34], v[35:36], s[4:5]
	s_mov_b32 s4, 0x14761f6e
	s_mov_b32 s5, 0x3f2a01a0
	;; [unrolled: 3-line block ×7, first 2 shown]
	v_fma_f64 v[35:36], v[33:34], v[35:36], s[4:5]
	v_cmp_nlt_f64_e64 s4, 0x40900000, v[21:22]
	v_cmp_ngt_f64_e64 s5, 0xc090cc00, v[21:22]
	v_fma_f64 v[35:36], v[33:34], v[35:36], 1.0
	v_fma_f64 v[31:32], v[33:34], v[35:36], 1.0
	v_ldexp_f64 v[31:32], v[31:32], v0
	v_cndmask_b32_e64 v0, 0x7ff00000, v32, s4
	s_and_b32 s4, s5, s4
	v_cndmask_b32_e64 v21, 0, v31, s4
	s_mov_b32 s4, 0x55555555
	v_cndmask_b32_e64 v22, 0, v0, s5
	s_mov_b32 s5, 0x3fe55555
	v_add_f64 v[31:32], v[21:22], 1.0
	v_cmp_ngt_f64_e64 s15, -1.0, v[21:22]
	v_frexp_mant_f64_e32 v[33:34], v[31:32]
	v_frexp_exp_i32_f64_e32 v0, v[31:32]
	v_add_f64 v[35:36], v[31:32], -1.0
	v_cmp_gt_f64_e64 s4, s[4:5], v[33:34]
	v_add_f64 v[33:34], v[35:36], -v[31:32]
	v_add_f64 v[35:36], v[21:22], -v[35:36]
	v_subrev_co_ci_u32_e64 v0, null, 0, v0, s4
	v_add_f64 v[33:34], v[33:34], 1.0
	s_mov_b32 s4, 0x55555780
	v_sub_nc_u32_e32 v57, 0, v0
	v_ldexp_f64 v[31:32], v[31:32], v57
	v_add_f64 v[33:34], v[35:36], v[33:34]
	v_add_f64 v[55:56], v[31:32], 1.0
	s_waitcnt lgkmcnt(0)
	v_add_f64 v[61:62], v[31:32], -1.0
	v_ldexp_f64 v[33:34], v[33:34], v57
	v_add_f64 v[35:36], v[55:56], -1.0
	v_add_f64 v[63:64], v[61:62], 1.0
	v_add_f64 v[35:36], v[31:32], -v[35:36]
	v_add_f64 v[31:32], v[31:32], -v[63:64]
	v_add_f64 v[35:36], v[33:34], v[35:36]
	v_add_f64 v[31:32], v[33:34], v[31:32]
	;; [unrolled: 1-line block ×4, first 2 shown]
	v_rcp_f64_e32 v[59:60], v[57:58]
	v_add_f64 v[55:56], v[57:58], -v[55:56]
	v_add_f64 v[61:62], v[63:64], -v[61:62]
	;; [unrolled: 1-line block ×3, first 2 shown]
	v_fma_f64 v[65:66], -v[57:58], v[59:60], 1.0
	v_add_f64 v[31:32], v[31:32], -v[61:62]
	v_fma_f64 v[59:60], v[65:66], v[59:60], v[59:60]
	v_fma_f64 v[33:34], -v[57:58], v[59:60], 1.0
	v_fma_f64 v[33:34], v[33:34], v[59:60], v[59:60]
	v_mul_f64 v[59:60], v[63:64], v[33:34]
	v_mul_f64 v[65:66], v[57:58], v[59:60]
	v_fma_f64 v[55:56], v[59:60], v[57:58], -v[65:66]
	v_fma_f64 v[55:56], v[59:60], v[35:36], v[55:56]
	v_add_f64 v[67:68], v[65:66], v[55:56]
	v_add_f64 v[71:72], v[63:64], -v[67:68]
	v_add_f64 v[61:62], v[67:68], -v[65:66]
	;; [unrolled: 1-line block ×5, first 2 shown]
	v_add_f64 v[31:32], v[31:32], v[63:64]
	v_add_f64 v[31:32], v[55:56], v[31:32]
	;; [unrolled: 1-line block ×3, first 2 shown]
	v_mul_f64 v[61:62], v[33:34], v[55:56]
	v_add_f64 v[67:68], v[71:72], -v[55:56]
	v_mul_f64 v[63:64], v[57:58], v[61:62]
	v_add_f64 v[31:32], v[31:32], v[67:68]
	v_fma_f64 v[57:58], v[61:62], v[57:58], -v[63:64]
	v_fma_f64 v[35:36], v[61:62], v[35:36], v[57:58]
	v_add_f64 v[57:58], v[63:64], v[35:36]
	v_add_f64 v[65:66], v[55:56], -v[57:58]
	v_add_f64 v[63:64], v[57:58], -v[63:64]
	v_add_f64 v[55:56], v[55:56], -v[65:66]
	v_add_f64 v[35:36], v[63:64], -v[35:36]
	v_add_f64 v[55:56], v[55:56], -v[57:58]
	v_add_f64 v[31:32], v[31:32], v[55:56]
	v_add_f64 v[55:56], v[59:60], v[61:62]
	;; [unrolled: 1-line block ×3, first 2 shown]
	v_add_f64 v[35:36], v[55:56], -v[59:60]
	v_add_f64 v[31:32], v[65:66], v[31:32]
	v_add_f64 v[35:36], v[61:62], -v[35:36]
	v_mul_f64 v[31:32], v[33:34], v[31:32]
	v_add_f64 v[31:32], v[35:36], v[31:32]
	v_add_f64 v[33:34], v[55:56], v[31:32]
	v_mul_f64 v[35:36], v[33:34], v[33:34]
	v_fma_f64 v[57:58], v[35:36], s[36:37], s[34:35]
	s_mov_b32 s34, 0xd7f4df2e
	s_mov_b32 s35, 0x3fc7474d
	v_mul_f64 v[59:60], v[33:34], v[35:36]
	v_fma_f64 v[57:58], v[35:36], v[57:58], s[34:35]
	s_mov_b32 s34, 0x16291751
	s_mov_b32 s35, 0x3fcc71c0
	v_fma_f64 v[57:58], v[35:36], v[57:58], s[34:35]
	s_mov_b32 s34, 0x9b27acf1
	s_mov_b32 s35, 0x3fd24924
	;; [unrolled: 3-line block ×3, first 2 shown]
	v_fma_f64 v[57:58], v[35:36], v[57:58], s[34:35]
	v_fma_f64 v[35:36], v[35:36], v[57:58], s[4:5]
	v_ldexp_f64 v[57:58], v[33:34], 1
	v_add_f64 v[33:34], v[33:34], -v[55:56]
	v_cmp_nge_f64_e64 s4, -1.0, v[21:22]
	v_cmp_neq_f64_e64 s5, 0x7ff00000, v[21:22]
	v_mul_f64 v[35:36], v[59:60], v[35:36]
	v_cvt_f64_i32_e32 v[59:60], v0
	v_add_f64 v[31:32], v[31:32], -v[33:34]
	s_and_b32 s4, s4, s5
	v_add_f64 v[55:56], v[57:58], v[35:36]
	v_mul_f64 v[61:62], v[59:60], s[16:17]
	v_ldexp_f64 v[31:32], v[31:32], 1
	v_add_f64 v[33:34], v[55:56], -v[57:58]
	v_fma_f64 v[57:58], v[59:60], s[16:17], -v[61:62]
	v_add_f64 v[33:34], v[35:36], -v[33:34]
	v_fma_f64 v[35:36], v[59:60], s[28:29], v[57:58]
	v_add_f64 v[31:32], v[31:32], v[33:34]
	v_add_f64 v[33:34], v[61:62], v[35:36]
	;; [unrolled: 1-line block ×3, first 2 shown]
	v_add_f64 v[61:62], v[33:34], -v[61:62]
	v_add_f64 v[59:60], v[33:34], v[57:58]
	v_add_f64 v[55:56], v[57:58], -v[55:56]
	v_add_f64 v[35:36], v[35:36], -v[61:62]
	;; [unrolled: 1-line block ×6, first 2 shown]
	v_add_f64 v[57:58], v[35:36], v[31:32]
	v_add_f64 v[33:34], v[33:34], -v[65:66]
	v_add_f64 v[33:34], v[55:56], v[33:34]
	v_add_f64 v[55:56], v[57:58], -v[35:36]
	;; [unrolled: 2-line block ×3, first 2 shown]
	v_add_f64 v[31:32], v[31:32], -v[55:56]
	v_add_f64 v[61:62], v[59:60], v[33:34]
	v_add_f64 v[35:36], v[35:36], -v[57:58]
	v_add_f64 v[55:56], v[61:62], -v[59:60]
	v_add_f64 v[31:32], v[31:32], v[35:36]
	v_add_f64 v[33:34], v[33:34], -v[55:56]
	v_add_f64 v[31:32], v[31:32], v[33:34]
	v_add_f64 v[31:32], v[61:62], v[31:32]
	v_cndmask_b32_e64 v31, 0, v31, s4
	v_cmp_neq_f64_e64 s4, -1.0, v[21:22]
	v_cndmask_b32_e64 v0, 0x7ff00000, v32, s5
	v_cndmask_b32_e64 v0, 0x7ff80000, v0, s15
	;; [unrolled: 1-line block ×3, first 2 shown]
	v_add_f64 v[21:22], v[29:30], v[31:32]
.LBB26_102:
	s_or_b32 exec_lo, exec_lo, s18
	v_max_f64 v[29:30], v[21:22], v[21:22]
	v_cmp_u_f64_e64 s4, v[21:22], v[21:22]
	v_min_f64 v[31:32], v[29:30], v[37:38]
	v_max_f64 v[29:30], v[29:30], v[37:38]
	v_cndmask_b32_e64 v0, v31, v21, s4
	v_cndmask_b32_e64 v31, v32, v22, s4
	;; [unrolled: 1-line block ×8, first 2 shown]
	v_mov_b32_e32 v24, v22
	v_mov_b32_e32 v23, v21
	v_cmp_class_f64_e64 s5, v[31:32], 0x1f8
	v_cmp_neq_f64_e64 s4, v[31:32], v[29:30]
	s_or_b32 s4, s4, s5
	s_and_saveexec_b32 s28, s4
	s_cbranch_execz .LBB26_104
; %bb.103:
	v_add_f64 v[23:24], v[31:32], -v[29:30]
	s_mov_b32 s4, 0x652b82fe
	s_mov_b32 s5, 0x3ff71547
	;; [unrolled: 1-line block ×10, first 2 shown]
	v_mul_f64 v[31:32], v[23:24], s[4:5]
	s_mov_b32 s4, 0xfca7ab0c
	s_mov_b32 s5, 0x3e928af3
	v_rndne_f64_e32 v[31:32], v[31:32]
	v_fma_f64 v[33:34], v[31:32], s[16:17], v[23:24]
	v_cvt_i32_f64_e32 v0, v[31:32]
	s_mov_b32 s17, 0x3fe62e42
	v_fma_f64 v[33:34], v[31:32], s[18:19], v[33:34]
	s_mov_b32 s19, 0x3c7abc9e
	v_fma_f64 v[35:36], v[33:34], s[34:35], s[4:5]
	s_mov_b32 s4, 0x623fde64
	s_mov_b32 s5, 0x3ec71dee
	;; [unrolled: 1-line block ×4, first 2 shown]
	v_fma_f64 v[35:36], v[33:34], v[35:36], s[4:5]
	s_mov_b32 s4, 0x7c89e6b0
	s_mov_b32 s5, 0x3efa0199
	v_fma_f64 v[35:36], v[33:34], v[35:36], s[4:5]
	s_mov_b32 s4, 0x14761f6e
	s_mov_b32 s5, 0x3f2a01a0
	;; [unrolled: 3-line block ×7, first 2 shown]
	v_fma_f64 v[35:36], v[33:34], v[35:36], s[4:5]
	v_cmp_nlt_f64_e64 s4, 0x40900000, v[23:24]
	v_cmp_ngt_f64_e64 s5, 0xc090cc00, v[23:24]
	v_fma_f64 v[35:36], v[33:34], v[35:36], 1.0
	v_fma_f64 v[31:32], v[33:34], v[35:36], 1.0
	v_ldexp_f64 v[31:32], v[31:32], v0
	v_cndmask_b32_e64 v0, 0x7ff00000, v32, s4
	s_and_b32 s4, s5, s4
	v_cndmask_b32_e64 v23, 0, v31, s4
	s_mov_b32 s4, 0x55555555
	v_cndmask_b32_e64 v24, 0, v0, s5
	s_mov_b32 s5, 0x3fe55555
	v_add_f64 v[31:32], v[23:24], 1.0
	v_cmp_ngt_f64_e64 s15, -1.0, v[23:24]
	v_frexp_mant_f64_e32 v[33:34], v[31:32]
	v_frexp_exp_i32_f64_e32 v0, v[31:32]
	v_add_f64 v[35:36], v[31:32], -1.0
	v_cmp_gt_f64_e64 s4, s[4:5], v[33:34]
	v_add_f64 v[33:34], v[35:36], -v[31:32]
	v_add_f64 v[35:36], v[23:24], -v[35:36]
	v_subrev_co_ci_u32_e64 v0, null, 0, v0, s4
	v_add_f64 v[33:34], v[33:34], 1.0
	s_mov_b32 s4, 0x55555780
	v_sub_nc_u32_e32 v55, 0, v0
	v_ldexp_f64 v[31:32], v[31:32], v55
	v_add_f64 v[33:34], v[35:36], v[33:34]
	v_add_f64 v[37:38], v[31:32], 1.0
	v_add_f64 v[59:60], v[31:32], -1.0
	v_ldexp_f64 v[33:34], v[33:34], v55
	v_add_f64 v[35:36], v[37:38], -1.0
	s_waitcnt lgkmcnt(0)
	v_add_f64 v[61:62], v[59:60], 1.0
	v_add_f64 v[35:36], v[31:32], -v[35:36]
	v_add_f64 v[31:32], v[31:32], -v[61:62]
	v_add_f64 v[35:36], v[33:34], v[35:36]
	v_add_f64 v[31:32], v[33:34], v[31:32]
	;; [unrolled: 1-line block ×4, first 2 shown]
	v_rcp_f64_e32 v[57:58], v[55:56]
	v_add_f64 v[37:38], v[55:56], -v[37:38]
	v_add_f64 v[59:60], v[61:62], -v[59:60]
	;; [unrolled: 1-line block ×3, first 2 shown]
	v_fma_f64 v[63:64], -v[55:56], v[57:58], 1.0
	v_add_f64 v[31:32], v[31:32], -v[59:60]
	v_fma_f64 v[57:58], v[63:64], v[57:58], v[57:58]
	v_fma_f64 v[33:34], -v[55:56], v[57:58], 1.0
	v_fma_f64 v[33:34], v[33:34], v[57:58], v[57:58]
	v_mul_f64 v[57:58], v[61:62], v[33:34]
	v_mul_f64 v[63:64], v[55:56], v[57:58]
	v_fma_f64 v[37:38], v[57:58], v[55:56], -v[63:64]
	v_fma_f64 v[37:38], v[57:58], v[35:36], v[37:38]
	v_add_f64 v[65:66], v[63:64], v[37:38]
	v_add_f64 v[67:68], v[61:62], -v[65:66]
	v_add_f64 v[59:60], v[65:66], -v[63:64]
	;; [unrolled: 1-line block ×5, first 2 shown]
	v_add_f64 v[31:32], v[31:32], v[61:62]
	v_add_f64 v[31:32], v[37:38], v[31:32]
	v_add_f64 v[37:38], v[67:68], v[31:32]
	v_mul_f64 v[59:60], v[33:34], v[37:38]
	v_add_f64 v[65:66], v[67:68], -v[37:38]
	v_mul_f64 v[61:62], v[55:56], v[59:60]
	v_add_f64 v[31:32], v[31:32], v[65:66]
	v_fma_f64 v[55:56], v[59:60], v[55:56], -v[61:62]
	v_fma_f64 v[35:36], v[59:60], v[35:36], v[55:56]
	v_add_f64 v[55:56], v[61:62], v[35:36]
	v_add_f64 v[63:64], v[37:38], -v[55:56]
	v_add_f64 v[61:62], v[55:56], -v[61:62]
	v_add_f64 v[37:38], v[37:38], -v[63:64]
	v_add_f64 v[35:36], v[61:62], -v[35:36]
	v_add_f64 v[37:38], v[37:38], -v[55:56]
	v_add_f64 v[31:32], v[31:32], v[37:38]
	v_add_f64 v[37:38], v[57:58], v[59:60]
	;; [unrolled: 1-line block ×3, first 2 shown]
	v_add_f64 v[35:36], v[37:38], -v[57:58]
	v_add_f64 v[31:32], v[63:64], v[31:32]
	v_add_f64 v[35:36], v[59:60], -v[35:36]
	v_mul_f64 v[31:32], v[33:34], v[31:32]
	v_add_f64 v[31:32], v[35:36], v[31:32]
	v_add_f64 v[33:34], v[37:38], v[31:32]
	v_mul_f64 v[35:36], v[33:34], v[33:34]
	v_fma_f64 v[55:56], v[35:36], s[36:37], s[34:35]
	s_mov_b32 s34, 0xd7f4df2e
	s_mov_b32 s35, 0x3fc7474d
	v_mul_f64 v[57:58], v[33:34], v[35:36]
	v_fma_f64 v[55:56], v[35:36], v[55:56], s[34:35]
	s_mov_b32 s34, 0x16291751
	s_mov_b32 s35, 0x3fcc71c0
	v_fma_f64 v[55:56], v[35:36], v[55:56], s[34:35]
	s_mov_b32 s34, 0x9b27acf1
	s_mov_b32 s35, 0x3fd24924
	;; [unrolled: 3-line block ×3, first 2 shown]
	v_fma_f64 v[55:56], v[35:36], v[55:56], s[34:35]
	v_fma_f64 v[35:36], v[35:36], v[55:56], s[4:5]
	v_ldexp_f64 v[55:56], v[33:34], 1
	v_add_f64 v[33:34], v[33:34], -v[37:38]
	v_cmp_nge_f64_e64 s4, -1.0, v[23:24]
	v_cmp_neq_f64_e64 s5, 0x7ff00000, v[23:24]
	v_mul_f64 v[35:36], v[57:58], v[35:36]
	v_cvt_f64_i32_e32 v[57:58], v0
	v_add_f64 v[31:32], v[31:32], -v[33:34]
	s_and_b32 s4, s4, s5
	v_add_f64 v[37:38], v[55:56], v[35:36]
	v_mul_f64 v[59:60], v[57:58], s[16:17]
	v_ldexp_f64 v[31:32], v[31:32], 1
	v_add_f64 v[33:34], v[37:38], -v[55:56]
	v_fma_f64 v[55:56], v[57:58], s[16:17], -v[59:60]
	v_add_f64 v[33:34], v[35:36], -v[33:34]
	v_fma_f64 v[35:36], v[57:58], s[18:19], v[55:56]
	v_add_f64 v[31:32], v[31:32], v[33:34]
	v_add_f64 v[33:34], v[59:60], v[35:36]
	;; [unrolled: 1-line block ×3, first 2 shown]
	v_add_f64 v[59:60], v[33:34], -v[59:60]
	v_add_f64 v[57:58], v[33:34], v[55:56]
	v_add_f64 v[37:38], v[55:56], -v[37:38]
	v_add_f64 v[35:36], v[35:36], -v[59:60]
	;; [unrolled: 1-line block ×6, first 2 shown]
	v_add_f64 v[55:56], v[35:36], v[31:32]
	v_add_f64 v[33:34], v[33:34], -v[63:64]
	v_add_f64 v[33:34], v[37:38], v[33:34]
	v_add_f64 v[37:38], v[55:56], -v[35:36]
	;; [unrolled: 2-line block ×3, first 2 shown]
	v_add_f64 v[31:32], v[31:32], -v[37:38]
	v_add_f64 v[59:60], v[57:58], v[33:34]
	v_add_f64 v[35:36], v[35:36], -v[55:56]
	v_add_f64 v[37:38], v[59:60], -v[57:58]
	v_add_f64 v[31:32], v[31:32], v[35:36]
	v_add_f64 v[33:34], v[33:34], -v[37:38]
	v_add_f64 v[31:32], v[31:32], v[33:34]
	v_add_f64 v[31:32], v[59:60], v[31:32]
	v_cndmask_b32_e64 v31, 0, v31, s4
	v_cmp_neq_f64_e64 s4, -1.0, v[23:24]
	v_cndmask_b32_e64 v0, 0x7ff00000, v32, s5
	v_cndmask_b32_e64 v0, 0x7ff80000, v0, s15
	;; [unrolled: 1-line block ×3, first 2 shown]
	v_add_f64 v[23:24], v[29:30], v[31:32]
.LBB26_104:
	s_or_b32 exec_lo, exec_lo, s28
	v_max_f64 v[29:30], v[23:24], v[23:24]
	v_cmp_u_f64_e64 s4, v[23:24], v[23:24]
	v_min_f64 v[31:32], v[29:30], v[39:40]
	v_max_f64 v[29:30], v[29:30], v[39:40]
	v_cndmask_b32_e64 v0, v31, v23, s4
	v_cndmask_b32_e64 v31, v32, v24, s4
	;; [unrolled: 1-line block ×8, first 2 shown]
	v_mov_b32_e32 v17, v23
	v_mov_b32_e32 v18, v24
	v_cmp_class_f64_e64 s5, v[31:32], 0x1f8
	v_cmp_neq_f64_e64 s4, v[31:32], v[29:30]
	s_or_b32 s4, s4, s5
	s_and_saveexec_b32 s20, s4
	s_cbranch_execz .LBB26_106
; %bb.105:
	v_add_f64 v[17:18], v[31:32], -v[29:30]
	s_mov_b32 s4, 0x652b82fe
	s_mov_b32 s5, 0x3ff71547
	;; [unrolled: 1-line block ×10, first 2 shown]
	v_mul_f64 v[31:32], v[17:18], s[4:5]
	s_mov_b32 s4, 0xfca7ab0c
	s_mov_b32 s5, 0x3e928af3
	v_rndne_f64_e32 v[31:32], v[31:32]
	v_fma_f64 v[33:34], v[31:32], s[16:17], v[17:18]
	v_cvt_i32_f64_e32 v0, v[31:32]
	s_mov_b32 s17, 0x3fe62e42
	v_fma_f64 v[33:34], v[31:32], s[18:19], v[33:34]
	s_mov_b32 s19, 0x3c7abc9e
	v_fma_f64 v[35:36], v[33:34], s[28:29], s[4:5]
	s_mov_b32 s4, 0x623fde64
	s_mov_b32 s5, 0x3ec71dee
	;; [unrolled: 1-line block ×4, first 2 shown]
	v_fma_f64 v[35:36], v[33:34], v[35:36], s[4:5]
	s_mov_b32 s4, 0x7c89e6b0
	s_mov_b32 s5, 0x3efa0199
	v_fma_f64 v[35:36], v[33:34], v[35:36], s[4:5]
	s_mov_b32 s4, 0x14761f6e
	s_mov_b32 s5, 0x3f2a01a0
	;; [unrolled: 3-line block ×7, first 2 shown]
	v_fma_f64 v[35:36], v[33:34], v[35:36], s[4:5]
	v_cmp_nlt_f64_e64 s4, 0x40900000, v[17:18]
	v_cmp_ngt_f64_e64 s5, 0xc090cc00, v[17:18]
	v_fma_f64 v[35:36], v[33:34], v[35:36], 1.0
	v_fma_f64 v[31:32], v[33:34], v[35:36], 1.0
	v_ldexp_f64 v[31:32], v[31:32], v0
	v_cndmask_b32_e64 v0, 0x7ff00000, v32, s4
	s_and_b32 s4, s5, s4
	v_cndmask_b32_e64 v17, 0, v31, s4
	s_mov_b32 s4, 0x55555555
	v_cndmask_b32_e64 v18, 0, v0, s5
	s_mov_b32 s5, 0x3fe55555
	v_add_f64 v[31:32], v[17:18], 1.0
	v_cmp_ngt_f64_e64 s15, -1.0, v[17:18]
	v_frexp_mant_f64_e32 v[33:34], v[31:32]
	v_frexp_exp_i32_f64_e32 v0, v[31:32]
	v_add_f64 v[35:36], v[31:32], -1.0
	v_cmp_gt_f64_e64 s4, s[4:5], v[33:34]
	v_add_f64 v[33:34], v[35:36], -v[31:32]
	v_add_f64 v[35:36], v[17:18], -v[35:36]
	v_subrev_co_ci_u32_e64 v0, null, 0, v0, s4
	v_add_f64 v[33:34], v[33:34], 1.0
	s_mov_b32 s4, 0x55555780
	v_sub_nc_u32_e32 v39, 0, v0
	v_ldexp_f64 v[31:32], v[31:32], v39
	v_add_f64 v[33:34], v[35:36], v[33:34]
	v_add_f64 v[37:38], v[31:32], 1.0
	v_add_f64 v[57:58], v[31:32], -1.0
	v_ldexp_f64 v[33:34], v[33:34], v39
	v_add_f64 v[35:36], v[37:38], -1.0
	v_add_f64 v[59:60], v[57:58], 1.0
	v_add_f64 v[35:36], v[31:32], -v[35:36]
	v_add_f64 v[31:32], v[31:32], -v[59:60]
	v_add_f64 v[35:36], v[33:34], v[35:36]
	v_add_f64 v[31:32], v[33:34], v[31:32]
	;; [unrolled: 1-line block ×4, first 2 shown]
	v_rcp_f64_e32 v[55:56], v[39:40]
	v_add_f64 v[37:38], v[39:40], -v[37:38]
	v_add_f64 v[57:58], v[59:60], -v[57:58]
	v_add_f64 v[35:36], v[35:36], -v[37:38]
	s_waitcnt lgkmcnt(0)
	v_fma_f64 v[61:62], -v[39:40], v[55:56], 1.0
	v_add_f64 v[31:32], v[31:32], -v[57:58]
	v_fma_f64 v[55:56], v[61:62], v[55:56], v[55:56]
	v_fma_f64 v[33:34], -v[39:40], v[55:56], 1.0
	v_fma_f64 v[33:34], v[33:34], v[55:56], v[55:56]
	v_mul_f64 v[55:56], v[59:60], v[33:34]
	v_mul_f64 v[61:62], v[39:40], v[55:56]
	v_fma_f64 v[37:38], v[55:56], v[39:40], -v[61:62]
	v_fma_f64 v[37:38], v[55:56], v[35:36], v[37:38]
	v_add_f64 v[63:64], v[61:62], v[37:38]
	v_add_f64 v[65:66], v[59:60], -v[63:64]
	v_add_f64 v[57:58], v[63:64], -v[61:62]
	;; [unrolled: 1-line block ×5, first 2 shown]
	v_add_f64 v[31:32], v[31:32], v[59:60]
	v_add_f64 v[31:32], v[37:38], v[31:32]
	;; [unrolled: 1-line block ×3, first 2 shown]
	v_mul_f64 v[57:58], v[33:34], v[37:38]
	v_add_f64 v[63:64], v[65:66], -v[37:38]
	v_mul_f64 v[59:60], v[39:40], v[57:58]
	v_add_f64 v[31:32], v[31:32], v[63:64]
	v_fma_f64 v[39:40], v[57:58], v[39:40], -v[59:60]
	v_fma_f64 v[35:36], v[57:58], v[35:36], v[39:40]
	v_add_f64 v[39:40], v[59:60], v[35:36]
	v_add_f64 v[61:62], v[37:38], -v[39:40]
	v_add_f64 v[59:60], v[39:40], -v[59:60]
	;; [unrolled: 1-line block ×5, first 2 shown]
	v_add_f64 v[31:32], v[31:32], v[37:38]
	v_add_f64 v[37:38], v[55:56], v[57:58]
	;; [unrolled: 1-line block ×3, first 2 shown]
	v_add_f64 v[35:36], v[37:38], -v[55:56]
	v_add_f64 v[31:32], v[61:62], v[31:32]
	v_add_f64 v[35:36], v[57:58], -v[35:36]
	v_mul_f64 v[31:32], v[33:34], v[31:32]
	v_add_f64 v[31:32], v[35:36], v[31:32]
	v_add_f64 v[33:34], v[37:38], v[31:32]
	v_mul_f64 v[35:36], v[33:34], v[33:34]
	v_fma_f64 v[39:40], v[35:36], s[34:35], s[28:29]
	s_mov_b32 s28, 0xd7f4df2e
	s_mov_b32 s29, 0x3fc7474d
	v_mul_f64 v[55:56], v[33:34], v[35:36]
	v_fma_f64 v[39:40], v[35:36], v[39:40], s[28:29]
	s_mov_b32 s28, 0x16291751
	s_mov_b32 s29, 0x3fcc71c0
	v_fma_f64 v[39:40], v[35:36], v[39:40], s[28:29]
	s_mov_b32 s28, 0x9b27acf1
	s_mov_b32 s29, 0x3fd24924
	;; [unrolled: 3-line block ×3, first 2 shown]
	v_fma_f64 v[39:40], v[35:36], v[39:40], s[28:29]
	v_fma_f64 v[35:36], v[35:36], v[39:40], s[4:5]
	v_ldexp_f64 v[39:40], v[33:34], 1
	v_add_f64 v[33:34], v[33:34], -v[37:38]
	v_cmp_nge_f64_e64 s4, -1.0, v[17:18]
	v_cmp_neq_f64_e64 s5, 0x7ff00000, v[17:18]
	v_mul_f64 v[35:36], v[55:56], v[35:36]
	v_cvt_f64_i32_e32 v[55:56], v0
	v_add_f64 v[31:32], v[31:32], -v[33:34]
	s_and_b32 s4, s4, s5
	v_add_f64 v[37:38], v[39:40], v[35:36]
	v_mul_f64 v[57:58], v[55:56], s[16:17]
	v_ldexp_f64 v[31:32], v[31:32], 1
	v_add_f64 v[33:34], v[37:38], -v[39:40]
	v_fma_f64 v[39:40], v[55:56], s[16:17], -v[57:58]
	v_add_f64 v[33:34], v[35:36], -v[33:34]
	v_fma_f64 v[35:36], v[55:56], s[18:19], v[39:40]
	v_add_f64 v[31:32], v[31:32], v[33:34]
	v_add_f64 v[33:34], v[57:58], v[35:36]
	;; [unrolled: 1-line block ×3, first 2 shown]
	v_add_f64 v[57:58], v[33:34], -v[57:58]
	v_add_f64 v[55:56], v[33:34], v[39:40]
	v_add_f64 v[37:38], v[39:40], -v[37:38]
	v_add_f64 v[35:36], v[35:36], -v[57:58]
	;; [unrolled: 1-line block ×6, first 2 shown]
	v_add_f64 v[39:40], v[35:36], v[31:32]
	v_add_f64 v[33:34], v[33:34], -v[61:62]
	v_add_f64 v[33:34], v[37:38], v[33:34]
	v_add_f64 v[37:38], v[39:40], -v[35:36]
	;; [unrolled: 2-line block ×3, first 2 shown]
	v_add_f64 v[31:32], v[31:32], -v[37:38]
	v_add_f64 v[57:58], v[55:56], v[33:34]
	v_add_f64 v[35:36], v[35:36], -v[39:40]
	v_add_f64 v[37:38], v[57:58], -v[55:56]
	v_add_f64 v[31:32], v[31:32], v[35:36]
	v_add_f64 v[33:34], v[33:34], -v[37:38]
	v_add_f64 v[31:32], v[31:32], v[33:34]
	v_add_f64 v[31:32], v[57:58], v[31:32]
	v_cndmask_b32_e64 v31, 0, v31, s4
	v_cmp_neq_f64_e64 s4, -1.0, v[17:18]
	v_cndmask_b32_e64 v0, 0x7ff00000, v32, s5
	v_cndmask_b32_e64 v0, 0x7ff80000, v0, s15
	;; [unrolled: 1-line block ×3, first 2 shown]
	v_add_f64 v[17:18], v[29:30], v[31:32]
.LBB26_106:
	s_or_b32 exec_lo, exec_lo, s20
	v_max_f64 v[29:30], v[17:18], v[17:18]
	v_cmp_u_f64_e64 s4, v[17:18], v[17:18]
	v_min_f64 v[31:32], v[29:30], v[41:42]
	v_max_f64 v[29:30], v[29:30], v[41:42]
	v_cndmask_b32_e64 v0, v31, v17, s4
	v_cndmask_b32_e64 v31, v32, v18, s4
	;; [unrolled: 1-line block ×8, first 2 shown]
	v_mov_b32_e32 v20, v18
	v_mov_b32_e32 v19, v17
	v_cmp_class_f64_e64 s5, v[31:32], 0x1f8
	v_cmp_neq_f64_e64 s4, v[31:32], v[29:30]
	s_or_b32 s4, s4, s5
	s_and_saveexec_b32 s20, s4
	s_cbranch_execz .LBB26_108
; %bb.107:
	v_add_f64 v[19:20], v[31:32], -v[29:30]
	s_mov_b32 s4, 0x652b82fe
	s_mov_b32 s5, 0x3ff71547
	;; [unrolled: 1-line block ×10, first 2 shown]
	v_mul_f64 v[31:32], v[19:20], s[4:5]
	s_mov_b32 s4, 0xfca7ab0c
	s_mov_b32 s5, 0x3e928af3
	v_rndne_f64_e32 v[31:32], v[31:32]
	v_fma_f64 v[33:34], v[31:32], s[16:17], v[19:20]
	v_cvt_i32_f64_e32 v0, v[31:32]
	s_mov_b32 s17, 0x3fe62e42
	v_fma_f64 v[33:34], v[31:32], s[18:19], v[33:34]
	s_mov_b32 s19, 0x3c7abc9e
	v_fma_f64 v[35:36], v[33:34], s[28:29], s[4:5]
	s_mov_b32 s4, 0x623fde64
	s_mov_b32 s5, 0x3ec71dee
	;; [unrolled: 1-line block ×4, first 2 shown]
	v_fma_f64 v[35:36], v[33:34], v[35:36], s[4:5]
	s_mov_b32 s4, 0x7c89e6b0
	s_mov_b32 s5, 0x3efa0199
	v_fma_f64 v[35:36], v[33:34], v[35:36], s[4:5]
	s_mov_b32 s4, 0x14761f6e
	s_mov_b32 s5, 0x3f2a01a0
	;; [unrolled: 3-line block ×7, first 2 shown]
	v_fma_f64 v[35:36], v[33:34], v[35:36], s[4:5]
	v_cmp_nlt_f64_e64 s4, 0x40900000, v[19:20]
	v_cmp_ngt_f64_e64 s5, 0xc090cc00, v[19:20]
	v_fma_f64 v[35:36], v[33:34], v[35:36], 1.0
	v_fma_f64 v[31:32], v[33:34], v[35:36], 1.0
	v_ldexp_f64 v[31:32], v[31:32], v0
	v_cndmask_b32_e64 v0, 0x7ff00000, v32, s4
	s_and_b32 s4, s5, s4
	v_cndmask_b32_e64 v19, 0, v31, s4
	s_mov_b32 s4, 0x55555555
	v_cndmask_b32_e64 v20, 0, v0, s5
	s_mov_b32 s5, 0x3fe55555
	v_add_f64 v[31:32], v[19:20], 1.0
	v_cmp_ngt_f64_e64 s15, -1.0, v[19:20]
	v_frexp_mant_f64_e32 v[33:34], v[31:32]
	v_frexp_exp_i32_f64_e32 v0, v[31:32]
	v_add_f64 v[35:36], v[31:32], -1.0
	v_cmp_gt_f64_e64 s4, s[4:5], v[33:34]
	v_add_f64 v[33:34], v[35:36], -v[31:32]
	v_add_f64 v[35:36], v[19:20], -v[35:36]
	v_subrev_co_ci_u32_e64 v0, null, 0, v0, s4
	v_add_f64 v[33:34], v[33:34], 1.0
	s_mov_b32 s4, 0x55555780
	v_sub_nc_u32_e32 v39, 0, v0
	v_ldexp_f64 v[31:32], v[31:32], v39
	v_add_f64 v[33:34], v[35:36], v[33:34]
	v_add_f64 v[37:38], v[31:32], 1.0
	v_add_f64 v[55:56], v[31:32], -1.0
	v_ldexp_f64 v[33:34], v[33:34], v39
	v_add_f64 v[35:36], v[37:38], -1.0
	v_add_f64 v[57:58], v[55:56], 1.0
	v_add_f64 v[35:36], v[31:32], -v[35:36]
	v_add_f64 v[31:32], v[31:32], -v[57:58]
	v_add_f64 v[35:36], v[33:34], v[35:36]
	v_add_f64 v[31:32], v[33:34], v[31:32]
	;; [unrolled: 1-line block ×4, first 2 shown]
	v_rcp_f64_e32 v[41:42], v[39:40]
	v_add_f64 v[37:38], v[39:40], -v[37:38]
	v_add_f64 v[55:56], v[57:58], -v[55:56]
	;; [unrolled: 1-line block ×3, first 2 shown]
	v_fma_f64 v[59:60], -v[39:40], v[41:42], 1.0
	v_add_f64 v[31:32], v[31:32], -v[55:56]
	v_fma_f64 v[41:42], v[59:60], v[41:42], v[41:42]
	v_fma_f64 v[33:34], -v[39:40], v[41:42], 1.0
	v_fma_f64 v[33:34], v[33:34], v[41:42], v[41:42]
	v_mul_f64 v[41:42], v[57:58], v[33:34]
	v_mul_f64 v[59:60], v[39:40], v[41:42]
	v_fma_f64 v[37:38], v[41:42], v[39:40], -v[59:60]
	v_fma_f64 v[37:38], v[41:42], v[35:36], v[37:38]
	s_waitcnt lgkmcnt(0)
	v_add_f64 v[61:62], v[59:60], v[37:38]
	v_add_f64 v[63:64], v[57:58], -v[61:62]
	v_add_f64 v[55:56], v[61:62], -v[59:60]
	;; [unrolled: 1-line block ×5, first 2 shown]
	v_add_f64 v[31:32], v[31:32], v[57:58]
	v_add_f64 v[31:32], v[37:38], v[31:32]
	;; [unrolled: 1-line block ×3, first 2 shown]
	v_mul_f64 v[55:56], v[33:34], v[37:38]
	v_add_f64 v[61:62], v[63:64], -v[37:38]
	v_mul_f64 v[57:58], v[39:40], v[55:56]
	v_add_f64 v[31:32], v[31:32], v[61:62]
	v_fma_f64 v[39:40], v[55:56], v[39:40], -v[57:58]
	v_fma_f64 v[35:36], v[55:56], v[35:36], v[39:40]
	v_add_f64 v[39:40], v[57:58], v[35:36]
	v_add_f64 v[59:60], v[37:38], -v[39:40]
	v_add_f64 v[57:58], v[39:40], -v[57:58]
	;; [unrolled: 1-line block ×5, first 2 shown]
	v_add_f64 v[31:32], v[31:32], v[37:38]
	v_add_f64 v[37:38], v[41:42], v[55:56]
	;; [unrolled: 1-line block ×3, first 2 shown]
	v_add_f64 v[35:36], v[37:38], -v[41:42]
	v_add_f64 v[31:32], v[59:60], v[31:32]
	v_add_f64 v[35:36], v[55:56], -v[35:36]
	v_mul_f64 v[31:32], v[33:34], v[31:32]
	v_add_f64 v[31:32], v[35:36], v[31:32]
	v_add_f64 v[33:34], v[37:38], v[31:32]
	v_mul_f64 v[35:36], v[33:34], v[33:34]
	v_fma_f64 v[39:40], v[35:36], s[34:35], s[28:29]
	s_mov_b32 s28, 0xd7f4df2e
	s_mov_b32 s29, 0x3fc7474d
	v_mul_f64 v[41:42], v[33:34], v[35:36]
	v_fma_f64 v[39:40], v[35:36], v[39:40], s[28:29]
	s_mov_b32 s28, 0x16291751
	s_mov_b32 s29, 0x3fcc71c0
	v_fma_f64 v[39:40], v[35:36], v[39:40], s[28:29]
	s_mov_b32 s28, 0x9b27acf1
	s_mov_b32 s29, 0x3fd24924
	;; [unrolled: 3-line block ×3, first 2 shown]
	v_fma_f64 v[39:40], v[35:36], v[39:40], s[28:29]
	v_fma_f64 v[35:36], v[35:36], v[39:40], s[4:5]
	v_ldexp_f64 v[39:40], v[33:34], 1
	v_add_f64 v[33:34], v[33:34], -v[37:38]
	v_cmp_nge_f64_e64 s4, -1.0, v[19:20]
	v_cmp_neq_f64_e64 s5, 0x7ff00000, v[19:20]
	v_mul_f64 v[35:36], v[41:42], v[35:36]
	v_cvt_f64_i32_e32 v[41:42], v0
	v_add_f64 v[31:32], v[31:32], -v[33:34]
	s_and_b32 s4, s4, s5
	v_add_f64 v[37:38], v[39:40], v[35:36]
	v_mul_f64 v[55:56], v[41:42], s[16:17]
	v_ldexp_f64 v[31:32], v[31:32], 1
	v_add_f64 v[33:34], v[37:38], -v[39:40]
	v_fma_f64 v[39:40], v[41:42], s[16:17], -v[55:56]
	v_add_f64 v[33:34], v[35:36], -v[33:34]
	v_fma_f64 v[35:36], v[41:42], s[18:19], v[39:40]
	v_add_f64 v[31:32], v[31:32], v[33:34]
	v_add_f64 v[33:34], v[55:56], v[35:36]
	;; [unrolled: 1-line block ×3, first 2 shown]
	v_add_f64 v[55:56], v[33:34], -v[55:56]
	v_add_f64 v[41:42], v[33:34], v[39:40]
	v_add_f64 v[37:38], v[39:40], -v[37:38]
	v_add_f64 v[35:36], v[35:36], -v[55:56]
	;; [unrolled: 1-line block ×6, first 2 shown]
	v_add_f64 v[39:40], v[35:36], v[31:32]
	v_add_f64 v[33:34], v[33:34], -v[59:60]
	v_add_f64 v[33:34], v[37:38], v[33:34]
	v_add_f64 v[37:38], v[39:40], -v[35:36]
	;; [unrolled: 2-line block ×3, first 2 shown]
	v_add_f64 v[31:32], v[31:32], -v[37:38]
	v_add_f64 v[55:56], v[41:42], v[33:34]
	v_add_f64 v[35:36], v[35:36], -v[39:40]
	v_add_f64 v[37:38], v[55:56], -v[41:42]
	v_add_f64 v[31:32], v[31:32], v[35:36]
	v_add_f64 v[33:34], v[33:34], -v[37:38]
	v_add_f64 v[31:32], v[31:32], v[33:34]
	v_add_f64 v[31:32], v[55:56], v[31:32]
	v_cndmask_b32_e64 v31, 0, v31, s4
	v_cmp_neq_f64_e64 s4, -1.0, v[19:20]
	v_cndmask_b32_e64 v0, 0x7ff00000, v32, s5
	v_cndmask_b32_e64 v0, 0x7ff80000, v0, s15
	;; [unrolled: 1-line block ×3, first 2 shown]
	v_add_f64 v[19:20], v[29:30], v[31:32]
.LBB26_108:
	s_or_b32 exec_lo, exec_lo, s20
	v_max_f64 v[29:30], v[19:20], v[19:20]
	v_cmp_u_f64_e64 s4, v[19:20], v[19:20]
	v_min_f64 v[31:32], v[29:30], v[43:44]
	v_max_f64 v[29:30], v[29:30], v[43:44]
	v_cndmask_b32_e64 v0, v31, v19, s4
	v_cndmask_b32_e64 v31, v32, v20, s4
	;; [unrolled: 1-line block ×8, first 2 shown]
	v_mov_b32_e32 v13, v19
	v_mov_b32_e32 v14, v20
	v_cmp_class_f64_e64 s5, v[31:32], 0x1f8
	v_cmp_neq_f64_e64 s4, v[31:32], v[29:30]
	s_or_b32 s4, s4, s5
	s_and_saveexec_b32 s20, s4
	s_cbranch_execz .LBB26_110
; %bb.109:
	v_add_f64 v[13:14], v[31:32], -v[29:30]
	s_mov_b32 s4, 0x652b82fe
	s_mov_b32 s5, 0x3ff71547
	;; [unrolled: 1-line block ×10, first 2 shown]
	v_mul_f64 v[31:32], v[13:14], s[4:5]
	s_mov_b32 s4, 0xfca7ab0c
	s_mov_b32 s5, 0x3e928af3
	v_rndne_f64_e32 v[31:32], v[31:32]
	v_fma_f64 v[33:34], v[31:32], s[16:17], v[13:14]
	v_cvt_i32_f64_e32 v0, v[31:32]
	s_mov_b32 s17, 0x3fe62e42
	v_fma_f64 v[33:34], v[31:32], s[18:19], v[33:34]
	s_mov_b32 s19, 0x3c7abc9e
	v_fma_f64 v[35:36], v[33:34], s[28:29], s[4:5]
	s_mov_b32 s4, 0x623fde64
	s_mov_b32 s5, 0x3ec71dee
	;; [unrolled: 1-line block ×4, first 2 shown]
	v_fma_f64 v[35:36], v[33:34], v[35:36], s[4:5]
	s_mov_b32 s4, 0x7c89e6b0
	s_mov_b32 s5, 0x3efa0199
	v_fma_f64 v[35:36], v[33:34], v[35:36], s[4:5]
	s_mov_b32 s4, 0x14761f6e
	s_mov_b32 s5, 0x3f2a01a0
	;; [unrolled: 3-line block ×7, first 2 shown]
	v_fma_f64 v[35:36], v[33:34], v[35:36], s[4:5]
	v_cmp_nlt_f64_e64 s4, 0x40900000, v[13:14]
	v_cmp_ngt_f64_e64 s5, 0xc090cc00, v[13:14]
	v_fma_f64 v[35:36], v[33:34], v[35:36], 1.0
	v_fma_f64 v[31:32], v[33:34], v[35:36], 1.0
	v_ldexp_f64 v[31:32], v[31:32], v0
	v_cndmask_b32_e64 v0, 0x7ff00000, v32, s4
	s_and_b32 s4, s5, s4
	v_cndmask_b32_e64 v13, 0, v31, s4
	s_mov_b32 s4, 0x55555555
	v_cndmask_b32_e64 v14, 0, v0, s5
	s_mov_b32 s5, 0x3fe55555
	v_add_f64 v[31:32], v[13:14], 1.0
	v_cmp_ngt_f64_e64 s15, -1.0, v[13:14]
	v_frexp_mant_f64_e32 v[33:34], v[31:32]
	v_frexp_exp_i32_f64_e32 v0, v[31:32]
	v_add_f64 v[35:36], v[31:32], -1.0
	v_cmp_gt_f64_e64 s4, s[4:5], v[33:34]
	v_add_f64 v[33:34], v[35:36], -v[31:32]
	v_add_f64 v[35:36], v[13:14], -v[35:36]
	v_subrev_co_ci_u32_e64 v0, null, 0, v0, s4
	v_add_f64 v[33:34], v[33:34], 1.0
	s_mov_b32 s4, 0x55555780
	v_sub_nc_u32_e32 v39, 0, v0
	v_ldexp_f64 v[31:32], v[31:32], v39
	v_add_f64 v[33:34], v[35:36], v[33:34]
	v_add_f64 v[37:38], v[31:32], 1.0
	v_add_f64 v[43:44], v[31:32], -1.0
	v_ldexp_f64 v[33:34], v[33:34], v39
	v_add_f64 v[35:36], v[37:38], -1.0
	v_add_f64 v[55:56], v[43:44], 1.0
	v_add_f64 v[35:36], v[31:32], -v[35:36]
	v_add_f64 v[31:32], v[31:32], -v[55:56]
	v_add_f64 v[35:36], v[33:34], v[35:36]
	v_add_f64 v[31:32], v[33:34], v[31:32]
	;; [unrolled: 1-line block ×4, first 2 shown]
	v_rcp_f64_e32 v[41:42], v[39:40]
	v_add_f64 v[37:38], v[39:40], -v[37:38]
	v_add_f64 v[43:44], v[55:56], -v[43:44]
	;; [unrolled: 1-line block ×3, first 2 shown]
	v_fma_f64 v[57:58], -v[39:40], v[41:42], 1.0
	v_add_f64 v[31:32], v[31:32], -v[43:44]
	v_fma_f64 v[41:42], v[57:58], v[41:42], v[41:42]
	v_fma_f64 v[33:34], -v[39:40], v[41:42], 1.0
	v_fma_f64 v[33:34], v[33:34], v[41:42], v[41:42]
	v_mul_f64 v[41:42], v[55:56], v[33:34]
	v_mul_f64 v[57:58], v[39:40], v[41:42]
	v_fma_f64 v[37:38], v[41:42], v[39:40], -v[57:58]
	v_fma_f64 v[37:38], v[41:42], v[35:36], v[37:38]
	v_add_f64 v[59:60], v[57:58], v[37:38]
	s_waitcnt lgkmcnt(0)
	v_add_f64 v[61:62], v[55:56], -v[59:60]
	v_add_f64 v[43:44], v[59:60], -v[57:58]
	;; [unrolled: 1-line block ×5, first 2 shown]
	v_add_f64 v[31:32], v[31:32], v[55:56]
	v_add_f64 v[31:32], v[37:38], v[31:32]
	v_add_f64 v[37:38], v[61:62], v[31:32]
	v_mul_f64 v[43:44], v[33:34], v[37:38]
	v_add_f64 v[59:60], v[61:62], -v[37:38]
	v_mul_f64 v[55:56], v[39:40], v[43:44]
	v_add_f64 v[31:32], v[31:32], v[59:60]
	v_fma_f64 v[39:40], v[43:44], v[39:40], -v[55:56]
	v_fma_f64 v[35:36], v[43:44], v[35:36], v[39:40]
	v_add_f64 v[39:40], v[55:56], v[35:36]
	v_add_f64 v[57:58], v[37:38], -v[39:40]
	v_add_f64 v[55:56], v[39:40], -v[55:56]
	;; [unrolled: 1-line block ×5, first 2 shown]
	v_add_f64 v[31:32], v[31:32], v[37:38]
	v_add_f64 v[37:38], v[41:42], v[43:44]
	;; [unrolled: 1-line block ×3, first 2 shown]
	v_add_f64 v[35:36], v[37:38], -v[41:42]
	v_add_f64 v[31:32], v[57:58], v[31:32]
	v_add_f64 v[35:36], v[43:44], -v[35:36]
	v_mul_f64 v[31:32], v[33:34], v[31:32]
	v_add_f64 v[31:32], v[35:36], v[31:32]
	v_add_f64 v[33:34], v[37:38], v[31:32]
	v_mul_f64 v[35:36], v[33:34], v[33:34]
	v_fma_f64 v[39:40], v[35:36], s[34:35], s[28:29]
	s_mov_b32 s28, 0xd7f4df2e
	s_mov_b32 s29, 0x3fc7474d
	v_mul_f64 v[41:42], v[33:34], v[35:36]
	v_fma_f64 v[39:40], v[35:36], v[39:40], s[28:29]
	s_mov_b32 s28, 0x16291751
	s_mov_b32 s29, 0x3fcc71c0
	v_fma_f64 v[39:40], v[35:36], v[39:40], s[28:29]
	s_mov_b32 s28, 0x9b27acf1
	s_mov_b32 s29, 0x3fd24924
	;; [unrolled: 3-line block ×3, first 2 shown]
	v_fma_f64 v[39:40], v[35:36], v[39:40], s[28:29]
	v_fma_f64 v[35:36], v[35:36], v[39:40], s[4:5]
	v_ldexp_f64 v[39:40], v[33:34], 1
	v_add_f64 v[33:34], v[33:34], -v[37:38]
	v_cmp_nge_f64_e64 s4, -1.0, v[13:14]
	v_cmp_neq_f64_e64 s5, 0x7ff00000, v[13:14]
	v_mul_f64 v[35:36], v[41:42], v[35:36]
	v_cvt_f64_i32_e32 v[41:42], v0
	v_add_f64 v[31:32], v[31:32], -v[33:34]
	s_and_b32 s4, s4, s5
	v_add_f64 v[37:38], v[39:40], v[35:36]
	v_mul_f64 v[43:44], v[41:42], s[16:17]
	v_ldexp_f64 v[31:32], v[31:32], 1
	v_add_f64 v[33:34], v[37:38], -v[39:40]
	v_fma_f64 v[39:40], v[41:42], s[16:17], -v[43:44]
	v_add_f64 v[33:34], v[35:36], -v[33:34]
	v_fma_f64 v[35:36], v[41:42], s[18:19], v[39:40]
	v_add_f64 v[31:32], v[31:32], v[33:34]
	v_add_f64 v[33:34], v[43:44], v[35:36]
	;; [unrolled: 1-line block ×3, first 2 shown]
	v_add_f64 v[43:44], v[33:34], -v[43:44]
	v_add_f64 v[41:42], v[33:34], v[39:40]
	v_add_f64 v[37:38], v[39:40], -v[37:38]
	v_add_f64 v[35:36], v[35:36], -v[43:44]
	;; [unrolled: 1-line block ×6, first 2 shown]
	v_add_f64 v[39:40], v[35:36], v[31:32]
	v_add_f64 v[33:34], v[33:34], -v[57:58]
	v_add_f64 v[33:34], v[37:38], v[33:34]
	v_add_f64 v[37:38], v[39:40], -v[35:36]
	;; [unrolled: 2-line block ×3, first 2 shown]
	v_add_f64 v[31:32], v[31:32], -v[37:38]
	v_add_f64 v[43:44], v[41:42], v[33:34]
	v_add_f64 v[35:36], v[35:36], -v[39:40]
	v_add_f64 v[37:38], v[43:44], -v[41:42]
	v_add_f64 v[31:32], v[31:32], v[35:36]
	v_add_f64 v[33:34], v[33:34], -v[37:38]
	v_add_f64 v[31:32], v[31:32], v[33:34]
	v_add_f64 v[31:32], v[43:44], v[31:32]
	v_cndmask_b32_e64 v31, 0, v31, s4
	v_cmp_neq_f64_e64 s4, -1.0, v[13:14]
	v_cndmask_b32_e64 v0, 0x7ff00000, v32, s5
	v_cndmask_b32_e64 v0, 0x7ff80000, v0, s15
	;; [unrolled: 1-line block ×3, first 2 shown]
	v_add_f64 v[13:14], v[29:30], v[31:32]
.LBB26_110:
	s_or_b32 exec_lo, exec_lo, s20
	v_max_f64 v[29:30], v[13:14], v[13:14]
	v_cmp_u_f64_e64 s4, v[13:14], v[13:14]
	v_min_f64 v[31:32], v[29:30], v[45:46]
	v_max_f64 v[29:30], v[29:30], v[45:46]
	v_cndmask_b32_e64 v0, v31, v13, s4
	v_cndmask_b32_e64 v31, v32, v14, s4
	;; [unrolled: 1-line block ×8, first 2 shown]
	v_mov_b32_e32 v16, v14
	v_mov_b32_e32 v15, v13
	v_cmp_class_f64_e64 s5, v[31:32], 0x1f8
	v_cmp_neq_f64_e64 s4, v[31:32], v[29:30]
	s_or_b32 s4, s4, s5
	s_and_saveexec_b32 s20, s4
	s_cbranch_execz .LBB26_112
; %bb.111:
	v_add_f64 v[15:16], v[31:32], -v[29:30]
	s_mov_b32 s4, 0x652b82fe
	s_mov_b32 s5, 0x3ff71547
	;; [unrolled: 1-line block ×10, first 2 shown]
	v_mul_f64 v[31:32], v[15:16], s[4:5]
	s_mov_b32 s4, 0xfca7ab0c
	s_mov_b32 s5, 0x3e928af3
	v_rndne_f64_e32 v[31:32], v[31:32]
	v_fma_f64 v[33:34], v[31:32], s[16:17], v[15:16]
	v_cvt_i32_f64_e32 v0, v[31:32]
	s_mov_b32 s17, 0x3fe62e42
	v_fma_f64 v[33:34], v[31:32], s[18:19], v[33:34]
	s_mov_b32 s19, 0x3c7abc9e
	v_fma_f64 v[35:36], v[33:34], s[22:23], s[4:5]
	s_mov_b32 s4, 0x623fde64
	s_mov_b32 s5, 0x3ec71dee
	;; [unrolled: 1-line block ×4, first 2 shown]
	v_fma_f64 v[35:36], v[33:34], v[35:36], s[4:5]
	s_mov_b32 s4, 0x7c89e6b0
	s_mov_b32 s5, 0x3efa0199
	v_fma_f64 v[35:36], v[33:34], v[35:36], s[4:5]
	s_mov_b32 s4, 0x14761f6e
	s_mov_b32 s5, 0x3f2a01a0
	;; [unrolled: 3-line block ×7, first 2 shown]
	v_fma_f64 v[35:36], v[33:34], v[35:36], s[4:5]
	v_cmp_nlt_f64_e64 s4, 0x40900000, v[15:16]
	v_cmp_ngt_f64_e64 s5, 0xc090cc00, v[15:16]
	v_fma_f64 v[35:36], v[33:34], v[35:36], 1.0
	v_fma_f64 v[31:32], v[33:34], v[35:36], 1.0
	v_ldexp_f64 v[31:32], v[31:32], v0
	v_cndmask_b32_e64 v0, 0x7ff00000, v32, s4
	s_and_b32 s4, s5, s4
	v_cndmask_b32_e64 v15, 0, v31, s4
	s_mov_b32 s4, 0x55555555
	v_cndmask_b32_e64 v16, 0, v0, s5
	s_mov_b32 s5, 0x3fe55555
	v_add_f64 v[31:32], v[15:16], 1.0
	v_cmp_ngt_f64_e64 s15, -1.0, v[15:16]
	v_frexp_mant_f64_e32 v[33:34], v[31:32]
	v_frexp_exp_i32_f64_e32 v0, v[31:32]
	v_add_f64 v[35:36], v[31:32], -1.0
	v_cmp_gt_f64_e64 s4, s[4:5], v[33:34]
	v_add_f64 v[33:34], v[35:36], -v[31:32]
	v_add_f64 v[35:36], v[15:16], -v[35:36]
	v_subrev_co_ci_u32_e64 v0, null, 0, v0, s4
	v_add_f64 v[33:34], v[33:34], 1.0
	s_mov_b32 s4, 0x55555780
	v_sub_nc_u32_e32 v39, 0, v0
	v_ldexp_f64 v[31:32], v[31:32], v39
	v_add_f64 v[33:34], v[35:36], v[33:34]
	v_add_f64 v[37:38], v[31:32], 1.0
	v_add_f64 v[43:44], v[31:32], -1.0
	v_ldexp_f64 v[33:34], v[33:34], v39
	v_add_f64 v[35:36], v[37:38], -1.0
	v_add_f64 v[45:46], v[43:44], 1.0
	v_add_f64 v[35:36], v[31:32], -v[35:36]
	v_add_f64 v[31:32], v[31:32], -v[45:46]
	v_add_f64 v[35:36], v[33:34], v[35:36]
	v_add_f64 v[31:32], v[33:34], v[31:32]
	;; [unrolled: 1-line block ×4, first 2 shown]
	v_rcp_f64_e32 v[41:42], v[39:40]
	v_add_f64 v[37:38], v[39:40], -v[37:38]
	v_add_f64 v[43:44], v[45:46], -v[43:44]
	;; [unrolled: 1-line block ×3, first 2 shown]
	v_fma_f64 v[55:56], -v[39:40], v[41:42], 1.0
	v_add_f64 v[31:32], v[31:32], -v[43:44]
	v_fma_f64 v[41:42], v[55:56], v[41:42], v[41:42]
	v_fma_f64 v[33:34], -v[39:40], v[41:42], 1.0
	v_fma_f64 v[33:34], v[33:34], v[41:42], v[41:42]
	v_mul_f64 v[41:42], v[45:46], v[33:34]
	v_mul_f64 v[55:56], v[39:40], v[41:42]
	v_fma_f64 v[37:38], v[41:42], v[39:40], -v[55:56]
	v_fma_f64 v[37:38], v[41:42], v[35:36], v[37:38]
	v_add_f64 v[57:58], v[55:56], v[37:38]
	v_add_f64 v[59:60], v[45:46], -v[57:58]
	v_add_f64 v[43:44], v[57:58], -v[55:56]
	;; [unrolled: 1-line block ×5, first 2 shown]
	v_add_f64 v[31:32], v[31:32], v[45:46]
	v_add_f64 v[31:32], v[37:38], v[31:32]
	v_add_f64 v[37:38], v[59:60], v[31:32]
	v_mul_f64 v[43:44], v[33:34], v[37:38]
	v_add_f64 v[57:58], v[59:60], -v[37:38]
	v_mul_f64 v[45:46], v[39:40], v[43:44]
	v_add_f64 v[31:32], v[31:32], v[57:58]
	v_fma_f64 v[39:40], v[43:44], v[39:40], -v[45:46]
	v_fma_f64 v[35:36], v[43:44], v[35:36], v[39:40]
	v_add_f64 v[39:40], v[45:46], v[35:36]
	v_add_f64 v[55:56], v[37:38], -v[39:40]
	v_add_f64 v[45:46], v[39:40], -v[45:46]
	;; [unrolled: 1-line block ×5, first 2 shown]
	v_add_f64 v[31:32], v[31:32], v[37:38]
	v_add_f64 v[37:38], v[41:42], v[43:44]
	v_add_f64 v[31:32], v[35:36], v[31:32]
	v_add_f64 v[35:36], v[37:38], -v[41:42]
	v_add_f64 v[31:32], v[55:56], v[31:32]
	v_add_f64 v[35:36], v[43:44], -v[35:36]
	v_mul_f64 v[31:32], v[33:34], v[31:32]
	v_add_f64 v[31:32], v[35:36], v[31:32]
	v_add_f64 v[33:34], v[37:38], v[31:32]
	v_mul_f64 v[35:36], v[33:34], v[33:34]
	v_fma_f64 v[39:40], v[35:36], s[28:29], s[22:23]
	s_mov_b32 s22, 0xd7f4df2e
	s_mov_b32 s23, 0x3fc7474d
	v_mul_f64 v[41:42], v[33:34], v[35:36]
	v_fma_f64 v[39:40], v[35:36], v[39:40], s[22:23]
	s_mov_b32 s22, 0x16291751
	s_mov_b32 s23, 0x3fcc71c0
	v_fma_f64 v[39:40], v[35:36], v[39:40], s[22:23]
	s_mov_b32 s22, 0x9b27acf1
	s_mov_b32 s23, 0x3fd24924
	;; [unrolled: 3-line block ×3, first 2 shown]
	v_fma_f64 v[39:40], v[35:36], v[39:40], s[22:23]
	v_fma_f64 v[35:36], v[35:36], v[39:40], s[4:5]
	v_ldexp_f64 v[39:40], v[33:34], 1
	v_add_f64 v[33:34], v[33:34], -v[37:38]
	v_cmp_nge_f64_e64 s4, -1.0, v[15:16]
	v_cmp_neq_f64_e64 s5, 0x7ff00000, v[15:16]
	v_mul_f64 v[35:36], v[41:42], v[35:36]
	v_cvt_f64_i32_e32 v[41:42], v0
	v_add_f64 v[31:32], v[31:32], -v[33:34]
	s_and_b32 s4, s4, s5
	v_add_f64 v[37:38], v[39:40], v[35:36]
	v_mul_f64 v[43:44], v[41:42], s[16:17]
	v_ldexp_f64 v[31:32], v[31:32], 1
	v_add_f64 v[33:34], v[37:38], -v[39:40]
	v_fma_f64 v[39:40], v[41:42], s[16:17], -v[43:44]
	v_add_f64 v[33:34], v[35:36], -v[33:34]
	v_fma_f64 v[35:36], v[41:42], s[18:19], v[39:40]
	v_add_f64 v[31:32], v[31:32], v[33:34]
	v_add_f64 v[33:34], v[43:44], v[35:36]
	;; [unrolled: 1-line block ×3, first 2 shown]
	v_add_f64 v[43:44], v[33:34], -v[43:44]
	v_add_f64 v[41:42], v[33:34], v[39:40]
	v_add_f64 v[37:38], v[39:40], -v[37:38]
	v_add_f64 v[35:36], v[35:36], -v[43:44]
	;; [unrolled: 1-line block ×6, first 2 shown]
	v_add_f64 v[39:40], v[35:36], v[31:32]
	v_add_f64 v[33:34], v[33:34], -v[55:56]
	v_add_f64 v[33:34], v[37:38], v[33:34]
	v_add_f64 v[37:38], v[39:40], -v[35:36]
	;; [unrolled: 2-line block ×3, first 2 shown]
	v_add_f64 v[31:32], v[31:32], -v[37:38]
	v_add_f64 v[43:44], v[41:42], v[33:34]
	v_add_f64 v[35:36], v[35:36], -v[39:40]
	v_add_f64 v[37:38], v[43:44], -v[41:42]
	v_add_f64 v[31:32], v[31:32], v[35:36]
	v_add_f64 v[33:34], v[33:34], -v[37:38]
	v_add_f64 v[31:32], v[31:32], v[33:34]
	v_add_f64 v[31:32], v[43:44], v[31:32]
	v_cndmask_b32_e64 v31, 0, v31, s4
	v_cmp_neq_f64_e64 s4, -1.0, v[15:16]
	v_cndmask_b32_e64 v0, 0x7ff00000, v32, s5
	v_cndmask_b32_e64 v0, 0x7ff80000, v0, s15
	;; [unrolled: 1-line block ×3, first 2 shown]
	v_add_f64 v[15:16], v[29:30], v[31:32]
.LBB26_112:
	s_or_b32 exec_lo, exec_lo, s20
	v_max_f64 v[29:30], v[15:16], v[15:16]
	v_cmp_u_f64_e64 s4, v[15:16], v[15:16]
	v_min_f64 v[31:32], v[29:30], v[47:48]
	v_max_f64 v[29:30], v[29:30], v[47:48]
	v_cndmask_b32_e64 v0, v31, v15, s4
	v_cndmask_b32_e64 v31, v32, v16, s4
	;; [unrolled: 1-line block ×8, first 2 shown]
	v_mov_b32_e32 v9, v15
	v_mov_b32_e32 v10, v16
	v_cmp_class_f64_e64 s5, v[31:32], 0x1f8
	v_cmp_neq_f64_e64 s4, v[31:32], v[29:30]
	s_or_b32 s4, s4, s5
	s_and_saveexec_b32 s20, s4
	s_cbranch_execz .LBB26_114
; %bb.113:
	v_add_f64 v[9:10], v[31:32], -v[29:30]
	s_mov_b32 s4, 0x652b82fe
	s_mov_b32 s5, 0x3ff71547
	;; [unrolled: 1-line block ×10, first 2 shown]
	v_mul_f64 v[31:32], v[9:10], s[4:5]
	s_mov_b32 s4, 0xfca7ab0c
	s_mov_b32 s5, 0x3e928af3
	v_rndne_f64_e32 v[31:32], v[31:32]
	v_fma_f64 v[33:34], v[31:32], s[16:17], v[9:10]
	v_cvt_i32_f64_e32 v0, v[31:32]
	s_mov_b32 s17, 0x3fe62e42
	v_fma_f64 v[33:34], v[31:32], s[18:19], v[33:34]
	s_mov_b32 s19, 0x3c7abc9e
	v_fma_f64 v[35:36], v[33:34], s[22:23], s[4:5]
	s_mov_b32 s4, 0x623fde64
	s_mov_b32 s5, 0x3ec71dee
	;; [unrolled: 1-line block ×4, first 2 shown]
	v_fma_f64 v[35:36], v[33:34], v[35:36], s[4:5]
	s_mov_b32 s4, 0x7c89e6b0
	s_mov_b32 s5, 0x3efa0199
	v_fma_f64 v[35:36], v[33:34], v[35:36], s[4:5]
	s_mov_b32 s4, 0x14761f6e
	s_mov_b32 s5, 0x3f2a01a0
	;; [unrolled: 3-line block ×7, first 2 shown]
	v_fma_f64 v[35:36], v[33:34], v[35:36], s[4:5]
	v_cmp_nlt_f64_e64 s4, 0x40900000, v[9:10]
	v_cmp_ngt_f64_e64 s5, 0xc090cc00, v[9:10]
	v_fma_f64 v[35:36], v[33:34], v[35:36], 1.0
	v_fma_f64 v[31:32], v[33:34], v[35:36], 1.0
	v_ldexp_f64 v[31:32], v[31:32], v0
	v_cndmask_b32_e64 v0, 0x7ff00000, v32, s4
	s_and_b32 s4, s5, s4
	v_cndmask_b32_e64 v9, 0, v31, s4
	s_mov_b32 s4, 0x55555555
	v_cndmask_b32_e64 v10, 0, v0, s5
	s_mov_b32 s5, 0x3fe55555
	v_add_f64 v[31:32], v[9:10], 1.0
	v_cmp_ngt_f64_e64 s15, -1.0, v[9:10]
	v_frexp_mant_f64_e32 v[33:34], v[31:32]
	v_frexp_exp_i32_f64_e32 v0, v[31:32]
	v_add_f64 v[35:36], v[31:32], -1.0
	v_cmp_gt_f64_e64 s4, s[4:5], v[33:34]
	v_add_f64 v[33:34], v[35:36], -v[31:32]
	v_add_f64 v[35:36], v[9:10], -v[35:36]
	v_subrev_co_ci_u32_e64 v0, null, 0, v0, s4
	v_add_f64 v[33:34], v[33:34], 1.0
	s_mov_b32 s4, 0x55555780
	v_sub_nc_u32_e32 v39, 0, v0
	v_ldexp_f64 v[31:32], v[31:32], v39
	v_add_f64 v[33:34], v[35:36], v[33:34]
	v_add_f64 v[37:38], v[31:32], 1.0
	v_add_f64 v[43:44], v[31:32], -1.0
	v_ldexp_f64 v[33:34], v[33:34], v39
	v_add_f64 v[35:36], v[37:38], -1.0
	v_add_f64 v[45:46], v[43:44], 1.0
	v_add_f64 v[35:36], v[31:32], -v[35:36]
	v_add_f64 v[31:32], v[31:32], -v[45:46]
	v_add_f64 v[35:36], v[33:34], v[35:36]
	v_add_f64 v[31:32], v[33:34], v[31:32]
	;; [unrolled: 1-line block ×4, first 2 shown]
	v_rcp_f64_e32 v[41:42], v[39:40]
	v_add_f64 v[37:38], v[39:40], -v[37:38]
	v_add_f64 v[43:44], v[45:46], -v[43:44]
	;; [unrolled: 1-line block ×3, first 2 shown]
	v_fma_f64 v[47:48], -v[39:40], v[41:42], 1.0
	v_add_f64 v[31:32], v[31:32], -v[43:44]
	v_fma_f64 v[41:42], v[47:48], v[41:42], v[41:42]
	v_fma_f64 v[33:34], -v[39:40], v[41:42], 1.0
	v_fma_f64 v[33:34], v[33:34], v[41:42], v[41:42]
	v_mul_f64 v[41:42], v[45:46], v[33:34]
	v_mul_f64 v[47:48], v[39:40], v[41:42]
	v_fma_f64 v[37:38], v[41:42], v[39:40], -v[47:48]
	v_fma_f64 v[37:38], v[41:42], v[35:36], v[37:38]
	v_add_f64 v[55:56], v[47:48], v[37:38]
	v_add_f64 v[57:58], v[45:46], -v[55:56]
	v_add_f64 v[43:44], v[55:56], -v[47:48]
	;; [unrolled: 1-line block ×5, first 2 shown]
	v_add_f64 v[31:32], v[31:32], v[45:46]
	v_add_f64 v[31:32], v[37:38], v[31:32]
	;; [unrolled: 1-line block ×3, first 2 shown]
	v_mul_f64 v[43:44], v[33:34], v[37:38]
	v_add_f64 v[55:56], v[57:58], -v[37:38]
	v_mul_f64 v[45:46], v[39:40], v[43:44]
	v_add_f64 v[31:32], v[31:32], v[55:56]
	v_fma_f64 v[39:40], v[43:44], v[39:40], -v[45:46]
	v_fma_f64 v[35:36], v[43:44], v[35:36], v[39:40]
	v_add_f64 v[39:40], v[45:46], v[35:36]
	v_add_f64 v[47:48], v[37:38], -v[39:40]
	v_add_f64 v[45:46], v[39:40], -v[45:46]
	;; [unrolled: 1-line block ×5, first 2 shown]
	v_add_f64 v[31:32], v[31:32], v[37:38]
	v_add_f64 v[37:38], v[41:42], v[43:44]
	;; [unrolled: 1-line block ×3, first 2 shown]
	v_add_f64 v[35:36], v[37:38], -v[41:42]
	v_add_f64 v[31:32], v[47:48], v[31:32]
	v_add_f64 v[35:36], v[43:44], -v[35:36]
	v_mul_f64 v[31:32], v[33:34], v[31:32]
	v_add_f64 v[31:32], v[35:36], v[31:32]
	v_add_f64 v[33:34], v[37:38], v[31:32]
	v_mul_f64 v[35:36], v[33:34], v[33:34]
	v_fma_f64 v[39:40], v[35:36], s[28:29], s[22:23]
	s_mov_b32 s22, 0xd7f4df2e
	s_mov_b32 s23, 0x3fc7474d
	v_mul_f64 v[41:42], v[33:34], v[35:36]
	v_fma_f64 v[39:40], v[35:36], v[39:40], s[22:23]
	s_mov_b32 s22, 0x16291751
	s_mov_b32 s23, 0x3fcc71c0
	v_fma_f64 v[39:40], v[35:36], v[39:40], s[22:23]
	s_mov_b32 s22, 0x9b27acf1
	s_mov_b32 s23, 0x3fd24924
	;; [unrolled: 3-line block ×3, first 2 shown]
	v_fma_f64 v[39:40], v[35:36], v[39:40], s[22:23]
	v_fma_f64 v[35:36], v[35:36], v[39:40], s[4:5]
	v_ldexp_f64 v[39:40], v[33:34], 1
	v_add_f64 v[33:34], v[33:34], -v[37:38]
	v_cmp_nge_f64_e64 s4, -1.0, v[9:10]
	v_cmp_neq_f64_e64 s5, 0x7ff00000, v[9:10]
	v_mul_f64 v[35:36], v[41:42], v[35:36]
	v_cvt_f64_i32_e32 v[41:42], v0
	v_add_f64 v[31:32], v[31:32], -v[33:34]
	s_and_b32 s4, s4, s5
	v_add_f64 v[37:38], v[39:40], v[35:36]
	v_mul_f64 v[43:44], v[41:42], s[16:17]
	v_ldexp_f64 v[31:32], v[31:32], 1
	v_add_f64 v[33:34], v[37:38], -v[39:40]
	v_fma_f64 v[39:40], v[41:42], s[16:17], -v[43:44]
	v_add_f64 v[33:34], v[35:36], -v[33:34]
	v_fma_f64 v[35:36], v[41:42], s[18:19], v[39:40]
	v_add_f64 v[31:32], v[31:32], v[33:34]
	v_add_f64 v[33:34], v[43:44], v[35:36]
	;; [unrolled: 1-line block ×3, first 2 shown]
	v_add_f64 v[43:44], v[33:34], -v[43:44]
	v_add_f64 v[41:42], v[33:34], v[39:40]
	v_add_f64 v[37:38], v[39:40], -v[37:38]
	v_add_f64 v[35:36], v[35:36], -v[43:44]
	v_add_f64 v[45:46], v[41:42], -v[33:34]
	v_add_f64 v[31:32], v[31:32], -v[37:38]
	v_add_f64 v[47:48], v[41:42], -v[45:46]
	v_add_f64 v[37:38], v[39:40], -v[45:46]
	v_add_f64 v[39:40], v[35:36], v[31:32]
	v_add_f64 v[33:34], v[33:34], -v[47:48]
	v_add_f64 v[33:34], v[37:38], v[33:34]
	v_add_f64 v[37:38], v[39:40], -v[35:36]
	;; [unrolled: 2-line block ×3, first 2 shown]
	v_add_f64 v[31:32], v[31:32], -v[37:38]
	v_add_f64 v[43:44], v[41:42], v[33:34]
	v_add_f64 v[35:36], v[35:36], -v[39:40]
	v_add_f64 v[37:38], v[43:44], -v[41:42]
	v_add_f64 v[31:32], v[31:32], v[35:36]
	v_add_f64 v[33:34], v[33:34], -v[37:38]
	v_add_f64 v[31:32], v[31:32], v[33:34]
	v_add_f64 v[31:32], v[43:44], v[31:32]
	v_cndmask_b32_e64 v31, 0, v31, s4
	v_cmp_neq_f64_e64 s4, -1.0, v[9:10]
	v_cndmask_b32_e64 v0, 0x7ff00000, v32, s5
	v_cndmask_b32_e64 v0, 0x7ff80000, v0, s15
	;; [unrolled: 1-line block ×3, first 2 shown]
	v_add_f64 v[9:10], v[29:30], v[31:32]
.LBB26_114:
	s_or_b32 exec_lo, exec_lo, s20
	v_max_f64 v[29:30], v[9:10], v[9:10]
	v_cmp_u_f64_e64 s4, v[9:10], v[9:10]
	v_min_f64 v[31:32], v[29:30], v[49:50]
	v_max_f64 v[29:30], v[29:30], v[49:50]
	v_cndmask_b32_e64 v0, v31, v9, s4
	v_cndmask_b32_e64 v31, v32, v10, s4
	;; [unrolled: 1-line block ×8, first 2 shown]
	v_mov_b32_e32 v12, v10
	v_mov_b32_e32 v11, v9
	v_cmp_class_f64_e64 s5, v[31:32], 0x1f8
	v_cmp_neq_f64_e64 s4, v[31:32], v[29:30]
	s_or_b32 s4, s4, s5
	s_and_saveexec_b32 s20, s4
	s_cbranch_execz .LBB26_116
; %bb.115:
	v_add_f64 v[11:12], v[31:32], -v[29:30]
	s_mov_b32 s4, 0x652b82fe
	s_mov_b32 s5, 0x3ff71547
	;; [unrolled: 1-line block ×10, first 2 shown]
	v_mul_f64 v[31:32], v[11:12], s[4:5]
	s_mov_b32 s4, 0xfca7ab0c
	s_mov_b32 s5, 0x3e928af3
	v_rndne_f64_e32 v[31:32], v[31:32]
	v_fma_f64 v[33:34], v[31:32], s[16:17], v[11:12]
	v_cvt_i32_f64_e32 v0, v[31:32]
	s_mov_b32 s17, 0x3fe62e42
	v_fma_f64 v[33:34], v[31:32], s[18:19], v[33:34]
	s_mov_b32 s19, 0x3c7abc9e
	v_fma_f64 v[35:36], v[33:34], s[22:23], s[4:5]
	s_mov_b32 s4, 0x623fde64
	s_mov_b32 s5, 0x3ec71dee
	;; [unrolled: 1-line block ×4, first 2 shown]
	v_fma_f64 v[35:36], v[33:34], v[35:36], s[4:5]
	s_mov_b32 s4, 0x7c89e6b0
	s_mov_b32 s5, 0x3efa0199
	v_fma_f64 v[35:36], v[33:34], v[35:36], s[4:5]
	s_mov_b32 s4, 0x14761f6e
	s_mov_b32 s5, 0x3f2a01a0
	;; [unrolled: 3-line block ×7, first 2 shown]
	v_fma_f64 v[35:36], v[33:34], v[35:36], s[4:5]
	v_cmp_nlt_f64_e64 s4, 0x40900000, v[11:12]
	v_cmp_ngt_f64_e64 s5, 0xc090cc00, v[11:12]
	v_fma_f64 v[35:36], v[33:34], v[35:36], 1.0
	v_fma_f64 v[31:32], v[33:34], v[35:36], 1.0
	v_ldexp_f64 v[31:32], v[31:32], v0
	v_cndmask_b32_e64 v0, 0x7ff00000, v32, s4
	s_and_b32 s4, s5, s4
	v_cndmask_b32_e64 v11, 0, v31, s4
	s_mov_b32 s4, 0x55555555
	v_cndmask_b32_e64 v12, 0, v0, s5
	s_mov_b32 s5, 0x3fe55555
	v_add_f64 v[31:32], v[11:12], 1.0
	v_cmp_ngt_f64_e64 s15, -1.0, v[11:12]
	v_frexp_mant_f64_e32 v[33:34], v[31:32]
	v_frexp_exp_i32_f64_e32 v0, v[31:32]
	v_add_f64 v[35:36], v[31:32], -1.0
	v_cmp_gt_f64_e64 s4, s[4:5], v[33:34]
	v_add_f64 v[33:34], v[35:36], -v[31:32]
	v_add_f64 v[35:36], v[11:12], -v[35:36]
	v_subrev_co_ci_u32_e64 v0, null, 0, v0, s4
	v_add_f64 v[33:34], v[33:34], 1.0
	s_mov_b32 s4, 0x55555780
	v_sub_nc_u32_e32 v39, 0, v0
	v_ldexp_f64 v[31:32], v[31:32], v39
	v_add_f64 v[33:34], v[35:36], v[33:34]
	v_add_f64 v[37:38], v[31:32], 1.0
	v_add_f64 v[43:44], v[31:32], -1.0
	v_ldexp_f64 v[33:34], v[33:34], v39
	v_add_f64 v[35:36], v[37:38], -1.0
	v_add_f64 v[45:46], v[43:44], 1.0
	v_add_f64 v[35:36], v[31:32], -v[35:36]
	v_add_f64 v[31:32], v[31:32], -v[45:46]
	v_add_f64 v[35:36], v[33:34], v[35:36]
	v_add_f64 v[31:32], v[33:34], v[31:32]
	;; [unrolled: 1-line block ×4, first 2 shown]
	v_rcp_f64_e32 v[41:42], v[39:40]
	v_add_f64 v[37:38], v[39:40], -v[37:38]
	v_add_f64 v[43:44], v[45:46], -v[43:44]
	;; [unrolled: 1-line block ×3, first 2 shown]
	v_fma_f64 v[47:48], -v[39:40], v[41:42], 1.0
	v_add_f64 v[31:32], v[31:32], -v[43:44]
	v_fma_f64 v[41:42], v[47:48], v[41:42], v[41:42]
	v_fma_f64 v[33:34], -v[39:40], v[41:42], 1.0
	v_fma_f64 v[33:34], v[33:34], v[41:42], v[41:42]
	v_mul_f64 v[41:42], v[45:46], v[33:34]
	v_mul_f64 v[47:48], v[39:40], v[41:42]
	v_fma_f64 v[37:38], v[41:42], v[39:40], -v[47:48]
	v_fma_f64 v[37:38], v[41:42], v[35:36], v[37:38]
	v_add_f64 v[49:50], v[47:48], v[37:38]
	v_add_f64 v[55:56], v[45:46], -v[49:50]
	v_add_f64 v[43:44], v[49:50], -v[47:48]
	;; [unrolled: 1-line block ×5, first 2 shown]
	v_add_f64 v[31:32], v[31:32], v[45:46]
	v_add_f64 v[31:32], v[37:38], v[31:32]
	v_add_f64 v[37:38], v[55:56], v[31:32]
	v_mul_f64 v[43:44], v[33:34], v[37:38]
	v_add_f64 v[49:50], v[55:56], -v[37:38]
	v_mul_f64 v[45:46], v[39:40], v[43:44]
	v_add_f64 v[31:32], v[31:32], v[49:50]
	v_fma_f64 v[39:40], v[43:44], v[39:40], -v[45:46]
	v_fma_f64 v[35:36], v[43:44], v[35:36], v[39:40]
	v_add_f64 v[39:40], v[45:46], v[35:36]
	v_add_f64 v[47:48], v[37:38], -v[39:40]
	v_add_f64 v[45:46], v[39:40], -v[45:46]
	;; [unrolled: 1-line block ×5, first 2 shown]
	v_add_f64 v[31:32], v[31:32], v[37:38]
	v_add_f64 v[37:38], v[41:42], v[43:44]
	;; [unrolled: 1-line block ×3, first 2 shown]
	v_add_f64 v[35:36], v[37:38], -v[41:42]
	v_add_f64 v[31:32], v[47:48], v[31:32]
	v_add_f64 v[35:36], v[43:44], -v[35:36]
	v_mul_f64 v[31:32], v[33:34], v[31:32]
	v_add_f64 v[31:32], v[35:36], v[31:32]
	v_add_f64 v[33:34], v[37:38], v[31:32]
	v_mul_f64 v[35:36], v[33:34], v[33:34]
	v_fma_f64 v[39:40], v[35:36], s[24:25], s[22:23]
	s_mov_b32 s22, 0xd7f4df2e
	s_mov_b32 s23, 0x3fc7474d
	v_mul_f64 v[41:42], v[33:34], v[35:36]
	v_fma_f64 v[39:40], v[35:36], v[39:40], s[22:23]
	s_mov_b32 s22, 0x16291751
	s_mov_b32 s23, 0x3fcc71c0
	v_fma_f64 v[39:40], v[35:36], v[39:40], s[22:23]
	s_mov_b32 s22, 0x9b27acf1
	s_mov_b32 s23, 0x3fd24924
	;; [unrolled: 3-line block ×3, first 2 shown]
	v_fma_f64 v[39:40], v[35:36], v[39:40], s[22:23]
	v_fma_f64 v[35:36], v[35:36], v[39:40], s[4:5]
	v_ldexp_f64 v[39:40], v[33:34], 1
	v_add_f64 v[33:34], v[33:34], -v[37:38]
	v_cmp_nge_f64_e64 s4, -1.0, v[11:12]
	v_cmp_neq_f64_e64 s5, 0x7ff00000, v[11:12]
	v_mul_f64 v[35:36], v[41:42], v[35:36]
	v_cvt_f64_i32_e32 v[41:42], v0
	v_add_f64 v[31:32], v[31:32], -v[33:34]
	s_and_b32 s4, s4, s5
	v_add_f64 v[37:38], v[39:40], v[35:36]
	v_mul_f64 v[43:44], v[41:42], s[16:17]
	v_ldexp_f64 v[31:32], v[31:32], 1
	v_add_f64 v[33:34], v[37:38], -v[39:40]
	v_fma_f64 v[39:40], v[41:42], s[16:17], -v[43:44]
	v_add_f64 v[33:34], v[35:36], -v[33:34]
	v_fma_f64 v[35:36], v[41:42], s[18:19], v[39:40]
	v_add_f64 v[31:32], v[31:32], v[33:34]
	v_add_f64 v[33:34], v[43:44], v[35:36]
	;; [unrolled: 1-line block ×3, first 2 shown]
	v_add_f64 v[43:44], v[33:34], -v[43:44]
	v_add_f64 v[41:42], v[33:34], v[39:40]
	v_add_f64 v[37:38], v[39:40], -v[37:38]
	v_add_f64 v[35:36], v[35:36], -v[43:44]
	;; [unrolled: 1-line block ×6, first 2 shown]
	v_add_f64 v[39:40], v[35:36], v[31:32]
	v_add_f64 v[33:34], v[33:34], -v[47:48]
	v_add_f64 v[33:34], v[37:38], v[33:34]
	v_add_f64 v[37:38], v[39:40], -v[35:36]
	;; [unrolled: 2-line block ×3, first 2 shown]
	v_add_f64 v[31:32], v[31:32], -v[37:38]
	v_add_f64 v[43:44], v[41:42], v[33:34]
	v_add_f64 v[35:36], v[35:36], -v[39:40]
	v_add_f64 v[37:38], v[43:44], -v[41:42]
	v_add_f64 v[31:32], v[31:32], v[35:36]
	v_add_f64 v[33:34], v[33:34], -v[37:38]
	v_add_f64 v[31:32], v[31:32], v[33:34]
	v_add_f64 v[31:32], v[43:44], v[31:32]
	v_cndmask_b32_e64 v31, 0, v31, s4
	v_cmp_neq_f64_e64 s4, -1.0, v[11:12]
	v_cndmask_b32_e64 v0, 0x7ff00000, v32, s5
	v_cndmask_b32_e64 v0, 0x7ff80000, v0, s15
	;; [unrolled: 1-line block ×3, first 2 shown]
	v_add_f64 v[11:12], v[29:30], v[31:32]
.LBB26_116:
	s_or_b32 exec_lo, exec_lo, s20
	v_max_f64 v[29:30], v[11:12], v[11:12]
	v_cmp_u_f64_e64 s4, v[11:12], v[11:12]
	v_min_f64 v[31:32], v[29:30], v[51:52]
	v_max_f64 v[29:30], v[29:30], v[51:52]
	v_cndmask_b32_e64 v0, v31, v11, s4
	v_cndmask_b32_e64 v31, v32, v12, s4
	;; [unrolled: 1-line block ×8, first 2 shown]
	v_mov_b32_e32 v5, v11
	v_mov_b32_e32 v6, v12
	v_cmp_class_f64_e64 s5, v[31:32], 0x1f8
	v_cmp_neq_f64_e64 s4, v[31:32], v[29:30]
	s_or_b32 s4, s4, s5
	s_and_saveexec_b32 s20, s4
	s_cbranch_execz .LBB26_118
; %bb.117:
	v_add_f64 v[5:6], v[31:32], -v[29:30]
	s_mov_b32 s4, 0x652b82fe
	s_mov_b32 s5, 0x3ff71547
	;; [unrolled: 1-line block ×10, first 2 shown]
	v_mul_f64 v[31:32], v[5:6], s[4:5]
	s_mov_b32 s4, 0xfca7ab0c
	s_mov_b32 s5, 0x3e928af3
	v_rndne_f64_e32 v[31:32], v[31:32]
	v_fma_f64 v[33:34], v[31:32], s[16:17], v[5:6]
	v_cvt_i32_f64_e32 v0, v[31:32]
	s_mov_b32 s17, 0x3fe62e42
	v_fma_f64 v[33:34], v[31:32], s[18:19], v[33:34]
	s_mov_b32 s19, 0x3c7abc9e
	v_fma_f64 v[35:36], v[33:34], s[22:23], s[4:5]
	s_mov_b32 s4, 0x623fde64
	s_mov_b32 s5, 0x3ec71dee
	s_mov_b32 s22, 0x6b47b09a
	s_mov_b32 s23, 0x3fc38538
	v_fma_f64 v[35:36], v[33:34], v[35:36], s[4:5]
	s_mov_b32 s4, 0x7c89e6b0
	s_mov_b32 s5, 0x3efa0199
	v_fma_f64 v[35:36], v[33:34], v[35:36], s[4:5]
	s_mov_b32 s4, 0x14761f6e
	s_mov_b32 s5, 0x3f2a01a0
	;; [unrolled: 3-line block ×7, first 2 shown]
	v_fma_f64 v[35:36], v[33:34], v[35:36], s[4:5]
	v_cmp_nlt_f64_e64 s4, 0x40900000, v[5:6]
	v_cmp_ngt_f64_e64 s5, 0xc090cc00, v[5:6]
	v_fma_f64 v[35:36], v[33:34], v[35:36], 1.0
	v_fma_f64 v[31:32], v[33:34], v[35:36], 1.0
	v_ldexp_f64 v[31:32], v[31:32], v0
	v_cndmask_b32_e64 v0, 0x7ff00000, v32, s4
	s_and_b32 s4, s5, s4
	v_cndmask_b32_e64 v5, 0, v31, s4
	s_mov_b32 s4, 0x55555555
	v_cndmask_b32_e64 v6, 0, v0, s5
	s_mov_b32 s5, 0x3fe55555
	v_add_f64 v[31:32], v[5:6], 1.0
	v_cmp_ngt_f64_e64 s15, -1.0, v[5:6]
	v_frexp_mant_f64_e32 v[33:34], v[31:32]
	v_frexp_exp_i32_f64_e32 v0, v[31:32]
	v_add_f64 v[35:36], v[31:32], -1.0
	v_cmp_gt_f64_e64 s4, s[4:5], v[33:34]
	v_add_f64 v[33:34], v[35:36], -v[31:32]
	v_add_f64 v[35:36], v[5:6], -v[35:36]
	v_subrev_co_ci_u32_e64 v0, null, 0, v0, s4
	v_add_f64 v[33:34], v[33:34], 1.0
	s_mov_b32 s4, 0x55555780
	v_sub_nc_u32_e32 v39, 0, v0
	v_ldexp_f64 v[31:32], v[31:32], v39
	v_add_f64 v[33:34], v[35:36], v[33:34]
	v_add_f64 v[37:38], v[31:32], 1.0
	v_add_f64 v[43:44], v[31:32], -1.0
	v_ldexp_f64 v[33:34], v[33:34], v39
	v_add_f64 v[35:36], v[37:38], -1.0
	v_add_f64 v[45:46], v[43:44], 1.0
	v_add_f64 v[35:36], v[31:32], -v[35:36]
	v_add_f64 v[31:32], v[31:32], -v[45:46]
	v_add_f64 v[35:36], v[33:34], v[35:36]
	v_add_f64 v[31:32], v[33:34], v[31:32]
	;; [unrolled: 1-line block ×4, first 2 shown]
	v_rcp_f64_e32 v[41:42], v[39:40]
	v_add_f64 v[37:38], v[39:40], -v[37:38]
	v_add_f64 v[43:44], v[45:46], -v[43:44]
	;; [unrolled: 1-line block ×3, first 2 shown]
	v_fma_f64 v[47:48], -v[39:40], v[41:42], 1.0
	v_add_f64 v[31:32], v[31:32], -v[43:44]
	v_fma_f64 v[41:42], v[47:48], v[41:42], v[41:42]
	v_fma_f64 v[33:34], -v[39:40], v[41:42], 1.0
	v_fma_f64 v[33:34], v[33:34], v[41:42], v[41:42]
	v_mul_f64 v[41:42], v[45:46], v[33:34]
	v_mul_f64 v[47:48], v[39:40], v[41:42]
	v_fma_f64 v[37:38], v[41:42], v[39:40], -v[47:48]
	v_fma_f64 v[37:38], v[41:42], v[35:36], v[37:38]
	v_add_f64 v[49:50], v[47:48], v[37:38]
	v_add_f64 v[51:52], v[45:46], -v[49:50]
	v_add_f64 v[43:44], v[49:50], -v[47:48]
	;; [unrolled: 1-line block ×5, first 2 shown]
	v_add_f64 v[31:32], v[31:32], v[45:46]
	v_add_f64 v[31:32], v[37:38], v[31:32]
	;; [unrolled: 1-line block ×3, first 2 shown]
	v_mul_f64 v[43:44], v[33:34], v[37:38]
	v_add_f64 v[49:50], v[51:52], -v[37:38]
	v_mul_f64 v[45:46], v[39:40], v[43:44]
	v_add_f64 v[31:32], v[31:32], v[49:50]
	v_fma_f64 v[39:40], v[43:44], v[39:40], -v[45:46]
	v_fma_f64 v[35:36], v[43:44], v[35:36], v[39:40]
	v_add_f64 v[39:40], v[45:46], v[35:36]
	v_add_f64 v[47:48], v[37:38], -v[39:40]
	v_add_f64 v[45:46], v[39:40], -v[45:46]
	;; [unrolled: 1-line block ×5, first 2 shown]
	v_add_f64 v[31:32], v[31:32], v[37:38]
	v_add_f64 v[37:38], v[41:42], v[43:44]
	;; [unrolled: 1-line block ×3, first 2 shown]
	v_add_f64 v[35:36], v[37:38], -v[41:42]
	v_add_f64 v[31:32], v[47:48], v[31:32]
	v_add_f64 v[35:36], v[43:44], -v[35:36]
	v_mul_f64 v[31:32], v[33:34], v[31:32]
	v_add_f64 v[31:32], v[35:36], v[31:32]
	v_add_f64 v[33:34], v[37:38], v[31:32]
	v_mul_f64 v[35:36], v[33:34], v[33:34]
	v_fma_f64 v[39:40], v[35:36], s[24:25], s[22:23]
	s_mov_b32 s22, 0xd7f4df2e
	s_mov_b32 s23, 0x3fc7474d
	v_mul_f64 v[41:42], v[33:34], v[35:36]
	v_fma_f64 v[39:40], v[35:36], v[39:40], s[22:23]
	s_mov_b32 s22, 0x16291751
	s_mov_b32 s23, 0x3fcc71c0
	v_fma_f64 v[39:40], v[35:36], v[39:40], s[22:23]
	s_mov_b32 s22, 0x9b27acf1
	s_mov_b32 s23, 0x3fd24924
	v_fma_f64 v[39:40], v[35:36], v[39:40], s[22:23]
	s_mov_b32 s22, 0x998ef7b6
	s_mov_b32 s23, 0x3fd99999
	v_fma_f64 v[39:40], v[35:36], v[39:40], s[22:23]
	v_fma_f64 v[35:36], v[35:36], v[39:40], s[4:5]
	v_ldexp_f64 v[39:40], v[33:34], 1
	v_add_f64 v[33:34], v[33:34], -v[37:38]
	v_cmp_nge_f64_e64 s4, -1.0, v[5:6]
	v_cmp_neq_f64_e64 s5, 0x7ff00000, v[5:6]
	v_mul_f64 v[35:36], v[41:42], v[35:36]
	v_cvt_f64_i32_e32 v[41:42], v0
	v_add_f64 v[31:32], v[31:32], -v[33:34]
	s_and_b32 s4, s4, s5
	v_add_f64 v[37:38], v[39:40], v[35:36]
	v_mul_f64 v[43:44], v[41:42], s[16:17]
	v_ldexp_f64 v[31:32], v[31:32], 1
	v_add_f64 v[33:34], v[37:38], -v[39:40]
	v_fma_f64 v[39:40], v[41:42], s[16:17], -v[43:44]
	v_add_f64 v[33:34], v[35:36], -v[33:34]
	v_fma_f64 v[35:36], v[41:42], s[18:19], v[39:40]
	v_add_f64 v[31:32], v[31:32], v[33:34]
	v_add_f64 v[33:34], v[43:44], v[35:36]
	;; [unrolled: 1-line block ×3, first 2 shown]
	v_add_f64 v[43:44], v[33:34], -v[43:44]
	v_add_f64 v[41:42], v[33:34], v[39:40]
	v_add_f64 v[37:38], v[39:40], -v[37:38]
	v_add_f64 v[35:36], v[35:36], -v[43:44]
	;; [unrolled: 1-line block ×6, first 2 shown]
	v_add_f64 v[39:40], v[35:36], v[31:32]
	v_add_f64 v[33:34], v[33:34], -v[47:48]
	v_add_f64 v[33:34], v[37:38], v[33:34]
	v_add_f64 v[37:38], v[39:40], -v[35:36]
	;; [unrolled: 2-line block ×3, first 2 shown]
	v_add_f64 v[31:32], v[31:32], -v[37:38]
	v_add_f64 v[43:44], v[41:42], v[33:34]
	v_add_f64 v[35:36], v[35:36], -v[39:40]
	v_add_f64 v[37:38], v[43:44], -v[41:42]
	v_add_f64 v[31:32], v[31:32], v[35:36]
	v_add_f64 v[33:34], v[33:34], -v[37:38]
	v_add_f64 v[31:32], v[31:32], v[33:34]
	v_add_f64 v[31:32], v[43:44], v[31:32]
	v_cndmask_b32_e64 v31, 0, v31, s4
	v_cmp_neq_f64_e64 s4, -1.0, v[5:6]
	v_cndmask_b32_e64 v0, 0x7ff00000, v32, s5
	v_cndmask_b32_e64 v0, 0x7ff80000, v0, s15
	;; [unrolled: 1-line block ×3, first 2 shown]
	v_add_f64 v[5:6], v[29:30], v[31:32]
.LBB26_118:
	s_or_b32 exec_lo, exec_lo, s20
	v_max_f64 v[29:30], v[5:6], v[5:6]
	v_cmp_u_f64_e64 s4, v[5:6], v[5:6]
	v_min_f64 v[31:32], v[29:30], v[53:54]
	v_max_f64 v[29:30], v[29:30], v[53:54]
	v_cndmask_b32_e64 v0, v31, v5, s4
	v_cndmask_b32_e64 v31, v32, v6, s4
	;; [unrolled: 1-line block ×8, first 2 shown]
	v_mov_b32_e32 v8, v6
	v_mov_b32_e32 v7, v5
	v_cmp_class_f64_e64 s5, v[31:32], 0x1f8
	v_cmp_neq_f64_e64 s4, v[31:32], v[29:30]
	s_or_b32 s4, s4, s5
	s_and_saveexec_b32 s20, s4
	s_cbranch_execz .LBB26_120
; %bb.119:
	v_add_f64 v[7:8], v[31:32], -v[29:30]
	s_mov_b32 s4, 0x652b82fe
	s_mov_b32 s5, 0x3ff71547
	;; [unrolled: 1-line block ×10, first 2 shown]
	v_mul_f64 v[31:32], v[7:8], s[4:5]
	s_mov_b32 s4, 0xfca7ab0c
	s_mov_b32 s5, 0x3e928af3
	v_rndne_f64_e32 v[31:32], v[31:32]
	v_fma_f64 v[33:34], v[31:32], s[16:17], v[7:8]
	v_cvt_i32_f64_e32 v0, v[31:32]
	s_mov_b32 s17, 0x3fe62e42
	v_fma_f64 v[33:34], v[31:32], s[18:19], v[33:34]
	s_mov_b32 s19, 0x3c7abc9e
	v_fma_f64 v[35:36], v[33:34], s[22:23], s[4:5]
	s_mov_b32 s4, 0x623fde64
	s_mov_b32 s5, 0x3ec71dee
	;; [unrolled: 1-line block ×4, first 2 shown]
	v_fma_f64 v[35:36], v[33:34], v[35:36], s[4:5]
	s_mov_b32 s4, 0x7c89e6b0
	s_mov_b32 s5, 0x3efa0199
	v_fma_f64 v[35:36], v[33:34], v[35:36], s[4:5]
	s_mov_b32 s4, 0x14761f6e
	s_mov_b32 s5, 0x3f2a01a0
	;; [unrolled: 3-line block ×7, first 2 shown]
	v_fma_f64 v[35:36], v[33:34], v[35:36], s[4:5]
	v_cmp_nlt_f64_e64 s4, 0x40900000, v[7:8]
	v_cmp_ngt_f64_e64 s5, 0xc090cc00, v[7:8]
	v_fma_f64 v[35:36], v[33:34], v[35:36], 1.0
	v_fma_f64 v[31:32], v[33:34], v[35:36], 1.0
	v_ldexp_f64 v[31:32], v[31:32], v0
	v_cndmask_b32_e64 v0, 0x7ff00000, v32, s4
	s_and_b32 s4, s5, s4
	v_cndmask_b32_e64 v7, 0, v31, s4
	s_mov_b32 s4, 0x55555555
	v_cndmask_b32_e64 v8, 0, v0, s5
	s_mov_b32 s5, 0x3fe55555
	v_add_f64 v[31:32], v[7:8], 1.0
	v_cmp_ngt_f64_e64 s15, -1.0, v[7:8]
	v_frexp_mant_f64_e32 v[33:34], v[31:32]
	v_frexp_exp_i32_f64_e32 v0, v[31:32]
	v_add_f64 v[35:36], v[31:32], -1.0
	v_cmp_gt_f64_e64 s4, s[4:5], v[33:34]
	v_add_f64 v[33:34], v[35:36], -v[31:32]
	v_add_f64 v[35:36], v[7:8], -v[35:36]
	v_subrev_co_ci_u32_e64 v0, null, 0, v0, s4
	v_add_f64 v[33:34], v[33:34], 1.0
	s_mov_b32 s4, 0x55555780
	v_sub_nc_u32_e32 v39, 0, v0
	v_ldexp_f64 v[31:32], v[31:32], v39
	v_add_f64 v[33:34], v[35:36], v[33:34]
	v_add_f64 v[37:38], v[31:32], 1.0
	v_add_f64 v[43:44], v[31:32], -1.0
	v_ldexp_f64 v[33:34], v[33:34], v39
	v_add_f64 v[35:36], v[37:38], -1.0
	v_add_f64 v[45:46], v[43:44], 1.0
	v_add_f64 v[35:36], v[31:32], -v[35:36]
	v_add_f64 v[31:32], v[31:32], -v[45:46]
	v_add_f64 v[35:36], v[33:34], v[35:36]
	v_add_f64 v[31:32], v[33:34], v[31:32]
	;; [unrolled: 1-line block ×4, first 2 shown]
	v_rcp_f64_e32 v[41:42], v[39:40]
	v_add_f64 v[37:38], v[39:40], -v[37:38]
	v_add_f64 v[43:44], v[45:46], -v[43:44]
	;; [unrolled: 1-line block ×3, first 2 shown]
	v_fma_f64 v[47:48], -v[39:40], v[41:42], 1.0
	v_add_f64 v[31:32], v[31:32], -v[43:44]
	v_fma_f64 v[41:42], v[47:48], v[41:42], v[41:42]
	v_fma_f64 v[33:34], -v[39:40], v[41:42], 1.0
	v_fma_f64 v[33:34], v[33:34], v[41:42], v[41:42]
	v_mul_f64 v[41:42], v[45:46], v[33:34]
	v_mul_f64 v[47:48], v[39:40], v[41:42]
	v_fma_f64 v[37:38], v[41:42], v[39:40], -v[47:48]
	v_fma_f64 v[37:38], v[41:42], v[35:36], v[37:38]
	v_add_f64 v[49:50], v[47:48], v[37:38]
	v_add_f64 v[51:52], v[45:46], -v[49:50]
	v_add_f64 v[43:44], v[49:50], -v[47:48]
	v_add_f64 v[45:46], v[45:46], -v[51:52]
	v_add_f64 v[37:38], v[43:44], -v[37:38]
	v_add_f64 v[45:46], v[45:46], -v[49:50]
	v_add_f64 v[31:32], v[31:32], v[45:46]
	v_add_f64 v[31:32], v[37:38], v[31:32]
	;; [unrolled: 1-line block ×3, first 2 shown]
	v_mul_f64 v[43:44], v[33:34], v[37:38]
	v_add_f64 v[49:50], v[51:52], -v[37:38]
	v_mul_f64 v[45:46], v[39:40], v[43:44]
	v_add_f64 v[31:32], v[31:32], v[49:50]
	v_fma_f64 v[39:40], v[43:44], v[39:40], -v[45:46]
	v_fma_f64 v[35:36], v[43:44], v[35:36], v[39:40]
	v_add_f64 v[39:40], v[45:46], v[35:36]
	v_add_f64 v[47:48], v[37:38], -v[39:40]
	v_add_f64 v[45:46], v[39:40], -v[45:46]
	;; [unrolled: 1-line block ×5, first 2 shown]
	v_add_f64 v[31:32], v[31:32], v[37:38]
	v_add_f64 v[37:38], v[41:42], v[43:44]
	;; [unrolled: 1-line block ×3, first 2 shown]
	v_add_f64 v[35:36], v[37:38], -v[41:42]
	v_add_f64 v[31:32], v[47:48], v[31:32]
	v_add_f64 v[35:36], v[43:44], -v[35:36]
	v_mul_f64 v[31:32], v[33:34], v[31:32]
	v_add_f64 v[31:32], v[35:36], v[31:32]
	v_add_f64 v[33:34], v[37:38], v[31:32]
	v_mul_f64 v[35:36], v[33:34], v[33:34]
	v_fma_f64 v[39:40], v[35:36], s[24:25], s[22:23]
	s_mov_b32 s22, 0xd7f4df2e
	s_mov_b32 s23, 0x3fc7474d
	v_mul_f64 v[41:42], v[33:34], v[35:36]
	v_fma_f64 v[39:40], v[35:36], v[39:40], s[22:23]
	s_mov_b32 s22, 0x16291751
	s_mov_b32 s23, 0x3fcc71c0
	v_fma_f64 v[39:40], v[35:36], v[39:40], s[22:23]
	s_mov_b32 s22, 0x9b27acf1
	s_mov_b32 s23, 0x3fd24924
	;; [unrolled: 3-line block ×3, first 2 shown]
	v_fma_f64 v[39:40], v[35:36], v[39:40], s[22:23]
	v_fma_f64 v[35:36], v[35:36], v[39:40], s[4:5]
	v_ldexp_f64 v[39:40], v[33:34], 1
	v_add_f64 v[33:34], v[33:34], -v[37:38]
	v_cmp_nge_f64_e64 s4, -1.0, v[7:8]
	v_cmp_neq_f64_e64 s5, 0x7ff00000, v[7:8]
	v_mul_f64 v[35:36], v[41:42], v[35:36]
	v_cvt_f64_i32_e32 v[41:42], v0
	v_add_f64 v[31:32], v[31:32], -v[33:34]
	s_and_b32 s4, s4, s5
	v_add_f64 v[37:38], v[39:40], v[35:36]
	v_mul_f64 v[43:44], v[41:42], s[16:17]
	v_ldexp_f64 v[31:32], v[31:32], 1
	v_add_f64 v[33:34], v[37:38], -v[39:40]
	v_fma_f64 v[39:40], v[41:42], s[16:17], -v[43:44]
	v_add_f64 v[33:34], v[35:36], -v[33:34]
	v_fma_f64 v[35:36], v[41:42], s[18:19], v[39:40]
	v_add_f64 v[31:32], v[31:32], v[33:34]
	v_add_f64 v[33:34], v[43:44], v[35:36]
	;; [unrolled: 1-line block ×3, first 2 shown]
	v_add_f64 v[43:44], v[33:34], -v[43:44]
	v_add_f64 v[41:42], v[33:34], v[39:40]
	v_add_f64 v[37:38], v[39:40], -v[37:38]
	v_add_f64 v[35:36], v[35:36], -v[43:44]
	;; [unrolled: 1-line block ×6, first 2 shown]
	v_add_f64 v[39:40], v[35:36], v[31:32]
	v_add_f64 v[33:34], v[33:34], -v[47:48]
	v_add_f64 v[33:34], v[37:38], v[33:34]
	v_add_f64 v[37:38], v[39:40], -v[35:36]
	;; [unrolled: 2-line block ×3, first 2 shown]
	v_add_f64 v[31:32], v[31:32], -v[37:38]
	v_add_f64 v[43:44], v[41:42], v[33:34]
	v_add_f64 v[35:36], v[35:36], -v[39:40]
	v_add_f64 v[37:38], v[43:44], -v[41:42]
	v_add_f64 v[31:32], v[31:32], v[35:36]
	v_add_f64 v[33:34], v[33:34], -v[37:38]
	v_add_f64 v[31:32], v[31:32], v[33:34]
	v_add_f64 v[31:32], v[43:44], v[31:32]
	v_cndmask_b32_e64 v31, 0, v31, s4
	v_cmp_neq_f64_e64 s4, -1.0, v[7:8]
	v_cndmask_b32_e64 v0, 0x7ff00000, v32, s5
	v_cndmask_b32_e64 v0, 0x7ff80000, v0, s15
	;; [unrolled: 1-line block ×3, first 2 shown]
	v_add_f64 v[7:8], v[29:30], v[31:32]
.LBB26_120:
	s_or_b32 exec_lo, exec_lo, s20
	v_add_nc_u32_e32 v0, v69, v70
	s_waitcnt lgkmcnt(0)
	s_barrier
	buffer_gl0_inv
	ds_write_b128 v0, v[1:4]
	ds_write_b128 v0, v[25:28] offset:16
	ds_write_b128 v0, v[21:24] offset:32
	;; [unrolled: 1-line block ×6, first 2 shown]
	s_waitcnt lgkmcnt(0)
	s_barrier
	buffer_gl0_inv
	ds_read2st64_b64 v[20:23], v69 offset0:2 offset1:4
	ds_read2st64_b64 v[16:19], v69 offset0:6 offset1:8
	;; [unrolled: 1-line block ×6, first 2 shown]
	ds_read_b64 v[24:25], v69 offset:13312
	v_add_co_u32 v26, s4, s30, v69
	v_add_co_ci_u32_e64 v27, null, s31, 0, s4
	s_and_saveexec_b32 s4, vcc_lo
	s_cbranch_execnz .LBB26_135
; %bb.121:
	s_or_b32 exec_lo, exec_lo, s4
	s_and_saveexec_b32 s4, s0
	s_cbranch_execnz .LBB26_136
.LBB26_122:
	s_or_b32 exec_lo, exec_lo, s4
	s_and_saveexec_b32 s0, s1
	s_cbranch_execnz .LBB26_137
.LBB26_123:
	s_or_b32 exec_lo, exec_lo, s0
	s_and_saveexec_b32 s0, s2
	s_cbranch_execnz .LBB26_138
.LBB26_124:
	s_or_b32 exec_lo, exec_lo, s0
	s_and_saveexec_b32 s0, s3
	s_cbranch_execnz .LBB26_139
.LBB26_125:
	s_or_b32 exec_lo, exec_lo, s0
	s_and_saveexec_b32 s0, s6
	s_cbranch_execnz .LBB26_140
.LBB26_126:
	s_or_b32 exec_lo, exec_lo, s0
	s_and_saveexec_b32 s0, s7
	s_cbranch_execnz .LBB26_141
.LBB26_127:
	s_or_b32 exec_lo, exec_lo, s0
	s_and_saveexec_b32 s0, s8
	s_cbranch_execnz .LBB26_142
.LBB26_128:
	s_or_b32 exec_lo, exec_lo, s0
	s_and_saveexec_b32 s0, s9
	s_cbranch_execnz .LBB26_143
.LBB26_129:
	s_or_b32 exec_lo, exec_lo, s0
	s_and_saveexec_b32 s0, s10
	s_cbranch_execnz .LBB26_144
.LBB26_130:
	s_or_b32 exec_lo, exec_lo, s0
	s_and_saveexec_b32 s0, s11
	s_cbranch_execnz .LBB26_145
.LBB26_131:
	s_or_b32 exec_lo, exec_lo, s0
	s_and_saveexec_b32 s0, s12
	s_cbranch_execnz .LBB26_146
.LBB26_132:
	s_or_b32 exec_lo, exec_lo, s0
	s_and_saveexec_b32 s0, s13
	s_cbranch_execnz .LBB26_147
.LBB26_133:
	s_or_b32 exec_lo, exec_lo, s0
	s_and_saveexec_b32 s0, s14
	s_cbranch_execnz .LBB26_148
.LBB26_134:
	s_endpgm
.LBB26_135:
	ds_read_b64 v[28:29], v69
	s_waitcnt lgkmcnt(0)
	global_store_dwordx2 v[26:27], v[28:29], off
	s_or_b32 exec_lo, exec_lo, s4
	s_and_saveexec_b32 s4, s0
	s_cbranch_execz .LBB26_122
.LBB26_136:
	s_waitcnt lgkmcnt(6)
	global_store_dwordx2 v[26:27], v[20:21], off offset:1024
	s_or_b32 exec_lo, exec_lo, s4
	s_and_saveexec_b32 s0, s1
	s_cbranch_execz .LBB26_123
.LBB26_137:
	s_waitcnt lgkmcnt(6)
	v_add_co_u32 v20, vcc_lo, 0x800, v26
	v_add_co_ci_u32_e64 v21, null, 0, v27, vcc_lo
	global_store_dwordx2 v[20:21], v[22:23], off
	s_or_b32 exec_lo, exec_lo, s0
	s_and_saveexec_b32 s0, s2
	s_cbranch_execz .LBB26_124
.LBB26_138:
	s_waitcnt lgkmcnt(6)
	v_add_co_u32 v20, vcc_lo, 0x800, v26
	v_add_co_ci_u32_e64 v21, null, 0, v27, vcc_lo
	s_waitcnt lgkmcnt(5)
	global_store_dwordx2 v[20:21], v[16:17], off offset:1024
	s_or_b32 exec_lo, exec_lo, s0
	s_and_saveexec_b32 s0, s3
	s_cbranch_execz .LBB26_125
.LBB26_139:
	s_waitcnt lgkmcnt(5)
	v_add_co_u32 v16, vcc_lo, 0x1000, v26
	v_add_co_ci_u32_e64 v17, null, 0, v27, vcc_lo
	global_store_dwordx2 v[16:17], v[18:19], off
	s_or_b32 exec_lo, exec_lo, s0
	s_and_saveexec_b32 s0, s6
	s_cbranch_execz .LBB26_126
.LBB26_140:
	s_waitcnt lgkmcnt(5)
	v_add_co_u32 v16, vcc_lo, 0x1000, v26
	v_add_co_ci_u32_e64 v17, null, 0, v27, vcc_lo
	s_waitcnt lgkmcnt(4)
	global_store_dwordx2 v[16:17], v[12:13], off offset:1024
	s_or_b32 exec_lo, exec_lo, s0
	s_and_saveexec_b32 s0, s7
	s_cbranch_execz .LBB26_127
.LBB26_141:
	s_waitcnt lgkmcnt(4)
	v_add_co_u32 v12, vcc_lo, 0x1800, v26
	v_add_co_ci_u32_e64 v13, null, 0, v27, vcc_lo
	global_store_dwordx2 v[12:13], v[14:15], off
	s_or_b32 exec_lo, exec_lo, s0
	s_and_saveexec_b32 s0, s8
	s_cbranch_execz .LBB26_128
.LBB26_142:
	s_waitcnt lgkmcnt(4)
	v_add_co_u32 v12, vcc_lo, 0x1800, v26
	v_add_co_ci_u32_e64 v13, null, 0, v27, vcc_lo
	s_waitcnt lgkmcnt(3)
	global_store_dwordx2 v[12:13], v[8:9], off offset:1024
	s_or_b32 exec_lo, exec_lo, s0
	s_and_saveexec_b32 s0, s9
	s_cbranch_execz .LBB26_129
.LBB26_143:
	s_waitcnt lgkmcnt(3)
	v_add_co_u32 v8, vcc_lo, 0x2000, v26
	v_add_co_ci_u32_e64 v9, null, 0, v27, vcc_lo
	global_store_dwordx2 v[8:9], v[10:11], off
	s_or_b32 exec_lo, exec_lo, s0
	s_and_saveexec_b32 s0, s10
	s_cbranch_execz .LBB26_130
.LBB26_144:
	s_waitcnt lgkmcnt(3)
	v_add_co_u32 v8, vcc_lo, 0x2000, v26
	v_add_co_ci_u32_e64 v9, null, 0, v27, vcc_lo
	s_waitcnt lgkmcnt(2)
	global_store_dwordx2 v[8:9], v[4:5], off offset:1024
	s_or_b32 exec_lo, exec_lo, s0
	s_and_saveexec_b32 s0, s11
	s_cbranch_execz .LBB26_131
.LBB26_145:
	s_waitcnt lgkmcnt(2)
	v_add_co_u32 v4, vcc_lo, 0x2800, v26
	v_add_co_ci_u32_e64 v5, null, 0, v27, vcc_lo
	global_store_dwordx2 v[4:5], v[6:7], off
	s_or_b32 exec_lo, exec_lo, s0
	s_and_saveexec_b32 s0, s12
	s_cbranch_execz .LBB26_132
.LBB26_146:
	s_waitcnt lgkmcnt(2)
	v_add_co_u32 v4, vcc_lo, 0x2800, v26
	v_add_co_ci_u32_e64 v5, null, 0, v27, vcc_lo
	s_waitcnt lgkmcnt(1)
	global_store_dwordx2 v[4:5], v[0:1], off offset:1024
	s_or_b32 exec_lo, exec_lo, s0
	s_and_saveexec_b32 s0, s13
	s_cbranch_execz .LBB26_133
.LBB26_147:
	s_waitcnt lgkmcnt(1)
	v_add_co_u32 v0, vcc_lo, 0x3000, v26
	v_add_co_ci_u32_e64 v1, null, 0, v27, vcc_lo
	global_store_dwordx2 v[0:1], v[2:3], off
	s_or_b32 exec_lo, exec_lo, s0
	s_and_saveexec_b32 s0, s14
	s_cbranch_execz .LBB26_134
.LBB26_148:
	s_waitcnt lgkmcnt(1)
	v_add_co_u32 v0, vcc_lo, 0x3000, v26
	v_add_co_ci_u32_e64 v1, null, 0, v27, vcc_lo
	s_waitcnt lgkmcnt(0)
	global_store_dwordx2 v[0:1], v[24:25], off offset:1024
	s_endpgm
	.section	.rodata,"a",@progbits
	.p2align	6, 0x0
	.amdhsa_kernel _ZN7rocprim17ROCPRIM_400000_NS6detail17trampoline_kernelINS0_14default_configENS1_20scan_config_selectorIdEEZZNS1_9scan_implILNS1_25lookback_scan_determinismE0ELb0ELb0ES3_PKdPddZZZN2at6native31launch_logcumsumexp_cuda_kernelERKNSB_10TensorBaseESF_lENKUlvE_clEvENKUlvE_clEvEUlddE_dEEDaPvRmT3_T4_T5_mT6_P12ihipStream_tbENKUlT_T0_E_clISt17integral_constantIbLb0EESW_EEDaSR_SS_EUlSR_E0_NS1_11comp_targetILNS1_3genE8ELNS1_11target_archE1030ELNS1_3gpuE2ELNS1_3repE0EEENS1_30default_config_static_selectorELNS0_4arch9wavefront6targetE0EEEvT1_
		.amdhsa_group_segment_fixed_size 14336
		.amdhsa_private_segment_fixed_size 0
		.amdhsa_kernarg_size 40
		.amdhsa_user_sgpr_count 6
		.amdhsa_user_sgpr_private_segment_buffer 1
		.amdhsa_user_sgpr_dispatch_ptr 0
		.amdhsa_user_sgpr_queue_ptr 0
		.amdhsa_user_sgpr_kernarg_segment_ptr 1
		.amdhsa_user_sgpr_dispatch_id 0
		.amdhsa_user_sgpr_flat_scratch_init 0
		.amdhsa_user_sgpr_private_segment_size 0
		.amdhsa_wavefront_size32 1
		.amdhsa_uses_dynamic_stack 0
		.amdhsa_system_sgpr_private_segment_wavefront_offset 0
		.amdhsa_system_sgpr_workgroup_id_x 1
		.amdhsa_system_sgpr_workgroup_id_y 0
		.amdhsa_system_sgpr_workgroup_id_z 0
		.amdhsa_system_sgpr_workgroup_info 0
		.amdhsa_system_vgpr_workitem_id 0
		.amdhsa_next_free_vgpr 97
		.amdhsa_next_free_sgpr 44
		.amdhsa_reserve_vcc 1
		.amdhsa_reserve_flat_scratch 0
		.amdhsa_float_round_mode_32 0
		.amdhsa_float_round_mode_16_64 0
		.amdhsa_float_denorm_mode_32 3
		.amdhsa_float_denorm_mode_16_64 3
		.amdhsa_dx10_clamp 1
		.amdhsa_ieee_mode 1
		.amdhsa_fp16_overflow 0
		.amdhsa_workgroup_processor_mode 1
		.amdhsa_memory_ordered 1
		.amdhsa_forward_progress 1
		.amdhsa_shared_vgpr_count 0
		.amdhsa_exception_fp_ieee_invalid_op 0
		.amdhsa_exception_fp_denorm_src 0
		.amdhsa_exception_fp_ieee_div_zero 0
		.amdhsa_exception_fp_ieee_overflow 0
		.amdhsa_exception_fp_ieee_underflow 0
		.amdhsa_exception_fp_ieee_inexact 0
		.amdhsa_exception_int_div_zero 0
	.end_amdhsa_kernel
	.section	.text._ZN7rocprim17ROCPRIM_400000_NS6detail17trampoline_kernelINS0_14default_configENS1_20scan_config_selectorIdEEZZNS1_9scan_implILNS1_25lookback_scan_determinismE0ELb0ELb0ES3_PKdPddZZZN2at6native31launch_logcumsumexp_cuda_kernelERKNSB_10TensorBaseESF_lENKUlvE_clEvENKUlvE_clEvEUlddE_dEEDaPvRmT3_T4_T5_mT6_P12ihipStream_tbENKUlT_T0_E_clISt17integral_constantIbLb0EESW_EEDaSR_SS_EUlSR_E0_NS1_11comp_targetILNS1_3genE8ELNS1_11target_archE1030ELNS1_3gpuE2ELNS1_3repE0EEENS1_30default_config_static_selectorELNS0_4arch9wavefront6targetE0EEEvT1_,"axG",@progbits,_ZN7rocprim17ROCPRIM_400000_NS6detail17trampoline_kernelINS0_14default_configENS1_20scan_config_selectorIdEEZZNS1_9scan_implILNS1_25lookback_scan_determinismE0ELb0ELb0ES3_PKdPddZZZN2at6native31launch_logcumsumexp_cuda_kernelERKNSB_10TensorBaseESF_lENKUlvE_clEvENKUlvE_clEvEUlddE_dEEDaPvRmT3_T4_T5_mT6_P12ihipStream_tbENKUlT_T0_E_clISt17integral_constantIbLb0EESW_EEDaSR_SS_EUlSR_E0_NS1_11comp_targetILNS1_3genE8ELNS1_11target_archE1030ELNS1_3gpuE2ELNS1_3repE0EEENS1_30default_config_static_selectorELNS0_4arch9wavefront6targetE0EEEvT1_,comdat
.Lfunc_end26:
	.size	_ZN7rocprim17ROCPRIM_400000_NS6detail17trampoline_kernelINS0_14default_configENS1_20scan_config_selectorIdEEZZNS1_9scan_implILNS1_25lookback_scan_determinismE0ELb0ELb0ES3_PKdPddZZZN2at6native31launch_logcumsumexp_cuda_kernelERKNSB_10TensorBaseESF_lENKUlvE_clEvENKUlvE_clEvEUlddE_dEEDaPvRmT3_T4_T5_mT6_P12ihipStream_tbENKUlT_T0_E_clISt17integral_constantIbLb0EESW_EEDaSR_SS_EUlSR_E0_NS1_11comp_targetILNS1_3genE8ELNS1_11target_archE1030ELNS1_3gpuE2ELNS1_3repE0EEENS1_30default_config_static_selectorELNS0_4arch9wavefront6targetE0EEEvT1_, .Lfunc_end26-_ZN7rocprim17ROCPRIM_400000_NS6detail17trampoline_kernelINS0_14default_configENS1_20scan_config_selectorIdEEZZNS1_9scan_implILNS1_25lookback_scan_determinismE0ELb0ELb0ES3_PKdPddZZZN2at6native31launch_logcumsumexp_cuda_kernelERKNSB_10TensorBaseESF_lENKUlvE_clEvENKUlvE_clEvEUlddE_dEEDaPvRmT3_T4_T5_mT6_P12ihipStream_tbENKUlT_T0_E_clISt17integral_constantIbLb0EESW_EEDaSR_SS_EUlSR_E0_NS1_11comp_targetILNS1_3genE8ELNS1_11target_archE1030ELNS1_3gpuE2ELNS1_3repE0EEENS1_30default_config_static_selectorELNS0_4arch9wavefront6targetE0EEEvT1_
                                        ; -- End function
	.set _ZN7rocprim17ROCPRIM_400000_NS6detail17trampoline_kernelINS0_14default_configENS1_20scan_config_selectorIdEEZZNS1_9scan_implILNS1_25lookback_scan_determinismE0ELb0ELb0ES3_PKdPddZZZN2at6native31launch_logcumsumexp_cuda_kernelERKNSB_10TensorBaseESF_lENKUlvE_clEvENKUlvE_clEvEUlddE_dEEDaPvRmT3_T4_T5_mT6_P12ihipStream_tbENKUlT_T0_E_clISt17integral_constantIbLb0EESW_EEDaSR_SS_EUlSR_E0_NS1_11comp_targetILNS1_3genE8ELNS1_11target_archE1030ELNS1_3gpuE2ELNS1_3repE0EEENS1_30default_config_static_selectorELNS0_4arch9wavefront6targetE0EEEvT1_.num_vgpr, 95
	.set _ZN7rocprim17ROCPRIM_400000_NS6detail17trampoline_kernelINS0_14default_configENS1_20scan_config_selectorIdEEZZNS1_9scan_implILNS1_25lookback_scan_determinismE0ELb0ELb0ES3_PKdPddZZZN2at6native31launch_logcumsumexp_cuda_kernelERKNSB_10TensorBaseESF_lENKUlvE_clEvENKUlvE_clEvEUlddE_dEEDaPvRmT3_T4_T5_mT6_P12ihipStream_tbENKUlT_T0_E_clISt17integral_constantIbLb0EESW_EEDaSR_SS_EUlSR_E0_NS1_11comp_targetILNS1_3genE8ELNS1_11target_archE1030ELNS1_3gpuE2ELNS1_3repE0EEENS1_30default_config_static_selectorELNS0_4arch9wavefront6targetE0EEEvT1_.num_agpr, 0
	.set _ZN7rocprim17ROCPRIM_400000_NS6detail17trampoline_kernelINS0_14default_configENS1_20scan_config_selectorIdEEZZNS1_9scan_implILNS1_25lookback_scan_determinismE0ELb0ELb0ES3_PKdPddZZZN2at6native31launch_logcumsumexp_cuda_kernelERKNSB_10TensorBaseESF_lENKUlvE_clEvENKUlvE_clEvEUlddE_dEEDaPvRmT3_T4_T5_mT6_P12ihipStream_tbENKUlT_T0_E_clISt17integral_constantIbLb0EESW_EEDaSR_SS_EUlSR_E0_NS1_11comp_targetILNS1_3genE8ELNS1_11target_archE1030ELNS1_3gpuE2ELNS1_3repE0EEENS1_30default_config_static_selectorELNS0_4arch9wavefront6targetE0EEEvT1_.numbered_sgpr, 44
	.set _ZN7rocprim17ROCPRIM_400000_NS6detail17trampoline_kernelINS0_14default_configENS1_20scan_config_selectorIdEEZZNS1_9scan_implILNS1_25lookback_scan_determinismE0ELb0ELb0ES3_PKdPddZZZN2at6native31launch_logcumsumexp_cuda_kernelERKNSB_10TensorBaseESF_lENKUlvE_clEvENKUlvE_clEvEUlddE_dEEDaPvRmT3_T4_T5_mT6_P12ihipStream_tbENKUlT_T0_E_clISt17integral_constantIbLb0EESW_EEDaSR_SS_EUlSR_E0_NS1_11comp_targetILNS1_3genE8ELNS1_11target_archE1030ELNS1_3gpuE2ELNS1_3repE0EEENS1_30default_config_static_selectorELNS0_4arch9wavefront6targetE0EEEvT1_.num_named_barrier, 0
	.set _ZN7rocprim17ROCPRIM_400000_NS6detail17trampoline_kernelINS0_14default_configENS1_20scan_config_selectorIdEEZZNS1_9scan_implILNS1_25lookback_scan_determinismE0ELb0ELb0ES3_PKdPddZZZN2at6native31launch_logcumsumexp_cuda_kernelERKNSB_10TensorBaseESF_lENKUlvE_clEvENKUlvE_clEvEUlddE_dEEDaPvRmT3_T4_T5_mT6_P12ihipStream_tbENKUlT_T0_E_clISt17integral_constantIbLb0EESW_EEDaSR_SS_EUlSR_E0_NS1_11comp_targetILNS1_3genE8ELNS1_11target_archE1030ELNS1_3gpuE2ELNS1_3repE0EEENS1_30default_config_static_selectorELNS0_4arch9wavefront6targetE0EEEvT1_.private_seg_size, 0
	.set _ZN7rocprim17ROCPRIM_400000_NS6detail17trampoline_kernelINS0_14default_configENS1_20scan_config_selectorIdEEZZNS1_9scan_implILNS1_25lookback_scan_determinismE0ELb0ELb0ES3_PKdPddZZZN2at6native31launch_logcumsumexp_cuda_kernelERKNSB_10TensorBaseESF_lENKUlvE_clEvENKUlvE_clEvEUlddE_dEEDaPvRmT3_T4_T5_mT6_P12ihipStream_tbENKUlT_T0_E_clISt17integral_constantIbLb0EESW_EEDaSR_SS_EUlSR_E0_NS1_11comp_targetILNS1_3genE8ELNS1_11target_archE1030ELNS1_3gpuE2ELNS1_3repE0EEENS1_30default_config_static_selectorELNS0_4arch9wavefront6targetE0EEEvT1_.uses_vcc, 1
	.set _ZN7rocprim17ROCPRIM_400000_NS6detail17trampoline_kernelINS0_14default_configENS1_20scan_config_selectorIdEEZZNS1_9scan_implILNS1_25lookback_scan_determinismE0ELb0ELb0ES3_PKdPddZZZN2at6native31launch_logcumsumexp_cuda_kernelERKNSB_10TensorBaseESF_lENKUlvE_clEvENKUlvE_clEvEUlddE_dEEDaPvRmT3_T4_T5_mT6_P12ihipStream_tbENKUlT_T0_E_clISt17integral_constantIbLb0EESW_EEDaSR_SS_EUlSR_E0_NS1_11comp_targetILNS1_3genE8ELNS1_11target_archE1030ELNS1_3gpuE2ELNS1_3repE0EEENS1_30default_config_static_selectorELNS0_4arch9wavefront6targetE0EEEvT1_.uses_flat_scratch, 0
	.set _ZN7rocprim17ROCPRIM_400000_NS6detail17trampoline_kernelINS0_14default_configENS1_20scan_config_selectorIdEEZZNS1_9scan_implILNS1_25lookback_scan_determinismE0ELb0ELb0ES3_PKdPddZZZN2at6native31launch_logcumsumexp_cuda_kernelERKNSB_10TensorBaseESF_lENKUlvE_clEvENKUlvE_clEvEUlddE_dEEDaPvRmT3_T4_T5_mT6_P12ihipStream_tbENKUlT_T0_E_clISt17integral_constantIbLb0EESW_EEDaSR_SS_EUlSR_E0_NS1_11comp_targetILNS1_3genE8ELNS1_11target_archE1030ELNS1_3gpuE2ELNS1_3repE0EEENS1_30default_config_static_selectorELNS0_4arch9wavefront6targetE0EEEvT1_.has_dyn_sized_stack, 0
	.set _ZN7rocprim17ROCPRIM_400000_NS6detail17trampoline_kernelINS0_14default_configENS1_20scan_config_selectorIdEEZZNS1_9scan_implILNS1_25lookback_scan_determinismE0ELb0ELb0ES3_PKdPddZZZN2at6native31launch_logcumsumexp_cuda_kernelERKNSB_10TensorBaseESF_lENKUlvE_clEvENKUlvE_clEvEUlddE_dEEDaPvRmT3_T4_T5_mT6_P12ihipStream_tbENKUlT_T0_E_clISt17integral_constantIbLb0EESW_EEDaSR_SS_EUlSR_E0_NS1_11comp_targetILNS1_3genE8ELNS1_11target_archE1030ELNS1_3gpuE2ELNS1_3repE0EEENS1_30default_config_static_selectorELNS0_4arch9wavefront6targetE0EEEvT1_.has_recursion, 0
	.set _ZN7rocprim17ROCPRIM_400000_NS6detail17trampoline_kernelINS0_14default_configENS1_20scan_config_selectorIdEEZZNS1_9scan_implILNS1_25lookback_scan_determinismE0ELb0ELb0ES3_PKdPddZZZN2at6native31launch_logcumsumexp_cuda_kernelERKNSB_10TensorBaseESF_lENKUlvE_clEvENKUlvE_clEvEUlddE_dEEDaPvRmT3_T4_T5_mT6_P12ihipStream_tbENKUlT_T0_E_clISt17integral_constantIbLb0EESW_EEDaSR_SS_EUlSR_E0_NS1_11comp_targetILNS1_3genE8ELNS1_11target_archE1030ELNS1_3gpuE2ELNS1_3repE0EEENS1_30default_config_static_selectorELNS0_4arch9wavefront6targetE0EEEvT1_.has_indirect_call, 0
	.section	.AMDGPU.csdata,"",@progbits
; Kernel info:
; codeLenInByte = 59720
; TotalNumSgprs: 46
; NumVgprs: 95
; ScratchSize: 0
; MemoryBound: 0
; FloatMode: 240
; IeeeMode: 1
; LDSByteSize: 14336 bytes/workgroup (compile time only)
; SGPRBlocks: 0
; VGPRBlocks: 12
; NumSGPRsForWavesPerEU: 46
; NumVGPRsForWavesPerEU: 97
; Occupancy: 9
; WaveLimiterHint : 0
; COMPUTE_PGM_RSRC2:SCRATCH_EN: 0
; COMPUTE_PGM_RSRC2:USER_SGPR: 6
; COMPUTE_PGM_RSRC2:TRAP_HANDLER: 0
; COMPUTE_PGM_RSRC2:TGID_X_EN: 1
; COMPUTE_PGM_RSRC2:TGID_Y_EN: 0
; COMPUTE_PGM_RSRC2:TGID_Z_EN: 0
; COMPUTE_PGM_RSRC2:TIDIG_COMP_CNT: 0
	.section	.text._ZN7rocprim17ROCPRIM_400000_NS6detail31init_lookback_scan_state_kernelINS1_19lookback_scan_stateIdLb1ELb1EEENS1_16block_id_wrapperIjLb1EEEEEvT_jT0_jPNS7_10value_typeE,"axG",@progbits,_ZN7rocprim17ROCPRIM_400000_NS6detail31init_lookback_scan_state_kernelINS1_19lookback_scan_stateIdLb1ELb1EEENS1_16block_id_wrapperIjLb1EEEEEvT_jT0_jPNS7_10value_typeE,comdat
	.protected	_ZN7rocprim17ROCPRIM_400000_NS6detail31init_lookback_scan_state_kernelINS1_19lookback_scan_stateIdLb1ELb1EEENS1_16block_id_wrapperIjLb1EEEEEvT_jT0_jPNS7_10value_typeE ; -- Begin function _ZN7rocprim17ROCPRIM_400000_NS6detail31init_lookback_scan_state_kernelINS1_19lookback_scan_stateIdLb1ELb1EEENS1_16block_id_wrapperIjLb1EEEEEvT_jT0_jPNS7_10value_typeE
	.globl	_ZN7rocprim17ROCPRIM_400000_NS6detail31init_lookback_scan_state_kernelINS1_19lookback_scan_stateIdLb1ELb1EEENS1_16block_id_wrapperIjLb1EEEEEvT_jT0_jPNS7_10value_typeE
	.p2align	8
	.type	_ZN7rocprim17ROCPRIM_400000_NS6detail31init_lookback_scan_state_kernelINS1_19lookback_scan_stateIdLb1ELb1EEENS1_16block_id_wrapperIjLb1EEEEEvT_jT0_jPNS7_10value_typeE,@function
_ZN7rocprim17ROCPRIM_400000_NS6detail31init_lookback_scan_state_kernelINS1_19lookback_scan_stateIdLb1ELb1EEENS1_16block_id_wrapperIjLb1EEEEEvT_jT0_jPNS7_10value_typeE: ; @_ZN7rocprim17ROCPRIM_400000_NS6detail31init_lookback_scan_state_kernelINS1_19lookback_scan_stateIdLb1ELb1EEENS1_16block_id_wrapperIjLb1EEEEEvT_jT0_jPNS7_10value_typeE
; %bb.0:
	s_clause 0x3
	s_load_dword s7, s[4:5], 0x34
	s_load_dwordx2 s[2:3], s[4:5], 0x20
	s_load_dwordx2 s[0:1], s[4:5], 0x0
	s_load_dword s8, s[4:5], 0x8
	s_waitcnt lgkmcnt(0)
	s_and_b32 s7, s7, 0xffff
	s_cmp_eq_u64 s[2:3], 0
	v_mad_u64_u32 v[0:1], null, s6, s7, v[0:1]
	s_cbranch_scc1 .LBB27_10
; %bb.1:
	s_load_dword s6, s[4:5], 0x18
	s_waitcnt lgkmcnt(0)
	s_cmp_lt_u32 s6, s8
	s_cselect_b32 s7, s6, 0
	v_cmp_eq_u32_e32 vcc_lo, s7, v0
	s_mov_b32 s7, 0
	s_and_saveexec_b32 s9, vcc_lo
	s_cbranch_execz .LBB27_9
; %bb.2:
	s_add_i32 s6, s6, 32
	v_mov_b32_e32 v5, 0
	s_lshl_b64 s[6:7], s[6:7], 4
	s_mov_b32 s10, exec_lo
	s_add_u32 s6, s0, s6
	s_addc_u32 s7, s1, s7
	v_mov_b32_e32 v1, s6
	v_mov_b32_e32 v2, s7
	;;#ASMSTART
	global_load_dwordx4 v[1:4], v[1:2] off glc dlc	
s_waitcnt vmcnt(0)
	;;#ASMEND
	v_and_b32_e32 v4, 0xff, v3
	v_cmpx_eq_u64_e32 0, v[4:5]
	s_cbranch_execz .LBB27_8
; %bb.3:
	v_mov_b32_e32 v6, s6
	v_mov_b32_e32 v7, s7
	s_mov_b32 s7, 1
	s_mov_b32 s6, 0
	.p2align	6
.LBB27_4:                               ; =>This Loop Header: Depth=1
                                        ;     Child Loop BB27_5 Depth 2
	s_mov_b32 s11, s7
.LBB27_5:                               ;   Parent Loop BB27_4 Depth=1
                                        ; =>  This Inner Loop Header: Depth=2
	s_add_i32 s11, s11, -1
	s_sleep 1
	s_cmp_eq_u32 s11, 0
	s_cbranch_scc0 .LBB27_5
; %bb.6:                                ;   in Loop: Header=BB27_4 Depth=1
	;;#ASMSTART
	global_load_dwordx4 v[1:4], v[6:7] off glc dlc	
s_waitcnt vmcnt(0)
	;;#ASMEND
	v_and_b32_e32 v4, 0xff, v3
	s_cmp_lt_u32 s7, 32
	s_cselect_b32 s11, -1, 0
	s_cmp_lg_u32 s11, 0
	v_cmp_ne_u64_e32 vcc_lo, 0, v[4:5]
	s_addc_u32 s7, s7, 0
	s_or_b32 s6, vcc_lo, s6
	s_andn2_b32 exec_lo, exec_lo, s6
	s_cbranch_execnz .LBB27_4
; %bb.7:
	s_or_b32 exec_lo, exec_lo, s6
.LBB27_8:
	s_or_b32 exec_lo, exec_lo, s10
	v_mov_b32_e32 v3, 0
	global_store_dwordx2 v3, v[1:2], s[2:3]
.LBB27_9:
	s_or_b32 exec_lo, exec_lo, s9
.LBB27_10:
	s_mov_b32 s2, exec_lo
	v_cmpx_eq_u32_e32 0, v0
	s_cbranch_execz .LBB27_12
; %bb.11:
	s_load_dwordx2 s[4:5], s[4:5], 0x10
	v_mov_b32_e32 v1, 0
	s_waitcnt lgkmcnt(0)
	global_store_dword v1, v1, s[4:5]
.LBB27_12:
	s_or_b32 exec_lo, exec_lo, s2
	s_mov_b32 s2, exec_lo
	v_cmpx_gt_u32_e64 s8, v0
	s_cbranch_execz .LBB27_14
; %bb.13:
	v_add_nc_u32_e32 v1, 32, v0
	v_mov_b32_e32 v2, 0
	v_lshlrev_b64 v[4:5], 4, v[1:2]
	v_mov_b32_e32 v1, v2
	v_mov_b32_e32 v3, v2
	v_add_co_u32 v6, vcc_lo, s0, v4
	v_add_co_ci_u32_e64 v7, null, s1, v5, vcc_lo
	v_mov_b32_e32 v4, v2
	global_store_dwordx4 v[6:7], v[1:4], off
.LBB27_14:
	s_or_b32 exec_lo, exec_lo, s2
	s_mov_b32 s2, exec_lo
	v_cmpx_gt_u32_e32 32, v0
	s_cbranch_execz .LBB27_16
; %bb.15:
	v_mov_b32_e32 v1, 0
	v_mov_b32_e32 v2, 0xff
	v_lshlrev_b64 v[3:4], 4, v[0:1]
	v_mov_b32_e32 v0, v1
	v_add_co_u32 v5, vcc_lo, s0, v3
	v_add_co_ci_u32_e64 v6, null, s1, v4, vcc_lo
	v_mov_b32_e32 v3, v1
	global_store_dwordx4 v[5:6], v[0:3], off
.LBB27_16:
	s_endpgm
	.section	.rodata,"a",@progbits
	.p2align	6, 0x0
	.amdhsa_kernel _ZN7rocprim17ROCPRIM_400000_NS6detail31init_lookback_scan_state_kernelINS1_19lookback_scan_stateIdLb1ELb1EEENS1_16block_id_wrapperIjLb1EEEEEvT_jT0_jPNS7_10value_typeE
		.amdhsa_group_segment_fixed_size 0
		.amdhsa_private_segment_fixed_size 0
		.amdhsa_kernarg_size 296
		.amdhsa_user_sgpr_count 6
		.amdhsa_user_sgpr_private_segment_buffer 1
		.amdhsa_user_sgpr_dispatch_ptr 0
		.amdhsa_user_sgpr_queue_ptr 0
		.amdhsa_user_sgpr_kernarg_segment_ptr 1
		.amdhsa_user_sgpr_dispatch_id 0
		.amdhsa_user_sgpr_flat_scratch_init 0
		.amdhsa_user_sgpr_private_segment_size 0
		.amdhsa_wavefront_size32 1
		.amdhsa_uses_dynamic_stack 0
		.amdhsa_system_sgpr_private_segment_wavefront_offset 0
		.amdhsa_system_sgpr_workgroup_id_x 1
		.amdhsa_system_sgpr_workgroup_id_y 0
		.amdhsa_system_sgpr_workgroup_id_z 0
		.amdhsa_system_sgpr_workgroup_info 0
		.amdhsa_system_vgpr_workitem_id 0
		.amdhsa_next_free_vgpr 8
		.amdhsa_next_free_sgpr 12
		.amdhsa_reserve_vcc 1
		.amdhsa_reserve_flat_scratch 0
		.amdhsa_float_round_mode_32 0
		.amdhsa_float_round_mode_16_64 0
		.amdhsa_float_denorm_mode_32 3
		.amdhsa_float_denorm_mode_16_64 3
		.amdhsa_dx10_clamp 1
		.amdhsa_ieee_mode 1
		.amdhsa_fp16_overflow 0
		.amdhsa_workgroup_processor_mode 1
		.amdhsa_memory_ordered 1
		.amdhsa_forward_progress 1
		.amdhsa_shared_vgpr_count 0
		.amdhsa_exception_fp_ieee_invalid_op 0
		.amdhsa_exception_fp_denorm_src 0
		.amdhsa_exception_fp_ieee_div_zero 0
		.amdhsa_exception_fp_ieee_overflow 0
		.amdhsa_exception_fp_ieee_underflow 0
		.amdhsa_exception_fp_ieee_inexact 0
		.amdhsa_exception_int_div_zero 0
	.end_amdhsa_kernel
	.section	.text._ZN7rocprim17ROCPRIM_400000_NS6detail31init_lookback_scan_state_kernelINS1_19lookback_scan_stateIdLb1ELb1EEENS1_16block_id_wrapperIjLb1EEEEEvT_jT0_jPNS7_10value_typeE,"axG",@progbits,_ZN7rocprim17ROCPRIM_400000_NS6detail31init_lookback_scan_state_kernelINS1_19lookback_scan_stateIdLb1ELb1EEENS1_16block_id_wrapperIjLb1EEEEEvT_jT0_jPNS7_10value_typeE,comdat
.Lfunc_end27:
	.size	_ZN7rocprim17ROCPRIM_400000_NS6detail31init_lookback_scan_state_kernelINS1_19lookback_scan_stateIdLb1ELb1EEENS1_16block_id_wrapperIjLb1EEEEEvT_jT0_jPNS7_10value_typeE, .Lfunc_end27-_ZN7rocprim17ROCPRIM_400000_NS6detail31init_lookback_scan_state_kernelINS1_19lookback_scan_stateIdLb1ELb1EEENS1_16block_id_wrapperIjLb1EEEEEvT_jT0_jPNS7_10value_typeE
                                        ; -- End function
	.set _ZN7rocprim17ROCPRIM_400000_NS6detail31init_lookback_scan_state_kernelINS1_19lookback_scan_stateIdLb1ELb1EEENS1_16block_id_wrapperIjLb1EEEEEvT_jT0_jPNS7_10value_typeE.num_vgpr, 8
	.set _ZN7rocprim17ROCPRIM_400000_NS6detail31init_lookback_scan_state_kernelINS1_19lookback_scan_stateIdLb1ELb1EEENS1_16block_id_wrapperIjLb1EEEEEvT_jT0_jPNS7_10value_typeE.num_agpr, 0
	.set _ZN7rocprim17ROCPRIM_400000_NS6detail31init_lookback_scan_state_kernelINS1_19lookback_scan_stateIdLb1ELb1EEENS1_16block_id_wrapperIjLb1EEEEEvT_jT0_jPNS7_10value_typeE.numbered_sgpr, 12
	.set _ZN7rocprim17ROCPRIM_400000_NS6detail31init_lookback_scan_state_kernelINS1_19lookback_scan_stateIdLb1ELb1EEENS1_16block_id_wrapperIjLb1EEEEEvT_jT0_jPNS7_10value_typeE.num_named_barrier, 0
	.set _ZN7rocprim17ROCPRIM_400000_NS6detail31init_lookback_scan_state_kernelINS1_19lookback_scan_stateIdLb1ELb1EEENS1_16block_id_wrapperIjLb1EEEEEvT_jT0_jPNS7_10value_typeE.private_seg_size, 0
	.set _ZN7rocprim17ROCPRIM_400000_NS6detail31init_lookback_scan_state_kernelINS1_19lookback_scan_stateIdLb1ELb1EEENS1_16block_id_wrapperIjLb1EEEEEvT_jT0_jPNS7_10value_typeE.uses_vcc, 1
	.set _ZN7rocprim17ROCPRIM_400000_NS6detail31init_lookback_scan_state_kernelINS1_19lookback_scan_stateIdLb1ELb1EEENS1_16block_id_wrapperIjLb1EEEEEvT_jT0_jPNS7_10value_typeE.uses_flat_scratch, 0
	.set _ZN7rocprim17ROCPRIM_400000_NS6detail31init_lookback_scan_state_kernelINS1_19lookback_scan_stateIdLb1ELb1EEENS1_16block_id_wrapperIjLb1EEEEEvT_jT0_jPNS7_10value_typeE.has_dyn_sized_stack, 0
	.set _ZN7rocprim17ROCPRIM_400000_NS6detail31init_lookback_scan_state_kernelINS1_19lookback_scan_stateIdLb1ELb1EEENS1_16block_id_wrapperIjLb1EEEEEvT_jT0_jPNS7_10value_typeE.has_recursion, 0
	.set _ZN7rocprim17ROCPRIM_400000_NS6detail31init_lookback_scan_state_kernelINS1_19lookback_scan_stateIdLb1ELb1EEENS1_16block_id_wrapperIjLb1EEEEEvT_jT0_jPNS7_10value_typeE.has_indirect_call, 0
	.section	.AMDGPU.csdata,"",@progbits
; Kernel info:
; codeLenInByte = 560
; TotalNumSgprs: 14
; NumVgprs: 8
; ScratchSize: 0
; MemoryBound: 0
; FloatMode: 240
; IeeeMode: 1
; LDSByteSize: 0 bytes/workgroup (compile time only)
; SGPRBlocks: 0
; VGPRBlocks: 0
; NumSGPRsForWavesPerEU: 14
; NumVGPRsForWavesPerEU: 8
; Occupancy: 16
; WaveLimiterHint : 0
; COMPUTE_PGM_RSRC2:SCRATCH_EN: 0
; COMPUTE_PGM_RSRC2:USER_SGPR: 6
; COMPUTE_PGM_RSRC2:TRAP_HANDLER: 0
; COMPUTE_PGM_RSRC2:TGID_X_EN: 1
; COMPUTE_PGM_RSRC2:TGID_Y_EN: 0
; COMPUTE_PGM_RSRC2:TGID_Z_EN: 0
; COMPUTE_PGM_RSRC2:TIDIG_COMP_CNT: 0
	.section	.text._ZN7rocprim17ROCPRIM_400000_NS6detail17trampoline_kernelINS0_14default_configENS1_20scan_config_selectorIdEEZZNS1_9scan_implILNS1_25lookback_scan_determinismE0ELb0ELb0ES3_PKdPddZZZN2at6native31launch_logcumsumexp_cuda_kernelERKNSB_10TensorBaseESF_lENKUlvE_clEvENKUlvE_clEvEUlddE_dEEDaPvRmT3_T4_T5_mT6_P12ihipStream_tbENKUlT_T0_E_clISt17integral_constantIbLb1EESW_EEDaSR_SS_EUlSR_E_NS1_11comp_targetILNS1_3genE0ELNS1_11target_archE4294967295ELNS1_3gpuE0ELNS1_3repE0EEENS1_30default_config_static_selectorELNS0_4arch9wavefront6targetE0EEEvT1_,"axG",@progbits,_ZN7rocprim17ROCPRIM_400000_NS6detail17trampoline_kernelINS0_14default_configENS1_20scan_config_selectorIdEEZZNS1_9scan_implILNS1_25lookback_scan_determinismE0ELb0ELb0ES3_PKdPddZZZN2at6native31launch_logcumsumexp_cuda_kernelERKNSB_10TensorBaseESF_lENKUlvE_clEvENKUlvE_clEvEUlddE_dEEDaPvRmT3_T4_T5_mT6_P12ihipStream_tbENKUlT_T0_E_clISt17integral_constantIbLb1EESW_EEDaSR_SS_EUlSR_E_NS1_11comp_targetILNS1_3genE0ELNS1_11target_archE4294967295ELNS1_3gpuE0ELNS1_3repE0EEENS1_30default_config_static_selectorELNS0_4arch9wavefront6targetE0EEEvT1_,comdat
	.globl	_ZN7rocprim17ROCPRIM_400000_NS6detail17trampoline_kernelINS0_14default_configENS1_20scan_config_selectorIdEEZZNS1_9scan_implILNS1_25lookback_scan_determinismE0ELb0ELb0ES3_PKdPddZZZN2at6native31launch_logcumsumexp_cuda_kernelERKNSB_10TensorBaseESF_lENKUlvE_clEvENKUlvE_clEvEUlddE_dEEDaPvRmT3_T4_T5_mT6_P12ihipStream_tbENKUlT_T0_E_clISt17integral_constantIbLb1EESW_EEDaSR_SS_EUlSR_E_NS1_11comp_targetILNS1_3genE0ELNS1_11target_archE4294967295ELNS1_3gpuE0ELNS1_3repE0EEENS1_30default_config_static_selectorELNS0_4arch9wavefront6targetE0EEEvT1_ ; -- Begin function _ZN7rocprim17ROCPRIM_400000_NS6detail17trampoline_kernelINS0_14default_configENS1_20scan_config_selectorIdEEZZNS1_9scan_implILNS1_25lookback_scan_determinismE0ELb0ELb0ES3_PKdPddZZZN2at6native31launch_logcumsumexp_cuda_kernelERKNSB_10TensorBaseESF_lENKUlvE_clEvENKUlvE_clEvEUlddE_dEEDaPvRmT3_T4_T5_mT6_P12ihipStream_tbENKUlT_T0_E_clISt17integral_constantIbLb1EESW_EEDaSR_SS_EUlSR_E_NS1_11comp_targetILNS1_3genE0ELNS1_11target_archE4294967295ELNS1_3gpuE0ELNS1_3repE0EEENS1_30default_config_static_selectorELNS0_4arch9wavefront6targetE0EEEvT1_
	.p2align	8
	.type	_ZN7rocprim17ROCPRIM_400000_NS6detail17trampoline_kernelINS0_14default_configENS1_20scan_config_selectorIdEEZZNS1_9scan_implILNS1_25lookback_scan_determinismE0ELb0ELb0ES3_PKdPddZZZN2at6native31launch_logcumsumexp_cuda_kernelERKNSB_10TensorBaseESF_lENKUlvE_clEvENKUlvE_clEvEUlddE_dEEDaPvRmT3_T4_T5_mT6_P12ihipStream_tbENKUlT_T0_E_clISt17integral_constantIbLb1EESW_EEDaSR_SS_EUlSR_E_NS1_11comp_targetILNS1_3genE0ELNS1_11target_archE4294967295ELNS1_3gpuE0ELNS1_3repE0EEENS1_30default_config_static_selectorELNS0_4arch9wavefront6targetE0EEEvT1_,@function
_ZN7rocprim17ROCPRIM_400000_NS6detail17trampoline_kernelINS0_14default_configENS1_20scan_config_selectorIdEEZZNS1_9scan_implILNS1_25lookback_scan_determinismE0ELb0ELb0ES3_PKdPddZZZN2at6native31launch_logcumsumexp_cuda_kernelERKNSB_10TensorBaseESF_lENKUlvE_clEvENKUlvE_clEvEUlddE_dEEDaPvRmT3_T4_T5_mT6_P12ihipStream_tbENKUlT_T0_E_clISt17integral_constantIbLb1EESW_EEDaSR_SS_EUlSR_E_NS1_11comp_targetILNS1_3genE0ELNS1_11target_archE4294967295ELNS1_3gpuE0ELNS1_3repE0EEENS1_30default_config_static_selectorELNS0_4arch9wavefront6targetE0EEEvT1_: ; @_ZN7rocprim17ROCPRIM_400000_NS6detail17trampoline_kernelINS0_14default_configENS1_20scan_config_selectorIdEEZZNS1_9scan_implILNS1_25lookback_scan_determinismE0ELb0ELb0ES3_PKdPddZZZN2at6native31launch_logcumsumexp_cuda_kernelERKNSB_10TensorBaseESF_lENKUlvE_clEvENKUlvE_clEvEUlddE_dEEDaPvRmT3_T4_T5_mT6_P12ihipStream_tbENKUlT_T0_E_clISt17integral_constantIbLb1EESW_EEDaSR_SS_EUlSR_E_NS1_11comp_targetILNS1_3genE0ELNS1_11target_archE4294967295ELNS1_3gpuE0ELNS1_3repE0EEENS1_30default_config_static_selectorELNS0_4arch9wavefront6targetE0EEEvT1_
; %bb.0:
	.section	.rodata,"a",@progbits
	.p2align	6, 0x0
	.amdhsa_kernel _ZN7rocprim17ROCPRIM_400000_NS6detail17trampoline_kernelINS0_14default_configENS1_20scan_config_selectorIdEEZZNS1_9scan_implILNS1_25lookback_scan_determinismE0ELb0ELb0ES3_PKdPddZZZN2at6native31launch_logcumsumexp_cuda_kernelERKNSB_10TensorBaseESF_lENKUlvE_clEvENKUlvE_clEvEUlddE_dEEDaPvRmT3_T4_T5_mT6_P12ihipStream_tbENKUlT_T0_E_clISt17integral_constantIbLb1EESW_EEDaSR_SS_EUlSR_E_NS1_11comp_targetILNS1_3genE0ELNS1_11target_archE4294967295ELNS1_3gpuE0ELNS1_3repE0EEENS1_30default_config_static_selectorELNS0_4arch9wavefront6targetE0EEEvT1_
		.amdhsa_group_segment_fixed_size 0
		.amdhsa_private_segment_fixed_size 0
		.amdhsa_kernarg_size 104
		.amdhsa_user_sgpr_count 6
		.amdhsa_user_sgpr_private_segment_buffer 1
		.amdhsa_user_sgpr_dispatch_ptr 0
		.amdhsa_user_sgpr_queue_ptr 0
		.amdhsa_user_sgpr_kernarg_segment_ptr 1
		.amdhsa_user_sgpr_dispatch_id 0
		.amdhsa_user_sgpr_flat_scratch_init 0
		.amdhsa_user_sgpr_private_segment_size 0
		.amdhsa_wavefront_size32 1
		.amdhsa_uses_dynamic_stack 0
		.amdhsa_system_sgpr_private_segment_wavefront_offset 0
		.amdhsa_system_sgpr_workgroup_id_x 1
		.amdhsa_system_sgpr_workgroup_id_y 0
		.amdhsa_system_sgpr_workgroup_id_z 0
		.amdhsa_system_sgpr_workgroup_info 0
		.amdhsa_system_vgpr_workitem_id 0
		.amdhsa_next_free_vgpr 1
		.amdhsa_next_free_sgpr 1
		.amdhsa_reserve_vcc 0
		.amdhsa_reserve_flat_scratch 0
		.amdhsa_float_round_mode_32 0
		.amdhsa_float_round_mode_16_64 0
		.amdhsa_float_denorm_mode_32 3
		.amdhsa_float_denorm_mode_16_64 3
		.amdhsa_dx10_clamp 1
		.amdhsa_ieee_mode 1
		.amdhsa_fp16_overflow 0
		.amdhsa_workgroup_processor_mode 1
		.amdhsa_memory_ordered 1
		.amdhsa_forward_progress 1
		.amdhsa_shared_vgpr_count 0
		.amdhsa_exception_fp_ieee_invalid_op 0
		.amdhsa_exception_fp_denorm_src 0
		.amdhsa_exception_fp_ieee_div_zero 0
		.amdhsa_exception_fp_ieee_overflow 0
		.amdhsa_exception_fp_ieee_underflow 0
		.amdhsa_exception_fp_ieee_inexact 0
		.amdhsa_exception_int_div_zero 0
	.end_amdhsa_kernel
	.section	.text._ZN7rocprim17ROCPRIM_400000_NS6detail17trampoline_kernelINS0_14default_configENS1_20scan_config_selectorIdEEZZNS1_9scan_implILNS1_25lookback_scan_determinismE0ELb0ELb0ES3_PKdPddZZZN2at6native31launch_logcumsumexp_cuda_kernelERKNSB_10TensorBaseESF_lENKUlvE_clEvENKUlvE_clEvEUlddE_dEEDaPvRmT3_T4_T5_mT6_P12ihipStream_tbENKUlT_T0_E_clISt17integral_constantIbLb1EESW_EEDaSR_SS_EUlSR_E_NS1_11comp_targetILNS1_3genE0ELNS1_11target_archE4294967295ELNS1_3gpuE0ELNS1_3repE0EEENS1_30default_config_static_selectorELNS0_4arch9wavefront6targetE0EEEvT1_,"axG",@progbits,_ZN7rocprim17ROCPRIM_400000_NS6detail17trampoline_kernelINS0_14default_configENS1_20scan_config_selectorIdEEZZNS1_9scan_implILNS1_25lookback_scan_determinismE0ELb0ELb0ES3_PKdPddZZZN2at6native31launch_logcumsumexp_cuda_kernelERKNSB_10TensorBaseESF_lENKUlvE_clEvENKUlvE_clEvEUlddE_dEEDaPvRmT3_T4_T5_mT6_P12ihipStream_tbENKUlT_T0_E_clISt17integral_constantIbLb1EESW_EEDaSR_SS_EUlSR_E_NS1_11comp_targetILNS1_3genE0ELNS1_11target_archE4294967295ELNS1_3gpuE0ELNS1_3repE0EEENS1_30default_config_static_selectorELNS0_4arch9wavefront6targetE0EEEvT1_,comdat
.Lfunc_end28:
	.size	_ZN7rocprim17ROCPRIM_400000_NS6detail17trampoline_kernelINS0_14default_configENS1_20scan_config_selectorIdEEZZNS1_9scan_implILNS1_25lookback_scan_determinismE0ELb0ELb0ES3_PKdPddZZZN2at6native31launch_logcumsumexp_cuda_kernelERKNSB_10TensorBaseESF_lENKUlvE_clEvENKUlvE_clEvEUlddE_dEEDaPvRmT3_T4_T5_mT6_P12ihipStream_tbENKUlT_T0_E_clISt17integral_constantIbLb1EESW_EEDaSR_SS_EUlSR_E_NS1_11comp_targetILNS1_3genE0ELNS1_11target_archE4294967295ELNS1_3gpuE0ELNS1_3repE0EEENS1_30default_config_static_selectorELNS0_4arch9wavefront6targetE0EEEvT1_, .Lfunc_end28-_ZN7rocprim17ROCPRIM_400000_NS6detail17trampoline_kernelINS0_14default_configENS1_20scan_config_selectorIdEEZZNS1_9scan_implILNS1_25lookback_scan_determinismE0ELb0ELb0ES3_PKdPddZZZN2at6native31launch_logcumsumexp_cuda_kernelERKNSB_10TensorBaseESF_lENKUlvE_clEvENKUlvE_clEvEUlddE_dEEDaPvRmT3_T4_T5_mT6_P12ihipStream_tbENKUlT_T0_E_clISt17integral_constantIbLb1EESW_EEDaSR_SS_EUlSR_E_NS1_11comp_targetILNS1_3genE0ELNS1_11target_archE4294967295ELNS1_3gpuE0ELNS1_3repE0EEENS1_30default_config_static_selectorELNS0_4arch9wavefront6targetE0EEEvT1_
                                        ; -- End function
	.set _ZN7rocprim17ROCPRIM_400000_NS6detail17trampoline_kernelINS0_14default_configENS1_20scan_config_selectorIdEEZZNS1_9scan_implILNS1_25lookback_scan_determinismE0ELb0ELb0ES3_PKdPddZZZN2at6native31launch_logcumsumexp_cuda_kernelERKNSB_10TensorBaseESF_lENKUlvE_clEvENKUlvE_clEvEUlddE_dEEDaPvRmT3_T4_T5_mT6_P12ihipStream_tbENKUlT_T0_E_clISt17integral_constantIbLb1EESW_EEDaSR_SS_EUlSR_E_NS1_11comp_targetILNS1_3genE0ELNS1_11target_archE4294967295ELNS1_3gpuE0ELNS1_3repE0EEENS1_30default_config_static_selectorELNS0_4arch9wavefront6targetE0EEEvT1_.num_vgpr, 0
	.set _ZN7rocprim17ROCPRIM_400000_NS6detail17trampoline_kernelINS0_14default_configENS1_20scan_config_selectorIdEEZZNS1_9scan_implILNS1_25lookback_scan_determinismE0ELb0ELb0ES3_PKdPddZZZN2at6native31launch_logcumsumexp_cuda_kernelERKNSB_10TensorBaseESF_lENKUlvE_clEvENKUlvE_clEvEUlddE_dEEDaPvRmT3_T4_T5_mT6_P12ihipStream_tbENKUlT_T0_E_clISt17integral_constantIbLb1EESW_EEDaSR_SS_EUlSR_E_NS1_11comp_targetILNS1_3genE0ELNS1_11target_archE4294967295ELNS1_3gpuE0ELNS1_3repE0EEENS1_30default_config_static_selectorELNS0_4arch9wavefront6targetE0EEEvT1_.num_agpr, 0
	.set _ZN7rocprim17ROCPRIM_400000_NS6detail17trampoline_kernelINS0_14default_configENS1_20scan_config_selectorIdEEZZNS1_9scan_implILNS1_25lookback_scan_determinismE0ELb0ELb0ES3_PKdPddZZZN2at6native31launch_logcumsumexp_cuda_kernelERKNSB_10TensorBaseESF_lENKUlvE_clEvENKUlvE_clEvEUlddE_dEEDaPvRmT3_T4_T5_mT6_P12ihipStream_tbENKUlT_T0_E_clISt17integral_constantIbLb1EESW_EEDaSR_SS_EUlSR_E_NS1_11comp_targetILNS1_3genE0ELNS1_11target_archE4294967295ELNS1_3gpuE0ELNS1_3repE0EEENS1_30default_config_static_selectorELNS0_4arch9wavefront6targetE0EEEvT1_.numbered_sgpr, 0
	.set _ZN7rocprim17ROCPRIM_400000_NS6detail17trampoline_kernelINS0_14default_configENS1_20scan_config_selectorIdEEZZNS1_9scan_implILNS1_25lookback_scan_determinismE0ELb0ELb0ES3_PKdPddZZZN2at6native31launch_logcumsumexp_cuda_kernelERKNSB_10TensorBaseESF_lENKUlvE_clEvENKUlvE_clEvEUlddE_dEEDaPvRmT3_T4_T5_mT6_P12ihipStream_tbENKUlT_T0_E_clISt17integral_constantIbLb1EESW_EEDaSR_SS_EUlSR_E_NS1_11comp_targetILNS1_3genE0ELNS1_11target_archE4294967295ELNS1_3gpuE0ELNS1_3repE0EEENS1_30default_config_static_selectorELNS0_4arch9wavefront6targetE0EEEvT1_.num_named_barrier, 0
	.set _ZN7rocprim17ROCPRIM_400000_NS6detail17trampoline_kernelINS0_14default_configENS1_20scan_config_selectorIdEEZZNS1_9scan_implILNS1_25lookback_scan_determinismE0ELb0ELb0ES3_PKdPddZZZN2at6native31launch_logcumsumexp_cuda_kernelERKNSB_10TensorBaseESF_lENKUlvE_clEvENKUlvE_clEvEUlddE_dEEDaPvRmT3_T4_T5_mT6_P12ihipStream_tbENKUlT_T0_E_clISt17integral_constantIbLb1EESW_EEDaSR_SS_EUlSR_E_NS1_11comp_targetILNS1_3genE0ELNS1_11target_archE4294967295ELNS1_3gpuE0ELNS1_3repE0EEENS1_30default_config_static_selectorELNS0_4arch9wavefront6targetE0EEEvT1_.private_seg_size, 0
	.set _ZN7rocprim17ROCPRIM_400000_NS6detail17trampoline_kernelINS0_14default_configENS1_20scan_config_selectorIdEEZZNS1_9scan_implILNS1_25lookback_scan_determinismE0ELb0ELb0ES3_PKdPddZZZN2at6native31launch_logcumsumexp_cuda_kernelERKNSB_10TensorBaseESF_lENKUlvE_clEvENKUlvE_clEvEUlddE_dEEDaPvRmT3_T4_T5_mT6_P12ihipStream_tbENKUlT_T0_E_clISt17integral_constantIbLb1EESW_EEDaSR_SS_EUlSR_E_NS1_11comp_targetILNS1_3genE0ELNS1_11target_archE4294967295ELNS1_3gpuE0ELNS1_3repE0EEENS1_30default_config_static_selectorELNS0_4arch9wavefront6targetE0EEEvT1_.uses_vcc, 0
	.set _ZN7rocprim17ROCPRIM_400000_NS6detail17trampoline_kernelINS0_14default_configENS1_20scan_config_selectorIdEEZZNS1_9scan_implILNS1_25lookback_scan_determinismE0ELb0ELb0ES3_PKdPddZZZN2at6native31launch_logcumsumexp_cuda_kernelERKNSB_10TensorBaseESF_lENKUlvE_clEvENKUlvE_clEvEUlddE_dEEDaPvRmT3_T4_T5_mT6_P12ihipStream_tbENKUlT_T0_E_clISt17integral_constantIbLb1EESW_EEDaSR_SS_EUlSR_E_NS1_11comp_targetILNS1_3genE0ELNS1_11target_archE4294967295ELNS1_3gpuE0ELNS1_3repE0EEENS1_30default_config_static_selectorELNS0_4arch9wavefront6targetE0EEEvT1_.uses_flat_scratch, 0
	.set _ZN7rocprim17ROCPRIM_400000_NS6detail17trampoline_kernelINS0_14default_configENS1_20scan_config_selectorIdEEZZNS1_9scan_implILNS1_25lookback_scan_determinismE0ELb0ELb0ES3_PKdPddZZZN2at6native31launch_logcumsumexp_cuda_kernelERKNSB_10TensorBaseESF_lENKUlvE_clEvENKUlvE_clEvEUlddE_dEEDaPvRmT3_T4_T5_mT6_P12ihipStream_tbENKUlT_T0_E_clISt17integral_constantIbLb1EESW_EEDaSR_SS_EUlSR_E_NS1_11comp_targetILNS1_3genE0ELNS1_11target_archE4294967295ELNS1_3gpuE0ELNS1_3repE0EEENS1_30default_config_static_selectorELNS0_4arch9wavefront6targetE0EEEvT1_.has_dyn_sized_stack, 0
	.set _ZN7rocprim17ROCPRIM_400000_NS6detail17trampoline_kernelINS0_14default_configENS1_20scan_config_selectorIdEEZZNS1_9scan_implILNS1_25lookback_scan_determinismE0ELb0ELb0ES3_PKdPddZZZN2at6native31launch_logcumsumexp_cuda_kernelERKNSB_10TensorBaseESF_lENKUlvE_clEvENKUlvE_clEvEUlddE_dEEDaPvRmT3_T4_T5_mT6_P12ihipStream_tbENKUlT_T0_E_clISt17integral_constantIbLb1EESW_EEDaSR_SS_EUlSR_E_NS1_11comp_targetILNS1_3genE0ELNS1_11target_archE4294967295ELNS1_3gpuE0ELNS1_3repE0EEENS1_30default_config_static_selectorELNS0_4arch9wavefront6targetE0EEEvT1_.has_recursion, 0
	.set _ZN7rocprim17ROCPRIM_400000_NS6detail17trampoline_kernelINS0_14default_configENS1_20scan_config_selectorIdEEZZNS1_9scan_implILNS1_25lookback_scan_determinismE0ELb0ELb0ES3_PKdPddZZZN2at6native31launch_logcumsumexp_cuda_kernelERKNSB_10TensorBaseESF_lENKUlvE_clEvENKUlvE_clEvEUlddE_dEEDaPvRmT3_T4_T5_mT6_P12ihipStream_tbENKUlT_T0_E_clISt17integral_constantIbLb1EESW_EEDaSR_SS_EUlSR_E_NS1_11comp_targetILNS1_3genE0ELNS1_11target_archE4294967295ELNS1_3gpuE0ELNS1_3repE0EEENS1_30default_config_static_selectorELNS0_4arch9wavefront6targetE0EEEvT1_.has_indirect_call, 0
	.section	.AMDGPU.csdata,"",@progbits
; Kernel info:
; codeLenInByte = 0
; TotalNumSgprs: 0
; NumVgprs: 0
; ScratchSize: 0
; MemoryBound: 0
; FloatMode: 240
; IeeeMode: 1
; LDSByteSize: 0 bytes/workgroup (compile time only)
; SGPRBlocks: 0
; VGPRBlocks: 0
; NumSGPRsForWavesPerEU: 1
; NumVGPRsForWavesPerEU: 1
; Occupancy: 16
; WaveLimiterHint : 0
; COMPUTE_PGM_RSRC2:SCRATCH_EN: 0
; COMPUTE_PGM_RSRC2:USER_SGPR: 6
; COMPUTE_PGM_RSRC2:TRAP_HANDLER: 0
; COMPUTE_PGM_RSRC2:TGID_X_EN: 1
; COMPUTE_PGM_RSRC2:TGID_Y_EN: 0
; COMPUTE_PGM_RSRC2:TGID_Z_EN: 0
; COMPUTE_PGM_RSRC2:TIDIG_COMP_CNT: 0
	.section	.text._ZN7rocprim17ROCPRIM_400000_NS6detail17trampoline_kernelINS0_14default_configENS1_20scan_config_selectorIdEEZZNS1_9scan_implILNS1_25lookback_scan_determinismE0ELb0ELb0ES3_PKdPddZZZN2at6native31launch_logcumsumexp_cuda_kernelERKNSB_10TensorBaseESF_lENKUlvE_clEvENKUlvE_clEvEUlddE_dEEDaPvRmT3_T4_T5_mT6_P12ihipStream_tbENKUlT_T0_E_clISt17integral_constantIbLb1EESW_EEDaSR_SS_EUlSR_E_NS1_11comp_targetILNS1_3genE5ELNS1_11target_archE942ELNS1_3gpuE9ELNS1_3repE0EEENS1_30default_config_static_selectorELNS0_4arch9wavefront6targetE0EEEvT1_,"axG",@progbits,_ZN7rocprim17ROCPRIM_400000_NS6detail17trampoline_kernelINS0_14default_configENS1_20scan_config_selectorIdEEZZNS1_9scan_implILNS1_25lookback_scan_determinismE0ELb0ELb0ES3_PKdPddZZZN2at6native31launch_logcumsumexp_cuda_kernelERKNSB_10TensorBaseESF_lENKUlvE_clEvENKUlvE_clEvEUlddE_dEEDaPvRmT3_T4_T5_mT6_P12ihipStream_tbENKUlT_T0_E_clISt17integral_constantIbLb1EESW_EEDaSR_SS_EUlSR_E_NS1_11comp_targetILNS1_3genE5ELNS1_11target_archE942ELNS1_3gpuE9ELNS1_3repE0EEENS1_30default_config_static_selectorELNS0_4arch9wavefront6targetE0EEEvT1_,comdat
	.globl	_ZN7rocprim17ROCPRIM_400000_NS6detail17trampoline_kernelINS0_14default_configENS1_20scan_config_selectorIdEEZZNS1_9scan_implILNS1_25lookback_scan_determinismE0ELb0ELb0ES3_PKdPddZZZN2at6native31launch_logcumsumexp_cuda_kernelERKNSB_10TensorBaseESF_lENKUlvE_clEvENKUlvE_clEvEUlddE_dEEDaPvRmT3_T4_T5_mT6_P12ihipStream_tbENKUlT_T0_E_clISt17integral_constantIbLb1EESW_EEDaSR_SS_EUlSR_E_NS1_11comp_targetILNS1_3genE5ELNS1_11target_archE942ELNS1_3gpuE9ELNS1_3repE0EEENS1_30default_config_static_selectorELNS0_4arch9wavefront6targetE0EEEvT1_ ; -- Begin function _ZN7rocprim17ROCPRIM_400000_NS6detail17trampoline_kernelINS0_14default_configENS1_20scan_config_selectorIdEEZZNS1_9scan_implILNS1_25lookback_scan_determinismE0ELb0ELb0ES3_PKdPddZZZN2at6native31launch_logcumsumexp_cuda_kernelERKNSB_10TensorBaseESF_lENKUlvE_clEvENKUlvE_clEvEUlddE_dEEDaPvRmT3_T4_T5_mT6_P12ihipStream_tbENKUlT_T0_E_clISt17integral_constantIbLb1EESW_EEDaSR_SS_EUlSR_E_NS1_11comp_targetILNS1_3genE5ELNS1_11target_archE942ELNS1_3gpuE9ELNS1_3repE0EEENS1_30default_config_static_selectorELNS0_4arch9wavefront6targetE0EEEvT1_
	.p2align	8
	.type	_ZN7rocprim17ROCPRIM_400000_NS6detail17trampoline_kernelINS0_14default_configENS1_20scan_config_selectorIdEEZZNS1_9scan_implILNS1_25lookback_scan_determinismE0ELb0ELb0ES3_PKdPddZZZN2at6native31launch_logcumsumexp_cuda_kernelERKNSB_10TensorBaseESF_lENKUlvE_clEvENKUlvE_clEvEUlddE_dEEDaPvRmT3_T4_T5_mT6_P12ihipStream_tbENKUlT_T0_E_clISt17integral_constantIbLb1EESW_EEDaSR_SS_EUlSR_E_NS1_11comp_targetILNS1_3genE5ELNS1_11target_archE942ELNS1_3gpuE9ELNS1_3repE0EEENS1_30default_config_static_selectorELNS0_4arch9wavefront6targetE0EEEvT1_,@function
_ZN7rocprim17ROCPRIM_400000_NS6detail17trampoline_kernelINS0_14default_configENS1_20scan_config_selectorIdEEZZNS1_9scan_implILNS1_25lookback_scan_determinismE0ELb0ELb0ES3_PKdPddZZZN2at6native31launch_logcumsumexp_cuda_kernelERKNSB_10TensorBaseESF_lENKUlvE_clEvENKUlvE_clEvEUlddE_dEEDaPvRmT3_T4_T5_mT6_P12ihipStream_tbENKUlT_T0_E_clISt17integral_constantIbLb1EESW_EEDaSR_SS_EUlSR_E_NS1_11comp_targetILNS1_3genE5ELNS1_11target_archE942ELNS1_3gpuE9ELNS1_3repE0EEENS1_30default_config_static_selectorELNS0_4arch9wavefront6targetE0EEEvT1_: ; @_ZN7rocprim17ROCPRIM_400000_NS6detail17trampoline_kernelINS0_14default_configENS1_20scan_config_selectorIdEEZZNS1_9scan_implILNS1_25lookback_scan_determinismE0ELb0ELb0ES3_PKdPddZZZN2at6native31launch_logcumsumexp_cuda_kernelERKNSB_10TensorBaseESF_lENKUlvE_clEvENKUlvE_clEvEUlddE_dEEDaPvRmT3_T4_T5_mT6_P12ihipStream_tbENKUlT_T0_E_clISt17integral_constantIbLb1EESW_EEDaSR_SS_EUlSR_E_NS1_11comp_targetILNS1_3genE5ELNS1_11target_archE942ELNS1_3gpuE9ELNS1_3repE0EEENS1_30default_config_static_selectorELNS0_4arch9wavefront6targetE0EEEvT1_
; %bb.0:
	.section	.rodata,"a",@progbits
	.p2align	6, 0x0
	.amdhsa_kernel _ZN7rocprim17ROCPRIM_400000_NS6detail17trampoline_kernelINS0_14default_configENS1_20scan_config_selectorIdEEZZNS1_9scan_implILNS1_25lookback_scan_determinismE0ELb0ELb0ES3_PKdPddZZZN2at6native31launch_logcumsumexp_cuda_kernelERKNSB_10TensorBaseESF_lENKUlvE_clEvENKUlvE_clEvEUlddE_dEEDaPvRmT3_T4_T5_mT6_P12ihipStream_tbENKUlT_T0_E_clISt17integral_constantIbLb1EESW_EEDaSR_SS_EUlSR_E_NS1_11comp_targetILNS1_3genE5ELNS1_11target_archE942ELNS1_3gpuE9ELNS1_3repE0EEENS1_30default_config_static_selectorELNS0_4arch9wavefront6targetE0EEEvT1_
		.amdhsa_group_segment_fixed_size 0
		.amdhsa_private_segment_fixed_size 0
		.amdhsa_kernarg_size 104
		.amdhsa_user_sgpr_count 6
		.amdhsa_user_sgpr_private_segment_buffer 1
		.amdhsa_user_sgpr_dispatch_ptr 0
		.amdhsa_user_sgpr_queue_ptr 0
		.amdhsa_user_sgpr_kernarg_segment_ptr 1
		.amdhsa_user_sgpr_dispatch_id 0
		.amdhsa_user_sgpr_flat_scratch_init 0
		.amdhsa_user_sgpr_private_segment_size 0
		.amdhsa_wavefront_size32 1
		.amdhsa_uses_dynamic_stack 0
		.amdhsa_system_sgpr_private_segment_wavefront_offset 0
		.amdhsa_system_sgpr_workgroup_id_x 1
		.amdhsa_system_sgpr_workgroup_id_y 0
		.amdhsa_system_sgpr_workgroup_id_z 0
		.amdhsa_system_sgpr_workgroup_info 0
		.amdhsa_system_vgpr_workitem_id 0
		.amdhsa_next_free_vgpr 1
		.amdhsa_next_free_sgpr 1
		.amdhsa_reserve_vcc 0
		.amdhsa_reserve_flat_scratch 0
		.amdhsa_float_round_mode_32 0
		.amdhsa_float_round_mode_16_64 0
		.amdhsa_float_denorm_mode_32 3
		.amdhsa_float_denorm_mode_16_64 3
		.amdhsa_dx10_clamp 1
		.amdhsa_ieee_mode 1
		.amdhsa_fp16_overflow 0
		.amdhsa_workgroup_processor_mode 1
		.amdhsa_memory_ordered 1
		.amdhsa_forward_progress 1
		.amdhsa_shared_vgpr_count 0
		.amdhsa_exception_fp_ieee_invalid_op 0
		.amdhsa_exception_fp_denorm_src 0
		.amdhsa_exception_fp_ieee_div_zero 0
		.amdhsa_exception_fp_ieee_overflow 0
		.amdhsa_exception_fp_ieee_underflow 0
		.amdhsa_exception_fp_ieee_inexact 0
		.amdhsa_exception_int_div_zero 0
	.end_amdhsa_kernel
	.section	.text._ZN7rocprim17ROCPRIM_400000_NS6detail17trampoline_kernelINS0_14default_configENS1_20scan_config_selectorIdEEZZNS1_9scan_implILNS1_25lookback_scan_determinismE0ELb0ELb0ES3_PKdPddZZZN2at6native31launch_logcumsumexp_cuda_kernelERKNSB_10TensorBaseESF_lENKUlvE_clEvENKUlvE_clEvEUlddE_dEEDaPvRmT3_T4_T5_mT6_P12ihipStream_tbENKUlT_T0_E_clISt17integral_constantIbLb1EESW_EEDaSR_SS_EUlSR_E_NS1_11comp_targetILNS1_3genE5ELNS1_11target_archE942ELNS1_3gpuE9ELNS1_3repE0EEENS1_30default_config_static_selectorELNS0_4arch9wavefront6targetE0EEEvT1_,"axG",@progbits,_ZN7rocprim17ROCPRIM_400000_NS6detail17trampoline_kernelINS0_14default_configENS1_20scan_config_selectorIdEEZZNS1_9scan_implILNS1_25lookback_scan_determinismE0ELb0ELb0ES3_PKdPddZZZN2at6native31launch_logcumsumexp_cuda_kernelERKNSB_10TensorBaseESF_lENKUlvE_clEvENKUlvE_clEvEUlddE_dEEDaPvRmT3_T4_T5_mT6_P12ihipStream_tbENKUlT_T0_E_clISt17integral_constantIbLb1EESW_EEDaSR_SS_EUlSR_E_NS1_11comp_targetILNS1_3genE5ELNS1_11target_archE942ELNS1_3gpuE9ELNS1_3repE0EEENS1_30default_config_static_selectorELNS0_4arch9wavefront6targetE0EEEvT1_,comdat
.Lfunc_end29:
	.size	_ZN7rocprim17ROCPRIM_400000_NS6detail17trampoline_kernelINS0_14default_configENS1_20scan_config_selectorIdEEZZNS1_9scan_implILNS1_25lookback_scan_determinismE0ELb0ELb0ES3_PKdPddZZZN2at6native31launch_logcumsumexp_cuda_kernelERKNSB_10TensorBaseESF_lENKUlvE_clEvENKUlvE_clEvEUlddE_dEEDaPvRmT3_T4_T5_mT6_P12ihipStream_tbENKUlT_T0_E_clISt17integral_constantIbLb1EESW_EEDaSR_SS_EUlSR_E_NS1_11comp_targetILNS1_3genE5ELNS1_11target_archE942ELNS1_3gpuE9ELNS1_3repE0EEENS1_30default_config_static_selectorELNS0_4arch9wavefront6targetE0EEEvT1_, .Lfunc_end29-_ZN7rocprim17ROCPRIM_400000_NS6detail17trampoline_kernelINS0_14default_configENS1_20scan_config_selectorIdEEZZNS1_9scan_implILNS1_25lookback_scan_determinismE0ELb0ELb0ES3_PKdPddZZZN2at6native31launch_logcumsumexp_cuda_kernelERKNSB_10TensorBaseESF_lENKUlvE_clEvENKUlvE_clEvEUlddE_dEEDaPvRmT3_T4_T5_mT6_P12ihipStream_tbENKUlT_T0_E_clISt17integral_constantIbLb1EESW_EEDaSR_SS_EUlSR_E_NS1_11comp_targetILNS1_3genE5ELNS1_11target_archE942ELNS1_3gpuE9ELNS1_3repE0EEENS1_30default_config_static_selectorELNS0_4arch9wavefront6targetE0EEEvT1_
                                        ; -- End function
	.set _ZN7rocprim17ROCPRIM_400000_NS6detail17trampoline_kernelINS0_14default_configENS1_20scan_config_selectorIdEEZZNS1_9scan_implILNS1_25lookback_scan_determinismE0ELb0ELb0ES3_PKdPddZZZN2at6native31launch_logcumsumexp_cuda_kernelERKNSB_10TensorBaseESF_lENKUlvE_clEvENKUlvE_clEvEUlddE_dEEDaPvRmT3_T4_T5_mT6_P12ihipStream_tbENKUlT_T0_E_clISt17integral_constantIbLb1EESW_EEDaSR_SS_EUlSR_E_NS1_11comp_targetILNS1_3genE5ELNS1_11target_archE942ELNS1_3gpuE9ELNS1_3repE0EEENS1_30default_config_static_selectorELNS0_4arch9wavefront6targetE0EEEvT1_.num_vgpr, 0
	.set _ZN7rocprim17ROCPRIM_400000_NS6detail17trampoline_kernelINS0_14default_configENS1_20scan_config_selectorIdEEZZNS1_9scan_implILNS1_25lookback_scan_determinismE0ELb0ELb0ES3_PKdPddZZZN2at6native31launch_logcumsumexp_cuda_kernelERKNSB_10TensorBaseESF_lENKUlvE_clEvENKUlvE_clEvEUlddE_dEEDaPvRmT3_T4_T5_mT6_P12ihipStream_tbENKUlT_T0_E_clISt17integral_constantIbLb1EESW_EEDaSR_SS_EUlSR_E_NS1_11comp_targetILNS1_3genE5ELNS1_11target_archE942ELNS1_3gpuE9ELNS1_3repE0EEENS1_30default_config_static_selectorELNS0_4arch9wavefront6targetE0EEEvT1_.num_agpr, 0
	.set _ZN7rocprim17ROCPRIM_400000_NS6detail17trampoline_kernelINS0_14default_configENS1_20scan_config_selectorIdEEZZNS1_9scan_implILNS1_25lookback_scan_determinismE0ELb0ELb0ES3_PKdPddZZZN2at6native31launch_logcumsumexp_cuda_kernelERKNSB_10TensorBaseESF_lENKUlvE_clEvENKUlvE_clEvEUlddE_dEEDaPvRmT3_T4_T5_mT6_P12ihipStream_tbENKUlT_T0_E_clISt17integral_constantIbLb1EESW_EEDaSR_SS_EUlSR_E_NS1_11comp_targetILNS1_3genE5ELNS1_11target_archE942ELNS1_3gpuE9ELNS1_3repE0EEENS1_30default_config_static_selectorELNS0_4arch9wavefront6targetE0EEEvT1_.numbered_sgpr, 0
	.set _ZN7rocprim17ROCPRIM_400000_NS6detail17trampoline_kernelINS0_14default_configENS1_20scan_config_selectorIdEEZZNS1_9scan_implILNS1_25lookback_scan_determinismE0ELb0ELb0ES3_PKdPddZZZN2at6native31launch_logcumsumexp_cuda_kernelERKNSB_10TensorBaseESF_lENKUlvE_clEvENKUlvE_clEvEUlddE_dEEDaPvRmT3_T4_T5_mT6_P12ihipStream_tbENKUlT_T0_E_clISt17integral_constantIbLb1EESW_EEDaSR_SS_EUlSR_E_NS1_11comp_targetILNS1_3genE5ELNS1_11target_archE942ELNS1_3gpuE9ELNS1_3repE0EEENS1_30default_config_static_selectorELNS0_4arch9wavefront6targetE0EEEvT1_.num_named_barrier, 0
	.set _ZN7rocprim17ROCPRIM_400000_NS6detail17trampoline_kernelINS0_14default_configENS1_20scan_config_selectorIdEEZZNS1_9scan_implILNS1_25lookback_scan_determinismE0ELb0ELb0ES3_PKdPddZZZN2at6native31launch_logcumsumexp_cuda_kernelERKNSB_10TensorBaseESF_lENKUlvE_clEvENKUlvE_clEvEUlddE_dEEDaPvRmT3_T4_T5_mT6_P12ihipStream_tbENKUlT_T0_E_clISt17integral_constantIbLb1EESW_EEDaSR_SS_EUlSR_E_NS1_11comp_targetILNS1_3genE5ELNS1_11target_archE942ELNS1_3gpuE9ELNS1_3repE0EEENS1_30default_config_static_selectorELNS0_4arch9wavefront6targetE0EEEvT1_.private_seg_size, 0
	.set _ZN7rocprim17ROCPRIM_400000_NS6detail17trampoline_kernelINS0_14default_configENS1_20scan_config_selectorIdEEZZNS1_9scan_implILNS1_25lookback_scan_determinismE0ELb0ELb0ES3_PKdPddZZZN2at6native31launch_logcumsumexp_cuda_kernelERKNSB_10TensorBaseESF_lENKUlvE_clEvENKUlvE_clEvEUlddE_dEEDaPvRmT3_T4_T5_mT6_P12ihipStream_tbENKUlT_T0_E_clISt17integral_constantIbLb1EESW_EEDaSR_SS_EUlSR_E_NS1_11comp_targetILNS1_3genE5ELNS1_11target_archE942ELNS1_3gpuE9ELNS1_3repE0EEENS1_30default_config_static_selectorELNS0_4arch9wavefront6targetE0EEEvT1_.uses_vcc, 0
	.set _ZN7rocprim17ROCPRIM_400000_NS6detail17trampoline_kernelINS0_14default_configENS1_20scan_config_selectorIdEEZZNS1_9scan_implILNS1_25lookback_scan_determinismE0ELb0ELb0ES3_PKdPddZZZN2at6native31launch_logcumsumexp_cuda_kernelERKNSB_10TensorBaseESF_lENKUlvE_clEvENKUlvE_clEvEUlddE_dEEDaPvRmT3_T4_T5_mT6_P12ihipStream_tbENKUlT_T0_E_clISt17integral_constantIbLb1EESW_EEDaSR_SS_EUlSR_E_NS1_11comp_targetILNS1_3genE5ELNS1_11target_archE942ELNS1_3gpuE9ELNS1_3repE0EEENS1_30default_config_static_selectorELNS0_4arch9wavefront6targetE0EEEvT1_.uses_flat_scratch, 0
	.set _ZN7rocprim17ROCPRIM_400000_NS6detail17trampoline_kernelINS0_14default_configENS1_20scan_config_selectorIdEEZZNS1_9scan_implILNS1_25lookback_scan_determinismE0ELb0ELb0ES3_PKdPddZZZN2at6native31launch_logcumsumexp_cuda_kernelERKNSB_10TensorBaseESF_lENKUlvE_clEvENKUlvE_clEvEUlddE_dEEDaPvRmT3_T4_T5_mT6_P12ihipStream_tbENKUlT_T0_E_clISt17integral_constantIbLb1EESW_EEDaSR_SS_EUlSR_E_NS1_11comp_targetILNS1_3genE5ELNS1_11target_archE942ELNS1_3gpuE9ELNS1_3repE0EEENS1_30default_config_static_selectorELNS0_4arch9wavefront6targetE0EEEvT1_.has_dyn_sized_stack, 0
	.set _ZN7rocprim17ROCPRIM_400000_NS6detail17trampoline_kernelINS0_14default_configENS1_20scan_config_selectorIdEEZZNS1_9scan_implILNS1_25lookback_scan_determinismE0ELb0ELb0ES3_PKdPddZZZN2at6native31launch_logcumsumexp_cuda_kernelERKNSB_10TensorBaseESF_lENKUlvE_clEvENKUlvE_clEvEUlddE_dEEDaPvRmT3_T4_T5_mT6_P12ihipStream_tbENKUlT_T0_E_clISt17integral_constantIbLb1EESW_EEDaSR_SS_EUlSR_E_NS1_11comp_targetILNS1_3genE5ELNS1_11target_archE942ELNS1_3gpuE9ELNS1_3repE0EEENS1_30default_config_static_selectorELNS0_4arch9wavefront6targetE0EEEvT1_.has_recursion, 0
	.set _ZN7rocprim17ROCPRIM_400000_NS6detail17trampoline_kernelINS0_14default_configENS1_20scan_config_selectorIdEEZZNS1_9scan_implILNS1_25lookback_scan_determinismE0ELb0ELb0ES3_PKdPddZZZN2at6native31launch_logcumsumexp_cuda_kernelERKNSB_10TensorBaseESF_lENKUlvE_clEvENKUlvE_clEvEUlddE_dEEDaPvRmT3_T4_T5_mT6_P12ihipStream_tbENKUlT_T0_E_clISt17integral_constantIbLb1EESW_EEDaSR_SS_EUlSR_E_NS1_11comp_targetILNS1_3genE5ELNS1_11target_archE942ELNS1_3gpuE9ELNS1_3repE0EEENS1_30default_config_static_selectorELNS0_4arch9wavefront6targetE0EEEvT1_.has_indirect_call, 0
	.section	.AMDGPU.csdata,"",@progbits
; Kernel info:
; codeLenInByte = 0
; TotalNumSgprs: 0
; NumVgprs: 0
; ScratchSize: 0
; MemoryBound: 0
; FloatMode: 240
; IeeeMode: 1
; LDSByteSize: 0 bytes/workgroup (compile time only)
; SGPRBlocks: 0
; VGPRBlocks: 0
; NumSGPRsForWavesPerEU: 1
; NumVGPRsForWavesPerEU: 1
; Occupancy: 16
; WaveLimiterHint : 0
; COMPUTE_PGM_RSRC2:SCRATCH_EN: 0
; COMPUTE_PGM_RSRC2:USER_SGPR: 6
; COMPUTE_PGM_RSRC2:TRAP_HANDLER: 0
; COMPUTE_PGM_RSRC2:TGID_X_EN: 1
; COMPUTE_PGM_RSRC2:TGID_Y_EN: 0
; COMPUTE_PGM_RSRC2:TGID_Z_EN: 0
; COMPUTE_PGM_RSRC2:TIDIG_COMP_CNT: 0
	.section	.text._ZN7rocprim17ROCPRIM_400000_NS6detail17trampoline_kernelINS0_14default_configENS1_20scan_config_selectorIdEEZZNS1_9scan_implILNS1_25lookback_scan_determinismE0ELb0ELb0ES3_PKdPddZZZN2at6native31launch_logcumsumexp_cuda_kernelERKNSB_10TensorBaseESF_lENKUlvE_clEvENKUlvE_clEvEUlddE_dEEDaPvRmT3_T4_T5_mT6_P12ihipStream_tbENKUlT_T0_E_clISt17integral_constantIbLb1EESW_EEDaSR_SS_EUlSR_E_NS1_11comp_targetILNS1_3genE4ELNS1_11target_archE910ELNS1_3gpuE8ELNS1_3repE0EEENS1_30default_config_static_selectorELNS0_4arch9wavefront6targetE0EEEvT1_,"axG",@progbits,_ZN7rocprim17ROCPRIM_400000_NS6detail17trampoline_kernelINS0_14default_configENS1_20scan_config_selectorIdEEZZNS1_9scan_implILNS1_25lookback_scan_determinismE0ELb0ELb0ES3_PKdPddZZZN2at6native31launch_logcumsumexp_cuda_kernelERKNSB_10TensorBaseESF_lENKUlvE_clEvENKUlvE_clEvEUlddE_dEEDaPvRmT3_T4_T5_mT6_P12ihipStream_tbENKUlT_T0_E_clISt17integral_constantIbLb1EESW_EEDaSR_SS_EUlSR_E_NS1_11comp_targetILNS1_3genE4ELNS1_11target_archE910ELNS1_3gpuE8ELNS1_3repE0EEENS1_30default_config_static_selectorELNS0_4arch9wavefront6targetE0EEEvT1_,comdat
	.globl	_ZN7rocprim17ROCPRIM_400000_NS6detail17trampoline_kernelINS0_14default_configENS1_20scan_config_selectorIdEEZZNS1_9scan_implILNS1_25lookback_scan_determinismE0ELb0ELb0ES3_PKdPddZZZN2at6native31launch_logcumsumexp_cuda_kernelERKNSB_10TensorBaseESF_lENKUlvE_clEvENKUlvE_clEvEUlddE_dEEDaPvRmT3_T4_T5_mT6_P12ihipStream_tbENKUlT_T0_E_clISt17integral_constantIbLb1EESW_EEDaSR_SS_EUlSR_E_NS1_11comp_targetILNS1_3genE4ELNS1_11target_archE910ELNS1_3gpuE8ELNS1_3repE0EEENS1_30default_config_static_selectorELNS0_4arch9wavefront6targetE0EEEvT1_ ; -- Begin function _ZN7rocprim17ROCPRIM_400000_NS6detail17trampoline_kernelINS0_14default_configENS1_20scan_config_selectorIdEEZZNS1_9scan_implILNS1_25lookback_scan_determinismE0ELb0ELb0ES3_PKdPddZZZN2at6native31launch_logcumsumexp_cuda_kernelERKNSB_10TensorBaseESF_lENKUlvE_clEvENKUlvE_clEvEUlddE_dEEDaPvRmT3_T4_T5_mT6_P12ihipStream_tbENKUlT_T0_E_clISt17integral_constantIbLb1EESW_EEDaSR_SS_EUlSR_E_NS1_11comp_targetILNS1_3genE4ELNS1_11target_archE910ELNS1_3gpuE8ELNS1_3repE0EEENS1_30default_config_static_selectorELNS0_4arch9wavefront6targetE0EEEvT1_
	.p2align	8
	.type	_ZN7rocprim17ROCPRIM_400000_NS6detail17trampoline_kernelINS0_14default_configENS1_20scan_config_selectorIdEEZZNS1_9scan_implILNS1_25lookback_scan_determinismE0ELb0ELb0ES3_PKdPddZZZN2at6native31launch_logcumsumexp_cuda_kernelERKNSB_10TensorBaseESF_lENKUlvE_clEvENKUlvE_clEvEUlddE_dEEDaPvRmT3_T4_T5_mT6_P12ihipStream_tbENKUlT_T0_E_clISt17integral_constantIbLb1EESW_EEDaSR_SS_EUlSR_E_NS1_11comp_targetILNS1_3genE4ELNS1_11target_archE910ELNS1_3gpuE8ELNS1_3repE0EEENS1_30default_config_static_selectorELNS0_4arch9wavefront6targetE0EEEvT1_,@function
_ZN7rocprim17ROCPRIM_400000_NS6detail17trampoline_kernelINS0_14default_configENS1_20scan_config_selectorIdEEZZNS1_9scan_implILNS1_25lookback_scan_determinismE0ELb0ELb0ES3_PKdPddZZZN2at6native31launch_logcumsumexp_cuda_kernelERKNSB_10TensorBaseESF_lENKUlvE_clEvENKUlvE_clEvEUlddE_dEEDaPvRmT3_T4_T5_mT6_P12ihipStream_tbENKUlT_T0_E_clISt17integral_constantIbLb1EESW_EEDaSR_SS_EUlSR_E_NS1_11comp_targetILNS1_3genE4ELNS1_11target_archE910ELNS1_3gpuE8ELNS1_3repE0EEENS1_30default_config_static_selectorELNS0_4arch9wavefront6targetE0EEEvT1_: ; @_ZN7rocprim17ROCPRIM_400000_NS6detail17trampoline_kernelINS0_14default_configENS1_20scan_config_selectorIdEEZZNS1_9scan_implILNS1_25lookback_scan_determinismE0ELb0ELb0ES3_PKdPddZZZN2at6native31launch_logcumsumexp_cuda_kernelERKNSB_10TensorBaseESF_lENKUlvE_clEvENKUlvE_clEvEUlddE_dEEDaPvRmT3_T4_T5_mT6_P12ihipStream_tbENKUlT_T0_E_clISt17integral_constantIbLb1EESW_EEDaSR_SS_EUlSR_E_NS1_11comp_targetILNS1_3genE4ELNS1_11target_archE910ELNS1_3gpuE8ELNS1_3repE0EEENS1_30default_config_static_selectorELNS0_4arch9wavefront6targetE0EEEvT1_
; %bb.0:
	.section	.rodata,"a",@progbits
	.p2align	6, 0x0
	.amdhsa_kernel _ZN7rocprim17ROCPRIM_400000_NS6detail17trampoline_kernelINS0_14default_configENS1_20scan_config_selectorIdEEZZNS1_9scan_implILNS1_25lookback_scan_determinismE0ELb0ELb0ES3_PKdPddZZZN2at6native31launch_logcumsumexp_cuda_kernelERKNSB_10TensorBaseESF_lENKUlvE_clEvENKUlvE_clEvEUlddE_dEEDaPvRmT3_T4_T5_mT6_P12ihipStream_tbENKUlT_T0_E_clISt17integral_constantIbLb1EESW_EEDaSR_SS_EUlSR_E_NS1_11comp_targetILNS1_3genE4ELNS1_11target_archE910ELNS1_3gpuE8ELNS1_3repE0EEENS1_30default_config_static_selectorELNS0_4arch9wavefront6targetE0EEEvT1_
		.amdhsa_group_segment_fixed_size 0
		.amdhsa_private_segment_fixed_size 0
		.amdhsa_kernarg_size 104
		.amdhsa_user_sgpr_count 6
		.amdhsa_user_sgpr_private_segment_buffer 1
		.amdhsa_user_sgpr_dispatch_ptr 0
		.amdhsa_user_sgpr_queue_ptr 0
		.amdhsa_user_sgpr_kernarg_segment_ptr 1
		.amdhsa_user_sgpr_dispatch_id 0
		.amdhsa_user_sgpr_flat_scratch_init 0
		.amdhsa_user_sgpr_private_segment_size 0
		.amdhsa_wavefront_size32 1
		.amdhsa_uses_dynamic_stack 0
		.amdhsa_system_sgpr_private_segment_wavefront_offset 0
		.amdhsa_system_sgpr_workgroup_id_x 1
		.amdhsa_system_sgpr_workgroup_id_y 0
		.amdhsa_system_sgpr_workgroup_id_z 0
		.amdhsa_system_sgpr_workgroup_info 0
		.amdhsa_system_vgpr_workitem_id 0
		.amdhsa_next_free_vgpr 1
		.amdhsa_next_free_sgpr 1
		.amdhsa_reserve_vcc 0
		.amdhsa_reserve_flat_scratch 0
		.amdhsa_float_round_mode_32 0
		.amdhsa_float_round_mode_16_64 0
		.amdhsa_float_denorm_mode_32 3
		.amdhsa_float_denorm_mode_16_64 3
		.amdhsa_dx10_clamp 1
		.amdhsa_ieee_mode 1
		.amdhsa_fp16_overflow 0
		.amdhsa_workgroup_processor_mode 1
		.amdhsa_memory_ordered 1
		.amdhsa_forward_progress 1
		.amdhsa_shared_vgpr_count 0
		.amdhsa_exception_fp_ieee_invalid_op 0
		.amdhsa_exception_fp_denorm_src 0
		.amdhsa_exception_fp_ieee_div_zero 0
		.amdhsa_exception_fp_ieee_overflow 0
		.amdhsa_exception_fp_ieee_underflow 0
		.amdhsa_exception_fp_ieee_inexact 0
		.amdhsa_exception_int_div_zero 0
	.end_amdhsa_kernel
	.section	.text._ZN7rocprim17ROCPRIM_400000_NS6detail17trampoline_kernelINS0_14default_configENS1_20scan_config_selectorIdEEZZNS1_9scan_implILNS1_25lookback_scan_determinismE0ELb0ELb0ES3_PKdPddZZZN2at6native31launch_logcumsumexp_cuda_kernelERKNSB_10TensorBaseESF_lENKUlvE_clEvENKUlvE_clEvEUlddE_dEEDaPvRmT3_T4_T5_mT6_P12ihipStream_tbENKUlT_T0_E_clISt17integral_constantIbLb1EESW_EEDaSR_SS_EUlSR_E_NS1_11comp_targetILNS1_3genE4ELNS1_11target_archE910ELNS1_3gpuE8ELNS1_3repE0EEENS1_30default_config_static_selectorELNS0_4arch9wavefront6targetE0EEEvT1_,"axG",@progbits,_ZN7rocprim17ROCPRIM_400000_NS6detail17trampoline_kernelINS0_14default_configENS1_20scan_config_selectorIdEEZZNS1_9scan_implILNS1_25lookback_scan_determinismE0ELb0ELb0ES3_PKdPddZZZN2at6native31launch_logcumsumexp_cuda_kernelERKNSB_10TensorBaseESF_lENKUlvE_clEvENKUlvE_clEvEUlddE_dEEDaPvRmT3_T4_T5_mT6_P12ihipStream_tbENKUlT_T0_E_clISt17integral_constantIbLb1EESW_EEDaSR_SS_EUlSR_E_NS1_11comp_targetILNS1_3genE4ELNS1_11target_archE910ELNS1_3gpuE8ELNS1_3repE0EEENS1_30default_config_static_selectorELNS0_4arch9wavefront6targetE0EEEvT1_,comdat
.Lfunc_end30:
	.size	_ZN7rocprim17ROCPRIM_400000_NS6detail17trampoline_kernelINS0_14default_configENS1_20scan_config_selectorIdEEZZNS1_9scan_implILNS1_25lookback_scan_determinismE0ELb0ELb0ES3_PKdPddZZZN2at6native31launch_logcumsumexp_cuda_kernelERKNSB_10TensorBaseESF_lENKUlvE_clEvENKUlvE_clEvEUlddE_dEEDaPvRmT3_T4_T5_mT6_P12ihipStream_tbENKUlT_T0_E_clISt17integral_constantIbLb1EESW_EEDaSR_SS_EUlSR_E_NS1_11comp_targetILNS1_3genE4ELNS1_11target_archE910ELNS1_3gpuE8ELNS1_3repE0EEENS1_30default_config_static_selectorELNS0_4arch9wavefront6targetE0EEEvT1_, .Lfunc_end30-_ZN7rocprim17ROCPRIM_400000_NS6detail17trampoline_kernelINS0_14default_configENS1_20scan_config_selectorIdEEZZNS1_9scan_implILNS1_25lookback_scan_determinismE0ELb0ELb0ES3_PKdPddZZZN2at6native31launch_logcumsumexp_cuda_kernelERKNSB_10TensorBaseESF_lENKUlvE_clEvENKUlvE_clEvEUlddE_dEEDaPvRmT3_T4_T5_mT6_P12ihipStream_tbENKUlT_T0_E_clISt17integral_constantIbLb1EESW_EEDaSR_SS_EUlSR_E_NS1_11comp_targetILNS1_3genE4ELNS1_11target_archE910ELNS1_3gpuE8ELNS1_3repE0EEENS1_30default_config_static_selectorELNS0_4arch9wavefront6targetE0EEEvT1_
                                        ; -- End function
	.set _ZN7rocprim17ROCPRIM_400000_NS6detail17trampoline_kernelINS0_14default_configENS1_20scan_config_selectorIdEEZZNS1_9scan_implILNS1_25lookback_scan_determinismE0ELb0ELb0ES3_PKdPddZZZN2at6native31launch_logcumsumexp_cuda_kernelERKNSB_10TensorBaseESF_lENKUlvE_clEvENKUlvE_clEvEUlddE_dEEDaPvRmT3_T4_T5_mT6_P12ihipStream_tbENKUlT_T0_E_clISt17integral_constantIbLb1EESW_EEDaSR_SS_EUlSR_E_NS1_11comp_targetILNS1_3genE4ELNS1_11target_archE910ELNS1_3gpuE8ELNS1_3repE0EEENS1_30default_config_static_selectorELNS0_4arch9wavefront6targetE0EEEvT1_.num_vgpr, 0
	.set _ZN7rocprim17ROCPRIM_400000_NS6detail17trampoline_kernelINS0_14default_configENS1_20scan_config_selectorIdEEZZNS1_9scan_implILNS1_25lookback_scan_determinismE0ELb0ELb0ES3_PKdPddZZZN2at6native31launch_logcumsumexp_cuda_kernelERKNSB_10TensorBaseESF_lENKUlvE_clEvENKUlvE_clEvEUlddE_dEEDaPvRmT3_T4_T5_mT6_P12ihipStream_tbENKUlT_T0_E_clISt17integral_constantIbLb1EESW_EEDaSR_SS_EUlSR_E_NS1_11comp_targetILNS1_3genE4ELNS1_11target_archE910ELNS1_3gpuE8ELNS1_3repE0EEENS1_30default_config_static_selectorELNS0_4arch9wavefront6targetE0EEEvT1_.num_agpr, 0
	.set _ZN7rocprim17ROCPRIM_400000_NS6detail17trampoline_kernelINS0_14default_configENS1_20scan_config_selectorIdEEZZNS1_9scan_implILNS1_25lookback_scan_determinismE0ELb0ELb0ES3_PKdPddZZZN2at6native31launch_logcumsumexp_cuda_kernelERKNSB_10TensorBaseESF_lENKUlvE_clEvENKUlvE_clEvEUlddE_dEEDaPvRmT3_T4_T5_mT6_P12ihipStream_tbENKUlT_T0_E_clISt17integral_constantIbLb1EESW_EEDaSR_SS_EUlSR_E_NS1_11comp_targetILNS1_3genE4ELNS1_11target_archE910ELNS1_3gpuE8ELNS1_3repE0EEENS1_30default_config_static_selectorELNS0_4arch9wavefront6targetE0EEEvT1_.numbered_sgpr, 0
	.set _ZN7rocprim17ROCPRIM_400000_NS6detail17trampoline_kernelINS0_14default_configENS1_20scan_config_selectorIdEEZZNS1_9scan_implILNS1_25lookback_scan_determinismE0ELb0ELb0ES3_PKdPddZZZN2at6native31launch_logcumsumexp_cuda_kernelERKNSB_10TensorBaseESF_lENKUlvE_clEvENKUlvE_clEvEUlddE_dEEDaPvRmT3_T4_T5_mT6_P12ihipStream_tbENKUlT_T0_E_clISt17integral_constantIbLb1EESW_EEDaSR_SS_EUlSR_E_NS1_11comp_targetILNS1_3genE4ELNS1_11target_archE910ELNS1_3gpuE8ELNS1_3repE0EEENS1_30default_config_static_selectorELNS0_4arch9wavefront6targetE0EEEvT1_.num_named_barrier, 0
	.set _ZN7rocprim17ROCPRIM_400000_NS6detail17trampoline_kernelINS0_14default_configENS1_20scan_config_selectorIdEEZZNS1_9scan_implILNS1_25lookback_scan_determinismE0ELb0ELb0ES3_PKdPddZZZN2at6native31launch_logcumsumexp_cuda_kernelERKNSB_10TensorBaseESF_lENKUlvE_clEvENKUlvE_clEvEUlddE_dEEDaPvRmT3_T4_T5_mT6_P12ihipStream_tbENKUlT_T0_E_clISt17integral_constantIbLb1EESW_EEDaSR_SS_EUlSR_E_NS1_11comp_targetILNS1_3genE4ELNS1_11target_archE910ELNS1_3gpuE8ELNS1_3repE0EEENS1_30default_config_static_selectorELNS0_4arch9wavefront6targetE0EEEvT1_.private_seg_size, 0
	.set _ZN7rocprim17ROCPRIM_400000_NS6detail17trampoline_kernelINS0_14default_configENS1_20scan_config_selectorIdEEZZNS1_9scan_implILNS1_25lookback_scan_determinismE0ELb0ELb0ES3_PKdPddZZZN2at6native31launch_logcumsumexp_cuda_kernelERKNSB_10TensorBaseESF_lENKUlvE_clEvENKUlvE_clEvEUlddE_dEEDaPvRmT3_T4_T5_mT6_P12ihipStream_tbENKUlT_T0_E_clISt17integral_constantIbLb1EESW_EEDaSR_SS_EUlSR_E_NS1_11comp_targetILNS1_3genE4ELNS1_11target_archE910ELNS1_3gpuE8ELNS1_3repE0EEENS1_30default_config_static_selectorELNS0_4arch9wavefront6targetE0EEEvT1_.uses_vcc, 0
	.set _ZN7rocprim17ROCPRIM_400000_NS6detail17trampoline_kernelINS0_14default_configENS1_20scan_config_selectorIdEEZZNS1_9scan_implILNS1_25lookback_scan_determinismE0ELb0ELb0ES3_PKdPddZZZN2at6native31launch_logcumsumexp_cuda_kernelERKNSB_10TensorBaseESF_lENKUlvE_clEvENKUlvE_clEvEUlddE_dEEDaPvRmT3_T4_T5_mT6_P12ihipStream_tbENKUlT_T0_E_clISt17integral_constantIbLb1EESW_EEDaSR_SS_EUlSR_E_NS1_11comp_targetILNS1_3genE4ELNS1_11target_archE910ELNS1_3gpuE8ELNS1_3repE0EEENS1_30default_config_static_selectorELNS0_4arch9wavefront6targetE0EEEvT1_.uses_flat_scratch, 0
	.set _ZN7rocprim17ROCPRIM_400000_NS6detail17trampoline_kernelINS0_14default_configENS1_20scan_config_selectorIdEEZZNS1_9scan_implILNS1_25lookback_scan_determinismE0ELb0ELb0ES3_PKdPddZZZN2at6native31launch_logcumsumexp_cuda_kernelERKNSB_10TensorBaseESF_lENKUlvE_clEvENKUlvE_clEvEUlddE_dEEDaPvRmT3_T4_T5_mT6_P12ihipStream_tbENKUlT_T0_E_clISt17integral_constantIbLb1EESW_EEDaSR_SS_EUlSR_E_NS1_11comp_targetILNS1_3genE4ELNS1_11target_archE910ELNS1_3gpuE8ELNS1_3repE0EEENS1_30default_config_static_selectorELNS0_4arch9wavefront6targetE0EEEvT1_.has_dyn_sized_stack, 0
	.set _ZN7rocprim17ROCPRIM_400000_NS6detail17trampoline_kernelINS0_14default_configENS1_20scan_config_selectorIdEEZZNS1_9scan_implILNS1_25lookback_scan_determinismE0ELb0ELb0ES3_PKdPddZZZN2at6native31launch_logcumsumexp_cuda_kernelERKNSB_10TensorBaseESF_lENKUlvE_clEvENKUlvE_clEvEUlddE_dEEDaPvRmT3_T4_T5_mT6_P12ihipStream_tbENKUlT_T0_E_clISt17integral_constantIbLb1EESW_EEDaSR_SS_EUlSR_E_NS1_11comp_targetILNS1_3genE4ELNS1_11target_archE910ELNS1_3gpuE8ELNS1_3repE0EEENS1_30default_config_static_selectorELNS0_4arch9wavefront6targetE0EEEvT1_.has_recursion, 0
	.set _ZN7rocprim17ROCPRIM_400000_NS6detail17trampoline_kernelINS0_14default_configENS1_20scan_config_selectorIdEEZZNS1_9scan_implILNS1_25lookback_scan_determinismE0ELb0ELb0ES3_PKdPddZZZN2at6native31launch_logcumsumexp_cuda_kernelERKNSB_10TensorBaseESF_lENKUlvE_clEvENKUlvE_clEvEUlddE_dEEDaPvRmT3_T4_T5_mT6_P12ihipStream_tbENKUlT_T0_E_clISt17integral_constantIbLb1EESW_EEDaSR_SS_EUlSR_E_NS1_11comp_targetILNS1_3genE4ELNS1_11target_archE910ELNS1_3gpuE8ELNS1_3repE0EEENS1_30default_config_static_selectorELNS0_4arch9wavefront6targetE0EEEvT1_.has_indirect_call, 0
	.section	.AMDGPU.csdata,"",@progbits
; Kernel info:
; codeLenInByte = 0
; TotalNumSgprs: 0
; NumVgprs: 0
; ScratchSize: 0
; MemoryBound: 0
; FloatMode: 240
; IeeeMode: 1
; LDSByteSize: 0 bytes/workgroup (compile time only)
; SGPRBlocks: 0
; VGPRBlocks: 0
; NumSGPRsForWavesPerEU: 1
; NumVGPRsForWavesPerEU: 1
; Occupancy: 16
; WaveLimiterHint : 0
; COMPUTE_PGM_RSRC2:SCRATCH_EN: 0
; COMPUTE_PGM_RSRC2:USER_SGPR: 6
; COMPUTE_PGM_RSRC2:TRAP_HANDLER: 0
; COMPUTE_PGM_RSRC2:TGID_X_EN: 1
; COMPUTE_PGM_RSRC2:TGID_Y_EN: 0
; COMPUTE_PGM_RSRC2:TGID_Z_EN: 0
; COMPUTE_PGM_RSRC2:TIDIG_COMP_CNT: 0
	.section	.text._ZN7rocprim17ROCPRIM_400000_NS6detail17trampoline_kernelINS0_14default_configENS1_20scan_config_selectorIdEEZZNS1_9scan_implILNS1_25lookback_scan_determinismE0ELb0ELb0ES3_PKdPddZZZN2at6native31launch_logcumsumexp_cuda_kernelERKNSB_10TensorBaseESF_lENKUlvE_clEvENKUlvE_clEvEUlddE_dEEDaPvRmT3_T4_T5_mT6_P12ihipStream_tbENKUlT_T0_E_clISt17integral_constantIbLb1EESW_EEDaSR_SS_EUlSR_E_NS1_11comp_targetILNS1_3genE3ELNS1_11target_archE908ELNS1_3gpuE7ELNS1_3repE0EEENS1_30default_config_static_selectorELNS0_4arch9wavefront6targetE0EEEvT1_,"axG",@progbits,_ZN7rocprim17ROCPRIM_400000_NS6detail17trampoline_kernelINS0_14default_configENS1_20scan_config_selectorIdEEZZNS1_9scan_implILNS1_25lookback_scan_determinismE0ELb0ELb0ES3_PKdPddZZZN2at6native31launch_logcumsumexp_cuda_kernelERKNSB_10TensorBaseESF_lENKUlvE_clEvENKUlvE_clEvEUlddE_dEEDaPvRmT3_T4_T5_mT6_P12ihipStream_tbENKUlT_T0_E_clISt17integral_constantIbLb1EESW_EEDaSR_SS_EUlSR_E_NS1_11comp_targetILNS1_3genE3ELNS1_11target_archE908ELNS1_3gpuE7ELNS1_3repE0EEENS1_30default_config_static_selectorELNS0_4arch9wavefront6targetE0EEEvT1_,comdat
	.globl	_ZN7rocprim17ROCPRIM_400000_NS6detail17trampoline_kernelINS0_14default_configENS1_20scan_config_selectorIdEEZZNS1_9scan_implILNS1_25lookback_scan_determinismE0ELb0ELb0ES3_PKdPddZZZN2at6native31launch_logcumsumexp_cuda_kernelERKNSB_10TensorBaseESF_lENKUlvE_clEvENKUlvE_clEvEUlddE_dEEDaPvRmT3_T4_T5_mT6_P12ihipStream_tbENKUlT_T0_E_clISt17integral_constantIbLb1EESW_EEDaSR_SS_EUlSR_E_NS1_11comp_targetILNS1_3genE3ELNS1_11target_archE908ELNS1_3gpuE7ELNS1_3repE0EEENS1_30default_config_static_selectorELNS0_4arch9wavefront6targetE0EEEvT1_ ; -- Begin function _ZN7rocprim17ROCPRIM_400000_NS6detail17trampoline_kernelINS0_14default_configENS1_20scan_config_selectorIdEEZZNS1_9scan_implILNS1_25lookback_scan_determinismE0ELb0ELb0ES3_PKdPddZZZN2at6native31launch_logcumsumexp_cuda_kernelERKNSB_10TensorBaseESF_lENKUlvE_clEvENKUlvE_clEvEUlddE_dEEDaPvRmT3_T4_T5_mT6_P12ihipStream_tbENKUlT_T0_E_clISt17integral_constantIbLb1EESW_EEDaSR_SS_EUlSR_E_NS1_11comp_targetILNS1_3genE3ELNS1_11target_archE908ELNS1_3gpuE7ELNS1_3repE0EEENS1_30default_config_static_selectorELNS0_4arch9wavefront6targetE0EEEvT1_
	.p2align	8
	.type	_ZN7rocprim17ROCPRIM_400000_NS6detail17trampoline_kernelINS0_14default_configENS1_20scan_config_selectorIdEEZZNS1_9scan_implILNS1_25lookback_scan_determinismE0ELb0ELb0ES3_PKdPddZZZN2at6native31launch_logcumsumexp_cuda_kernelERKNSB_10TensorBaseESF_lENKUlvE_clEvENKUlvE_clEvEUlddE_dEEDaPvRmT3_T4_T5_mT6_P12ihipStream_tbENKUlT_T0_E_clISt17integral_constantIbLb1EESW_EEDaSR_SS_EUlSR_E_NS1_11comp_targetILNS1_3genE3ELNS1_11target_archE908ELNS1_3gpuE7ELNS1_3repE0EEENS1_30default_config_static_selectorELNS0_4arch9wavefront6targetE0EEEvT1_,@function
_ZN7rocprim17ROCPRIM_400000_NS6detail17trampoline_kernelINS0_14default_configENS1_20scan_config_selectorIdEEZZNS1_9scan_implILNS1_25lookback_scan_determinismE0ELb0ELb0ES3_PKdPddZZZN2at6native31launch_logcumsumexp_cuda_kernelERKNSB_10TensorBaseESF_lENKUlvE_clEvENKUlvE_clEvEUlddE_dEEDaPvRmT3_T4_T5_mT6_P12ihipStream_tbENKUlT_T0_E_clISt17integral_constantIbLb1EESW_EEDaSR_SS_EUlSR_E_NS1_11comp_targetILNS1_3genE3ELNS1_11target_archE908ELNS1_3gpuE7ELNS1_3repE0EEENS1_30default_config_static_selectorELNS0_4arch9wavefront6targetE0EEEvT1_: ; @_ZN7rocprim17ROCPRIM_400000_NS6detail17trampoline_kernelINS0_14default_configENS1_20scan_config_selectorIdEEZZNS1_9scan_implILNS1_25lookback_scan_determinismE0ELb0ELb0ES3_PKdPddZZZN2at6native31launch_logcumsumexp_cuda_kernelERKNSB_10TensorBaseESF_lENKUlvE_clEvENKUlvE_clEvEUlddE_dEEDaPvRmT3_T4_T5_mT6_P12ihipStream_tbENKUlT_T0_E_clISt17integral_constantIbLb1EESW_EEDaSR_SS_EUlSR_E_NS1_11comp_targetILNS1_3genE3ELNS1_11target_archE908ELNS1_3gpuE7ELNS1_3repE0EEENS1_30default_config_static_selectorELNS0_4arch9wavefront6targetE0EEEvT1_
; %bb.0:
	.section	.rodata,"a",@progbits
	.p2align	6, 0x0
	.amdhsa_kernel _ZN7rocprim17ROCPRIM_400000_NS6detail17trampoline_kernelINS0_14default_configENS1_20scan_config_selectorIdEEZZNS1_9scan_implILNS1_25lookback_scan_determinismE0ELb0ELb0ES3_PKdPddZZZN2at6native31launch_logcumsumexp_cuda_kernelERKNSB_10TensorBaseESF_lENKUlvE_clEvENKUlvE_clEvEUlddE_dEEDaPvRmT3_T4_T5_mT6_P12ihipStream_tbENKUlT_T0_E_clISt17integral_constantIbLb1EESW_EEDaSR_SS_EUlSR_E_NS1_11comp_targetILNS1_3genE3ELNS1_11target_archE908ELNS1_3gpuE7ELNS1_3repE0EEENS1_30default_config_static_selectorELNS0_4arch9wavefront6targetE0EEEvT1_
		.amdhsa_group_segment_fixed_size 0
		.amdhsa_private_segment_fixed_size 0
		.amdhsa_kernarg_size 104
		.amdhsa_user_sgpr_count 6
		.amdhsa_user_sgpr_private_segment_buffer 1
		.amdhsa_user_sgpr_dispatch_ptr 0
		.amdhsa_user_sgpr_queue_ptr 0
		.amdhsa_user_sgpr_kernarg_segment_ptr 1
		.amdhsa_user_sgpr_dispatch_id 0
		.amdhsa_user_sgpr_flat_scratch_init 0
		.amdhsa_user_sgpr_private_segment_size 0
		.amdhsa_wavefront_size32 1
		.amdhsa_uses_dynamic_stack 0
		.amdhsa_system_sgpr_private_segment_wavefront_offset 0
		.amdhsa_system_sgpr_workgroup_id_x 1
		.amdhsa_system_sgpr_workgroup_id_y 0
		.amdhsa_system_sgpr_workgroup_id_z 0
		.amdhsa_system_sgpr_workgroup_info 0
		.amdhsa_system_vgpr_workitem_id 0
		.amdhsa_next_free_vgpr 1
		.amdhsa_next_free_sgpr 1
		.amdhsa_reserve_vcc 0
		.amdhsa_reserve_flat_scratch 0
		.amdhsa_float_round_mode_32 0
		.amdhsa_float_round_mode_16_64 0
		.amdhsa_float_denorm_mode_32 3
		.amdhsa_float_denorm_mode_16_64 3
		.amdhsa_dx10_clamp 1
		.amdhsa_ieee_mode 1
		.amdhsa_fp16_overflow 0
		.amdhsa_workgroup_processor_mode 1
		.amdhsa_memory_ordered 1
		.amdhsa_forward_progress 1
		.amdhsa_shared_vgpr_count 0
		.amdhsa_exception_fp_ieee_invalid_op 0
		.amdhsa_exception_fp_denorm_src 0
		.amdhsa_exception_fp_ieee_div_zero 0
		.amdhsa_exception_fp_ieee_overflow 0
		.amdhsa_exception_fp_ieee_underflow 0
		.amdhsa_exception_fp_ieee_inexact 0
		.amdhsa_exception_int_div_zero 0
	.end_amdhsa_kernel
	.section	.text._ZN7rocprim17ROCPRIM_400000_NS6detail17trampoline_kernelINS0_14default_configENS1_20scan_config_selectorIdEEZZNS1_9scan_implILNS1_25lookback_scan_determinismE0ELb0ELb0ES3_PKdPddZZZN2at6native31launch_logcumsumexp_cuda_kernelERKNSB_10TensorBaseESF_lENKUlvE_clEvENKUlvE_clEvEUlddE_dEEDaPvRmT3_T4_T5_mT6_P12ihipStream_tbENKUlT_T0_E_clISt17integral_constantIbLb1EESW_EEDaSR_SS_EUlSR_E_NS1_11comp_targetILNS1_3genE3ELNS1_11target_archE908ELNS1_3gpuE7ELNS1_3repE0EEENS1_30default_config_static_selectorELNS0_4arch9wavefront6targetE0EEEvT1_,"axG",@progbits,_ZN7rocprim17ROCPRIM_400000_NS6detail17trampoline_kernelINS0_14default_configENS1_20scan_config_selectorIdEEZZNS1_9scan_implILNS1_25lookback_scan_determinismE0ELb0ELb0ES3_PKdPddZZZN2at6native31launch_logcumsumexp_cuda_kernelERKNSB_10TensorBaseESF_lENKUlvE_clEvENKUlvE_clEvEUlddE_dEEDaPvRmT3_T4_T5_mT6_P12ihipStream_tbENKUlT_T0_E_clISt17integral_constantIbLb1EESW_EEDaSR_SS_EUlSR_E_NS1_11comp_targetILNS1_3genE3ELNS1_11target_archE908ELNS1_3gpuE7ELNS1_3repE0EEENS1_30default_config_static_selectorELNS0_4arch9wavefront6targetE0EEEvT1_,comdat
.Lfunc_end31:
	.size	_ZN7rocprim17ROCPRIM_400000_NS6detail17trampoline_kernelINS0_14default_configENS1_20scan_config_selectorIdEEZZNS1_9scan_implILNS1_25lookback_scan_determinismE0ELb0ELb0ES3_PKdPddZZZN2at6native31launch_logcumsumexp_cuda_kernelERKNSB_10TensorBaseESF_lENKUlvE_clEvENKUlvE_clEvEUlddE_dEEDaPvRmT3_T4_T5_mT6_P12ihipStream_tbENKUlT_T0_E_clISt17integral_constantIbLb1EESW_EEDaSR_SS_EUlSR_E_NS1_11comp_targetILNS1_3genE3ELNS1_11target_archE908ELNS1_3gpuE7ELNS1_3repE0EEENS1_30default_config_static_selectorELNS0_4arch9wavefront6targetE0EEEvT1_, .Lfunc_end31-_ZN7rocprim17ROCPRIM_400000_NS6detail17trampoline_kernelINS0_14default_configENS1_20scan_config_selectorIdEEZZNS1_9scan_implILNS1_25lookback_scan_determinismE0ELb0ELb0ES3_PKdPddZZZN2at6native31launch_logcumsumexp_cuda_kernelERKNSB_10TensorBaseESF_lENKUlvE_clEvENKUlvE_clEvEUlddE_dEEDaPvRmT3_T4_T5_mT6_P12ihipStream_tbENKUlT_T0_E_clISt17integral_constantIbLb1EESW_EEDaSR_SS_EUlSR_E_NS1_11comp_targetILNS1_3genE3ELNS1_11target_archE908ELNS1_3gpuE7ELNS1_3repE0EEENS1_30default_config_static_selectorELNS0_4arch9wavefront6targetE0EEEvT1_
                                        ; -- End function
	.set _ZN7rocprim17ROCPRIM_400000_NS6detail17trampoline_kernelINS0_14default_configENS1_20scan_config_selectorIdEEZZNS1_9scan_implILNS1_25lookback_scan_determinismE0ELb0ELb0ES3_PKdPddZZZN2at6native31launch_logcumsumexp_cuda_kernelERKNSB_10TensorBaseESF_lENKUlvE_clEvENKUlvE_clEvEUlddE_dEEDaPvRmT3_T4_T5_mT6_P12ihipStream_tbENKUlT_T0_E_clISt17integral_constantIbLb1EESW_EEDaSR_SS_EUlSR_E_NS1_11comp_targetILNS1_3genE3ELNS1_11target_archE908ELNS1_3gpuE7ELNS1_3repE0EEENS1_30default_config_static_selectorELNS0_4arch9wavefront6targetE0EEEvT1_.num_vgpr, 0
	.set _ZN7rocprim17ROCPRIM_400000_NS6detail17trampoline_kernelINS0_14default_configENS1_20scan_config_selectorIdEEZZNS1_9scan_implILNS1_25lookback_scan_determinismE0ELb0ELb0ES3_PKdPddZZZN2at6native31launch_logcumsumexp_cuda_kernelERKNSB_10TensorBaseESF_lENKUlvE_clEvENKUlvE_clEvEUlddE_dEEDaPvRmT3_T4_T5_mT6_P12ihipStream_tbENKUlT_T0_E_clISt17integral_constantIbLb1EESW_EEDaSR_SS_EUlSR_E_NS1_11comp_targetILNS1_3genE3ELNS1_11target_archE908ELNS1_3gpuE7ELNS1_3repE0EEENS1_30default_config_static_selectorELNS0_4arch9wavefront6targetE0EEEvT1_.num_agpr, 0
	.set _ZN7rocprim17ROCPRIM_400000_NS6detail17trampoline_kernelINS0_14default_configENS1_20scan_config_selectorIdEEZZNS1_9scan_implILNS1_25lookback_scan_determinismE0ELb0ELb0ES3_PKdPddZZZN2at6native31launch_logcumsumexp_cuda_kernelERKNSB_10TensorBaseESF_lENKUlvE_clEvENKUlvE_clEvEUlddE_dEEDaPvRmT3_T4_T5_mT6_P12ihipStream_tbENKUlT_T0_E_clISt17integral_constantIbLb1EESW_EEDaSR_SS_EUlSR_E_NS1_11comp_targetILNS1_3genE3ELNS1_11target_archE908ELNS1_3gpuE7ELNS1_3repE0EEENS1_30default_config_static_selectorELNS0_4arch9wavefront6targetE0EEEvT1_.numbered_sgpr, 0
	.set _ZN7rocprim17ROCPRIM_400000_NS6detail17trampoline_kernelINS0_14default_configENS1_20scan_config_selectorIdEEZZNS1_9scan_implILNS1_25lookback_scan_determinismE0ELb0ELb0ES3_PKdPddZZZN2at6native31launch_logcumsumexp_cuda_kernelERKNSB_10TensorBaseESF_lENKUlvE_clEvENKUlvE_clEvEUlddE_dEEDaPvRmT3_T4_T5_mT6_P12ihipStream_tbENKUlT_T0_E_clISt17integral_constantIbLb1EESW_EEDaSR_SS_EUlSR_E_NS1_11comp_targetILNS1_3genE3ELNS1_11target_archE908ELNS1_3gpuE7ELNS1_3repE0EEENS1_30default_config_static_selectorELNS0_4arch9wavefront6targetE0EEEvT1_.num_named_barrier, 0
	.set _ZN7rocprim17ROCPRIM_400000_NS6detail17trampoline_kernelINS0_14default_configENS1_20scan_config_selectorIdEEZZNS1_9scan_implILNS1_25lookback_scan_determinismE0ELb0ELb0ES3_PKdPddZZZN2at6native31launch_logcumsumexp_cuda_kernelERKNSB_10TensorBaseESF_lENKUlvE_clEvENKUlvE_clEvEUlddE_dEEDaPvRmT3_T4_T5_mT6_P12ihipStream_tbENKUlT_T0_E_clISt17integral_constantIbLb1EESW_EEDaSR_SS_EUlSR_E_NS1_11comp_targetILNS1_3genE3ELNS1_11target_archE908ELNS1_3gpuE7ELNS1_3repE0EEENS1_30default_config_static_selectorELNS0_4arch9wavefront6targetE0EEEvT1_.private_seg_size, 0
	.set _ZN7rocprim17ROCPRIM_400000_NS6detail17trampoline_kernelINS0_14default_configENS1_20scan_config_selectorIdEEZZNS1_9scan_implILNS1_25lookback_scan_determinismE0ELb0ELb0ES3_PKdPddZZZN2at6native31launch_logcumsumexp_cuda_kernelERKNSB_10TensorBaseESF_lENKUlvE_clEvENKUlvE_clEvEUlddE_dEEDaPvRmT3_T4_T5_mT6_P12ihipStream_tbENKUlT_T0_E_clISt17integral_constantIbLb1EESW_EEDaSR_SS_EUlSR_E_NS1_11comp_targetILNS1_3genE3ELNS1_11target_archE908ELNS1_3gpuE7ELNS1_3repE0EEENS1_30default_config_static_selectorELNS0_4arch9wavefront6targetE0EEEvT1_.uses_vcc, 0
	.set _ZN7rocprim17ROCPRIM_400000_NS6detail17trampoline_kernelINS0_14default_configENS1_20scan_config_selectorIdEEZZNS1_9scan_implILNS1_25lookback_scan_determinismE0ELb0ELb0ES3_PKdPddZZZN2at6native31launch_logcumsumexp_cuda_kernelERKNSB_10TensorBaseESF_lENKUlvE_clEvENKUlvE_clEvEUlddE_dEEDaPvRmT3_T4_T5_mT6_P12ihipStream_tbENKUlT_T0_E_clISt17integral_constantIbLb1EESW_EEDaSR_SS_EUlSR_E_NS1_11comp_targetILNS1_3genE3ELNS1_11target_archE908ELNS1_3gpuE7ELNS1_3repE0EEENS1_30default_config_static_selectorELNS0_4arch9wavefront6targetE0EEEvT1_.uses_flat_scratch, 0
	.set _ZN7rocprim17ROCPRIM_400000_NS6detail17trampoline_kernelINS0_14default_configENS1_20scan_config_selectorIdEEZZNS1_9scan_implILNS1_25lookback_scan_determinismE0ELb0ELb0ES3_PKdPddZZZN2at6native31launch_logcumsumexp_cuda_kernelERKNSB_10TensorBaseESF_lENKUlvE_clEvENKUlvE_clEvEUlddE_dEEDaPvRmT3_T4_T5_mT6_P12ihipStream_tbENKUlT_T0_E_clISt17integral_constantIbLb1EESW_EEDaSR_SS_EUlSR_E_NS1_11comp_targetILNS1_3genE3ELNS1_11target_archE908ELNS1_3gpuE7ELNS1_3repE0EEENS1_30default_config_static_selectorELNS0_4arch9wavefront6targetE0EEEvT1_.has_dyn_sized_stack, 0
	.set _ZN7rocprim17ROCPRIM_400000_NS6detail17trampoline_kernelINS0_14default_configENS1_20scan_config_selectorIdEEZZNS1_9scan_implILNS1_25lookback_scan_determinismE0ELb0ELb0ES3_PKdPddZZZN2at6native31launch_logcumsumexp_cuda_kernelERKNSB_10TensorBaseESF_lENKUlvE_clEvENKUlvE_clEvEUlddE_dEEDaPvRmT3_T4_T5_mT6_P12ihipStream_tbENKUlT_T0_E_clISt17integral_constantIbLb1EESW_EEDaSR_SS_EUlSR_E_NS1_11comp_targetILNS1_3genE3ELNS1_11target_archE908ELNS1_3gpuE7ELNS1_3repE0EEENS1_30default_config_static_selectorELNS0_4arch9wavefront6targetE0EEEvT1_.has_recursion, 0
	.set _ZN7rocprim17ROCPRIM_400000_NS6detail17trampoline_kernelINS0_14default_configENS1_20scan_config_selectorIdEEZZNS1_9scan_implILNS1_25lookback_scan_determinismE0ELb0ELb0ES3_PKdPddZZZN2at6native31launch_logcumsumexp_cuda_kernelERKNSB_10TensorBaseESF_lENKUlvE_clEvENKUlvE_clEvEUlddE_dEEDaPvRmT3_T4_T5_mT6_P12ihipStream_tbENKUlT_T0_E_clISt17integral_constantIbLb1EESW_EEDaSR_SS_EUlSR_E_NS1_11comp_targetILNS1_3genE3ELNS1_11target_archE908ELNS1_3gpuE7ELNS1_3repE0EEENS1_30default_config_static_selectorELNS0_4arch9wavefront6targetE0EEEvT1_.has_indirect_call, 0
	.section	.AMDGPU.csdata,"",@progbits
; Kernel info:
; codeLenInByte = 0
; TotalNumSgprs: 0
; NumVgprs: 0
; ScratchSize: 0
; MemoryBound: 0
; FloatMode: 240
; IeeeMode: 1
; LDSByteSize: 0 bytes/workgroup (compile time only)
; SGPRBlocks: 0
; VGPRBlocks: 0
; NumSGPRsForWavesPerEU: 1
; NumVGPRsForWavesPerEU: 1
; Occupancy: 16
; WaveLimiterHint : 0
; COMPUTE_PGM_RSRC2:SCRATCH_EN: 0
; COMPUTE_PGM_RSRC2:USER_SGPR: 6
; COMPUTE_PGM_RSRC2:TRAP_HANDLER: 0
; COMPUTE_PGM_RSRC2:TGID_X_EN: 1
; COMPUTE_PGM_RSRC2:TGID_Y_EN: 0
; COMPUTE_PGM_RSRC2:TGID_Z_EN: 0
; COMPUTE_PGM_RSRC2:TIDIG_COMP_CNT: 0
	.section	.text._ZN7rocprim17ROCPRIM_400000_NS6detail17trampoline_kernelINS0_14default_configENS1_20scan_config_selectorIdEEZZNS1_9scan_implILNS1_25lookback_scan_determinismE0ELb0ELb0ES3_PKdPddZZZN2at6native31launch_logcumsumexp_cuda_kernelERKNSB_10TensorBaseESF_lENKUlvE_clEvENKUlvE_clEvEUlddE_dEEDaPvRmT3_T4_T5_mT6_P12ihipStream_tbENKUlT_T0_E_clISt17integral_constantIbLb1EESW_EEDaSR_SS_EUlSR_E_NS1_11comp_targetILNS1_3genE2ELNS1_11target_archE906ELNS1_3gpuE6ELNS1_3repE0EEENS1_30default_config_static_selectorELNS0_4arch9wavefront6targetE0EEEvT1_,"axG",@progbits,_ZN7rocprim17ROCPRIM_400000_NS6detail17trampoline_kernelINS0_14default_configENS1_20scan_config_selectorIdEEZZNS1_9scan_implILNS1_25lookback_scan_determinismE0ELb0ELb0ES3_PKdPddZZZN2at6native31launch_logcumsumexp_cuda_kernelERKNSB_10TensorBaseESF_lENKUlvE_clEvENKUlvE_clEvEUlddE_dEEDaPvRmT3_T4_T5_mT6_P12ihipStream_tbENKUlT_T0_E_clISt17integral_constantIbLb1EESW_EEDaSR_SS_EUlSR_E_NS1_11comp_targetILNS1_3genE2ELNS1_11target_archE906ELNS1_3gpuE6ELNS1_3repE0EEENS1_30default_config_static_selectorELNS0_4arch9wavefront6targetE0EEEvT1_,comdat
	.globl	_ZN7rocprim17ROCPRIM_400000_NS6detail17trampoline_kernelINS0_14default_configENS1_20scan_config_selectorIdEEZZNS1_9scan_implILNS1_25lookback_scan_determinismE0ELb0ELb0ES3_PKdPddZZZN2at6native31launch_logcumsumexp_cuda_kernelERKNSB_10TensorBaseESF_lENKUlvE_clEvENKUlvE_clEvEUlddE_dEEDaPvRmT3_T4_T5_mT6_P12ihipStream_tbENKUlT_T0_E_clISt17integral_constantIbLb1EESW_EEDaSR_SS_EUlSR_E_NS1_11comp_targetILNS1_3genE2ELNS1_11target_archE906ELNS1_3gpuE6ELNS1_3repE0EEENS1_30default_config_static_selectorELNS0_4arch9wavefront6targetE0EEEvT1_ ; -- Begin function _ZN7rocprim17ROCPRIM_400000_NS6detail17trampoline_kernelINS0_14default_configENS1_20scan_config_selectorIdEEZZNS1_9scan_implILNS1_25lookback_scan_determinismE0ELb0ELb0ES3_PKdPddZZZN2at6native31launch_logcumsumexp_cuda_kernelERKNSB_10TensorBaseESF_lENKUlvE_clEvENKUlvE_clEvEUlddE_dEEDaPvRmT3_T4_T5_mT6_P12ihipStream_tbENKUlT_T0_E_clISt17integral_constantIbLb1EESW_EEDaSR_SS_EUlSR_E_NS1_11comp_targetILNS1_3genE2ELNS1_11target_archE906ELNS1_3gpuE6ELNS1_3repE0EEENS1_30default_config_static_selectorELNS0_4arch9wavefront6targetE0EEEvT1_
	.p2align	8
	.type	_ZN7rocprim17ROCPRIM_400000_NS6detail17trampoline_kernelINS0_14default_configENS1_20scan_config_selectorIdEEZZNS1_9scan_implILNS1_25lookback_scan_determinismE0ELb0ELb0ES3_PKdPddZZZN2at6native31launch_logcumsumexp_cuda_kernelERKNSB_10TensorBaseESF_lENKUlvE_clEvENKUlvE_clEvEUlddE_dEEDaPvRmT3_T4_T5_mT6_P12ihipStream_tbENKUlT_T0_E_clISt17integral_constantIbLb1EESW_EEDaSR_SS_EUlSR_E_NS1_11comp_targetILNS1_3genE2ELNS1_11target_archE906ELNS1_3gpuE6ELNS1_3repE0EEENS1_30default_config_static_selectorELNS0_4arch9wavefront6targetE0EEEvT1_,@function
_ZN7rocprim17ROCPRIM_400000_NS6detail17trampoline_kernelINS0_14default_configENS1_20scan_config_selectorIdEEZZNS1_9scan_implILNS1_25lookback_scan_determinismE0ELb0ELb0ES3_PKdPddZZZN2at6native31launch_logcumsumexp_cuda_kernelERKNSB_10TensorBaseESF_lENKUlvE_clEvENKUlvE_clEvEUlddE_dEEDaPvRmT3_T4_T5_mT6_P12ihipStream_tbENKUlT_T0_E_clISt17integral_constantIbLb1EESW_EEDaSR_SS_EUlSR_E_NS1_11comp_targetILNS1_3genE2ELNS1_11target_archE906ELNS1_3gpuE6ELNS1_3repE0EEENS1_30default_config_static_selectorELNS0_4arch9wavefront6targetE0EEEvT1_: ; @_ZN7rocprim17ROCPRIM_400000_NS6detail17trampoline_kernelINS0_14default_configENS1_20scan_config_selectorIdEEZZNS1_9scan_implILNS1_25lookback_scan_determinismE0ELb0ELb0ES3_PKdPddZZZN2at6native31launch_logcumsumexp_cuda_kernelERKNSB_10TensorBaseESF_lENKUlvE_clEvENKUlvE_clEvEUlddE_dEEDaPvRmT3_T4_T5_mT6_P12ihipStream_tbENKUlT_T0_E_clISt17integral_constantIbLb1EESW_EEDaSR_SS_EUlSR_E_NS1_11comp_targetILNS1_3genE2ELNS1_11target_archE906ELNS1_3gpuE6ELNS1_3repE0EEENS1_30default_config_static_selectorELNS0_4arch9wavefront6targetE0EEEvT1_
; %bb.0:
	.section	.rodata,"a",@progbits
	.p2align	6, 0x0
	.amdhsa_kernel _ZN7rocprim17ROCPRIM_400000_NS6detail17trampoline_kernelINS0_14default_configENS1_20scan_config_selectorIdEEZZNS1_9scan_implILNS1_25lookback_scan_determinismE0ELb0ELb0ES3_PKdPddZZZN2at6native31launch_logcumsumexp_cuda_kernelERKNSB_10TensorBaseESF_lENKUlvE_clEvENKUlvE_clEvEUlddE_dEEDaPvRmT3_T4_T5_mT6_P12ihipStream_tbENKUlT_T0_E_clISt17integral_constantIbLb1EESW_EEDaSR_SS_EUlSR_E_NS1_11comp_targetILNS1_3genE2ELNS1_11target_archE906ELNS1_3gpuE6ELNS1_3repE0EEENS1_30default_config_static_selectorELNS0_4arch9wavefront6targetE0EEEvT1_
		.amdhsa_group_segment_fixed_size 0
		.amdhsa_private_segment_fixed_size 0
		.amdhsa_kernarg_size 104
		.amdhsa_user_sgpr_count 6
		.amdhsa_user_sgpr_private_segment_buffer 1
		.amdhsa_user_sgpr_dispatch_ptr 0
		.amdhsa_user_sgpr_queue_ptr 0
		.amdhsa_user_sgpr_kernarg_segment_ptr 1
		.amdhsa_user_sgpr_dispatch_id 0
		.amdhsa_user_sgpr_flat_scratch_init 0
		.amdhsa_user_sgpr_private_segment_size 0
		.amdhsa_wavefront_size32 1
		.amdhsa_uses_dynamic_stack 0
		.amdhsa_system_sgpr_private_segment_wavefront_offset 0
		.amdhsa_system_sgpr_workgroup_id_x 1
		.amdhsa_system_sgpr_workgroup_id_y 0
		.amdhsa_system_sgpr_workgroup_id_z 0
		.amdhsa_system_sgpr_workgroup_info 0
		.amdhsa_system_vgpr_workitem_id 0
		.amdhsa_next_free_vgpr 1
		.amdhsa_next_free_sgpr 1
		.amdhsa_reserve_vcc 0
		.amdhsa_reserve_flat_scratch 0
		.amdhsa_float_round_mode_32 0
		.amdhsa_float_round_mode_16_64 0
		.amdhsa_float_denorm_mode_32 3
		.amdhsa_float_denorm_mode_16_64 3
		.amdhsa_dx10_clamp 1
		.amdhsa_ieee_mode 1
		.amdhsa_fp16_overflow 0
		.amdhsa_workgroup_processor_mode 1
		.amdhsa_memory_ordered 1
		.amdhsa_forward_progress 1
		.amdhsa_shared_vgpr_count 0
		.amdhsa_exception_fp_ieee_invalid_op 0
		.amdhsa_exception_fp_denorm_src 0
		.amdhsa_exception_fp_ieee_div_zero 0
		.amdhsa_exception_fp_ieee_overflow 0
		.amdhsa_exception_fp_ieee_underflow 0
		.amdhsa_exception_fp_ieee_inexact 0
		.amdhsa_exception_int_div_zero 0
	.end_amdhsa_kernel
	.section	.text._ZN7rocprim17ROCPRIM_400000_NS6detail17trampoline_kernelINS0_14default_configENS1_20scan_config_selectorIdEEZZNS1_9scan_implILNS1_25lookback_scan_determinismE0ELb0ELb0ES3_PKdPddZZZN2at6native31launch_logcumsumexp_cuda_kernelERKNSB_10TensorBaseESF_lENKUlvE_clEvENKUlvE_clEvEUlddE_dEEDaPvRmT3_T4_T5_mT6_P12ihipStream_tbENKUlT_T0_E_clISt17integral_constantIbLb1EESW_EEDaSR_SS_EUlSR_E_NS1_11comp_targetILNS1_3genE2ELNS1_11target_archE906ELNS1_3gpuE6ELNS1_3repE0EEENS1_30default_config_static_selectorELNS0_4arch9wavefront6targetE0EEEvT1_,"axG",@progbits,_ZN7rocprim17ROCPRIM_400000_NS6detail17trampoline_kernelINS0_14default_configENS1_20scan_config_selectorIdEEZZNS1_9scan_implILNS1_25lookback_scan_determinismE0ELb0ELb0ES3_PKdPddZZZN2at6native31launch_logcumsumexp_cuda_kernelERKNSB_10TensorBaseESF_lENKUlvE_clEvENKUlvE_clEvEUlddE_dEEDaPvRmT3_T4_T5_mT6_P12ihipStream_tbENKUlT_T0_E_clISt17integral_constantIbLb1EESW_EEDaSR_SS_EUlSR_E_NS1_11comp_targetILNS1_3genE2ELNS1_11target_archE906ELNS1_3gpuE6ELNS1_3repE0EEENS1_30default_config_static_selectorELNS0_4arch9wavefront6targetE0EEEvT1_,comdat
.Lfunc_end32:
	.size	_ZN7rocprim17ROCPRIM_400000_NS6detail17trampoline_kernelINS0_14default_configENS1_20scan_config_selectorIdEEZZNS1_9scan_implILNS1_25lookback_scan_determinismE0ELb0ELb0ES3_PKdPddZZZN2at6native31launch_logcumsumexp_cuda_kernelERKNSB_10TensorBaseESF_lENKUlvE_clEvENKUlvE_clEvEUlddE_dEEDaPvRmT3_T4_T5_mT6_P12ihipStream_tbENKUlT_T0_E_clISt17integral_constantIbLb1EESW_EEDaSR_SS_EUlSR_E_NS1_11comp_targetILNS1_3genE2ELNS1_11target_archE906ELNS1_3gpuE6ELNS1_3repE0EEENS1_30default_config_static_selectorELNS0_4arch9wavefront6targetE0EEEvT1_, .Lfunc_end32-_ZN7rocprim17ROCPRIM_400000_NS6detail17trampoline_kernelINS0_14default_configENS1_20scan_config_selectorIdEEZZNS1_9scan_implILNS1_25lookback_scan_determinismE0ELb0ELb0ES3_PKdPddZZZN2at6native31launch_logcumsumexp_cuda_kernelERKNSB_10TensorBaseESF_lENKUlvE_clEvENKUlvE_clEvEUlddE_dEEDaPvRmT3_T4_T5_mT6_P12ihipStream_tbENKUlT_T0_E_clISt17integral_constantIbLb1EESW_EEDaSR_SS_EUlSR_E_NS1_11comp_targetILNS1_3genE2ELNS1_11target_archE906ELNS1_3gpuE6ELNS1_3repE0EEENS1_30default_config_static_selectorELNS0_4arch9wavefront6targetE0EEEvT1_
                                        ; -- End function
	.set _ZN7rocprim17ROCPRIM_400000_NS6detail17trampoline_kernelINS0_14default_configENS1_20scan_config_selectorIdEEZZNS1_9scan_implILNS1_25lookback_scan_determinismE0ELb0ELb0ES3_PKdPddZZZN2at6native31launch_logcumsumexp_cuda_kernelERKNSB_10TensorBaseESF_lENKUlvE_clEvENKUlvE_clEvEUlddE_dEEDaPvRmT3_T4_T5_mT6_P12ihipStream_tbENKUlT_T0_E_clISt17integral_constantIbLb1EESW_EEDaSR_SS_EUlSR_E_NS1_11comp_targetILNS1_3genE2ELNS1_11target_archE906ELNS1_3gpuE6ELNS1_3repE0EEENS1_30default_config_static_selectorELNS0_4arch9wavefront6targetE0EEEvT1_.num_vgpr, 0
	.set _ZN7rocprim17ROCPRIM_400000_NS6detail17trampoline_kernelINS0_14default_configENS1_20scan_config_selectorIdEEZZNS1_9scan_implILNS1_25lookback_scan_determinismE0ELb0ELb0ES3_PKdPddZZZN2at6native31launch_logcumsumexp_cuda_kernelERKNSB_10TensorBaseESF_lENKUlvE_clEvENKUlvE_clEvEUlddE_dEEDaPvRmT3_T4_T5_mT6_P12ihipStream_tbENKUlT_T0_E_clISt17integral_constantIbLb1EESW_EEDaSR_SS_EUlSR_E_NS1_11comp_targetILNS1_3genE2ELNS1_11target_archE906ELNS1_3gpuE6ELNS1_3repE0EEENS1_30default_config_static_selectorELNS0_4arch9wavefront6targetE0EEEvT1_.num_agpr, 0
	.set _ZN7rocprim17ROCPRIM_400000_NS6detail17trampoline_kernelINS0_14default_configENS1_20scan_config_selectorIdEEZZNS1_9scan_implILNS1_25lookback_scan_determinismE0ELb0ELb0ES3_PKdPddZZZN2at6native31launch_logcumsumexp_cuda_kernelERKNSB_10TensorBaseESF_lENKUlvE_clEvENKUlvE_clEvEUlddE_dEEDaPvRmT3_T4_T5_mT6_P12ihipStream_tbENKUlT_T0_E_clISt17integral_constantIbLb1EESW_EEDaSR_SS_EUlSR_E_NS1_11comp_targetILNS1_3genE2ELNS1_11target_archE906ELNS1_3gpuE6ELNS1_3repE0EEENS1_30default_config_static_selectorELNS0_4arch9wavefront6targetE0EEEvT1_.numbered_sgpr, 0
	.set _ZN7rocprim17ROCPRIM_400000_NS6detail17trampoline_kernelINS0_14default_configENS1_20scan_config_selectorIdEEZZNS1_9scan_implILNS1_25lookback_scan_determinismE0ELb0ELb0ES3_PKdPddZZZN2at6native31launch_logcumsumexp_cuda_kernelERKNSB_10TensorBaseESF_lENKUlvE_clEvENKUlvE_clEvEUlddE_dEEDaPvRmT3_T4_T5_mT6_P12ihipStream_tbENKUlT_T0_E_clISt17integral_constantIbLb1EESW_EEDaSR_SS_EUlSR_E_NS1_11comp_targetILNS1_3genE2ELNS1_11target_archE906ELNS1_3gpuE6ELNS1_3repE0EEENS1_30default_config_static_selectorELNS0_4arch9wavefront6targetE0EEEvT1_.num_named_barrier, 0
	.set _ZN7rocprim17ROCPRIM_400000_NS6detail17trampoline_kernelINS0_14default_configENS1_20scan_config_selectorIdEEZZNS1_9scan_implILNS1_25lookback_scan_determinismE0ELb0ELb0ES3_PKdPddZZZN2at6native31launch_logcumsumexp_cuda_kernelERKNSB_10TensorBaseESF_lENKUlvE_clEvENKUlvE_clEvEUlddE_dEEDaPvRmT3_T4_T5_mT6_P12ihipStream_tbENKUlT_T0_E_clISt17integral_constantIbLb1EESW_EEDaSR_SS_EUlSR_E_NS1_11comp_targetILNS1_3genE2ELNS1_11target_archE906ELNS1_3gpuE6ELNS1_3repE0EEENS1_30default_config_static_selectorELNS0_4arch9wavefront6targetE0EEEvT1_.private_seg_size, 0
	.set _ZN7rocprim17ROCPRIM_400000_NS6detail17trampoline_kernelINS0_14default_configENS1_20scan_config_selectorIdEEZZNS1_9scan_implILNS1_25lookback_scan_determinismE0ELb0ELb0ES3_PKdPddZZZN2at6native31launch_logcumsumexp_cuda_kernelERKNSB_10TensorBaseESF_lENKUlvE_clEvENKUlvE_clEvEUlddE_dEEDaPvRmT3_T4_T5_mT6_P12ihipStream_tbENKUlT_T0_E_clISt17integral_constantIbLb1EESW_EEDaSR_SS_EUlSR_E_NS1_11comp_targetILNS1_3genE2ELNS1_11target_archE906ELNS1_3gpuE6ELNS1_3repE0EEENS1_30default_config_static_selectorELNS0_4arch9wavefront6targetE0EEEvT1_.uses_vcc, 0
	.set _ZN7rocprim17ROCPRIM_400000_NS6detail17trampoline_kernelINS0_14default_configENS1_20scan_config_selectorIdEEZZNS1_9scan_implILNS1_25lookback_scan_determinismE0ELb0ELb0ES3_PKdPddZZZN2at6native31launch_logcumsumexp_cuda_kernelERKNSB_10TensorBaseESF_lENKUlvE_clEvENKUlvE_clEvEUlddE_dEEDaPvRmT3_T4_T5_mT6_P12ihipStream_tbENKUlT_T0_E_clISt17integral_constantIbLb1EESW_EEDaSR_SS_EUlSR_E_NS1_11comp_targetILNS1_3genE2ELNS1_11target_archE906ELNS1_3gpuE6ELNS1_3repE0EEENS1_30default_config_static_selectorELNS0_4arch9wavefront6targetE0EEEvT1_.uses_flat_scratch, 0
	.set _ZN7rocprim17ROCPRIM_400000_NS6detail17trampoline_kernelINS0_14default_configENS1_20scan_config_selectorIdEEZZNS1_9scan_implILNS1_25lookback_scan_determinismE0ELb0ELb0ES3_PKdPddZZZN2at6native31launch_logcumsumexp_cuda_kernelERKNSB_10TensorBaseESF_lENKUlvE_clEvENKUlvE_clEvEUlddE_dEEDaPvRmT3_T4_T5_mT6_P12ihipStream_tbENKUlT_T0_E_clISt17integral_constantIbLb1EESW_EEDaSR_SS_EUlSR_E_NS1_11comp_targetILNS1_3genE2ELNS1_11target_archE906ELNS1_3gpuE6ELNS1_3repE0EEENS1_30default_config_static_selectorELNS0_4arch9wavefront6targetE0EEEvT1_.has_dyn_sized_stack, 0
	.set _ZN7rocprim17ROCPRIM_400000_NS6detail17trampoline_kernelINS0_14default_configENS1_20scan_config_selectorIdEEZZNS1_9scan_implILNS1_25lookback_scan_determinismE0ELb0ELb0ES3_PKdPddZZZN2at6native31launch_logcumsumexp_cuda_kernelERKNSB_10TensorBaseESF_lENKUlvE_clEvENKUlvE_clEvEUlddE_dEEDaPvRmT3_T4_T5_mT6_P12ihipStream_tbENKUlT_T0_E_clISt17integral_constantIbLb1EESW_EEDaSR_SS_EUlSR_E_NS1_11comp_targetILNS1_3genE2ELNS1_11target_archE906ELNS1_3gpuE6ELNS1_3repE0EEENS1_30default_config_static_selectorELNS0_4arch9wavefront6targetE0EEEvT1_.has_recursion, 0
	.set _ZN7rocprim17ROCPRIM_400000_NS6detail17trampoline_kernelINS0_14default_configENS1_20scan_config_selectorIdEEZZNS1_9scan_implILNS1_25lookback_scan_determinismE0ELb0ELb0ES3_PKdPddZZZN2at6native31launch_logcumsumexp_cuda_kernelERKNSB_10TensorBaseESF_lENKUlvE_clEvENKUlvE_clEvEUlddE_dEEDaPvRmT3_T4_T5_mT6_P12ihipStream_tbENKUlT_T0_E_clISt17integral_constantIbLb1EESW_EEDaSR_SS_EUlSR_E_NS1_11comp_targetILNS1_3genE2ELNS1_11target_archE906ELNS1_3gpuE6ELNS1_3repE0EEENS1_30default_config_static_selectorELNS0_4arch9wavefront6targetE0EEEvT1_.has_indirect_call, 0
	.section	.AMDGPU.csdata,"",@progbits
; Kernel info:
; codeLenInByte = 0
; TotalNumSgprs: 0
; NumVgprs: 0
; ScratchSize: 0
; MemoryBound: 0
; FloatMode: 240
; IeeeMode: 1
; LDSByteSize: 0 bytes/workgroup (compile time only)
; SGPRBlocks: 0
; VGPRBlocks: 0
; NumSGPRsForWavesPerEU: 1
; NumVGPRsForWavesPerEU: 1
; Occupancy: 16
; WaveLimiterHint : 0
; COMPUTE_PGM_RSRC2:SCRATCH_EN: 0
; COMPUTE_PGM_RSRC2:USER_SGPR: 6
; COMPUTE_PGM_RSRC2:TRAP_HANDLER: 0
; COMPUTE_PGM_RSRC2:TGID_X_EN: 1
; COMPUTE_PGM_RSRC2:TGID_Y_EN: 0
; COMPUTE_PGM_RSRC2:TGID_Z_EN: 0
; COMPUTE_PGM_RSRC2:TIDIG_COMP_CNT: 0
	.section	.text._ZN7rocprim17ROCPRIM_400000_NS6detail17trampoline_kernelINS0_14default_configENS1_20scan_config_selectorIdEEZZNS1_9scan_implILNS1_25lookback_scan_determinismE0ELb0ELb0ES3_PKdPddZZZN2at6native31launch_logcumsumexp_cuda_kernelERKNSB_10TensorBaseESF_lENKUlvE_clEvENKUlvE_clEvEUlddE_dEEDaPvRmT3_T4_T5_mT6_P12ihipStream_tbENKUlT_T0_E_clISt17integral_constantIbLb1EESW_EEDaSR_SS_EUlSR_E_NS1_11comp_targetILNS1_3genE10ELNS1_11target_archE1201ELNS1_3gpuE5ELNS1_3repE0EEENS1_30default_config_static_selectorELNS0_4arch9wavefront6targetE0EEEvT1_,"axG",@progbits,_ZN7rocprim17ROCPRIM_400000_NS6detail17trampoline_kernelINS0_14default_configENS1_20scan_config_selectorIdEEZZNS1_9scan_implILNS1_25lookback_scan_determinismE0ELb0ELb0ES3_PKdPddZZZN2at6native31launch_logcumsumexp_cuda_kernelERKNSB_10TensorBaseESF_lENKUlvE_clEvENKUlvE_clEvEUlddE_dEEDaPvRmT3_T4_T5_mT6_P12ihipStream_tbENKUlT_T0_E_clISt17integral_constantIbLb1EESW_EEDaSR_SS_EUlSR_E_NS1_11comp_targetILNS1_3genE10ELNS1_11target_archE1201ELNS1_3gpuE5ELNS1_3repE0EEENS1_30default_config_static_selectorELNS0_4arch9wavefront6targetE0EEEvT1_,comdat
	.globl	_ZN7rocprim17ROCPRIM_400000_NS6detail17trampoline_kernelINS0_14default_configENS1_20scan_config_selectorIdEEZZNS1_9scan_implILNS1_25lookback_scan_determinismE0ELb0ELb0ES3_PKdPddZZZN2at6native31launch_logcumsumexp_cuda_kernelERKNSB_10TensorBaseESF_lENKUlvE_clEvENKUlvE_clEvEUlddE_dEEDaPvRmT3_T4_T5_mT6_P12ihipStream_tbENKUlT_T0_E_clISt17integral_constantIbLb1EESW_EEDaSR_SS_EUlSR_E_NS1_11comp_targetILNS1_3genE10ELNS1_11target_archE1201ELNS1_3gpuE5ELNS1_3repE0EEENS1_30default_config_static_selectorELNS0_4arch9wavefront6targetE0EEEvT1_ ; -- Begin function _ZN7rocprim17ROCPRIM_400000_NS6detail17trampoline_kernelINS0_14default_configENS1_20scan_config_selectorIdEEZZNS1_9scan_implILNS1_25lookback_scan_determinismE0ELb0ELb0ES3_PKdPddZZZN2at6native31launch_logcumsumexp_cuda_kernelERKNSB_10TensorBaseESF_lENKUlvE_clEvENKUlvE_clEvEUlddE_dEEDaPvRmT3_T4_T5_mT6_P12ihipStream_tbENKUlT_T0_E_clISt17integral_constantIbLb1EESW_EEDaSR_SS_EUlSR_E_NS1_11comp_targetILNS1_3genE10ELNS1_11target_archE1201ELNS1_3gpuE5ELNS1_3repE0EEENS1_30default_config_static_selectorELNS0_4arch9wavefront6targetE0EEEvT1_
	.p2align	8
	.type	_ZN7rocprim17ROCPRIM_400000_NS6detail17trampoline_kernelINS0_14default_configENS1_20scan_config_selectorIdEEZZNS1_9scan_implILNS1_25lookback_scan_determinismE0ELb0ELb0ES3_PKdPddZZZN2at6native31launch_logcumsumexp_cuda_kernelERKNSB_10TensorBaseESF_lENKUlvE_clEvENKUlvE_clEvEUlddE_dEEDaPvRmT3_T4_T5_mT6_P12ihipStream_tbENKUlT_T0_E_clISt17integral_constantIbLb1EESW_EEDaSR_SS_EUlSR_E_NS1_11comp_targetILNS1_3genE10ELNS1_11target_archE1201ELNS1_3gpuE5ELNS1_3repE0EEENS1_30default_config_static_selectorELNS0_4arch9wavefront6targetE0EEEvT1_,@function
_ZN7rocprim17ROCPRIM_400000_NS6detail17trampoline_kernelINS0_14default_configENS1_20scan_config_selectorIdEEZZNS1_9scan_implILNS1_25lookback_scan_determinismE0ELb0ELb0ES3_PKdPddZZZN2at6native31launch_logcumsumexp_cuda_kernelERKNSB_10TensorBaseESF_lENKUlvE_clEvENKUlvE_clEvEUlddE_dEEDaPvRmT3_T4_T5_mT6_P12ihipStream_tbENKUlT_T0_E_clISt17integral_constantIbLb1EESW_EEDaSR_SS_EUlSR_E_NS1_11comp_targetILNS1_3genE10ELNS1_11target_archE1201ELNS1_3gpuE5ELNS1_3repE0EEENS1_30default_config_static_selectorELNS0_4arch9wavefront6targetE0EEEvT1_: ; @_ZN7rocprim17ROCPRIM_400000_NS6detail17trampoline_kernelINS0_14default_configENS1_20scan_config_selectorIdEEZZNS1_9scan_implILNS1_25lookback_scan_determinismE0ELb0ELb0ES3_PKdPddZZZN2at6native31launch_logcumsumexp_cuda_kernelERKNSB_10TensorBaseESF_lENKUlvE_clEvENKUlvE_clEvEUlddE_dEEDaPvRmT3_T4_T5_mT6_P12ihipStream_tbENKUlT_T0_E_clISt17integral_constantIbLb1EESW_EEDaSR_SS_EUlSR_E_NS1_11comp_targetILNS1_3genE10ELNS1_11target_archE1201ELNS1_3gpuE5ELNS1_3repE0EEENS1_30default_config_static_selectorELNS0_4arch9wavefront6targetE0EEEvT1_
; %bb.0:
	.section	.rodata,"a",@progbits
	.p2align	6, 0x0
	.amdhsa_kernel _ZN7rocprim17ROCPRIM_400000_NS6detail17trampoline_kernelINS0_14default_configENS1_20scan_config_selectorIdEEZZNS1_9scan_implILNS1_25lookback_scan_determinismE0ELb0ELb0ES3_PKdPddZZZN2at6native31launch_logcumsumexp_cuda_kernelERKNSB_10TensorBaseESF_lENKUlvE_clEvENKUlvE_clEvEUlddE_dEEDaPvRmT3_T4_T5_mT6_P12ihipStream_tbENKUlT_T0_E_clISt17integral_constantIbLb1EESW_EEDaSR_SS_EUlSR_E_NS1_11comp_targetILNS1_3genE10ELNS1_11target_archE1201ELNS1_3gpuE5ELNS1_3repE0EEENS1_30default_config_static_selectorELNS0_4arch9wavefront6targetE0EEEvT1_
		.amdhsa_group_segment_fixed_size 0
		.amdhsa_private_segment_fixed_size 0
		.amdhsa_kernarg_size 104
		.amdhsa_user_sgpr_count 6
		.amdhsa_user_sgpr_private_segment_buffer 1
		.amdhsa_user_sgpr_dispatch_ptr 0
		.amdhsa_user_sgpr_queue_ptr 0
		.amdhsa_user_sgpr_kernarg_segment_ptr 1
		.amdhsa_user_sgpr_dispatch_id 0
		.amdhsa_user_sgpr_flat_scratch_init 0
		.amdhsa_user_sgpr_private_segment_size 0
		.amdhsa_wavefront_size32 1
		.amdhsa_uses_dynamic_stack 0
		.amdhsa_system_sgpr_private_segment_wavefront_offset 0
		.amdhsa_system_sgpr_workgroup_id_x 1
		.amdhsa_system_sgpr_workgroup_id_y 0
		.amdhsa_system_sgpr_workgroup_id_z 0
		.amdhsa_system_sgpr_workgroup_info 0
		.amdhsa_system_vgpr_workitem_id 0
		.amdhsa_next_free_vgpr 1
		.amdhsa_next_free_sgpr 1
		.amdhsa_reserve_vcc 0
		.amdhsa_reserve_flat_scratch 0
		.amdhsa_float_round_mode_32 0
		.amdhsa_float_round_mode_16_64 0
		.amdhsa_float_denorm_mode_32 3
		.amdhsa_float_denorm_mode_16_64 3
		.amdhsa_dx10_clamp 1
		.amdhsa_ieee_mode 1
		.amdhsa_fp16_overflow 0
		.amdhsa_workgroup_processor_mode 1
		.amdhsa_memory_ordered 1
		.amdhsa_forward_progress 1
		.amdhsa_shared_vgpr_count 0
		.amdhsa_exception_fp_ieee_invalid_op 0
		.amdhsa_exception_fp_denorm_src 0
		.amdhsa_exception_fp_ieee_div_zero 0
		.amdhsa_exception_fp_ieee_overflow 0
		.amdhsa_exception_fp_ieee_underflow 0
		.amdhsa_exception_fp_ieee_inexact 0
		.amdhsa_exception_int_div_zero 0
	.end_amdhsa_kernel
	.section	.text._ZN7rocprim17ROCPRIM_400000_NS6detail17trampoline_kernelINS0_14default_configENS1_20scan_config_selectorIdEEZZNS1_9scan_implILNS1_25lookback_scan_determinismE0ELb0ELb0ES3_PKdPddZZZN2at6native31launch_logcumsumexp_cuda_kernelERKNSB_10TensorBaseESF_lENKUlvE_clEvENKUlvE_clEvEUlddE_dEEDaPvRmT3_T4_T5_mT6_P12ihipStream_tbENKUlT_T0_E_clISt17integral_constantIbLb1EESW_EEDaSR_SS_EUlSR_E_NS1_11comp_targetILNS1_3genE10ELNS1_11target_archE1201ELNS1_3gpuE5ELNS1_3repE0EEENS1_30default_config_static_selectorELNS0_4arch9wavefront6targetE0EEEvT1_,"axG",@progbits,_ZN7rocprim17ROCPRIM_400000_NS6detail17trampoline_kernelINS0_14default_configENS1_20scan_config_selectorIdEEZZNS1_9scan_implILNS1_25lookback_scan_determinismE0ELb0ELb0ES3_PKdPddZZZN2at6native31launch_logcumsumexp_cuda_kernelERKNSB_10TensorBaseESF_lENKUlvE_clEvENKUlvE_clEvEUlddE_dEEDaPvRmT3_T4_T5_mT6_P12ihipStream_tbENKUlT_T0_E_clISt17integral_constantIbLb1EESW_EEDaSR_SS_EUlSR_E_NS1_11comp_targetILNS1_3genE10ELNS1_11target_archE1201ELNS1_3gpuE5ELNS1_3repE0EEENS1_30default_config_static_selectorELNS0_4arch9wavefront6targetE0EEEvT1_,comdat
.Lfunc_end33:
	.size	_ZN7rocprim17ROCPRIM_400000_NS6detail17trampoline_kernelINS0_14default_configENS1_20scan_config_selectorIdEEZZNS1_9scan_implILNS1_25lookback_scan_determinismE0ELb0ELb0ES3_PKdPddZZZN2at6native31launch_logcumsumexp_cuda_kernelERKNSB_10TensorBaseESF_lENKUlvE_clEvENKUlvE_clEvEUlddE_dEEDaPvRmT3_T4_T5_mT6_P12ihipStream_tbENKUlT_T0_E_clISt17integral_constantIbLb1EESW_EEDaSR_SS_EUlSR_E_NS1_11comp_targetILNS1_3genE10ELNS1_11target_archE1201ELNS1_3gpuE5ELNS1_3repE0EEENS1_30default_config_static_selectorELNS0_4arch9wavefront6targetE0EEEvT1_, .Lfunc_end33-_ZN7rocprim17ROCPRIM_400000_NS6detail17trampoline_kernelINS0_14default_configENS1_20scan_config_selectorIdEEZZNS1_9scan_implILNS1_25lookback_scan_determinismE0ELb0ELb0ES3_PKdPddZZZN2at6native31launch_logcumsumexp_cuda_kernelERKNSB_10TensorBaseESF_lENKUlvE_clEvENKUlvE_clEvEUlddE_dEEDaPvRmT3_T4_T5_mT6_P12ihipStream_tbENKUlT_T0_E_clISt17integral_constantIbLb1EESW_EEDaSR_SS_EUlSR_E_NS1_11comp_targetILNS1_3genE10ELNS1_11target_archE1201ELNS1_3gpuE5ELNS1_3repE0EEENS1_30default_config_static_selectorELNS0_4arch9wavefront6targetE0EEEvT1_
                                        ; -- End function
	.set _ZN7rocprim17ROCPRIM_400000_NS6detail17trampoline_kernelINS0_14default_configENS1_20scan_config_selectorIdEEZZNS1_9scan_implILNS1_25lookback_scan_determinismE0ELb0ELb0ES3_PKdPddZZZN2at6native31launch_logcumsumexp_cuda_kernelERKNSB_10TensorBaseESF_lENKUlvE_clEvENKUlvE_clEvEUlddE_dEEDaPvRmT3_T4_T5_mT6_P12ihipStream_tbENKUlT_T0_E_clISt17integral_constantIbLb1EESW_EEDaSR_SS_EUlSR_E_NS1_11comp_targetILNS1_3genE10ELNS1_11target_archE1201ELNS1_3gpuE5ELNS1_3repE0EEENS1_30default_config_static_selectorELNS0_4arch9wavefront6targetE0EEEvT1_.num_vgpr, 0
	.set _ZN7rocprim17ROCPRIM_400000_NS6detail17trampoline_kernelINS0_14default_configENS1_20scan_config_selectorIdEEZZNS1_9scan_implILNS1_25lookback_scan_determinismE0ELb0ELb0ES3_PKdPddZZZN2at6native31launch_logcumsumexp_cuda_kernelERKNSB_10TensorBaseESF_lENKUlvE_clEvENKUlvE_clEvEUlddE_dEEDaPvRmT3_T4_T5_mT6_P12ihipStream_tbENKUlT_T0_E_clISt17integral_constantIbLb1EESW_EEDaSR_SS_EUlSR_E_NS1_11comp_targetILNS1_3genE10ELNS1_11target_archE1201ELNS1_3gpuE5ELNS1_3repE0EEENS1_30default_config_static_selectorELNS0_4arch9wavefront6targetE0EEEvT1_.num_agpr, 0
	.set _ZN7rocprim17ROCPRIM_400000_NS6detail17trampoline_kernelINS0_14default_configENS1_20scan_config_selectorIdEEZZNS1_9scan_implILNS1_25lookback_scan_determinismE0ELb0ELb0ES3_PKdPddZZZN2at6native31launch_logcumsumexp_cuda_kernelERKNSB_10TensorBaseESF_lENKUlvE_clEvENKUlvE_clEvEUlddE_dEEDaPvRmT3_T4_T5_mT6_P12ihipStream_tbENKUlT_T0_E_clISt17integral_constantIbLb1EESW_EEDaSR_SS_EUlSR_E_NS1_11comp_targetILNS1_3genE10ELNS1_11target_archE1201ELNS1_3gpuE5ELNS1_3repE0EEENS1_30default_config_static_selectorELNS0_4arch9wavefront6targetE0EEEvT1_.numbered_sgpr, 0
	.set _ZN7rocprim17ROCPRIM_400000_NS6detail17trampoline_kernelINS0_14default_configENS1_20scan_config_selectorIdEEZZNS1_9scan_implILNS1_25lookback_scan_determinismE0ELb0ELb0ES3_PKdPddZZZN2at6native31launch_logcumsumexp_cuda_kernelERKNSB_10TensorBaseESF_lENKUlvE_clEvENKUlvE_clEvEUlddE_dEEDaPvRmT3_T4_T5_mT6_P12ihipStream_tbENKUlT_T0_E_clISt17integral_constantIbLb1EESW_EEDaSR_SS_EUlSR_E_NS1_11comp_targetILNS1_3genE10ELNS1_11target_archE1201ELNS1_3gpuE5ELNS1_3repE0EEENS1_30default_config_static_selectorELNS0_4arch9wavefront6targetE0EEEvT1_.num_named_barrier, 0
	.set _ZN7rocprim17ROCPRIM_400000_NS6detail17trampoline_kernelINS0_14default_configENS1_20scan_config_selectorIdEEZZNS1_9scan_implILNS1_25lookback_scan_determinismE0ELb0ELb0ES3_PKdPddZZZN2at6native31launch_logcumsumexp_cuda_kernelERKNSB_10TensorBaseESF_lENKUlvE_clEvENKUlvE_clEvEUlddE_dEEDaPvRmT3_T4_T5_mT6_P12ihipStream_tbENKUlT_T0_E_clISt17integral_constantIbLb1EESW_EEDaSR_SS_EUlSR_E_NS1_11comp_targetILNS1_3genE10ELNS1_11target_archE1201ELNS1_3gpuE5ELNS1_3repE0EEENS1_30default_config_static_selectorELNS0_4arch9wavefront6targetE0EEEvT1_.private_seg_size, 0
	.set _ZN7rocprim17ROCPRIM_400000_NS6detail17trampoline_kernelINS0_14default_configENS1_20scan_config_selectorIdEEZZNS1_9scan_implILNS1_25lookback_scan_determinismE0ELb0ELb0ES3_PKdPddZZZN2at6native31launch_logcumsumexp_cuda_kernelERKNSB_10TensorBaseESF_lENKUlvE_clEvENKUlvE_clEvEUlddE_dEEDaPvRmT3_T4_T5_mT6_P12ihipStream_tbENKUlT_T0_E_clISt17integral_constantIbLb1EESW_EEDaSR_SS_EUlSR_E_NS1_11comp_targetILNS1_3genE10ELNS1_11target_archE1201ELNS1_3gpuE5ELNS1_3repE0EEENS1_30default_config_static_selectorELNS0_4arch9wavefront6targetE0EEEvT1_.uses_vcc, 0
	.set _ZN7rocprim17ROCPRIM_400000_NS6detail17trampoline_kernelINS0_14default_configENS1_20scan_config_selectorIdEEZZNS1_9scan_implILNS1_25lookback_scan_determinismE0ELb0ELb0ES3_PKdPddZZZN2at6native31launch_logcumsumexp_cuda_kernelERKNSB_10TensorBaseESF_lENKUlvE_clEvENKUlvE_clEvEUlddE_dEEDaPvRmT3_T4_T5_mT6_P12ihipStream_tbENKUlT_T0_E_clISt17integral_constantIbLb1EESW_EEDaSR_SS_EUlSR_E_NS1_11comp_targetILNS1_3genE10ELNS1_11target_archE1201ELNS1_3gpuE5ELNS1_3repE0EEENS1_30default_config_static_selectorELNS0_4arch9wavefront6targetE0EEEvT1_.uses_flat_scratch, 0
	.set _ZN7rocprim17ROCPRIM_400000_NS6detail17trampoline_kernelINS0_14default_configENS1_20scan_config_selectorIdEEZZNS1_9scan_implILNS1_25lookback_scan_determinismE0ELb0ELb0ES3_PKdPddZZZN2at6native31launch_logcumsumexp_cuda_kernelERKNSB_10TensorBaseESF_lENKUlvE_clEvENKUlvE_clEvEUlddE_dEEDaPvRmT3_T4_T5_mT6_P12ihipStream_tbENKUlT_T0_E_clISt17integral_constantIbLb1EESW_EEDaSR_SS_EUlSR_E_NS1_11comp_targetILNS1_3genE10ELNS1_11target_archE1201ELNS1_3gpuE5ELNS1_3repE0EEENS1_30default_config_static_selectorELNS0_4arch9wavefront6targetE0EEEvT1_.has_dyn_sized_stack, 0
	.set _ZN7rocprim17ROCPRIM_400000_NS6detail17trampoline_kernelINS0_14default_configENS1_20scan_config_selectorIdEEZZNS1_9scan_implILNS1_25lookback_scan_determinismE0ELb0ELb0ES3_PKdPddZZZN2at6native31launch_logcumsumexp_cuda_kernelERKNSB_10TensorBaseESF_lENKUlvE_clEvENKUlvE_clEvEUlddE_dEEDaPvRmT3_T4_T5_mT6_P12ihipStream_tbENKUlT_T0_E_clISt17integral_constantIbLb1EESW_EEDaSR_SS_EUlSR_E_NS1_11comp_targetILNS1_3genE10ELNS1_11target_archE1201ELNS1_3gpuE5ELNS1_3repE0EEENS1_30default_config_static_selectorELNS0_4arch9wavefront6targetE0EEEvT1_.has_recursion, 0
	.set _ZN7rocprim17ROCPRIM_400000_NS6detail17trampoline_kernelINS0_14default_configENS1_20scan_config_selectorIdEEZZNS1_9scan_implILNS1_25lookback_scan_determinismE0ELb0ELb0ES3_PKdPddZZZN2at6native31launch_logcumsumexp_cuda_kernelERKNSB_10TensorBaseESF_lENKUlvE_clEvENKUlvE_clEvEUlddE_dEEDaPvRmT3_T4_T5_mT6_P12ihipStream_tbENKUlT_T0_E_clISt17integral_constantIbLb1EESW_EEDaSR_SS_EUlSR_E_NS1_11comp_targetILNS1_3genE10ELNS1_11target_archE1201ELNS1_3gpuE5ELNS1_3repE0EEENS1_30default_config_static_selectorELNS0_4arch9wavefront6targetE0EEEvT1_.has_indirect_call, 0
	.section	.AMDGPU.csdata,"",@progbits
; Kernel info:
; codeLenInByte = 0
; TotalNumSgprs: 0
; NumVgprs: 0
; ScratchSize: 0
; MemoryBound: 0
; FloatMode: 240
; IeeeMode: 1
; LDSByteSize: 0 bytes/workgroup (compile time only)
; SGPRBlocks: 0
; VGPRBlocks: 0
; NumSGPRsForWavesPerEU: 1
; NumVGPRsForWavesPerEU: 1
; Occupancy: 16
; WaveLimiterHint : 0
; COMPUTE_PGM_RSRC2:SCRATCH_EN: 0
; COMPUTE_PGM_RSRC2:USER_SGPR: 6
; COMPUTE_PGM_RSRC2:TRAP_HANDLER: 0
; COMPUTE_PGM_RSRC2:TGID_X_EN: 1
; COMPUTE_PGM_RSRC2:TGID_Y_EN: 0
; COMPUTE_PGM_RSRC2:TGID_Z_EN: 0
; COMPUTE_PGM_RSRC2:TIDIG_COMP_CNT: 0
	.section	.text._ZN7rocprim17ROCPRIM_400000_NS6detail17trampoline_kernelINS0_14default_configENS1_20scan_config_selectorIdEEZZNS1_9scan_implILNS1_25lookback_scan_determinismE0ELb0ELb0ES3_PKdPddZZZN2at6native31launch_logcumsumexp_cuda_kernelERKNSB_10TensorBaseESF_lENKUlvE_clEvENKUlvE_clEvEUlddE_dEEDaPvRmT3_T4_T5_mT6_P12ihipStream_tbENKUlT_T0_E_clISt17integral_constantIbLb1EESW_EEDaSR_SS_EUlSR_E_NS1_11comp_targetILNS1_3genE10ELNS1_11target_archE1200ELNS1_3gpuE4ELNS1_3repE0EEENS1_30default_config_static_selectorELNS0_4arch9wavefront6targetE0EEEvT1_,"axG",@progbits,_ZN7rocprim17ROCPRIM_400000_NS6detail17trampoline_kernelINS0_14default_configENS1_20scan_config_selectorIdEEZZNS1_9scan_implILNS1_25lookback_scan_determinismE0ELb0ELb0ES3_PKdPddZZZN2at6native31launch_logcumsumexp_cuda_kernelERKNSB_10TensorBaseESF_lENKUlvE_clEvENKUlvE_clEvEUlddE_dEEDaPvRmT3_T4_T5_mT6_P12ihipStream_tbENKUlT_T0_E_clISt17integral_constantIbLb1EESW_EEDaSR_SS_EUlSR_E_NS1_11comp_targetILNS1_3genE10ELNS1_11target_archE1200ELNS1_3gpuE4ELNS1_3repE0EEENS1_30default_config_static_selectorELNS0_4arch9wavefront6targetE0EEEvT1_,comdat
	.globl	_ZN7rocprim17ROCPRIM_400000_NS6detail17trampoline_kernelINS0_14default_configENS1_20scan_config_selectorIdEEZZNS1_9scan_implILNS1_25lookback_scan_determinismE0ELb0ELb0ES3_PKdPddZZZN2at6native31launch_logcumsumexp_cuda_kernelERKNSB_10TensorBaseESF_lENKUlvE_clEvENKUlvE_clEvEUlddE_dEEDaPvRmT3_T4_T5_mT6_P12ihipStream_tbENKUlT_T0_E_clISt17integral_constantIbLb1EESW_EEDaSR_SS_EUlSR_E_NS1_11comp_targetILNS1_3genE10ELNS1_11target_archE1200ELNS1_3gpuE4ELNS1_3repE0EEENS1_30default_config_static_selectorELNS0_4arch9wavefront6targetE0EEEvT1_ ; -- Begin function _ZN7rocprim17ROCPRIM_400000_NS6detail17trampoline_kernelINS0_14default_configENS1_20scan_config_selectorIdEEZZNS1_9scan_implILNS1_25lookback_scan_determinismE0ELb0ELb0ES3_PKdPddZZZN2at6native31launch_logcumsumexp_cuda_kernelERKNSB_10TensorBaseESF_lENKUlvE_clEvENKUlvE_clEvEUlddE_dEEDaPvRmT3_T4_T5_mT6_P12ihipStream_tbENKUlT_T0_E_clISt17integral_constantIbLb1EESW_EEDaSR_SS_EUlSR_E_NS1_11comp_targetILNS1_3genE10ELNS1_11target_archE1200ELNS1_3gpuE4ELNS1_3repE0EEENS1_30default_config_static_selectorELNS0_4arch9wavefront6targetE0EEEvT1_
	.p2align	8
	.type	_ZN7rocprim17ROCPRIM_400000_NS6detail17trampoline_kernelINS0_14default_configENS1_20scan_config_selectorIdEEZZNS1_9scan_implILNS1_25lookback_scan_determinismE0ELb0ELb0ES3_PKdPddZZZN2at6native31launch_logcumsumexp_cuda_kernelERKNSB_10TensorBaseESF_lENKUlvE_clEvENKUlvE_clEvEUlddE_dEEDaPvRmT3_T4_T5_mT6_P12ihipStream_tbENKUlT_T0_E_clISt17integral_constantIbLb1EESW_EEDaSR_SS_EUlSR_E_NS1_11comp_targetILNS1_3genE10ELNS1_11target_archE1200ELNS1_3gpuE4ELNS1_3repE0EEENS1_30default_config_static_selectorELNS0_4arch9wavefront6targetE0EEEvT1_,@function
_ZN7rocprim17ROCPRIM_400000_NS6detail17trampoline_kernelINS0_14default_configENS1_20scan_config_selectorIdEEZZNS1_9scan_implILNS1_25lookback_scan_determinismE0ELb0ELb0ES3_PKdPddZZZN2at6native31launch_logcumsumexp_cuda_kernelERKNSB_10TensorBaseESF_lENKUlvE_clEvENKUlvE_clEvEUlddE_dEEDaPvRmT3_T4_T5_mT6_P12ihipStream_tbENKUlT_T0_E_clISt17integral_constantIbLb1EESW_EEDaSR_SS_EUlSR_E_NS1_11comp_targetILNS1_3genE10ELNS1_11target_archE1200ELNS1_3gpuE4ELNS1_3repE0EEENS1_30default_config_static_selectorELNS0_4arch9wavefront6targetE0EEEvT1_: ; @_ZN7rocprim17ROCPRIM_400000_NS6detail17trampoline_kernelINS0_14default_configENS1_20scan_config_selectorIdEEZZNS1_9scan_implILNS1_25lookback_scan_determinismE0ELb0ELb0ES3_PKdPddZZZN2at6native31launch_logcumsumexp_cuda_kernelERKNSB_10TensorBaseESF_lENKUlvE_clEvENKUlvE_clEvEUlddE_dEEDaPvRmT3_T4_T5_mT6_P12ihipStream_tbENKUlT_T0_E_clISt17integral_constantIbLb1EESW_EEDaSR_SS_EUlSR_E_NS1_11comp_targetILNS1_3genE10ELNS1_11target_archE1200ELNS1_3gpuE4ELNS1_3repE0EEENS1_30default_config_static_selectorELNS0_4arch9wavefront6targetE0EEEvT1_
; %bb.0:
	.section	.rodata,"a",@progbits
	.p2align	6, 0x0
	.amdhsa_kernel _ZN7rocprim17ROCPRIM_400000_NS6detail17trampoline_kernelINS0_14default_configENS1_20scan_config_selectorIdEEZZNS1_9scan_implILNS1_25lookback_scan_determinismE0ELb0ELb0ES3_PKdPddZZZN2at6native31launch_logcumsumexp_cuda_kernelERKNSB_10TensorBaseESF_lENKUlvE_clEvENKUlvE_clEvEUlddE_dEEDaPvRmT3_T4_T5_mT6_P12ihipStream_tbENKUlT_T0_E_clISt17integral_constantIbLb1EESW_EEDaSR_SS_EUlSR_E_NS1_11comp_targetILNS1_3genE10ELNS1_11target_archE1200ELNS1_3gpuE4ELNS1_3repE0EEENS1_30default_config_static_selectorELNS0_4arch9wavefront6targetE0EEEvT1_
		.amdhsa_group_segment_fixed_size 0
		.amdhsa_private_segment_fixed_size 0
		.amdhsa_kernarg_size 104
		.amdhsa_user_sgpr_count 6
		.amdhsa_user_sgpr_private_segment_buffer 1
		.amdhsa_user_sgpr_dispatch_ptr 0
		.amdhsa_user_sgpr_queue_ptr 0
		.amdhsa_user_sgpr_kernarg_segment_ptr 1
		.amdhsa_user_sgpr_dispatch_id 0
		.amdhsa_user_sgpr_flat_scratch_init 0
		.amdhsa_user_sgpr_private_segment_size 0
		.amdhsa_wavefront_size32 1
		.amdhsa_uses_dynamic_stack 0
		.amdhsa_system_sgpr_private_segment_wavefront_offset 0
		.amdhsa_system_sgpr_workgroup_id_x 1
		.amdhsa_system_sgpr_workgroup_id_y 0
		.amdhsa_system_sgpr_workgroup_id_z 0
		.amdhsa_system_sgpr_workgroup_info 0
		.amdhsa_system_vgpr_workitem_id 0
		.amdhsa_next_free_vgpr 1
		.amdhsa_next_free_sgpr 1
		.amdhsa_reserve_vcc 0
		.amdhsa_reserve_flat_scratch 0
		.amdhsa_float_round_mode_32 0
		.amdhsa_float_round_mode_16_64 0
		.amdhsa_float_denorm_mode_32 3
		.amdhsa_float_denorm_mode_16_64 3
		.amdhsa_dx10_clamp 1
		.amdhsa_ieee_mode 1
		.amdhsa_fp16_overflow 0
		.amdhsa_workgroup_processor_mode 1
		.amdhsa_memory_ordered 1
		.amdhsa_forward_progress 1
		.amdhsa_shared_vgpr_count 0
		.amdhsa_exception_fp_ieee_invalid_op 0
		.amdhsa_exception_fp_denorm_src 0
		.amdhsa_exception_fp_ieee_div_zero 0
		.amdhsa_exception_fp_ieee_overflow 0
		.amdhsa_exception_fp_ieee_underflow 0
		.amdhsa_exception_fp_ieee_inexact 0
		.amdhsa_exception_int_div_zero 0
	.end_amdhsa_kernel
	.section	.text._ZN7rocprim17ROCPRIM_400000_NS6detail17trampoline_kernelINS0_14default_configENS1_20scan_config_selectorIdEEZZNS1_9scan_implILNS1_25lookback_scan_determinismE0ELb0ELb0ES3_PKdPddZZZN2at6native31launch_logcumsumexp_cuda_kernelERKNSB_10TensorBaseESF_lENKUlvE_clEvENKUlvE_clEvEUlddE_dEEDaPvRmT3_T4_T5_mT6_P12ihipStream_tbENKUlT_T0_E_clISt17integral_constantIbLb1EESW_EEDaSR_SS_EUlSR_E_NS1_11comp_targetILNS1_3genE10ELNS1_11target_archE1200ELNS1_3gpuE4ELNS1_3repE0EEENS1_30default_config_static_selectorELNS0_4arch9wavefront6targetE0EEEvT1_,"axG",@progbits,_ZN7rocprim17ROCPRIM_400000_NS6detail17trampoline_kernelINS0_14default_configENS1_20scan_config_selectorIdEEZZNS1_9scan_implILNS1_25lookback_scan_determinismE0ELb0ELb0ES3_PKdPddZZZN2at6native31launch_logcumsumexp_cuda_kernelERKNSB_10TensorBaseESF_lENKUlvE_clEvENKUlvE_clEvEUlddE_dEEDaPvRmT3_T4_T5_mT6_P12ihipStream_tbENKUlT_T0_E_clISt17integral_constantIbLb1EESW_EEDaSR_SS_EUlSR_E_NS1_11comp_targetILNS1_3genE10ELNS1_11target_archE1200ELNS1_3gpuE4ELNS1_3repE0EEENS1_30default_config_static_selectorELNS0_4arch9wavefront6targetE0EEEvT1_,comdat
.Lfunc_end34:
	.size	_ZN7rocprim17ROCPRIM_400000_NS6detail17trampoline_kernelINS0_14default_configENS1_20scan_config_selectorIdEEZZNS1_9scan_implILNS1_25lookback_scan_determinismE0ELb0ELb0ES3_PKdPddZZZN2at6native31launch_logcumsumexp_cuda_kernelERKNSB_10TensorBaseESF_lENKUlvE_clEvENKUlvE_clEvEUlddE_dEEDaPvRmT3_T4_T5_mT6_P12ihipStream_tbENKUlT_T0_E_clISt17integral_constantIbLb1EESW_EEDaSR_SS_EUlSR_E_NS1_11comp_targetILNS1_3genE10ELNS1_11target_archE1200ELNS1_3gpuE4ELNS1_3repE0EEENS1_30default_config_static_selectorELNS0_4arch9wavefront6targetE0EEEvT1_, .Lfunc_end34-_ZN7rocprim17ROCPRIM_400000_NS6detail17trampoline_kernelINS0_14default_configENS1_20scan_config_selectorIdEEZZNS1_9scan_implILNS1_25lookback_scan_determinismE0ELb0ELb0ES3_PKdPddZZZN2at6native31launch_logcumsumexp_cuda_kernelERKNSB_10TensorBaseESF_lENKUlvE_clEvENKUlvE_clEvEUlddE_dEEDaPvRmT3_T4_T5_mT6_P12ihipStream_tbENKUlT_T0_E_clISt17integral_constantIbLb1EESW_EEDaSR_SS_EUlSR_E_NS1_11comp_targetILNS1_3genE10ELNS1_11target_archE1200ELNS1_3gpuE4ELNS1_3repE0EEENS1_30default_config_static_selectorELNS0_4arch9wavefront6targetE0EEEvT1_
                                        ; -- End function
	.set _ZN7rocprim17ROCPRIM_400000_NS6detail17trampoline_kernelINS0_14default_configENS1_20scan_config_selectorIdEEZZNS1_9scan_implILNS1_25lookback_scan_determinismE0ELb0ELb0ES3_PKdPddZZZN2at6native31launch_logcumsumexp_cuda_kernelERKNSB_10TensorBaseESF_lENKUlvE_clEvENKUlvE_clEvEUlddE_dEEDaPvRmT3_T4_T5_mT6_P12ihipStream_tbENKUlT_T0_E_clISt17integral_constantIbLb1EESW_EEDaSR_SS_EUlSR_E_NS1_11comp_targetILNS1_3genE10ELNS1_11target_archE1200ELNS1_3gpuE4ELNS1_3repE0EEENS1_30default_config_static_selectorELNS0_4arch9wavefront6targetE0EEEvT1_.num_vgpr, 0
	.set _ZN7rocprim17ROCPRIM_400000_NS6detail17trampoline_kernelINS0_14default_configENS1_20scan_config_selectorIdEEZZNS1_9scan_implILNS1_25lookback_scan_determinismE0ELb0ELb0ES3_PKdPddZZZN2at6native31launch_logcumsumexp_cuda_kernelERKNSB_10TensorBaseESF_lENKUlvE_clEvENKUlvE_clEvEUlddE_dEEDaPvRmT3_T4_T5_mT6_P12ihipStream_tbENKUlT_T0_E_clISt17integral_constantIbLb1EESW_EEDaSR_SS_EUlSR_E_NS1_11comp_targetILNS1_3genE10ELNS1_11target_archE1200ELNS1_3gpuE4ELNS1_3repE0EEENS1_30default_config_static_selectorELNS0_4arch9wavefront6targetE0EEEvT1_.num_agpr, 0
	.set _ZN7rocprim17ROCPRIM_400000_NS6detail17trampoline_kernelINS0_14default_configENS1_20scan_config_selectorIdEEZZNS1_9scan_implILNS1_25lookback_scan_determinismE0ELb0ELb0ES3_PKdPddZZZN2at6native31launch_logcumsumexp_cuda_kernelERKNSB_10TensorBaseESF_lENKUlvE_clEvENKUlvE_clEvEUlddE_dEEDaPvRmT3_T4_T5_mT6_P12ihipStream_tbENKUlT_T0_E_clISt17integral_constantIbLb1EESW_EEDaSR_SS_EUlSR_E_NS1_11comp_targetILNS1_3genE10ELNS1_11target_archE1200ELNS1_3gpuE4ELNS1_3repE0EEENS1_30default_config_static_selectorELNS0_4arch9wavefront6targetE0EEEvT1_.numbered_sgpr, 0
	.set _ZN7rocprim17ROCPRIM_400000_NS6detail17trampoline_kernelINS0_14default_configENS1_20scan_config_selectorIdEEZZNS1_9scan_implILNS1_25lookback_scan_determinismE0ELb0ELb0ES3_PKdPddZZZN2at6native31launch_logcumsumexp_cuda_kernelERKNSB_10TensorBaseESF_lENKUlvE_clEvENKUlvE_clEvEUlddE_dEEDaPvRmT3_T4_T5_mT6_P12ihipStream_tbENKUlT_T0_E_clISt17integral_constantIbLb1EESW_EEDaSR_SS_EUlSR_E_NS1_11comp_targetILNS1_3genE10ELNS1_11target_archE1200ELNS1_3gpuE4ELNS1_3repE0EEENS1_30default_config_static_selectorELNS0_4arch9wavefront6targetE0EEEvT1_.num_named_barrier, 0
	.set _ZN7rocprim17ROCPRIM_400000_NS6detail17trampoline_kernelINS0_14default_configENS1_20scan_config_selectorIdEEZZNS1_9scan_implILNS1_25lookback_scan_determinismE0ELb0ELb0ES3_PKdPddZZZN2at6native31launch_logcumsumexp_cuda_kernelERKNSB_10TensorBaseESF_lENKUlvE_clEvENKUlvE_clEvEUlddE_dEEDaPvRmT3_T4_T5_mT6_P12ihipStream_tbENKUlT_T0_E_clISt17integral_constantIbLb1EESW_EEDaSR_SS_EUlSR_E_NS1_11comp_targetILNS1_3genE10ELNS1_11target_archE1200ELNS1_3gpuE4ELNS1_3repE0EEENS1_30default_config_static_selectorELNS0_4arch9wavefront6targetE0EEEvT1_.private_seg_size, 0
	.set _ZN7rocprim17ROCPRIM_400000_NS6detail17trampoline_kernelINS0_14default_configENS1_20scan_config_selectorIdEEZZNS1_9scan_implILNS1_25lookback_scan_determinismE0ELb0ELb0ES3_PKdPddZZZN2at6native31launch_logcumsumexp_cuda_kernelERKNSB_10TensorBaseESF_lENKUlvE_clEvENKUlvE_clEvEUlddE_dEEDaPvRmT3_T4_T5_mT6_P12ihipStream_tbENKUlT_T0_E_clISt17integral_constantIbLb1EESW_EEDaSR_SS_EUlSR_E_NS1_11comp_targetILNS1_3genE10ELNS1_11target_archE1200ELNS1_3gpuE4ELNS1_3repE0EEENS1_30default_config_static_selectorELNS0_4arch9wavefront6targetE0EEEvT1_.uses_vcc, 0
	.set _ZN7rocprim17ROCPRIM_400000_NS6detail17trampoline_kernelINS0_14default_configENS1_20scan_config_selectorIdEEZZNS1_9scan_implILNS1_25lookback_scan_determinismE0ELb0ELb0ES3_PKdPddZZZN2at6native31launch_logcumsumexp_cuda_kernelERKNSB_10TensorBaseESF_lENKUlvE_clEvENKUlvE_clEvEUlddE_dEEDaPvRmT3_T4_T5_mT6_P12ihipStream_tbENKUlT_T0_E_clISt17integral_constantIbLb1EESW_EEDaSR_SS_EUlSR_E_NS1_11comp_targetILNS1_3genE10ELNS1_11target_archE1200ELNS1_3gpuE4ELNS1_3repE0EEENS1_30default_config_static_selectorELNS0_4arch9wavefront6targetE0EEEvT1_.uses_flat_scratch, 0
	.set _ZN7rocprim17ROCPRIM_400000_NS6detail17trampoline_kernelINS0_14default_configENS1_20scan_config_selectorIdEEZZNS1_9scan_implILNS1_25lookback_scan_determinismE0ELb0ELb0ES3_PKdPddZZZN2at6native31launch_logcumsumexp_cuda_kernelERKNSB_10TensorBaseESF_lENKUlvE_clEvENKUlvE_clEvEUlddE_dEEDaPvRmT3_T4_T5_mT6_P12ihipStream_tbENKUlT_T0_E_clISt17integral_constantIbLb1EESW_EEDaSR_SS_EUlSR_E_NS1_11comp_targetILNS1_3genE10ELNS1_11target_archE1200ELNS1_3gpuE4ELNS1_3repE0EEENS1_30default_config_static_selectorELNS0_4arch9wavefront6targetE0EEEvT1_.has_dyn_sized_stack, 0
	.set _ZN7rocprim17ROCPRIM_400000_NS6detail17trampoline_kernelINS0_14default_configENS1_20scan_config_selectorIdEEZZNS1_9scan_implILNS1_25lookback_scan_determinismE0ELb0ELb0ES3_PKdPddZZZN2at6native31launch_logcumsumexp_cuda_kernelERKNSB_10TensorBaseESF_lENKUlvE_clEvENKUlvE_clEvEUlddE_dEEDaPvRmT3_T4_T5_mT6_P12ihipStream_tbENKUlT_T0_E_clISt17integral_constantIbLb1EESW_EEDaSR_SS_EUlSR_E_NS1_11comp_targetILNS1_3genE10ELNS1_11target_archE1200ELNS1_3gpuE4ELNS1_3repE0EEENS1_30default_config_static_selectorELNS0_4arch9wavefront6targetE0EEEvT1_.has_recursion, 0
	.set _ZN7rocprim17ROCPRIM_400000_NS6detail17trampoline_kernelINS0_14default_configENS1_20scan_config_selectorIdEEZZNS1_9scan_implILNS1_25lookback_scan_determinismE0ELb0ELb0ES3_PKdPddZZZN2at6native31launch_logcumsumexp_cuda_kernelERKNSB_10TensorBaseESF_lENKUlvE_clEvENKUlvE_clEvEUlddE_dEEDaPvRmT3_T4_T5_mT6_P12ihipStream_tbENKUlT_T0_E_clISt17integral_constantIbLb1EESW_EEDaSR_SS_EUlSR_E_NS1_11comp_targetILNS1_3genE10ELNS1_11target_archE1200ELNS1_3gpuE4ELNS1_3repE0EEENS1_30default_config_static_selectorELNS0_4arch9wavefront6targetE0EEEvT1_.has_indirect_call, 0
	.section	.AMDGPU.csdata,"",@progbits
; Kernel info:
; codeLenInByte = 0
; TotalNumSgprs: 0
; NumVgprs: 0
; ScratchSize: 0
; MemoryBound: 0
; FloatMode: 240
; IeeeMode: 1
; LDSByteSize: 0 bytes/workgroup (compile time only)
; SGPRBlocks: 0
; VGPRBlocks: 0
; NumSGPRsForWavesPerEU: 1
; NumVGPRsForWavesPerEU: 1
; Occupancy: 16
; WaveLimiterHint : 0
; COMPUTE_PGM_RSRC2:SCRATCH_EN: 0
; COMPUTE_PGM_RSRC2:USER_SGPR: 6
; COMPUTE_PGM_RSRC2:TRAP_HANDLER: 0
; COMPUTE_PGM_RSRC2:TGID_X_EN: 1
; COMPUTE_PGM_RSRC2:TGID_Y_EN: 0
; COMPUTE_PGM_RSRC2:TGID_Z_EN: 0
; COMPUTE_PGM_RSRC2:TIDIG_COMP_CNT: 0
	.section	.text._ZN7rocprim17ROCPRIM_400000_NS6detail17trampoline_kernelINS0_14default_configENS1_20scan_config_selectorIdEEZZNS1_9scan_implILNS1_25lookback_scan_determinismE0ELb0ELb0ES3_PKdPddZZZN2at6native31launch_logcumsumexp_cuda_kernelERKNSB_10TensorBaseESF_lENKUlvE_clEvENKUlvE_clEvEUlddE_dEEDaPvRmT3_T4_T5_mT6_P12ihipStream_tbENKUlT_T0_E_clISt17integral_constantIbLb1EESW_EEDaSR_SS_EUlSR_E_NS1_11comp_targetILNS1_3genE9ELNS1_11target_archE1100ELNS1_3gpuE3ELNS1_3repE0EEENS1_30default_config_static_selectorELNS0_4arch9wavefront6targetE0EEEvT1_,"axG",@progbits,_ZN7rocprim17ROCPRIM_400000_NS6detail17trampoline_kernelINS0_14default_configENS1_20scan_config_selectorIdEEZZNS1_9scan_implILNS1_25lookback_scan_determinismE0ELb0ELb0ES3_PKdPddZZZN2at6native31launch_logcumsumexp_cuda_kernelERKNSB_10TensorBaseESF_lENKUlvE_clEvENKUlvE_clEvEUlddE_dEEDaPvRmT3_T4_T5_mT6_P12ihipStream_tbENKUlT_T0_E_clISt17integral_constantIbLb1EESW_EEDaSR_SS_EUlSR_E_NS1_11comp_targetILNS1_3genE9ELNS1_11target_archE1100ELNS1_3gpuE3ELNS1_3repE0EEENS1_30default_config_static_selectorELNS0_4arch9wavefront6targetE0EEEvT1_,comdat
	.globl	_ZN7rocprim17ROCPRIM_400000_NS6detail17trampoline_kernelINS0_14default_configENS1_20scan_config_selectorIdEEZZNS1_9scan_implILNS1_25lookback_scan_determinismE0ELb0ELb0ES3_PKdPddZZZN2at6native31launch_logcumsumexp_cuda_kernelERKNSB_10TensorBaseESF_lENKUlvE_clEvENKUlvE_clEvEUlddE_dEEDaPvRmT3_T4_T5_mT6_P12ihipStream_tbENKUlT_T0_E_clISt17integral_constantIbLb1EESW_EEDaSR_SS_EUlSR_E_NS1_11comp_targetILNS1_3genE9ELNS1_11target_archE1100ELNS1_3gpuE3ELNS1_3repE0EEENS1_30default_config_static_selectorELNS0_4arch9wavefront6targetE0EEEvT1_ ; -- Begin function _ZN7rocprim17ROCPRIM_400000_NS6detail17trampoline_kernelINS0_14default_configENS1_20scan_config_selectorIdEEZZNS1_9scan_implILNS1_25lookback_scan_determinismE0ELb0ELb0ES3_PKdPddZZZN2at6native31launch_logcumsumexp_cuda_kernelERKNSB_10TensorBaseESF_lENKUlvE_clEvENKUlvE_clEvEUlddE_dEEDaPvRmT3_T4_T5_mT6_P12ihipStream_tbENKUlT_T0_E_clISt17integral_constantIbLb1EESW_EEDaSR_SS_EUlSR_E_NS1_11comp_targetILNS1_3genE9ELNS1_11target_archE1100ELNS1_3gpuE3ELNS1_3repE0EEENS1_30default_config_static_selectorELNS0_4arch9wavefront6targetE0EEEvT1_
	.p2align	8
	.type	_ZN7rocprim17ROCPRIM_400000_NS6detail17trampoline_kernelINS0_14default_configENS1_20scan_config_selectorIdEEZZNS1_9scan_implILNS1_25lookback_scan_determinismE0ELb0ELb0ES3_PKdPddZZZN2at6native31launch_logcumsumexp_cuda_kernelERKNSB_10TensorBaseESF_lENKUlvE_clEvENKUlvE_clEvEUlddE_dEEDaPvRmT3_T4_T5_mT6_P12ihipStream_tbENKUlT_T0_E_clISt17integral_constantIbLb1EESW_EEDaSR_SS_EUlSR_E_NS1_11comp_targetILNS1_3genE9ELNS1_11target_archE1100ELNS1_3gpuE3ELNS1_3repE0EEENS1_30default_config_static_selectorELNS0_4arch9wavefront6targetE0EEEvT1_,@function
_ZN7rocprim17ROCPRIM_400000_NS6detail17trampoline_kernelINS0_14default_configENS1_20scan_config_selectorIdEEZZNS1_9scan_implILNS1_25lookback_scan_determinismE0ELb0ELb0ES3_PKdPddZZZN2at6native31launch_logcumsumexp_cuda_kernelERKNSB_10TensorBaseESF_lENKUlvE_clEvENKUlvE_clEvEUlddE_dEEDaPvRmT3_T4_T5_mT6_P12ihipStream_tbENKUlT_T0_E_clISt17integral_constantIbLb1EESW_EEDaSR_SS_EUlSR_E_NS1_11comp_targetILNS1_3genE9ELNS1_11target_archE1100ELNS1_3gpuE3ELNS1_3repE0EEENS1_30default_config_static_selectorELNS0_4arch9wavefront6targetE0EEEvT1_: ; @_ZN7rocprim17ROCPRIM_400000_NS6detail17trampoline_kernelINS0_14default_configENS1_20scan_config_selectorIdEEZZNS1_9scan_implILNS1_25lookback_scan_determinismE0ELb0ELb0ES3_PKdPddZZZN2at6native31launch_logcumsumexp_cuda_kernelERKNSB_10TensorBaseESF_lENKUlvE_clEvENKUlvE_clEvEUlddE_dEEDaPvRmT3_T4_T5_mT6_P12ihipStream_tbENKUlT_T0_E_clISt17integral_constantIbLb1EESW_EEDaSR_SS_EUlSR_E_NS1_11comp_targetILNS1_3genE9ELNS1_11target_archE1100ELNS1_3gpuE3ELNS1_3repE0EEENS1_30default_config_static_selectorELNS0_4arch9wavefront6targetE0EEEvT1_
; %bb.0:
	.section	.rodata,"a",@progbits
	.p2align	6, 0x0
	.amdhsa_kernel _ZN7rocprim17ROCPRIM_400000_NS6detail17trampoline_kernelINS0_14default_configENS1_20scan_config_selectorIdEEZZNS1_9scan_implILNS1_25lookback_scan_determinismE0ELb0ELb0ES3_PKdPddZZZN2at6native31launch_logcumsumexp_cuda_kernelERKNSB_10TensorBaseESF_lENKUlvE_clEvENKUlvE_clEvEUlddE_dEEDaPvRmT3_T4_T5_mT6_P12ihipStream_tbENKUlT_T0_E_clISt17integral_constantIbLb1EESW_EEDaSR_SS_EUlSR_E_NS1_11comp_targetILNS1_3genE9ELNS1_11target_archE1100ELNS1_3gpuE3ELNS1_3repE0EEENS1_30default_config_static_selectorELNS0_4arch9wavefront6targetE0EEEvT1_
		.amdhsa_group_segment_fixed_size 0
		.amdhsa_private_segment_fixed_size 0
		.amdhsa_kernarg_size 104
		.amdhsa_user_sgpr_count 6
		.amdhsa_user_sgpr_private_segment_buffer 1
		.amdhsa_user_sgpr_dispatch_ptr 0
		.amdhsa_user_sgpr_queue_ptr 0
		.amdhsa_user_sgpr_kernarg_segment_ptr 1
		.amdhsa_user_sgpr_dispatch_id 0
		.amdhsa_user_sgpr_flat_scratch_init 0
		.amdhsa_user_sgpr_private_segment_size 0
		.amdhsa_wavefront_size32 1
		.amdhsa_uses_dynamic_stack 0
		.amdhsa_system_sgpr_private_segment_wavefront_offset 0
		.amdhsa_system_sgpr_workgroup_id_x 1
		.amdhsa_system_sgpr_workgroup_id_y 0
		.amdhsa_system_sgpr_workgroup_id_z 0
		.amdhsa_system_sgpr_workgroup_info 0
		.amdhsa_system_vgpr_workitem_id 0
		.amdhsa_next_free_vgpr 1
		.amdhsa_next_free_sgpr 1
		.amdhsa_reserve_vcc 0
		.amdhsa_reserve_flat_scratch 0
		.amdhsa_float_round_mode_32 0
		.amdhsa_float_round_mode_16_64 0
		.amdhsa_float_denorm_mode_32 3
		.amdhsa_float_denorm_mode_16_64 3
		.amdhsa_dx10_clamp 1
		.amdhsa_ieee_mode 1
		.amdhsa_fp16_overflow 0
		.amdhsa_workgroup_processor_mode 1
		.amdhsa_memory_ordered 1
		.amdhsa_forward_progress 1
		.amdhsa_shared_vgpr_count 0
		.amdhsa_exception_fp_ieee_invalid_op 0
		.amdhsa_exception_fp_denorm_src 0
		.amdhsa_exception_fp_ieee_div_zero 0
		.amdhsa_exception_fp_ieee_overflow 0
		.amdhsa_exception_fp_ieee_underflow 0
		.amdhsa_exception_fp_ieee_inexact 0
		.amdhsa_exception_int_div_zero 0
	.end_amdhsa_kernel
	.section	.text._ZN7rocprim17ROCPRIM_400000_NS6detail17trampoline_kernelINS0_14default_configENS1_20scan_config_selectorIdEEZZNS1_9scan_implILNS1_25lookback_scan_determinismE0ELb0ELb0ES3_PKdPddZZZN2at6native31launch_logcumsumexp_cuda_kernelERKNSB_10TensorBaseESF_lENKUlvE_clEvENKUlvE_clEvEUlddE_dEEDaPvRmT3_T4_T5_mT6_P12ihipStream_tbENKUlT_T0_E_clISt17integral_constantIbLb1EESW_EEDaSR_SS_EUlSR_E_NS1_11comp_targetILNS1_3genE9ELNS1_11target_archE1100ELNS1_3gpuE3ELNS1_3repE0EEENS1_30default_config_static_selectorELNS0_4arch9wavefront6targetE0EEEvT1_,"axG",@progbits,_ZN7rocprim17ROCPRIM_400000_NS6detail17trampoline_kernelINS0_14default_configENS1_20scan_config_selectorIdEEZZNS1_9scan_implILNS1_25lookback_scan_determinismE0ELb0ELb0ES3_PKdPddZZZN2at6native31launch_logcumsumexp_cuda_kernelERKNSB_10TensorBaseESF_lENKUlvE_clEvENKUlvE_clEvEUlddE_dEEDaPvRmT3_T4_T5_mT6_P12ihipStream_tbENKUlT_T0_E_clISt17integral_constantIbLb1EESW_EEDaSR_SS_EUlSR_E_NS1_11comp_targetILNS1_3genE9ELNS1_11target_archE1100ELNS1_3gpuE3ELNS1_3repE0EEENS1_30default_config_static_selectorELNS0_4arch9wavefront6targetE0EEEvT1_,comdat
.Lfunc_end35:
	.size	_ZN7rocprim17ROCPRIM_400000_NS6detail17trampoline_kernelINS0_14default_configENS1_20scan_config_selectorIdEEZZNS1_9scan_implILNS1_25lookback_scan_determinismE0ELb0ELb0ES3_PKdPddZZZN2at6native31launch_logcumsumexp_cuda_kernelERKNSB_10TensorBaseESF_lENKUlvE_clEvENKUlvE_clEvEUlddE_dEEDaPvRmT3_T4_T5_mT6_P12ihipStream_tbENKUlT_T0_E_clISt17integral_constantIbLb1EESW_EEDaSR_SS_EUlSR_E_NS1_11comp_targetILNS1_3genE9ELNS1_11target_archE1100ELNS1_3gpuE3ELNS1_3repE0EEENS1_30default_config_static_selectorELNS0_4arch9wavefront6targetE0EEEvT1_, .Lfunc_end35-_ZN7rocprim17ROCPRIM_400000_NS6detail17trampoline_kernelINS0_14default_configENS1_20scan_config_selectorIdEEZZNS1_9scan_implILNS1_25lookback_scan_determinismE0ELb0ELb0ES3_PKdPddZZZN2at6native31launch_logcumsumexp_cuda_kernelERKNSB_10TensorBaseESF_lENKUlvE_clEvENKUlvE_clEvEUlddE_dEEDaPvRmT3_T4_T5_mT6_P12ihipStream_tbENKUlT_T0_E_clISt17integral_constantIbLb1EESW_EEDaSR_SS_EUlSR_E_NS1_11comp_targetILNS1_3genE9ELNS1_11target_archE1100ELNS1_3gpuE3ELNS1_3repE0EEENS1_30default_config_static_selectorELNS0_4arch9wavefront6targetE0EEEvT1_
                                        ; -- End function
	.set _ZN7rocprim17ROCPRIM_400000_NS6detail17trampoline_kernelINS0_14default_configENS1_20scan_config_selectorIdEEZZNS1_9scan_implILNS1_25lookback_scan_determinismE0ELb0ELb0ES3_PKdPddZZZN2at6native31launch_logcumsumexp_cuda_kernelERKNSB_10TensorBaseESF_lENKUlvE_clEvENKUlvE_clEvEUlddE_dEEDaPvRmT3_T4_T5_mT6_P12ihipStream_tbENKUlT_T0_E_clISt17integral_constantIbLb1EESW_EEDaSR_SS_EUlSR_E_NS1_11comp_targetILNS1_3genE9ELNS1_11target_archE1100ELNS1_3gpuE3ELNS1_3repE0EEENS1_30default_config_static_selectorELNS0_4arch9wavefront6targetE0EEEvT1_.num_vgpr, 0
	.set _ZN7rocprim17ROCPRIM_400000_NS6detail17trampoline_kernelINS0_14default_configENS1_20scan_config_selectorIdEEZZNS1_9scan_implILNS1_25lookback_scan_determinismE0ELb0ELb0ES3_PKdPddZZZN2at6native31launch_logcumsumexp_cuda_kernelERKNSB_10TensorBaseESF_lENKUlvE_clEvENKUlvE_clEvEUlddE_dEEDaPvRmT3_T4_T5_mT6_P12ihipStream_tbENKUlT_T0_E_clISt17integral_constantIbLb1EESW_EEDaSR_SS_EUlSR_E_NS1_11comp_targetILNS1_3genE9ELNS1_11target_archE1100ELNS1_3gpuE3ELNS1_3repE0EEENS1_30default_config_static_selectorELNS0_4arch9wavefront6targetE0EEEvT1_.num_agpr, 0
	.set _ZN7rocprim17ROCPRIM_400000_NS6detail17trampoline_kernelINS0_14default_configENS1_20scan_config_selectorIdEEZZNS1_9scan_implILNS1_25lookback_scan_determinismE0ELb0ELb0ES3_PKdPddZZZN2at6native31launch_logcumsumexp_cuda_kernelERKNSB_10TensorBaseESF_lENKUlvE_clEvENKUlvE_clEvEUlddE_dEEDaPvRmT3_T4_T5_mT6_P12ihipStream_tbENKUlT_T0_E_clISt17integral_constantIbLb1EESW_EEDaSR_SS_EUlSR_E_NS1_11comp_targetILNS1_3genE9ELNS1_11target_archE1100ELNS1_3gpuE3ELNS1_3repE0EEENS1_30default_config_static_selectorELNS0_4arch9wavefront6targetE0EEEvT1_.numbered_sgpr, 0
	.set _ZN7rocprim17ROCPRIM_400000_NS6detail17trampoline_kernelINS0_14default_configENS1_20scan_config_selectorIdEEZZNS1_9scan_implILNS1_25lookback_scan_determinismE0ELb0ELb0ES3_PKdPddZZZN2at6native31launch_logcumsumexp_cuda_kernelERKNSB_10TensorBaseESF_lENKUlvE_clEvENKUlvE_clEvEUlddE_dEEDaPvRmT3_T4_T5_mT6_P12ihipStream_tbENKUlT_T0_E_clISt17integral_constantIbLb1EESW_EEDaSR_SS_EUlSR_E_NS1_11comp_targetILNS1_3genE9ELNS1_11target_archE1100ELNS1_3gpuE3ELNS1_3repE0EEENS1_30default_config_static_selectorELNS0_4arch9wavefront6targetE0EEEvT1_.num_named_barrier, 0
	.set _ZN7rocprim17ROCPRIM_400000_NS6detail17trampoline_kernelINS0_14default_configENS1_20scan_config_selectorIdEEZZNS1_9scan_implILNS1_25lookback_scan_determinismE0ELb0ELb0ES3_PKdPddZZZN2at6native31launch_logcumsumexp_cuda_kernelERKNSB_10TensorBaseESF_lENKUlvE_clEvENKUlvE_clEvEUlddE_dEEDaPvRmT3_T4_T5_mT6_P12ihipStream_tbENKUlT_T0_E_clISt17integral_constantIbLb1EESW_EEDaSR_SS_EUlSR_E_NS1_11comp_targetILNS1_3genE9ELNS1_11target_archE1100ELNS1_3gpuE3ELNS1_3repE0EEENS1_30default_config_static_selectorELNS0_4arch9wavefront6targetE0EEEvT1_.private_seg_size, 0
	.set _ZN7rocprim17ROCPRIM_400000_NS6detail17trampoline_kernelINS0_14default_configENS1_20scan_config_selectorIdEEZZNS1_9scan_implILNS1_25lookback_scan_determinismE0ELb0ELb0ES3_PKdPddZZZN2at6native31launch_logcumsumexp_cuda_kernelERKNSB_10TensorBaseESF_lENKUlvE_clEvENKUlvE_clEvEUlddE_dEEDaPvRmT3_T4_T5_mT6_P12ihipStream_tbENKUlT_T0_E_clISt17integral_constantIbLb1EESW_EEDaSR_SS_EUlSR_E_NS1_11comp_targetILNS1_3genE9ELNS1_11target_archE1100ELNS1_3gpuE3ELNS1_3repE0EEENS1_30default_config_static_selectorELNS0_4arch9wavefront6targetE0EEEvT1_.uses_vcc, 0
	.set _ZN7rocprim17ROCPRIM_400000_NS6detail17trampoline_kernelINS0_14default_configENS1_20scan_config_selectorIdEEZZNS1_9scan_implILNS1_25lookback_scan_determinismE0ELb0ELb0ES3_PKdPddZZZN2at6native31launch_logcumsumexp_cuda_kernelERKNSB_10TensorBaseESF_lENKUlvE_clEvENKUlvE_clEvEUlddE_dEEDaPvRmT3_T4_T5_mT6_P12ihipStream_tbENKUlT_T0_E_clISt17integral_constantIbLb1EESW_EEDaSR_SS_EUlSR_E_NS1_11comp_targetILNS1_3genE9ELNS1_11target_archE1100ELNS1_3gpuE3ELNS1_3repE0EEENS1_30default_config_static_selectorELNS0_4arch9wavefront6targetE0EEEvT1_.uses_flat_scratch, 0
	.set _ZN7rocprim17ROCPRIM_400000_NS6detail17trampoline_kernelINS0_14default_configENS1_20scan_config_selectorIdEEZZNS1_9scan_implILNS1_25lookback_scan_determinismE0ELb0ELb0ES3_PKdPddZZZN2at6native31launch_logcumsumexp_cuda_kernelERKNSB_10TensorBaseESF_lENKUlvE_clEvENKUlvE_clEvEUlddE_dEEDaPvRmT3_T4_T5_mT6_P12ihipStream_tbENKUlT_T0_E_clISt17integral_constantIbLb1EESW_EEDaSR_SS_EUlSR_E_NS1_11comp_targetILNS1_3genE9ELNS1_11target_archE1100ELNS1_3gpuE3ELNS1_3repE0EEENS1_30default_config_static_selectorELNS0_4arch9wavefront6targetE0EEEvT1_.has_dyn_sized_stack, 0
	.set _ZN7rocprim17ROCPRIM_400000_NS6detail17trampoline_kernelINS0_14default_configENS1_20scan_config_selectorIdEEZZNS1_9scan_implILNS1_25lookback_scan_determinismE0ELb0ELb0ES3_PKdPddZZZN2at6native31launch_logcumsumexp_cuda_kernelERKNSB_10TensorBaseESF_lENKUlvE_clEvENKUlvE_clEvEUlddE_dEEDaPvRmT3_T4_T5_mT6_P12ihipStream_tbENKUlT_T0_E_clISt17integral_constantIbLb1EESW_EEDaSR_SS_EUlSR_E_NS1_11comp_targetILNS1_3genE9ELNS1_11target_archE1100ELNS1_3gpuE3ELNS1_3repE0EEENS1_30default_config_static_selectorELNS0_4arch9wavefront6targetE0EEEvT1_.has_recursion, 0
	.set _ZN7rocprim17ROCPRIM_400000_NS6detail17trampoline_kernelINS0_14default_configENS1_20scan_config_selectorIdEEZZNS1_9scan_implILNS1_25lookback_scan_determinismE0ELb0ELb0ES3_PKdPddZZZN2at6native31launch_logcumsumexp_cuda_kernelERKNSB_10TensorBaseESF_lENKUlvE_clEvENKUlvE_clEvEUlddE_dEEDaPvRmT3_T4_T5_mT6_P12ihipStream_tbENKUlT_T0_E_clISt17integral_constantIbLb1EESW_EEDaSR_SS_EUlSR_E_NS1_11comp_targetILNS1_3genE9ELNS1_11target_archE1100ELNS1_3gpuE3ELNS1_3repE0EEENS1_30default_config_static_selectorELNS0_4arch9wavefront6targetE0EEEvT1_.has_indirect_call, 0
	.section	.AMDGPU.csdata,"",@progbits
; Kernel info:
; codeLenInByte = 0
; TotalNumSgprs: 0
; NumVgprs: 0
; ScratchSize: 0
; MemoryBound: 0
; FloatMode: 240
; IeeeMode: 1
; LDSByteSize: 0 bytes/workgroup (compile time only)
; SGPRBlocks: 0
; VGPRBlocks: 0
; NumSGPRsForWavesPerEU: 1
; NumVGPRsForWavesPerEU: 1
; Occupancy: 16
; WaveLimiterHint : 0
; COMPUTE_PGM_RSRC2:SCRATCH_EN: 0
; COMPUTE_PGM_RSRC2:USER_SGPR: 6
; COMPUTE_PGM_RSRC2:TRAP_HANDLER: 0
; COMPUTE_PGM_RSRC2:TGID_X_EN: 1
; COMPUTE_PGM_RSRC2:TGID_Y_EN: 0
; COMPUTE_PGM_RSRC2:TGID_Z_EN: 0
; COMPUTE_PGM_RSRC2:TIDIG_COMP_CNT: 0
	.section	.text._ZN7rocprim17ROCPRIM_400000_NS6detail17trampoline_kernelINS0_14default_configENS1_20scan_config_selectorIdEEZZNS1_9scan_implILNS1_25lookback_scan_determinismE0ELb0ELb0ES3_PKdPddZZZN2at6native31launch_logcumsumexp_cuda_kernelERKNSB_10TensorBaseESF_lENKUlvE_clEvENKUlvE_clEvEUlddE_dEEDaPvRmT3_T4_T5_mT6_P12ihipStream_tbENKUlT_T0_E_clISt17integral_constantIbLb1EESW_EEDaSR_SS_EUlSR_E_NS1_11comp_targetILNS1_3genE8ELNS1_11target_archE1030ELNS1_3gpuE2ELNS1_3repE0EEENS1_30default_config_static_selectorELNS0_4arch9wavefront6targetE0EEEvT1_,"axG",@progbits,_ZN7rocprim17ROCPRIM_400000_NS6detail17trampoline_kernelINS0_14default_configENS1_20scan_config_selectorIdEEZZNS1_9scan_implILNS1_25lookback_scan_determinismE0ELb0ELb0ES3_PKdPddZZZN2at6native31launch_logcumsumexp_cuda_kernelERKNSB_10TensorBaseESF_lENKUlvE_clEvENKUlvE_clEvEUlddE_dEEDaPvRmT3_T4_T5_mT6_P12ihipStream_tbENKUlT_T0_E_clISt17integral_constantIbLb1EESW_EEDaSR_SS_EUlSR_E_NS1_11comp_targetILNS1_3genE8ELNS1_11target_archE1030ELNS1_3gpuE2ELNS1_3repE0EEENS1_30default_config_static_selectorELNS0_4arch9wavefront6targetE0EEEvT1_,comdat
	.globl	_ZN7rocprim17ROCPRIM_400000_NS6detail17trampoline_kernelINS0_14default_configENS1_20scan_config_selectorIdEEZZNS1_9scan_implILNS1_25lookback_scan_determinismE0ELb0ELb0ES3_PKdPddZZZN2at6native31launch_logcumsumexp_cuda_kernelERKNSB_10TensorBaseESF_lENKUlvE_clEvENKUlvE_clEvEUlddE_dEEDaPvRmT3_T4_T5_mT6_P12ihipStream_tbENKUlT_T0_E_clISt17integral_constantIbLb1EESW_EEDaSR_SS_EUlSR_E_NS1_11comp_targetILNS1_3genE8ELNS1_11target_archE1030ELNS1_3gpuE2ELNS1_3repE0EEENS1_30default_config_static_selectorELNS0_4arch9wavefront6targetE0EEEvT1_ ; -- Begin function _ZN7rocprim17ROCPRIM_400000_NS6detail17trampoline_kernelINS0_14default_configENS1_20scan_config_selectorIdEEZZNS1_9scan_implILNS1_25lookback_scan_determinismE0ELb0ELb0ES3_PKdPddZZZN2at6native31launch_logcumsumexp_cuda_kernelERKNSB_10TensorBaseESF_lENKUlvE_clEvENKUlvE_clEvEUlddE_dEEDaPvRmT3_T4_T5_mT6_P12ihipStream_tbENKUlT_T0_E_clISt17integral_constantIbLb1EESW_EEDaSR_SS_EUlSR_E_NS1_11comp_targetILNS1_3genE8ELNS1_11target_archE1030ELNS1_3gpuE2ELNS1_3repE0EEENS1_30default_config_static_selectorELNS0_4arch9wavefront6targetE0EEEvT1_
	.p2align	8
	.type	_ZN7rocprim17ROCPRIM_400000_NS6detail17trampoline_kernelINS0_14default_configENS1_20scan_config_selectorIdEEZZNS1_9scan_implILNS1_25lookback_scan_determinismE0ELb0ELb0ES3_PKdPddZZZN2at6native31launch_logcumsumexp_cuda_kernelERKNSB_10TensorBaseESF_lENKUlvE_clEvENKUlvE_clEvEUlddE_dEEDaPvRmT3_T4_T5_mT6_P12ihipStream_tbENKUlT_T0_E_clISt17integral_constantIbLb1EESW_EEDaSR_SS_EUlSR_E_NS1_11comp_targetILNS1_3genE8ELNS1_11target_archE1030ELNS1_3gpuE2ELNS1_3repE0EEENS1_30default_config_static_selectorELNS0_4arch9wavefront6targetE0EEEvT1_,@function
_ZN7rocprim17ROCPRIM_400000_NS6detail17trampoline_kernelINS0_14default_configENS1_20scan_config_selectorIdEEZZNS1_9scan_implILNS1_25lookback_scan_determinismE0ELb0ELb0ES3_PKdPddZZZN2at6native31launch_logcumsumexp_cuda_kernelERKNSB_10TensorBaseESF_lENKUlvE_clEvENKUlvE_clEvEUlddE_dEEDaPvRmT3_T4_T5_mT6_P12ihipStream_tbENKUlT_T0_E_clISt17integral_constantIbLb1EESW_EEDaSR_SS_EUlSR_E_NS1_11comp_targetILNS1_3genE8ELNS1_11target_archE1030ELNS1_3gpuE2ELNS1_3repE0EEENS1_30default_config_static_selectorELNS0_4arch9wavefront6targetE0EEEvT1_: ; @_ZN7rocprim17ROCPRIM_400000_NS6detail17trampoline_kernelINS0_14default_configENS1_20scan_config_selectorIdEEZZNS1_9scan_implILNS1_25lookback_scan_determinismE0ELb0ELb0ES3_PKdPddZZZN2at6native31launch_logcumsumexp_cuda_kernelERKNSB_10TensorBaseESF_lENKUlvE_clEvENKUlvE_clEvEUlddE_dEEDaPvRmT3_T4_T5_mT6_P12ihipStream_tbENKUlT_T0_E_clISt17integral_constantIbLb1EESW_EEDaSR_SS_EUlSR_E_NS1_11comp_targetILNS1_3genE8ELNS1_11target_archE1030ELNS1_3gpuE2ELNS1_3repE0EEENS1_30default_config_static_selectorELNS0_4arch9wavefront6targetE0EEEvT1_
; %bb.0:
	s_endpgm
	.section	.rodata,"a",@progbits
	.p2align	6, 0x0
	.amdhsa_kernel _ZN7rocprim17ROCPRIM_400000_NS6detail17trampoline_kernelINS0_14default_configENS1_20scan_config_selectorIdEEZZNS1_9scan_implILNS1_25lookback_scan_determinismE0ELb0ELb0ES3_PKdPddZZZN2at6native31launch_logcumsumexp_cuda_kernelERKNSB_10TensorBaseESF_lENKUlvE_clEvENKUlvE_clEvEUlddE_dEEDaPvRmT3_T4_T5_mT6_P12ihipStream_tbENKUlT_T0_E_clISt17integral_constantIbLb1EESW_EEDaSR_SS_EUlSR_E_NS1_11comp_targetILNS1_3genE8ELNS1_11target_archE1030ELNS1_3gpuE2ELNS1_3repE0EEENS1_30default_config_static_selectorELNS0_4arch9wavefront6targetE0EEEvT1_
		.amdhsa_group_segment_fixed_size 0
		.amdhsa_private_segment_fixed_size 0
		.amdhsa_kernarg_size 104
		.amdhsa_user_sgpr_count 6
		.amdhsa_user_sgpr_private_segment_buffer 1
		.amdhsa_user_sgpr_dispatch_ptr 0
		.amdhsa_user_sgpr_queue_ptr 0
		.amdhsa_user_sgpr_kernarg_segment_ptr 1
		.amdhsa_user_sgpr_dispatch_id 0
		.amdhsa_user_sgpr_flat_scratch_init 0
		.amdhsa_user_sgpr_private_segment_size 0
		.amdhsa_wavefront_size32 1
		.amdhsa_uses_dynamic_stack 0
		.amdhsa_system_sgpr_private_segment_wavefront_offset 0
		.amdhsa_system_sgpr_workgroup_id_x 1
		.amdhsa_system_sgpr_workgroup_id_y 0
		.amdhsa_system_sgpr_workgroup_id_z 0
		.amdhsa_system_sgpr_workgroup_info 0
		.amdhsa_system_vgpr_workitem_id 0
		.amdhsa_next_free_vgpr 1
		.amdhsa_next_free_sgpr 1
		.amdhsa_reserve_vcc 0
		.amdhsa_reserve_flat_scratch 0
		.amdhsa_float_round_mode_32 0
		.amdhsa_float_round_mode_16_64 0
		.amdhsa_float_denorm_mode_32 3
		.amdhsa_float_denorm_mode_16_64 3
		.amdhsa_dx10_clamp 1
		.amdhsa_ieee_mode 1
		.amdhsa_fp16_overflow 0
		.amdhsa_workgroup_processor_mode 1
		.amdhsa_memory_ordered 1
		.amdhsa_forward_progress 1
		.amdhsa_shared_vgpr_count 0
		.amdhsa_exception_fp_ieee_invalid_op 0
		.amdhsa_exception_fp_denorm_src 0
		.amdhsa_exception_fp_ieee_div_zero 0
		.amdhsa_exception_fp_ieee_overflow 0
		.amdhsa_exception_fp_ieee_underflow 0
		.amdhsa_exception_fp_ieee_inexact 0
		.amdhsa_exception_int_div_zero 0
	.end_amdhsa_kernel
	.section	.text._ZN7rocprim17ROCPRIM_400000_NS6detail17trampoline_kernelINS0_14default_configENS1_20scan_config_selectorIdEEZZNS1_9scan_implILNS1_25lookback_scan_determinismE0ELb0ELb0ES3_PKdPddZZZN2at6native31launch_logcumsumexp_cuda_kernelERKNSB_10TensorBaseESF_lENKUlvE_clEvENKUlvE_clEvEUlddE_dEEDaPvRmT3_T4_T5_mT6_P12ihipStream_tbENKUlT_T0_E_clISt17integral_constantIbLb1EESW_EEDaSR_SS_EUlSR_E_NS1_11comp_targetILNS1_3genE8ELNS1_11target_archE1030ELNS1_3gpuE2ELNS1_3repE0EEENS1_30default_config_static_selectorELNS0_4arch9wavefront6targetE0EEEvT1_,"axG",@progbits,_ZN7rocprim17ROCPRIM_400000_NS6detail17trampoline_kernelINS0_14default_configENS1_20scan_config_selectorIdEEZZNS1_9scan_implILNS1_25lookback_scan_determinismE0ELb0ELb0ES3_PKdPddZZZN2at6native31launch_logcumsumexp_cuda_kernelERKNSB_10TensorBaseESF_lENKUlvE_clEvENKUlvE_clEvEUlddE_dEEDaPvRmT3_T4_T5_mT6_P12ihipStream_tbENKUlT_T0_E_clISt17integral_constantIbLb1EESW_EEDaSR_SS_EUlSR_E_NS1_11comp_targetILNS1_3genE8ELNS1_11target_archE1030ELNS1_3gpuE2ELNS1_3repE0EEENS1_30default_config_static_selectorELNS0_4arch9wavefront6targetE0EEEvT1_,comdat
.Lfunc_end36:
	.size	_ZN7rocprim17ROCPRIM_400000_NS6detail17trampoline_kernelINS0_14default_configENS1_20scan_config_selectorIdEEZZNS1_9scan_implILNS1_25lookback_scan_determinismE0ELb0ELb0ES3_PKdPddZZZN2at6native31launch_logcumsumexp_cuda_kernelERKNSB_10TensorBaseESF_lENKUlvE_clEvENKUlvE_clEvEUlddE_dEEDaPvRmT3_T4_T5_mT6_P12ihipStream_tbENKUlT_T0_E_clISt17integral_constantIbLb1EESW_EEDaSR_SS_EUlSR_E_NS1_11comp_targetILNS1_3genE8ELNS1_11target_archE1030ELNS1_3gpuE2ELNS1_3repE0EEENS1_30default_config_static_selectorELNS0_4arch9wavefront6targetE0EEEvT1_, .Lfunc_end36-_ZN7rocprim17ROCPRIM_400000_NS6detail17trampoline_kernelINS0_14default_configENS1_20scan_config_selectorIdEEZZNS1_9scan_implILNS1_25lookback_scan_determinismE0ELb0ELb0ES3_PKdPddZZZN2at6native31launch_logcumsumexp_cuda_kernelERKNSB_10TensorBaseESF_lENKUlvE_clEvENKUlvE_clEvEUlddE_dEEDaPvRmT3_T4_T5_mT6_P12ihipStream_tbENKUlT_T0_E_clISt17integral_constantIbLb1EESW_EEDaSR_SS_EUlSR_E_NS1_11comp_targetILNS1_3genE8ELNS1_11target_archE1030ELNS1_3gpuE2ELNS1_3repE0EEENS1_30default_config_static_selectorELNS0_4arch9wavefront6targetE0EEEvT1_
                                        ; -- End function
	.set _ZN7rocprim17ROCPRIM_400000_NS6detail17trampoline_kernelINS0_14default_configENS1_20scan_config_selectorIdEEZZNS1_9scan_implILNS1_25lookback_scan_determinismE0ELb0ELb0ES3_PKdPddZZZN2at6native31launch_logcumsumexp_cuda_kernelERKNSB_10TensorBaseESF_lENKUlvE_clEvENKUlvE_clEvEUlddE_dEEDaPvRmT3_T4_T5_mT6_P12ihipStream_tbENKUlT_T0_E_clISt17integral_constantIbLb1EESW_EEDaSR_SS_EUlSR_E_NS1_11comp_targetILNS1_3genE8ELNS1_11target_archE1030ELNS1_3gpuE2ELNS1_3repE0EEENS1_30default_config_static_selectorELNS0_4arch9wavefront6targetE0EEEvT1_.num_vgpr, 0
	.set _ZN7rocprim17ROCPRIM_400000_NS6detail17trampoline_kernelINS0_14default_configENS1_20scan_config_selectorIdEEZZNS1_9scan_implILNS1_25lookback_scan_determinismE0ELb0ELb0ES3_PKdPddZZZN2at6native31launch_logcumsumexp_cuda_kernelERKNSB_10TensorBaseESF_lENKUlvE_clEvENKUlvE_clEvEUlddE_dEEDaPvRmT3_T4_T5_mT6_P12ihipStream_tbENKUlT_T0_E_clISt17integral_constantIbLb1EESW_EEDaSR_SS_EUlSR_E_NS1_11comp_targetILNS1_3genE8ELNS1_11target_archE1030ELNS1_3gpuE2ELNS1_3repE0EEENS1_30default_config_static_selectorELNS0_4arch9wavefront6targetE0EEEvT1_.num_agpr, 0
	.set _ZN7rocprim17ROCPRIM_400000_NS6detail17trampoline_kernelINS0_14default_configENS1_20scan_config_selectorIdEEZZNS1_9scan_implILNS1_25lookback_scan_determinismE0ELb0ELb0ES3_PKdPddZZZN2at6native31launch_logcumsumexp_cuda_kernelERKNSB_10TensorBaseESF_lENKUlvE_clEvENKUlvE_clEvEUlddE_dEEDaPvRmT3_T4_T5_mT6_P12ihipStream_tbENKUlT_T0_E_clISt17integral_constantIbLb1EESW_EEDaSR_SS_EUlSR_E_NS1_11comp_targetILNS1_3genE8ELNS1_11target_archE1030ELNS1_3gpuE2ELNS1_3repE0EEENS1_30default_config_static_selectorELNS0_4arch9wavefront6targetE0EEEvT1_.numbered_sgpr, 0
	.set _ZN7rocprim17ROCPRIM_400000_NS6detail17trampoline_kernelINS0_14default_configENS1_20scan_config_selectorIdEEZZNS1_9scan_implILNS1_25lookback_scan_determinismE0ELb0ELb0ES3_PKdPddZZZN2at6native31launch_logcumsumexp_cuda_kernelERKNSB_10TensorBaseESF_lENKUlvE_clEvENKUlvE_clEvEUlddE_dEEDaPvRmT3_T4_T5_mT6_P12ihipStream_tbENKUlT_T0_E_clISt17integral_constantIbLb1EESW_EEDaSR_SS_EUlSR_E_NS1_11comp_targetILNS1_3genE8ELNS1_11target_archE1030ELNS1_3gpuE2ELNS1_3repE0EEENS1_30default_config_static_selectorELNS0_4arch9wavefront6targetE0EEEvT1_.num_named_barrier, 0
	.set _ZN7rocprim17ROCPRIM_400000_NS6detail17trampoline_kernelINS0_14default_configENS1_20scan_config_selectorIdEEZZNS1_9scan_implILNS1_25lookback_scan_determinismE0ELb0ELb0ES3_PKdPddZZZN2at6native31launch_logcumsumexp_cuda_kernelERKNSB_10TensorBaseESF_lENKUlvE_clEvENKUlvE_clEvEUlddE_dEEDaPvRmT3_T4_T5_mT6_P12ihipStream_tbENKUlT_T0_E_clISt17integral_constantIbLb1EESW_EEDaSR_SS_EUlSR_E_NS1_11comp_targetILNS1_3genE8ELNS1_11target_archE1030ELNS1_3gpuE2ELNS1_3repE0EEENS1_30default_config_static_selectorELNS0_4arch9wavefront6targetE0EEEvT1_.private_seg_size, 0
	.set _ZN7rocprim17ROCPRIM_400000_NS6detail17trampoline_kernelINS0_14default_configENS1_20scan_config_selectorIdEEZZNS1_9scan_implILNS1_25lookback_scan_determinismE0ELb0ELb0ES3_PKdPddZZZN2at6native31launch_logcumsumexp_cuda_kernelERKNSB_10TensorBaseESF_lENKUlvE_clEvENKUlvE_clEvEUlddE_dEEDaPvRmT3_T4_T5_mT6_P12ihipStream_tbENKUlT_T0_E_clISt17integral_constantIbLb1EESW_EEDaSR_SS_EUlSR_E_NS1_11comp_targetILNS1_3genE8ELNS1_11target_archE1030ELNS1_3gpuE2ELNS1_3repE0EEENS1_30default_config_static_selectorELNS0_4arch9wavefront6targetE0EEEvT1_.uses_vcc, 0
	.set _ZN7rocprim17ROCPRIM_400000_NS6detail17trampoline_kernelINS0_14default_configENS1_20scan_config_selectorIdEEZZNS1_9scan_implILNS1_25lookback_scan_determinismE0ELb0ELb0ES3_PKdPddZZZN2at6native31launch_logcumsumexp_cuda_kernelERKNSB_10TensorBaseESF_lENKUlvE_clEvENKUlvE_clEvEUlddE_dEEDaPvRmT3_T4_T5_mT6_P12ihipStream_tbENKUlT_T0_E_clISt17integral_constantIbLb1EESW_EEDaSR_SS_EUlSR_E_NS1_11comp_targetILNS1_3genE8ELNS1_11target_archE1030ELNS1_3gpuE2ELNS1_3repE0EEENS1_30default_config_static_selectorELNS0_4arch9wavefront6targetE0EEEvT1_.uses_flat_scratch, 0
	.set _ZN7rocprim17ROCPRIM_400000_NS6detail17trampoline_kernelINS0_14default_configENS1_20scan_config_selectorIdEEZZNS1_9scan_implILNS1_25lookback_scan_determinismE0ELb0ELb0ES3_PKdPddZZZN2at6native31launch_logcumsumexp_cuda_kernelERKNSB_10TensorBaseESF_lENKUlvE_clEvENKUlvE_clEvEUlddE_dEEDaPvRmT3_T4_T5_mT6_P12ihipStream_tbENKUlT_T0_E_clISt17integral_constantIbLb1EESW_EEDaSR_SS_EUlSR_E_NS1_11comp_targetILNS1_3genE8ELNS1_11target_archE1030ELNS1_3gpuE2ELNS1_3repE0EEENS1_30default_config_static_selectorELNS0_4arch9wavefront6targetE0EEEvT1_.has_dyn_sized_stack, 0
	.set _ZN7rocprim17ROCPRIM_400000_NS6detail17trampoline_kernelINS0_14default_configENS1_20scan_config_selectorIdEEZZNS1_9scan_implILNS1_25lookback_scan_determinismE0ELb0ELb0ES3_PKdPddZZZN2at6native31launch_logcumsumexp_cuda_kernelERKNSB_10TensorBaseESF_lENKUlvE_clEvENKUlvE_clEvEUlddE_dEEDaPvRmT3_T4_T5_mT6_P12ihipStream_tbENKUlT_T0_E_clISt17integral_constantIbLb1EESW_EEDaSR_SS_EUlSR_E_NS1_11comp_targetILNS1_3genE8ELNS1_11target_archE1030ELNS1_3gpuE2ELNS1_3repE0EEENS1_30default_config_static_selectorELNS0_4arch9wavefront6targetE0EEEvT1_.has_recursion, 0
	.set _ZN7rocprim17ROCPRIM_400000_NS6detail17trampoline_kernelINS0_14default_configENS1_20scan_config_selectorIdEEZZNS1_9scan_implILNS1_25lookback_scan_determinismE0ELb0ELb0ES3_PKdPddZZZN2at6native31launch_logcumsumexp_cuda_kernelERKNSB_10TensorBaseESF_lENKUlvE_clEvENKUlvE_clEvEUlddE_dEEDaPvRmT3_T4_T5_mT6_P12ihipStream_tbENKUlT_T0_E_clISt17integral_constantIbLb1EESW_EEDaSR_SS_EUlSR_E_NS1_11comp_targetILNS1_3genE8ELNS1_11target_archE1030ELNS1_3gpuE2ELNS1_3repE0EEENS1_30default_config_static_selectorELNS0_4arch9wavefront6targetE0EEEvT1_.has_indirect_call, 0
	.section	.AMDGPU.csdata,"",@progbits
; Kernel info:
; codeLenInByte = 4
; TotalNumSgprs: 0
; NumVgprs: 0
; ScratchSize: 0
; MemoryBound: 0
; FloatMode: 240
; IeeeMode: 1
; LDSByteSize: 0 bytes/workgroup (compile time only)
; SGPRBlocks: 0
; VGPRBlocks: 0
; NumSGPRsForWavesPerEU: 1
; NumVGPRsForWavesPerEU: 1
; Occupancy: 16
; WaveLimiterHint : 0
; COMPUTE_PGM_RSRC2:SCRATCH_EN: 0
; COMPUTE_PGM_RSRC2:USER_SGPR: 6
; COMPUTE_PGM_RSRC2:TRAP_HANDLER: 0
; COMPUTE_PGM_RSRC2:TGID_X_EN: 1
; COMPUTE_PGM_RSRC2:TGID_Y_EN: 0
; COMPUTE_PGM_RSRC2:TGID_Z_EN: 0
; COMPUTE_PGM_RSRC2:TIDIG_COMP_CNT: 0
	.section	.text._ZN7rocprim17ROCPRIM_400000_NS6detail17trampoline_kernelINS0_14default_configENS1_20scan_config_selectorIdEEZZNS1_9scan_implILNS1_25lookback_scan_determinismE0ELb0ELb0ES3_PKdPddZZZN2at6native31launch_logcumsumexp_cuda_kernelERKNSB_10TensorBaseESF_lENKUlvE_clEvENKUlvE_clEvEUlddE_dEEDaPvRmT3_T4_T5_mT6_P12ihipStream_tbENKUlT_T0_E_clISt17integral_constantIbLb1EESW_EEDaSR_SS_EUlSR_E0_NS1_11comp_targetILNS1_3genE0ELNS1_11target_archE4294967295ELNS1_3gpuE0ELNS1_3repE0EEENS1_30default_config_static_selectorELNS0_4arch9wavefront6targetE0EEEvT1_,"axG",@progbits,_ZN7rocprim17ROCPRIM_400000_NS6detail17trampoline_kernelINS0_14default_configENS1_20scan_config_selectorIdEEZZNS1_9scan_implILNS1_25lookback_scan_determinismE0ELb0ELb0ES3_PKdPddZZZN2at6native31launch_logcumsumexp_cuda_kernelERKNSB_10TensorBaseESF_lENKUlvE_clEvENKUlvE_clEvEUlddE_dEEDaPvRmT3_T4_T5_mT6_P12ihipStream_tbENKUlT_T0_E_clISt17integral_constantIbLb1EESW_EEDaSR_SS_EUlSR_E0_NS1_11comp_targetILNS1_3genE0ELNS1_11target_archE4294967295ELNS1_3gpuE0ELNS1_3repE0EEENS1_30default_config_static_selectorELNS0_4arch9wavefront6targetE0EEEvT1_,comdat
	.globl	_ZN7rocprim17ROCPRIM_400000_NS6detail17trampoline_kernelINS0_14default_configENS1_20scan_config_selectorIdEEZZNS1_9scan_implILNS1_25lookback_scan_determinismE0ELb0ELb0ES3_PKdPddZZZN2at6native31launch_logcumsumexp_cuda_kernelERKNSB_10TensorBaseESF_lENKUlvE_clEvENKUlvE_clEvEUlddE_dEEDaPvRmT3_T4_T5_mT6_P12ihipStream_tbENKUlT_T0_E_clISt17integral_constantIbLb1EESW_EEDaSR_SS_EUlSR_E0_NS1_11comp_targetILNS1_3genE0ELNS1_11target_archE4294967295ELNS1_3gpuE0ELNS1_3repE0EEENS1_30default_config_static_selectorELNS0_4arch9wavefront6targetE0EEEvT1_ ; -- Begin function _ZN7rocprim17ROCPRIM_400000_NS6detail17trampoline_kernelINS0_14default_configENS1_20scan_config_selectorIdEEZZNS1_9scan_implILNS1_25lookback_scan_determinismE0ELb0ELb0ES3_PKdPddZZZN2at6native31launch_logcumsumexp_cuda_kernelERKNSB_10TensorBaseESF_lENKUlvE_clEvENKUlvE_clEvEUlddE_dEEDaPvRmT3_T4_T5_mT6_P12ihipStream_tbENKUlT_T0_E_clISt17integral_constantIbLb1EESW_EEDaSR_SS_EUlSR_E0_NS1_11comp_targetILNS1_3genE0ELNS1_11target_archE4294967295ELNS1_3gpuE0ELNS1_3repE0EEENS1_30default_config_static_selectorELNS0_4arch9wavefront6targetE0EEEvT1_
	.p2align	8
	.type	_ZN7rocprim17ROCPRIM_400000_NS6detail17trampoline_kernelINS0_14default_configENS1_20scan_config_selectorIdEEZZNS1_9scan_implILNS1_25lookback_scan_determinismE0ELb0ELb0ES3_PKdPddZZZN2at6native31launch_logcumsumexp_cuda_kernelERKNSB_10TensorBaseESF_lENKUlvE_clEvENKUlvE_clEvEUlddE_dEEDaPvRmT3_T4_T5_mT6_P12ihipStream_tbENKUlT_T0_E_clISt17integral_constantIbLb1EESW_EEDaSR_SS_EUlSR_E0_NS1_11comp_targetILNS1_3genE0ELNS1_11target_archE4294967295ELNS1_3gpuE0ELNS1_3repE0EEENS1_30default_config_static_selectorELNS0_4arch9wavefront6targetE0EEEvT1_,@function
_ZN7rocprim17ROCPRIM_400000_NS6detail17trampoline_kernelINS0_14default_configENS1_20scan_config_selectorIdEEZZNS1_9scan_implILNS1_25lookback_scan_determinismE0ELb0ELb0ES3_PKdPddZZZN2at6native31launch_logcumsumexp_cuda_kernelERKNSB_10TensorBaseESF_lENKUlvE_clEvENKUlvE_clEvEUlddE_dEEDaPvRmT3_T4_T5_mT6_P12ihipStream_tbENKUlT_T0_E_clISt17integral_constantIbLb1EESW_EEDaSR_SS_EUlSR_E0_NS1_11comp_targetILNS1_3genE0ELNS1_11target_archE4294967295ELNS1_3gpuE0ELNS1_3repE0EEENS1_30default_config_static_selectorELNS0_4arch9wavefront6targetE0EEEvT1_: ; @_ZN7rocprim17ROCPRIM_400000_NS6detail17trampoline_kernelINS0_14default_configENS1_20scan_config_selectorIdEEZZNS1_9scan_implILNS1_25lookback_scan_determinismE0ELb0ELb0ES3_PKdPddZZZN2at6native31launch_logcumsumexp_cuda_kernelERKNSB_10TensorBaseESF_lENKUlvE_clEvENKUlvE_clEvEUlddE_dEEDaPvRmT3_T4_T5_mT6_P12ihipStream_tbENKUlT_T0_E_clISt17integral_constantIbLb1EESW_EEDaSR_SS_EUlSR_E0_NS1_11comp_targetILNS1_3genE0ELNS1_11target_archE4294967295ELNS1_3gpuE0ELNS1_3repE0EEENS1_30default_config_static_selectorELNS0_4arch9wavefront6targetE0EEEvT1_
; %bb.0:
	.section	.rodata,"a",@progbits
	.p2align	6, 0x0
	.amdhsa_kernel _ZN7rocprim17ROCPRIM_400000_NS6detail17trampoline_kernelINS0_14default_configENS1_20scan_config_selectorIdEEZZNS1_9scan_implILNS1_25lookback_scan_determinismE0ELb0ELb0ES3_PKdPddZZZN2at6native31launch_logcumsumexp_cuda_kernelERKNSB_10TensorBaseESF_lENKUlvE_clEvENKUlvE_clEvEUlddE_dEEDaPvRmT3_T4_T5_mT6_P12ihipStream_tbENKUlT_T0_E_clISt17integral_constantIbLb1EESW_EEDaSR_SS_EUlSR_E0_NS1_11comp_targetILNS1_3genE0ELNS1_11target_archE4294967295ELNS1_3gpuE0ELNS1_3repE0EEENS1_30default_config_static_selectorELNS0_4arch9wavefront6targetE0EEEvT1_
		.amdhsa_group_segment_fixed_size 0
		.amdhsa_private_segment_fixed_size 0
		.amdhsa_kernarg_size 40
		.amdhsa_user_sgpr_count 6
		.amdhsa_user_sgpr_private_segment_buffer 1
		.amdhsa_user_sgpr_dispatch_ptr 0
		.amdhsa_user_sgpr_queue_ptr 0
		.amdhsa_user_sgpr_kernarg_segment_ptr 1
		.amdhsa_user_sgpr_dispatch_id 0
		.amdhsa_user_sgpr_flat_scratch_init 0
		.amdhsa_user_sgpr_private_segment_size 0
		.amdhsa_wavefront_size32 1
		.amdhsa_uses_dynamic_stack 0
		.amdhsa_system_sgpr_private_segment_wavefront_offset 0
		.amdhsa_system_sgpr_workgroup_id_x 1
		.amdhsa_system_sgpr_workgroup_id_y 0
		.amdhsa_system_sgpr_workgroup_id_z 0
		.amdhsa_system_sgpr_workgroup_info 0
		.amdhsa_system_vgpr_workitem_id 0
		.amdhsa_next_free_vgpr 1
		.amdhsa_next_free_sgpr 1
		.amdhsa_reserve_vcc 0
		.amdhsa_reserve_flat_scratch 0
		.amdhsa_float_round_mode_32 0
		.amdhsa_float_round_mode_16_64 0
		.amdhsa_float_denorm_mode_32 3
		.amdhsa_float_denorm_mode_16_64 3
		.amdhsa_dx10_clamp 1
		.amdhsa_ieee_mode 1
		.amdhsa_fp16_overflow 0
		.amdhsa_workgroup_processor_mode 1
		.amdhsa_memory_ordered 1
		.amdhsa_forward_progress 1
		.amdhsa_shared_vgpr_count 0
		.amdhsa_exception_fp_ieee_invalid_op 0
		.amdhsa_exception_fp_denorm_src 0
		.amdhsa_exception_fp_ieee_div_zero 0
		.amdhsa_exception_fp_ieee_overflow 0
		.amdhsa_exception_fp_ieee_underflow 0
		.amdhsa_exception_fp_ieee_inexact 0
		.amdhsa_exception_int_div_zero 0
	.end_amdhsa_kernel
	.section	.text._ZN7rocprim17ROCPRIM_400000_NS6detail17trampoline_kernelINS0_14default_configENS1_20scan_config_selectorIdEEZZNS1_9scan_implILNS1_25lookback_scan_determinismE0ELb0ELb0ES3_PKdPddZZZN2at6native31launch_logcumsumexp_cuda_kernelERKNSB_10TensorBaseESF_lENKUlvE_clEvENKUlvE_clEvEUlddE_dEEDaPvRmT3_T4_T5_mT6_P12ihipStream_tbENKUlT_T0_E_clISt17integral_constantIbLb1EESW_EEDaSR_SS_EUlSR_E0_NS1_11comp_targetILNS1_3genE0ELNS1_11target_archE4294967295ELNS1_3gpuE0ELNS1_3repE0EEENS1_30default_config_static_selectorELNS0_4arch9wavefront6targetE0EEEvT1_,"axG",@progbits,_ZN7rocprim17ROCPRIM_400000_NS6detail17trampoline_kernelINS0_14default_configENS1_20scan_config_selectorIdEEZZNS1_9scan_implILNS1_25lookback_scan_determinismE0ELb0ELb0ES3_PKdPddZZZN2at6native31launch_logcumsumexp_cuda_kernelERKNSB_10TensorBaseESF_lENKUlvE_clEvENKUlvE_clEvEUlddE_dEEDaPvRmT3_T4_T5_mT6_P12ihipStream_tbENKUlT_T0_E_clISt17integral_constantIbLb1EESW_EEDaSR_SS_EUlSR_E0_NS1_11comp_targetILNS1_3genE0ELNS1_11target_archE4294967295ELNS1_3gpuE0ELNS1_3repE0EEENS1_30default_config_static_selectorELNS0_4arch9wavefront6targetE0EEEvT1_,comdat
.Lfunc_end37:
	.size	_ZN7rocprim17ROCPRIM_400000_NS6detail17trampoline_kernelINS0_14default_configENS1_20scan_config_selectorIdEEZZNS1_9scan_implILNS1_25lookback_scan_determinismE0ELb0ELb0ES3_PKdPddZZZN2at6native31launch_logcumsumexp_cuda_kernelERKNSB_10TensorBaseESF_lENKUlvE_clEvENKUlvE_clEvEUlddE_dEEDaPvRmT3_T4_T5_mT6_P12ihipStream_tbENKUlT_T0_E_clISt17integral_constantIbLb1EESW_EEDaSR_SS_EUlSR_E0_NS1_11comp_targetILNS1_3genE0ELNS1_11target_archE4294967295ELNS1_3gpuE0ELNS1_3repE0EEENS1_30default_config_static_selectorELNS0_4arch9wavefront6targetE0EEEvT1_, .Lfunc_end37-_ZN7rocprim17ROCPRIM_400000_NS6detail17trampoline_kernelINS0_14default_configENS1_20scan_config_selectorIdEEZZNS1_9scan_implILNS1_25lookback_scan_determinismE0ELb0ELb0ES3_PKdPddZZZN2at6native31launch_logcumsumexp_cuda_kernelERKNSB_10TensorBaseESF_lENKUlvE_clEvENKUlvE_clEvEUlddE_dEEDaPvRmT3_T4_T5_mT6_P12ihipStream_tbENKUlT_T0_E_clISt17integral_constantIbLb1EESW_EEDaSR_SS_EUlSR_E0_NS1_11comp_targetILNS1_3genE0ELNS1_11target_archE4294967295ELNS1_3gpuE0ELNS1_3repE0EEENS1_30default_config_static_selectorELNS0_4arch9wavefront6targetE0EEEvT1_
                                        ; -- End function
	.set _ZN7rocprim17ROCPRIM_400000_NS6detail17trampoline_kernelINS0_14default_configENS1_20scan_config_selectorIdEEZZNS1_9scan_implILNS1_25lookback_scan_determinismE0ELb0ELb0ES3_PKdPddZZZN2at6native31launch_logcumsumexp_cuda_kernelERKNSB_10TensorBaseESF_lENKUlvE_clEvENKUlvE_clEvEUlddE_dEEDaPvRmT3_T4_T5_mT6_P12ihipStream_tbENKUlT_T0_E_clISt17integral_constantIbLb1EESW_EEDaSR_SS_EUlSR_E0_NS1_11comp_targetILNS1_3genE0ELNS1_11target_archE4294967295ELNS1_3gpuE0ELNS1_3repE0EEENS1_30default_config_static_selectorELNS0_4arch9wavefront6targetE0EEEvT1_.num_vgpr, 0
	.set _ZN7rocprim17ROCPRIM_400000_NS6detail17trampoline_kernelINS0_14default_configENS1_20scan_config_selectorIdEEZZNS1_9scan_implILNS1_25lookback_scan_determinismE0ELb0ELb0ES3_PKdPddZZZN2at6native31launch_logcumsumexp_cuda_kernelERKNSB_10TensorBaseESF_lENKUlvE_clEvENKUlvE_clEvEUlddE_dEEDaPvRmT3_T4_T5_mT6_P12ihipStream_tbENKUlT_T0_E_clISt17integral_constantIbLb1EESW_EEDaSR_SS_EUlSR_E0_NS1_11comp_targetILNS1_3genE0ELNS1_11target_archE4294967295ELNS1_3gpuE0ELNS1_3repE0EEENS1_30default_config_static_selectorELNS0_4arch9wavefront6targetE0EEEvT1_.num_agpr, 0
	.set _ZN7rocprim17ROCPRIM_400000_NS6detail17trampoline_kernelINS0_14default_configENS1_20scan_config_selectorIdEEZZNS1_9scan_implILNS1_25lookback_scan_determinismE0ELb0ELb0ES3_PKdPddZZZN2at6native31launch_logcumsumexp_cuda_kernelERKNSB_10TensorBaseESF_lENKUlvE_clEvENKUlvE_clEvEUlddE_dEEDaPvRmT3_T4_T5_mT6_P12ihipStream_tbENKUlT_T0_E_clISt17integral_constantIbLb1EESW_EEDaSR_SS_EUlSR_E0_NS1_11comp_targetILNS1_3genE0ELNS1_11target_archE4294967295ELNS1_3gpuE0ELNS1_3repE0EEENS1_30default_config_static_selectorELNS0_4arch9wavefront6targetE0EEEvT1_.numbered_sgpr, 0
	.set _ZN7rocprim17ROCPRIM_400000_NS6detail17trampoline_kernelINS0_14default_configENS1_20scan_config_selectorIdEEZZNS1_9scan_implILNS1_25lookback_scan_determinismE0ELb0ELb0ES3_PKdPddZZZN2at6native31launch_logcumsumexp_cuda_kernelERKNSB_10TensorBaseESF_lENKUlvE_clEvENKUlvE_clEvEUlddE_dEEDaPvRmT3_T4_T5_mT6_P12ihipStream_tbENKUlT_T0_E_clISt17integral_constantIbLb1EESW_EEDaSR_SS_EUlSR_E0_NS1_11comp_targetILNS1_3genE0ELNS1_11target_archE4294967295ELNS1_3gpuE0ELNS1_3repE0EEENS1_30default_config_static_selectorELNS0_4arch9wavefront6targetE0EEEvT1_.num_named_barrier, 0
	.set _ZN7rocprim17ROCPRIM_400000_NS6detail17trampoline_kernelINS0_14default_configENS1_20scan_config_selectorIdEEZZNS1_9scan_implILNS1_25lookback_scan_determinismE0ELb0ELb0ES3_PKdPddZZZN2at6native31launch_logcumsumexp_cuda_kernelERKNSB_10TensorBaseESF_lENKUlvE_clEvENKUlvE_clEvEUlddE_dEEDaPvRmT3_T4_T5_mT6_P12ihipStream_tbENKUlT_T0_E_clISt17integral_constantIbLb1EESW_EEDaSR_SS_EUlSR_E0_NS1_11comp_targetILNS1_3genE0ELNS1_11target_archE4294967295ELNS1_3gpuE0ELNS1_3repE0EEENS1_30default_config_static_selectorELNS0_4arch9wavefront6targetE0EEEvT1_.private_seg_size, 0
	.set _ZN7rocprim17ROCPRIM_400000_NS6detail17trampoline_kernelINS0_14default_configENS1_20scan_config_selectorIdEEZZNS1_9scan_implILNS1_25lookback_scan_determinismE0ELb0ELb0ES3_PKdPddZZZN2at6native31launch_logcumsumexp_cuda_kernelERKNSB_10TensorBaseESF_lENKUlvE_clEvENKUlvE_clEvEUlddE_dEEDaPvRmT3_T4_T5_mT6_P12ihipStream_tbENKUlT_T0_E_clISt17integral_constantIbLb1EESW_EEDaSR_SS_EUlSR_E0_NS1_11comp_targetILNS1_3genE0ELNS1_11target_archE4294967295ELNS1_3gpuE0ELNS1_3repE0EEENS1_30default_config_static_selectorELNS0_4arch9wavefront6targetE0EEEvT1_.uses_vcc, 0
	.set _ZN7rocprim17ROCPRIM_400000_NS6detail17trampoline_kernelINS0_14default_configENS1_20scan_config_selectorIdEEZZNS1_9scan_implILNS1_25lookback_scan_determinismE0ELb0ELb0ES3_PKdPddZZZN2at6native31launch_logcumsumexp_cuda_kernelERKNSB_10TensorBaseESF_lENKUlvE_clEvENKUlvE_clEvEUlddE_dEEDaPvRmT3_T4_T5_mT6_P12ihipStream_tbENKUlT_T0_E_clISt17integral_constantIbLb1EESW_EEDaSR_SS_EUlSR_E0_NS1_11comp_targetILNS1_3genE0ELNS1_11target_archE4294967295ELNS1_3gpuE0ELNS1_3repE0EEENS1_30default_config_static_selectorELNS0_4arch9wavefront6targetE0EEEvT1_.uses_flat_scratch, 0
	.set _ZN7rocprim17ROCPRIM_400000_NS6detail17trampoline_kernelINS0_14default_configENS1_20scan_config_selectorIdEEZZNS1_9scan_implILNS1_25lookback_scan_determinismE0ELb0ELb0ES3_PKdPddZZZN2at6native31launch_logcumsumexp_cuda_kernelERKNSB_10TensorBaseESF_lENKUlvE_clEvENKUlvE_clEvEUlddE_dEEDaPvRmT3_T4_T5_mT6_P12ihipStream_tbENKUlT_T0_E_clISt17integral_constantIbLb1EESW_EEDaSR_SS_EUlSR_E0_NS1_11comp_targetILNS1_3genE0ELNS1_11target_archE4294967295ELNS1_3gpuE0ELNS1_3repE0EEENS1_30default_config_static_selectorELNS0_4arch9wavefront6targetE0EEEvT1_.has_dyn_sized_stack, 0
	.set _ZN7rocprim17ROCPRIM_400000_NS6detail17trampoline_kernelINS0_14default_configENS1_20scan_config_selectorIdEEZZNS1_9scan_implILNS1_25lookback_scan_determinismE0ELb0ELb0ES3_PKdPddZZZN2at6native31launch_logcumsumexp_cuda_kernelERKNSB_10TensorBaseESF_lENKUlvE_clEvENKUlvE_clEvEUlddE_dEEDaPvRmT3_T4_T5_mT6_P12ihipStream_tbENKUlT_T0_E_clISt17integral_constantIbLb1EESW_EEDaSR_SS_EUlSR_E0_NS1_11comp_targetILNS1_3genE0ELNS1_11target_archE4294967295ELNS1_3gpuE0ELNS1_3repE0EEENS1_30default_config_static_selectorELNS0_4arch9wavefront6targetE0EEEvT1_.has_recursion, 0
	.set _ZN7rocprim17ROCPRIM_400000_NS6detail17trampoline_kernelINS0_14default_configENS1_20scan_config_selectorIdEEZZNS1_9scan_implILNS1_25lookback_scan_determinismE0ELb0ELb0ES3_PKdPddZZZN2at6native31launch_logcumsumexp_cuda_kernelERKNSB_10TensorBaseESF_lENKUlvE_clEvENKUlvE_clEvEUlddE_dEEDaPvRmT3_T4_T5_mT6_P12ihipStream_tbENKUlT_T0_E_clISt17integral_constantIbLb1EESW_EEDaSR_SS_EUlSR_E0_NS1_11comp_targetILNS1_3genE0ELNS1_11target_archE4294967295ELNS1_3gpuE0ELNS1_3repE0EEENS1_30default_config_static_selectorELNS0_4arch9wavefront6targetE0EEEvT1_.has_indirect_call, 0
	.section	.AMDGPU.csdata,"",@progbits
; Kernel info:
; codeLenInByte = 0
; TotalNumSgprs: 0
; NumVgprs: 0
; ScratchSize: 0
; MemoryBound: 0
; FloatMode: 240
; IeeeMode: 1
; LDSByteSize: 0 bytes/workgroup (compile time only)
; SGPRBlocks: 0
; VGPRBlocks: 0
; NumSGPRsForWavesPerEU: 1
; NumVGPRsForWavesPerEU: 1
; Occupancy: 16
; WaveLimiterHint : 0
; COMPUTE_PGM_RSRC2:SCRATCH_EN: 0
; COMPUTE_PGM_RSRC2:USER_SGPR: 6
; COMPUTE_PGM_RSRC2:TRAP_HANDLER: 0
; COMPUTE_PGM_RSRC2:TGID_X_EN: 1
; COMPUTE_PGM_RSRC2:TGID_Y_EN: 0
; COMPUTE_PGM_RSRC2:TGID_Z_EN: 0
; COMPUTE_PGM_RSRC2:TIDIG_COMP_CNT: 0
	.section	.text._ZN7rocprim17ROCPRIM_400000_NS6detail17trampoline_kernelINS0_14default_configENS1_20scan_config_selectorIdEEZZNS1_9scan_implILNS1_25lookback_scan_determinismE0ELb0ELb0ES3_PKdPddZZZN2at6native31launch_logcumsumexp_cuda_kernelERKNSB_10TensorBaseESF_lENKUlvE_clEvENKUlvE_clEvEUlddE_dEEDaPvRmT3_T4_T5_mT6_P12ihipStream_tbENKUlT_T0_E_clISt17integral_constantIbLb1EESW_EEDaSR_SS_EUlSR_E0_NS1_11comp_targetILNS1_3genE5ELNS1_11target_archE942ELNS1_3gpuE9ELNS1_3repE0EEENS1_30default_config_static_selectorELNS0_4arch9wavefront6targetE0EEEvT1_,"axG",@progbits,_ZN7rocprim17ROCPRIM_400000_NS6detail17trampoline_kernelINS0_14default_configENS1_20scan_config_selectorIdEEZZNS1_9scan_implILNS1_25lookback_scan_determinismE0ELb0ELb0ES3_PKdPddZZZN2at6native31launch_logcumsumexp_cuda_kernelERKNSB_10TensorBaseESF_lENKUlvE_clEvENKUlvE_clEvEUlddE_dEEDaPvRmT3_T4_T5_mT6_P12ihipStream_tbENKUlT_T0_E_clISt17integral_constantIbLb1EESW_EEDaSR_SS_EUlSR_E0_NS1_11comp_targetILNS1_3genE5ELNS1_11target_archE942ELNS1_3gpuE9ELNS1_3repE0EEENS1_30default_config_static_selectorELNS0_4arch9wavefront6targetE0EEEvT1_,comdat
	.globl	_ZN7rocprim17ROCPRIM_400000_NS6detail17trampoline_kernelINS0_14default_configENS1_20scan_config_selectorIdEEZZNS1_9scan_implILNS1_25lookback_scan_determinismE0ELb0ELb0ES3_PKdPddZZZN2at6native31launch_logcumsumexp_cuda_kernelERKNSB_10TensorBaseESF_lENKUlvE_clEvENKUlvE_clEvEUlddE_dEEDaPvRmT3_T4_T5_mT6_P12ihipStream_tbENKUlT_T0_E_clISt17integral_constantIbLb1EESW_EEDaSR_SS_EUlSR_E0_NS1_11comp_targetILNS1_3genE5ELNS1_11target_archE942ELNS1_3gpuE9ELNS1_3repE0EEENS1_30default_config_static_selectorELNS0_4arch9wavefront6targetE0EEEvT1_ ; -- Begin function _ZN7rocprim17ROCPRIM_400000_NS6detail17trampoline_kernelINS0_14default_configENS1_20scan_config_selectorIdEEZZNS1_9scan_implILNS1_25lookback_scan_determinismE0ELb0ELb0ES3_PKdPddZZZN2at6native31launch_logcumsumexp_cuda_kernelERKNSB_10TensorBaseESF_lENKUlvE_clEvENKUlvE_clEvEUlddE_dEEDaPvRmT3_T4_T5_mT6_P12ihipStream_tbENKUlT_T0_E_clISt17integral_constantIbLb1EESW_EEDaSR_SS_EUlSR_E0_NS1_11comp_targetILNS1_3genE5ELNS1_11target_archE942ELNS1_3gpuE9ELNS1_3repE0EEENS1_30default_config_static_selectorELNS0_4arch9wavefront6targetE0EEEvT1_
	.p2align	8
	.type	_ZN7rocprim17ROCPRIM_400000_NS6detail17trampoline_kernelINS0_14default_configENS1_20scan_config_selectorIdEEZZNS1_9scan_implILNS1_25lookback_scan_determinismE0ELb0ELb0ES3_PKdPddZZZN2at6native31launch_logcumsumexp_cuda_kernelERKNSB_10TensorBaseESF_lENKUlvE_clEvENKUlvE_clEvEUlddE_dEEDaPvRmT3_T4_T5_mT6_P12ihipStream_tbENKUlT_T0_E_clISt17integral_constantIbLb1EESW_EEDaSR_SS_EUlSR_E0_NS1_11comp_targetILNS1_3genE5ELNS1_11target_archE942ELNS1_3gpuE9ELNS1_3repE0EEENS1_30default_config_static_selectorELNS0_4arch9wavefront6targetE0EEEvT1_,@function
_ZN7rocprim17ROCPRIM_400000_NS6detail17trampoline_kernelINS0_14default_configENS1_20scan_config_selectorIdEEZZNS1_9scan_implILNS1_25lookback_scan_determinismE0ELb0ELb0ES3_PKdPddZZZN2at6native31launch_logcumsumexp_cuda_kernelERKNSB_10TensorBaseESF_lENKUlvE_clEvENKUlvE_clEvEUlddE_dEEDaPvRmT3_T4_T5_mT6_P12ihipStream_tbENKUlT_T0_E_clISt17integral_constantIbLb1EESW_EEDaSR_SS_EUlSR_E0_NS1_11comp_targetILNS1_3genE5ELNS1_11target_archE942ELNS1_3gpuE9ELNS1_3repE0EEENS1_30default_config_static_selectorELNS0_4arch9wavefront6targetE0EEEvT1_: ; @_ZN7rocprim17ROCPRIM_400000_NS6detail17trampoline_kernelINS0_14default_configENS1_20scan_config_selectorIdEEZZNS1_9scan_implILNS1_25lookback_scan_determinismE0ELb0ELb0ES3_PKdPddZZZN2at6native31launch_logcumsumexp_cuda_kernelERKNSB_10TensorBaseESF_lENKUlvE_clEvENKUlvE_clEvEUlddE_dEEDaPvRmT3_T4_T5_mT6_P12ihipStream_tbENKUlT_T0_E_clISt17integral_constantIbLb1EESW_EEDaSR_SS_EUlSR_E0_NS1_11comp_targetILNS1_3genE5ELNS1_11target_archE942ELNS1_3gpuE9ELNS1_3repE0EEENS1_30default_config_static_selectorELNS0_4arch9wavefront6targetE0EEEvT1_
; %bb.0:
	.section	.rodata,"a",@progbits
	.p2align	6, 0x0
	.amdhsa_kernel _ZN7rocprim17ROCPRIM_400000_NS6detail17trampoline_kernelINS0_14default_configENS1_20scan_config_selectorIdEEZZNS1_9scan_implILNS1_25lookback_scan_determinismE0ELb0ELb0ES3_PKdPddZZZN2at6native31launch_logcumsumexp_cuda_kernelERKNSB_10TensorBaseESF_lENKUlvE_clEvENKUlvE_clEvEUlddE_dEEDaPvRmT3_T4_T5_mT6_P12ihipStream_tbENKUlT_T0_E_clISt17integral_constantIbLb1EESW_EEDaSR_SS_EUlSR_E0_NS1_11comp_targetILNS1_3genE5ELNS1_11target_archE942ELNS1_3gpuE9ELNS1_3repE0EEENS1_30default_config_static_selectorELNS0_4arch9wavefront6targetE0EEEvT1_
		.amdhsa_group_segment_fixed_size 0
		.amdhsa_private_segment_fixed_size 0
		.amdhsa_kernarg_size 40
		.amdhsa_user_sgpr_count 6
		.amdhsa_user_sgpr_private_segment_buffer 1
		.amdhsa_user_sgpr_dispatch_ptr 0
		.amdhsa_user_sgpr_queue_ptr 0
		.amdhsa_user_sgpr_kernarg_segment_ptr 1
		.amdhsa_user_sgpr_dispatch_id 0
		.amdhsa_user_sgpr_flat_scratch_init 0
		.amdhsa_user_sgpr_private_segment_size 0
		.amdhsa_wavefront_size32 1
		.amdhsa_uses_dynamic_stack 0
		.amdhsa_system_sgpr_private_segment_wavefront_offset 0
		.amdhsa_system_sgpr_workgroup_id_x 1
		.amdhsa_system_sgpr_workgroup_id_y 0
		.amdhsa_system_sgpr_workgroup_id_z 0
		.amdhsa_system_sgpr_workgroup_info 0
		.amdhsa_system_vgpr_workitem_id 0
		.amdhsa_next_free_vgpr 1
		.amdhsa_next_free_sgpr 1
		.amdhsa_reserve_vcc 0
		.amdhsa_reserve_flat_scratch 0
		.amdhsa_float_round_mode_32 0
		.amdhsa_float_round_mode_16_64 0
		.amdhsa_float_denorm_mode_32 3
		.amdhsa_float_denorm_mode_16_64 3
		.amdhsa_dx10_clamp 1
		.amdhsa_ieee_mode 1
		.amdhsa_fp16_overflow 0
		.amdhsa_workgroup_processor_mode 1
		.amdhsa_memory_ordered 1
		.amdhsa_forward_progress 1
		.amdhsa_shared_vgpr_count 0
		.amdhsa_exception_fp_ieee_invalid_op 0
		.amdhsa_exception_fp_denorm_src 0
		.amdhsa_exception_fp_ieee_div_zero 0
		.amdhsa_exception_fp_ieee_overflow 0
		.amdhsa_exception_fp_ieee_underflow 0
		.amdhsa_exception_fp_ieee_inexact 0
		.amdhsa_exception_int_div_zero 0
	.end_amdhsa_kernel
	.section	.text._ZN7rocprim17ROCPRIM_400000_NS6detail17trampoline_kernelINS0_14default_configENS1_20scan_config_selectorIdEEZZNS1_9scan_implILNS1_25lookback_scan_determinismE0ELb0ELb0ES3_PKdPddZZZN2at6native31launch_logcumsumexp_cuda_kernelERKNSB_10TensorBaseESF_lENKUlvE_clEvENKUlvE_clEvEUlddE_dEEDaPvRmT3_T4_T5_mT6_P12ihipStream_tbENKUlT_T0_E_clISt17integral_constantIbLb1EESW_EEDaSR_SS_EUlSR_E0_NS1_11comp_targetILNS1_3genE5ELNS1_11target_archE942ELNS1_3gpuE9ELNS1_3repE0EEENS1_30default_config_static_selectorELNS0_4arch9wavefront6targetE0EEEvT1_,"axG",@progbits,_ZN7rocprim17ROCPRIM_400000_NS6detail17trampoline_kernelINS0_14default_configENS1_20scan_config_selectorIdEEZZNS1_9scan_implILNS1_25lookback_scan_determinismE0ELb0ELb0ES3_PKdPddZZZN2at6native31launch_logcumsumexp_cuda_kernelERKNSB_10TensorBaseESF_lENKUlvE_clEvENKUlvE_clEvEUlddE_dEEDaPvRmT3_T4_T5_mT6_P12ihipStream_tbENKUlT_T0_E_clISt17integral_constantIbLb1EESW_EEDaSR_SS_EUlSR_E0_NS1_11comp_targetILNS1_3genE5ELNS1_11target_archE942ELNS1_3gpuE9ELNS1_3repE0EEENS1_30default_config_static_selectorELNS0_4arch9wavefront6targetE0EEEvT1_,comdat
.Lfunc_end38:
	.size	_ZN7rocprim17ROCPRIM_400000_NS6detail17trampoline_kernelINS0_14default_configENS1_20scan_config_selectorIdEEZZNS1_9scan_implILNS1_25lookback_scan_determinismE0ELb0ELb0ES3_PKdPddZZZN2at6native31launch_logcumsumexp_cuda_kernelERKNSB_10TensorBaseESF_lENKUlvE_clEvENKUlvE_clEvEUlddE_dEEDaPvRmT3_T4_T5_mT6_P12ihipStream_tbENKUlT_T0_E_clISt17integral_constantIbLb1EESW_EEDaSR_SS_EUlSR_E0_NS1_11comp_targetILNS1_3genE5ELNS1_11target_archE942ELNS1_3gpuE9ELNS1_3repE0EEENS1_30default_config_static_selectorELNS0_4arch9wavefront6targetE0EEEvT1_, .Lfunc_end38-_ZN7rocprim17ROCPRIM_400000_NS6detail17trampoline_kernelINS0_14default_configENS1_20scan_config_selectorIdEEZZNS1_9scan_implILNS1_25lookback_scan_determinismE0ELb0ELb0ES3_PKdPddZZZN2at6native31launch_logcumsumexp_cuda_kernelERKNSB_10TensorBaseESF_lENKUlvE_clEvENKUlvE_clEvEUlddE_dEEDaPvRmT3_T4_T5_mT6_P12ihipStream_tbENKUlT_T0_E_clISt17integral_constantIbLb1EESW_EEDaSR_SS_EUlSR_E0_NS1_11comp_targetILNS1_3genE5ELNS1_11target_archE942ELNS1_3gpuE9ELNS1_3repE0EEENS1_30default_config_static_selectorELNS0_4arch9wavefront6targetE0EEEvT1_
                                        ; -- End function
	.set _ZN7rocprim17ROCPRIM_400000_NS6detail17trampoline_kernelINS0_14default_configENS1_20scan_config_selectorIdEEZZNS1_9scan_implILNS1_25lookback_scan_determinismE0ELb0ELb0ES3_PKdPddZZZN2at6native31launch_logcumsumexp_cuda_kernelERKNSB_10TensorBaseESF_lENKUlvE_clEvENKUlvE_clEvEUlddE_dEEDaPvRmT3_T4_T5_mT6_P12ihipStream_tbENKUlT_T0_E_clISt17integral_constantIbLb1EESW_EEDaSR_SS_EUlSR_E0_NS1_11comp_targetILNS1_3genE5ELNS1_11target_archE942ELNS1_3gpuE9ELNS1_3repE0EEENS1_30default_config_static_selectorELNS0_4arch9wavefront6targetE0EEEvT1_.num_vgpr, 0
	.set _ZN7rocprim17ROCPRIM_400000_NS6detail17trampoline_kernelINS0_14default_configENS1_20scan_config_selectorIdEEZZNS1_9scan_implILNS1_25lookback_scan_determinismE0ELb0ELb0ES3_PKdPddZZZN2at6native31launch_logcumsumexp_cuda_kernelERKNSB_10TensorBaseESF_lENKUlvE_clEvENKUlvE_clEvEUlddE_dEEDaPvRmT3_T4_T5_mT6_P12ihipStream_tbENKUlT_T0_E_clISt17integral_constantIbLb1EESW_EEDaSR_SS_EUlSR_E0_NS1_11comp_targetILNS1_3genE5ELNS1_11target_archE942ELNS1_3gpuE9ELNS1_3repE0EEENS1_30default_config_static_selectorELNS0_4arch9wavefront6targetE0EEEvT1_.num_agpr, 0
	.set _ZN7rocprim17ROCPRIM_400000_NS6detail17trampoline_kernelINS0_14default_configENS1_20scan_config_selectorIdEEZZNS1_9scan_implILNS1_25lookback_scan_determinismE0ELb0ELb0ES3_PKdPddZZZN2at6native31launch_logcumsumexp_cuda_kernelERKNSB_10TensorBaseESF_lENKUlvE_clEvENKUlvE_clEvEUlddE_dEEDaPvRmT3_T4_T5_mT6_P12ihipStream_tbENKUlT_T0_E_clISt17integral_constantIbLb1EESW_EEDaSR_SS_EUlSR_E0_NS1_11comp_targetILNS1_3genE5ELNS1_11target_archE942ELNS1_3gpuE9ELNS1_3repE0EEENS1_30default_config_static_selectorELNS0_4arch9wavefront6targetE0EEEvT1_.numbered_sgpr, 0
	.set _ZN7rocprim17ROCPRIM_400000_NS6detail17trampoline_kernelINS0_14default_configENS1_20scan_config_selectorIdEEZZNS1_9scan_implILNS1_25lookback_scan_determinismE0ELb0ELb0ES3_PKdPddZZZN2at6native31launch_logcumsumexp_cuda_kernelERKNSB_10TensorBaseESF_lENKUlvE_clEvENKUlvE_clEvEUlddE_dEEDaPvRmT3_T4_T5_mT6_P12ihipStream_tbENKUlT_T0_E_clISt17integral_constantIbLb1EESW_EEDaSR_SS_EUlSR_E0_NS1_11comp_targetILNS1_3genE5ELNS1_11target_archE942ELNS1_3gpuE9ELNS1_3repE0EEENS1_30default_config_static_selectorELNS0_4arch9wavefront6targetE0EEEvT1_.num_named_barrier, 0
	.set _ZN7rocprim17ROCPRIM_400000_NS6detail17trampoline_kernelINS0_14default_configENS1_20scan_config_selectorIdEEZZNS1_9scan_implILNS1_25lookback_scan_determinismE0ELb0ELb0ES3_PKdPddZZZN2at6native31launch_logcumsumexp_cuda_kernelERKNSB_10TensorBaseESF_lENKUlvE_clEvENKUlvE_clEvEUlddE_dEEDaPvRmT3_T4_T5_mT6_P12ihipStream_tbENKUlT_T0_E_clISt17integral_constantIbLb1EESW_EEDaSR_SS_EUlSR_E0_NS1_11comp_targetILNS1_3genE5ELNS1_11target_archE942ELNS1_3gpuE9ELNS1_3repE0EEENS1_30default_config_static_selectorELNS0_4arch9wavefront6targetE0EEEvT1_.private_seg_size, 0
	.set _ZN7rocprim17ROCPRIM_400000_NS6detail17trampoline_kernelINS0_14default_configENS1_20scan_config_selectorIdEEZZNS1_9scan_implILNS1_25lookback_scan_determinismE0ELb0ELb0ES3_PKdPddZZZN2at6native31launch_logcumsumexp_cuda_kernelERKNSB_10TensorBaseESF_lENKUlvE_clEvENKUlvE_clEvEUlddE_dEEDaPvRmT3_T4_T5_mT6_P12ihipStream_tbENKUlT_T0_E_clISt17integral_constantIbLb1EESW_EEDaSR_SS_EUlSR_E0_NS1_11comp_targetILNS1_3genE5ELNS1_11target_archE942ELNS1_3gpuE9ELNS1_3repE0EEENS1_30default_config_static_selectorELNS0_4arch9wavefront6targetE0EEEvT1_.uses_vcc, 0
	.set _ZN7rocprim17ROCPRIM_400000_NS6detail17trampoline_kernelINS0_14default_configENS1_20scan_config_selectorIdEEZZNS1_9scan_implILNS1_25lookback_scan_determinismE0ELb0ELb0ES3_PKdPddZZZN2at6native31launch_logcumsumexp_cuda_kernelERKNSB_10TensorBaseESF_lENKUlvE_clEvENKUlvE_clEvEUlddE_dEEDaPvRmT3_T4_T5_mT6_P12ihipStream_tbENKUlT_T0_E_clISt17integral_constantIbLb1EESW_EEDaSR_SS_EUlSR_E0_NS1_11comp_targetILNS1_3genE5ELNS1_11target_archE942ELNS1_3gpuE9ELNS1_3repE0EEENS1_30default_config_static_selectorELNS0_4arch9wavefront6targetE0EEEvT1_.uses_flat_scratch, 0
	.set _ZN7rocprim17ROCPRIM_400000_NS6detail17trampoline_kernelINS0_14default_configENS1_20scan_config_selectorIdEEZZNS1_9scan_implILNS1_25lookback_scan_determinismE0ELb0ELb0ES3_PKdPddZZZN2at6native31launch_logcumsumexp_cuda_kernelERKNSB_10TensorBaseESF_lENKUlvE_clEvENKUlvE_clEvEUlddE_dEEDaPvRmT3_T4_T5_mT6_P12ihipStream_tbENKUlT_T0_E_clISt17integral_constantIbLb1EESW_EEDaSR_SS_EUlSR_E0_NS1_11comp_targetILNS1_3genE5ELNS1_11target_archE942ELNS1_3gpuE9ELNS1_3repE0EEENS1_30default_config_static_selectorELNS0_4arch9wavefront6targetE0EEEvT1_.has_dyn_sized_stack, 0
	.set _ZN7rocprim17ROCPRIM_400000_NS6detail17trampoline_kernelINS0_14default_configENS1_20scan_config_selectorIdEEZZNS1_9scan_implILNS1_25lookback_scan_determinismE0ELb0ELb0ES3_PKdPddZZZN2at6native31launch_logcumsumexp_cuda_kernelERKNSB_10TensorBaseESF_lENKUlvE_clEvENKUlvE_clEvEUlddE_dEEDaPvRmT3_T4_T5_mT6_P12ihipStream_tbENKUlT_T0_E_clISt17integral_constantIbLb1EESW_EEDaSR_SS_EUlSR_E0_NS1_11comp_targetILNS1_3genE5ELNS1_11target_archE942ELNS1_3gpuE9ELNS1_3repE0EEENS1_30default_config_static_selectorELNS0_4arch9wavefront6targetE0EEEvT1_.has_recursion, 0
	.set _ZN7rocprim17ROCPRIM_400000_NS6detail17trampoline_kernelINS0_14default_configENS1_20scan_config_selectorIdEEZZNS1_9scan_implILNS1_25lookback_scan_determinismE0ELb0ELb0ES3_PKdPddZZZN2at6native31launch_logcumsumexp_cuda_kernelERKNSB_10TensorBaseESF_lENKUlvE_clEvENKUlvE_clEvEUlddE_dEEDaPvRmT3_T4_T5_mT6_P12ihipStream_tbENKUlT_T0_E_clISt17integral_constantIbLb1EESW_EEDaSR_SS_EUlSR_E0_NS1_11comp_targetILNS1_3genE5ELNS1_11target_archE942ELNS1_3gpuE9ELNS1_3repE0EEENS1_30default_config_static_selectorELNS0_4arch9wavefront6targetE0EEEvT1_.has_indirect_call, 0
	.section	.AMDGPU.csdata,"",@progbits
; Kernel info:
; codeLenInByte = 0
; TotalNumSgprs: 0
; NumVgprs: 0
; ScratchSize: 0
; MemoryBound: 0
; FloatMode: 240
; IeeeMode: 1
; LDSByteSize: 0 bytes/workgroup (compile time only)
; SGPRBlocks: 0
; VGPRBlocks: 0
; NumSGPRsForWavesPerEU: 1
; NumVGPRsForWavesPerEU: 1
; Occupancy: 16
; WaveLimiterHint : 0
; COMPUTE_PGM_RSRC2:SCRATCH_EN: 0
; COMPUTE_PGM_RSRC2:USER_SGPR: 6
; COMPUTE_PGM_RSRC2:TRAP_HANDLER: 0
; COMPUTE_PGM_RSRC2:TGID_X_EN: 1
; COMPUTE_PGM_RSRC2:TGID_Y_EN: 0
; COMPUTE_PGM_RSRC2:TGID_Z_EN: 0
; COMPUTE_PGM_RSRC2:TIDIG_COMP_CNT: 0
	.section	.text._ZN7rocprim17ROCPRIM_400000_NS6detail17trampoline_kernelINS0_14default_configENS1_20scan_config_selectorIdEEZZNS1_9scan_implILNS1_25lookback_scan_determinismE0ELb0ELb0ES3_PKdPddZZZN2at6native31launch_logcumsumexp_cuda_kernelERKNSB_10TensorBaseESF_lENKUlvE_clEvENKUlvE_clEvEUlddE_dEEDaPvRmT3_T4_T5_mT6_P12ihipStream_tbENKUlT_T0_E_clISt17integral_constantIbLb1EESW_EEDaSR_SS_EUlSR_E0_NS1_11comp_targetILNS1_3genE4ELNS1_11target_archE910ELNS1_3gpuE8ELNS1_3repE0EEENS1_30default_config_static_selectorELNS0_4arch9wavefront6targetE0EEEvT1_,"axG",@progbits,_ZN7rocprim17ROCPRIM_400000_NS6detail17trampoline_kernelINS0_14default_configENS1_20scan_config_selectorIdEEZZNS1_9scan_implILNS1_25lookback_scan_determinismE0ELb0ELb0ES3_PKdPddZZZN2at6native31launch_logcumsumexp_cuda_kernelERKNSB_10TensorBaseESF_lENKUlvE_clEvENKUlvE_clEvEUlddE_dEEDaPvRmT3_T4_T5_mT6_P12ihipStream_tbENKUlT_T0_E_clISt17integral_constantIbLb1EESW_EEDaSR_SS_EUlSR_E0_NS1_11comp_targetILNS1_3genE4ELNS1_11target_archE910ELNS1_3gpuE8ELNS1_3repE0EEENS1_30default_config_static_selectorELNS0_4arch9wavefront6targetE0EEEvT1_,comdat
	.globl	_ZN7rocprim17ROCPRIM_400000_NS6detail17trampoline_kernelINS0_14default_configENS1_20scan_config_selectorIdEEZZNS1_9scan_implILNS1_25lookback_scan_determinismE0ELb0ELb0ES3_PKdPddZZZN2at6native31launch_logcumsumexp_cuda_kernelERKNSB_10TensorBaseESF_lENKUlvE_clEvENKUlvE_clEvEUlddE_dEEDaPvRmT3_T4_T5_mT6_P12ihipStream_tbENKUlT_T0_E_clISt17integral_constantIbLb1EESW_EEDaSR_SS_EUlSR_E0_NS1_11comp_targetILNS1_3genE4ELNS1_11target_archE910ELNS1_3gpuE8ELNS1_3repE0EEENS1_30default_config_static_selectorELNS0_4arch9wavefront6targetE0EEEvT1_ ; -- Begin function _ZN7rocprim17ROCPRIM_400000_NS6detail17trampoline_kernelINS0_14default_configENS1_20scan_config_selectorIdEEZZNS1_9scan_implILNS1_25lookback_scan_determinismE0ELb0ELb0ES3_PKdPddZZZN2at6native31launch_logcumsumexp_cuda_kernelERKNSB_10TensorBaseESF_lENKUlvE_clEvENKUlvE_clEvEUlddE_dEEDaPvRmT3_T4_T5_mT6_P12ihipStream_tbENKUlT_T0_E_clISt17integral_constantIbLb1EESW_EEDaSR_SS_EUlSR_E0_NS1_11comp_targetILNS1_3genE4ELNS1_11target_archE910ELNS1_3gpuE8ELNS1_3repE0EEENS1_30default_config_static_selectorELNS0_4arch9wavefront6targetE0EEEvT1_
	.p2align	8
	.type	_ZN7rocprim17ROCPRIM_400000_NS6detail17trampoline_kernelINS0_14default_configENS1_20scan_config_selectorIdEEZZNS1_9scan_implILNS1_25lookback_scan_determinismE0ELb0ELb0ES3_PKdPddZZZN2at6native31launch_logcumsumexp_cuda_kernelERKNSB_10TensorBaseESF_lENKUlvE_clEvENKUlvE_clEvEUlddE_dEEDaPvRmT3_T4_T5_mT6_P12ihipStream_tbENKUlT_T0_E_clISt17integral_constantIbLb1EESW_EEDaSR_SS_EUlSR_E0_NS1_11comp_targetILNS1_3genE4ELNS1_11target_archE910ELNS1_3gpuE8ELNS1_3repE0EEENS1_30default_config_static_selectorELNS0_4arch9wavefront6targetE0EEEvT1_,@function
_ZN7rocprim17ROCPRIM_400000_NS6detail17trampoline_kernelINS0_14default_configENS1_20scan_config_selectorIdEEZZNS1_9scan_implILNS1_25lookback_scan_determinismE0ELb0ELb0ES3_PKdPddZZZN2at6native31launch_logcumsumexp_cuda_kernelERKNSB_10TensorBaseESF_lENKUlvE_clEvENKUlvE_clEvEUlddE_dEEDaPvRmT3_T4_T5_mT6_P12ihipStream_tbENKUlT_T0_E_clISt17integral_constantIbLb1EESW_EEDaSR_SS_EUlSR_E0_NS1_11comp_targetILNS1_3genE4ELNS1_11target_archE910ELNS1_3gpuE8ELNS1_3repE0EEENS1_30default_config_static_selectorELNS0_4arch9wavefront6targetE0EEEvT1_: ; @_ZN7rocprim17ROCPRIM_400000_NS6detail17trampoline_kernelINS0_14default_configENS1_20scan_config_selectorIdEEZZNS1_9scan_implILNS1_25lookback_scan_determinismE0ELb0ELb0ES3_PKdPddZZZN2at6native31launch_logcumsumexp_cuda_kernelERKNSB_10TensorBaseESF_lENKUlvE_clEvENKUlvE_clEvEUlddE_dEEDaPvRmT3_T4_T5_mT6_P12ihipStream_tbENKUlT_T0_E_clISt17integral_constantIbLb1EESW_EEDaSR_SS_EUlSR_E0_NS1_11comp_targetILNS1_3genE4ELNS1_11target_archE910ELNS1_3gpuE8ELNS1_3repE0EEENS1_30default_config_static_selectorELNS0_4arch9wavefront6targetE0EEEvT1_
; %bb.0:
	.section	.rodata,"a",@progbits
	.p2align	6, 0x0
	.amdhsa_kernel _ZN7rocprim17ROCPRIM_400000_NS6detail17trampoline_kernelINS0_14default_configENS1_20scan_config_selectorIdEEZZNS1_9scan_implILNS1_25lookback_scan_determinismE0ELb0ELb0ES3_PKdPddZZZN2at6native31launch_logcumsumexp_cuda_kernelERKNSB_10TensorBaseESF_lENKUlvE_clEvENKUlvE_clEvEUlddE_dEEDaPvRmT3_T4_T5_mT6_P12ihipStream_tbENKUlT_T0_E_clISt17integral_constantIbLb1EESW_EEDaSR_SS_EUlSR_E0_NS1_11comp_targetILNS1_3genE4ELNS1_11target_archE910ELNS1_3gpuE8ELNS1_3repE0EEENS1_30default_config_static_selectorELNS0_4arch9wavefront6targetE0EEEvT1_
		.amdhsa_group_segment_fixed_size 0
		.amdhsa_private_segment_fixed_size 0
		.amdhsa_kernarg_size 40
		.amdhsa_user_sgpr_count 6
		.amdhsa_user_sgpr_private_segment_buffer 1
		.amdhsa_user_sgpr_dispatch_ptr 0
		.amdhsa_user_sgpr_queue_ptr 0
		.amdhsa_user_sgpr_kernarg_segment_ptr 1
		.amdhsa_user_sgpr_dispatch_id 0
		.amdhsa_user_sgpr_flat_scratch_init 0
		.amdhsa_user_sgpr_private_segment_size 0
		.amdhsa_wavefront_size32 1
		.amdhsa_uses_dynamic_stack 0
		.amdhsa_system_sgpr_private_segment_wavefront_offset 0
		.amdhsa_system_sgpr_workgroup_id_x 1
		.amdhsa_system_sgpr_workgroup_id_y 0
		.amdhsa_system_sgpr_workgroup_id_z 0
		.amdhsa_system_sgpr_workgroup_info 0
		.amdhsa_system_vgpr_workitem_id 0
		.amdhsa_next_free_vgpr 1
		.amdhsa_next_free_sgpr 1
		.amdhsa_reserve_vcc 0
		.amdhsa_reserve_flat_scratch 0
		.amdhsa_float_round_mode_32 0
		.amdhsa_float_round_mode_16_64 0
		.amdhsa_float_denorm_mode_32 3
		.amdhsa_float_denorm_mode_16_64 3
		.amdhsa_dx10_clamp 1
		.amdhsa_ieee_mode 1
		.amdhsa_fp16_overflow 0
		.amdhsa_workgroup_processor_mode 1
		.amdhsa_memory_ordered 1
		.amdhsa_forward_progress 1
		.amdhsa_shared_vgpr_count 0
		.amdhsa_exception_fp_ieee_invalid_op 0
		.amdhsa_exception_fp_denorm_src 0
		.amdhsa_exception_fp_ieee_div_zero 0
		.amdhsa_exception_fp_ieee_overflow 0
		.amdhsa_exception_fp_ieee_underflow 0
		.amdhsa_exception_fp_ieee_inexact 0
		.amdhsa_exception_int_div_zero 0
	.end_amdhsa_kernel
	.section	.text._ZN7rocprim17ROCPRIM_400000_NS6detail17trampoline_kernelINS0_14default_configENS1_20scan_config_selectorIdEEZZNS1_9scan_implILNS1_25lookback_scan_determinismE0ELb0ELb0ES3_PKdPddZZZN2at6native31launch_logcumsumexp_cuda_kernelERKNSB_10TensorBaseESF_lENKUlvE_clEvENKUlvE_clEvEUlddE_dEEDaPvRmT3_T4_T5_mT6_P12ihipStream_tbENKUlT_T0_E_clISt17integral_constantIbLb1EESW_EEDaSR_SS_EUlSR_E0_NS1_11comp_targetILNS1_3genE4ELNS1_11target_archE910ELNS1_3gpuE8ELNS1_3repE0EEENS1_30default_config_static_selectorELNS0_4arch9wavefront6targetE0EEEvT1_,"axG",@progbits,_ZN7rocprim17ROCPRIM_400000_NS6detail17trampoline_kernelINS0_14default_configENS1_20scan_config_selectorIdEEZZNS1_9scan_implILNS1_25lookback_scan_determinismE0ELb0ELb0ES3_PKdPddZZZN2at6native31launch_logcumsumexp_cuda_kernelERKNSB_10TensorBaseESF_lENKUlvE_clEvENKUlvE_clEvEUlddE_dEEDaPvRmT3_T4_T5_mT6_P12ihipStream_tbENKUlT_T0_E_clISt17integral_constantIbLb1EESW_EEDaSR_SS_EUlSR_E0_NS1_11comp_targetILNS1_3genE4ELNS1_11target_archE910ELNS1_3gpuE8ELNS1_3repE0EEENS1_30default_config_static_selectorELNS0_4arch9wavefront6targetE0EEEvT1_,comdat
.Lfunc_end39:
	.size	_ZN7rocprim17ROCPRIM_400000_NS6detail17trampoline_kernelINS0_14default_configENS1_20scan_config_selectorIdEEZZNS1_9scan_implILNS1_25lookback_scan_determinismE0ELb0ELb0ES3_PKdPddZZZN2at6native31launch_logcumsumexp_cuda_kernelERKNSB_10TensorBaseESF_lENKUlvE_clEvENKUlvE_clEvEUlddE_dEEDaPvRmT3_T4_T5_mT6_P12ihipStream_tbENKUlT_T0_E_clISt17integral_constantIbLb1EESW_EEDaSR_SS_EUlSR_E0_NS1_11comp_targetILNS1_3genE4ELNS1_11target_archE910ELNS1_3gpuE8ELNS1_3repE0EEENS1_30default_config_static_selectorELNS0_4arch9wavefront6targetE0EEEvT1_, .Lfunc_end39-_ZN7rocprim17ROCPRIM_400000_NS6detail17trampoline_kernelINS0_14default_configENS1_20scan_config_selectorIdEEZZNS1_9scan_implILNS1_25lookback_scan_determinismE0ELb0ELb0ES3_PKdPddZZZN2at6native31launch_logcumsumexp_cuda_kernelERKNSB_10TensorBaseESF_lENKUlvE_clEvENKUlvE_clEvEUlddE_dEEDaPvRmT3_T4_T5_mT6_P12ihipStream_tbENKUlT_T0_E_clISt17integral_constantIbLb1EESW_EEDaSR_SS_EUlSR_E0_NS1_11comp_targetILNS1_3genE4ELNS1_11target_archE910ELNS1_3gpuE8ELNS1_3repE0EEENS1_30default_config_static_selectorELNS0_4arch9wavefront6targetE0EEEvT1_
                                        ; -- End function
	.set _ZN7rocprim17ROCPRIM_400000_NS6detail17trampoline_kernelINS0_14default_configENS1_20scan_config_selectorIdEEZZNS1_9scan_implILNS1_25lookback_scan_determinismE0ELb0ELb0ES3_PKdPddZZZN2at6native31launch_logcumsumexp_cuda_kernelERKNSB_10TensorBaseESF_lENKUlvE_clEvENKUlvE_clEvEUlddE_dEEDaPvRmT3_T4_T5_mT6_P12ihipStream_tbENKUlT_T0_E_clISt17integral_constantIbLb1EESW_EEDaSR_SS_EUlSR_E0_NS1_11comp_targetILNS1_3genE4ELNS1_11target_archE910ELNS1_3gpuE8ELNS1_3repE0EEENS1_30default_config_static_selectorELNS0_4arch9wavefront6targetE0EEEvT1_.num_vgpr, 0
	.set _ZN7rocprim17ROCPRIM_400000_NS6detail17trampoline_kernelINS0_14default_configENS1_20scan_config_selectorIdEEZZNS1_9scan_implILNS1_25lookback_scan_determinismE0ELb0ELb0ES3_PKdPddZZZN2at6native31launch_logcumsumexp_cuda_kernelERKNSB_10TensorBaseESF_lENKUlvE_clEvENKUlvE_clEvEUlddE_dEEDaPvRmT3_T4_T5_mT6_P12ihipStream_tbENKUlT_T0_E_clISt17integral_constantIbLb1EESW_EEDaSR_SS_EUlSR_E0_NS1_11comp_targetILNS1_3genE4ELNS1_11target_archE910ELNS1_3gpuE8ELNS1_3repE0EEENS1_30default_config_static_selectorELNS0_4arch9wavefront6targetE0EEEvT1_.num_agpr, 0
	.set _ZN7rocprim17ROCPRIM_400000_NS6detail17trampoline_kernelINS0_14default_configENS1_20scan_config_selectorIdEEZZNS1_9scan_implILNS1_25lookback_scan_determinismE0ELb0ELb0ES3_PKdPddZZZN2at6native31launch_logcumsumexp_cuda_kernelERKNSB_10TensorBaseESF_lENKUlvE_clEvENKUlvE_clEvEUlddE_dEEDaPvRmT3_T4_T5_mT6_P12ihipStream_tbENKUlT_T0_E_clISt17integral_constantIbLb1EESW_EEDaSR_SS_EUlSR_E0_NS1_11comp_targetILNS1_3genE4ELNS1_11target_archE910ELNS1_3gpuE8ELNS1_3repE0EEENS1_30default_config_static_selectorELNS0_4arch9wavefront6targetE0EEEvT1_.numbered_sgpr, 0
	.set _ZN7rocprim17ROCPRIM_400000_NS6detail17trampoline_kernelINS0_14default_configENS1_20scan_config_selectorIdEEZZNS1_9scan_implILNS1_25lookback_scan_determinismE0ELb0ELb0ES3_PKdPddZZZN2at6native31launch_logcumsumexp_cuda_kernelERKNSB_10TensorBaseESF_lENKUlvE_clEvENKUlvE_clEvEUlddE_dEEDaPvRmT3_T4_T5_mT6_P12ihipStream_tbENKUlT_T0_E_clISt17integral_constantIbLb1EESW_EEDaSR_SS_EUlSR_E0_NS1_11comp_targetILNS1_3genE4ELNS1_11target_archE910ELNS1_3gpuE8ELNS1_3repE0EEENS1_30default_config_static_selectorELNS0_4arch9wavefront6targetE0EEEvT1_.num_named_barrier, 0
	.set _ZN7rocprim17ROCPRIM_400000_NS6detail17trampoline_kernelINS0_14default_configENS1_20scan_config_selectorIdEEZZNS1_9scan_implILNS1_25lookback_scan_determinismE0ELb0ELb0ES3_PKdPddZZZN2at6native31launch_logcumsumexp_cuda_kernelERKNSB_10TensorBaseESF_lENKUlvE_clEvENKUlvE_clEvEUlddE_dEEDaPvRmT3_T4_T5_mT6_P12ihipStream_tbENKUlT_T0_E_clISt17integral_constantIbLb1EESW_EEDaSR_SS_EUlSR_E0_NS1_11comp_targetILNS1_3genE4ELNS1_11target_archE910ELNS1_3gpuE8ELNS1_3repE0EEENS1_30default_config_static_selectorELNS0_4arch9wavefront6targetE0EEEvT1_.private_seg_size, 0
	.set _ZN7rocprim17ROCPRIM_400000_NS6detail17trampoline_kernelINS0_14default_configENS1_20scan_config_selectorIdEEZZNS1_9scan_implILNS1_25lookback_scan_determinismE0ELb0ELb0ES3_PKdPddZZZN2at6native31launch_logcumsumexp_cuda_kernelERKNSB_10TensorBaseESF_lENKUlvE_clEvENKUlvE_clEvEUlddE_dEEDaPvRmT3_T4_T5_mT6_P12ihipStream_tbENKUlT_T0_E_clISt17integral_constantIbLb1EESW_EEDaSR_SS_EUlSR_E0_NS1_11comp_targetILNS1_3genE4ELNS1_11target_archE910ELNS1_3gpuE8ELNS1_3repE0EEENS1_30default_config_static_selectorELNS0_4arch9wavefront6targetE0EEEvT1_.uses_vcc, 0
	.set _ZN7rocprim17ROCPRIM_400000_NS6detail17trampoline_kernelINS0_14default_configENS1_20scan_config_selectorIdEEZZNS1_9scan_implILNS1_25lookback_scan_determinismE0ELb0ELb0ES3_PKdPddZZZN2at6native31launch_logcumsumexp_cuda_kernelERKNSB_10TensorBaseESF_lENKUlvE_clEvENKUlvE_clEvEUlddE_dEEDaPvRmT3_T4_T5_mT6_P12ihipStream_tbENKUlT_T0_E_clISt17integral_constantIbLb1EESW_EEDaSR_SS_EUlSR_E0_NS1_11comp_targetILNS1_3genE4ELNS1_11target_archE910ELNS1_3gpuE8ELNS1_3repE0EEENS1_30default_config_static_selectorELNS0_4arch9wavefront6targetE0EEEvT1_.uses_flat_scratch, 0
	.set _ZN7rocprim17ROCPRIM_400000_NS6detail17trampoline_kernelINS0_14default_configENS1_20scan_config_selectorIdEEZZNS1_9scan_implILNS1_25lookback_scan_determinismE0ELb0ELb0ES3_PKdPddZZZN2at6native31launch_logcumsumexp_cuda_kernelERKNSB_10TensorBaseESF_lENKUlvE_clEvENKUlvE_clEvEUlddE_dEEDaPvRmT3_T4_T5_mT6_P12ihipStream_tbENKUlT_T0_E_clISt17integral_constantIbLb1EESW_EEDaSR_SS_EUlSR_E0_NS1_11comp_targetILNS1_3genE4ELNS1_11target_archE910ELNS1_3gpuE8ELNS1_3repE0EEENS1_30default_config_static_selectorELNS0_4arch9wavefront6targetE0EEEvT1_.has_dyn_sized_stack, 0
	.set _ZN7rocprim17ROCPRIM_400000_NS6detail17trampoline_kernelINS0_14default_configENS1_20scan_config_selectorIdEEZZNS1_9scan_implILNS1_25lookback_scan_determinismE0ELb0ELb0ES3_PKdPddZZZN2at6native31launch_logcumsumexp_cuda_kernelERKNSB_10TensorBaseESF_lENKUlvE_clEvENKUlvE_clEvEUlddE_dEEDaPvRmT3_T4_T5_mT6_P12ihipStream_tbENKUlT_T0_E_clISt17integral_constantIbLb1EESW_EEDaSR_SS_EUlSR_E0_NS1_11comp_targetILNS1_3genE4ELNS1_11target_archE910ELNS1_3gpuE8ELNS1_3repE0EEENS1_30default_config_static_selectorELNS0_4arch9wavefront6targetE0EEEvT1_.has_recursion, 0
	.set _ZN7rocprim17ROCPRIM_400000_NS6detail17trampoline_kernelINS0_14default_configENS1_20scan_config_selectorIdEEZZNS1_9scan_implILNS1_25lookback_scan_determinismE0ELb0ELb0ES3_PKdPddZZZN2at6native31launch_logcumsumexp_cuda_kernelERKNSB_10TensorBaseESF_lENKUlvE_clEvENKUlvE_clEvEUlddE_dEEDaPvRmT3_T4_T5_mT6_P12ihipStream_tbENKUlT_T0_E_clISt17integral_constantIbLb1EESW_EEDaSR_SS_EUlSR_E0_NS1_11comp_targetILNS1_3genE4ELNS1_11target_archE910ELNS1_3gpuE8ELNS1_3repE0EEENS1_30default_config_static_selectorELNS0_4arch9wavefront6targetE0EEEvT1_.has_indirect_call, 0
	.section	.AMDGPU.csdata,"",@progbits
; Kernel info:
; codeLenInByte = 0
; TotalNumSgprs: 0
; NumVgprs: 0
; ScratchSize: 0
; MemoryBound: 0
; FloatMode: 240
; IeeeMode: 1
; LDSByteSize: 0 bytes/workgroup (compile time only)
; SGPRBlocks: 0
; VGPRBlocks: 0
; NumSGPRsForWavesPerEU: 1
; NumVGPRsForWavesPerEU: 1
; Occupancy: 16
; WaveLimiterHint : 0
; COMPUTE_PGM_RSRC2:SCRATCH_EN: 0
; COMPUTE_PGM_RSRC2:USER_SGPR: 6
; COMPUTE_PGM_RSRC2:TRAP_HANDLER: 0
; COMPUTE_PGM_RSRC2:TGID_X_EN: 1
; COMPUTE_PGM_RSRC2:TGID_Y_EN: 0
; COMPUTE_PGM_RSRC2:TGID_Z_EN: 0
; COMPUTE_PGM_RSRC2:TIDIG_COMP_CNT: 0
	.section	.text._ZN7rocprim17ROCPRIM_400000_NS6detail17trampoline_kernelINS0_14default_configENS1_20scan_config_selectorIdEEZZNS1_9scan_implILNS1_25lookback_scan_determinismE0ELb0ELb0ES3_PKdPddZZZN2at6native31launch_logcumsumexp_cuda_kernelERKNSB_10TensorBaseESF_lENKUlvE_clEvENKUlvE_clEvEUlddE_dEEDaPvRmT3_T4_T5_mT6_P12ihipStream_tbENKUlT_T0_E_clISt17integral_constantIbLb1EESW_EEDaSR_SS_EUlSR_E0_NS1_11comp_targetILNS1_3genE3ELNS1_11target_archE908ELNS1_3gpuE7ELNS1_3repE0EEENS1_30default_config_static_selectorELNS0_4arch9wavefront6targetE0EEEvT1_,"axG",@progbits,_ZN7rocprim17ROCPRIM_400000_NS6detail17trampoline_kernelINS0_14default_configENS1_20scan_config_selectorIdEEZZNS1_9scan_implILNS1_25lookback_scan_determinismE0ELb0ELb0ES3_PKdPddZZZN2at6native31launch_logcumsumexp_cuda_kernelERKNSB_10TensorBaseESF_lENKUlvE_clEvENKUlvE_clEvEUlddE_dEEDaPvRmT3_T4_T5_mT6_P12ihipStream_tbENKUlT_T0_E_clISt17integral_constantIbLb1EESW_EEDaSR_SS_EUlSR_E0_NS1_11comp_targetILNS1_3genE3ELNS1_11target_archE908ELNS1_3gpuE7ELNS1_3repE0EEENS1_30default_config_static_selectorELNS0_4arch9wavefront6targetE0EEEvT1_,comdat
	.globl	_ZN7rocprim17ROCPRIM_400000_NS6detail17trampoline_kernelINS0_14default_configENS1_20scan_config_selectorIdEEZZNS1_9scan_implILNS1_25lookback_scan_determinismE0ELb0ELb0ES3_PKdPddZZZN2at6native31launch_logcumsumexp_cuda_kernelERKNSB_10TensorBaseESF_lENKUlvE_clEvENKUlvE_clEvEUlddE_dEEDaPvRmT3_T4_T5_mT6_P12ihipStream_tbENKUlT_T0_E_clISt17integral_constantIbLb1EESW_EEDaSR_SS_EUlSR_E0_NS1_11comp_targetILNS1_3genE3ELNS1_11target_archE908ELNS1_3gpuE7ELNS1_3repE0EEENS1_30default_config_static_selectorELNS0_4arch9wavefront6targetE0EEEvT1_ ; -- Begin function _ZN7rocprim17ROCPRIM_400000_NS6detail17trampoline_kernelINS0_14default_configENS1_20scan_config_selectorIdEEZZNS1_9scan_implILNS1_25lookback_scan_determinismE0ELb0ELb0ES3_PKdPddZZZN2at6native31launch_logcumsumexp_cuda_kernelERKNSB_10TensorBaseESF_lENKUlvE_clEvENKUlvE_clEvEUlddE_dEEDaPvRmT3_T4_T5_mT6_P12ihipStream_tbENKUlT_T0_E_clISt17integral_constantIbLb1EESW_EEDaSR_SS_EUlSR_E0_NS1_11comp_targetILNS1_3genE3ELNS1_11target_archE908ELNS1_3gpuE7ELNS1_3repE0EEENS1_30default_config_static_selectorELNS0_4arch9wavefront6targetE0EEEvT1_
	.p2align	8
	.type	_ZN7rocprim17ROCPRIM_400000_NS6detail17trampoline_kernelINS0_14default_configENS1_20scan_config_selectorIdEEZZNS1_9scan_implILNS1_25lookback_scan_determinismE0ELb0ELb0ES3_PKdPddZZZN2at6native31launch_logcumsumexp_cuda_kernelERKNSB_10TensorBaseESF_lENKUlvE_clEvENKUlvE_clEvEUlddE_dEEDaPvRmT3_T4_T5_mT6_P12ihipStream_tbENKUlT_T0_E_clISt17integral_constantIbLb1EESW_EEDaSR_SS_EUlSR_E0_NS1_11comp_targetILNS1_3genE3ELNS1_11target_archE908ELNS1_3gpuE7ELNS1_3repE0EEENS1_30default_config_static_selectorELNS0_4arch9wavefront6targetE0EEEvT1_,@function
_ZN7rocprim17ROCPRIM_400000_NS6detail17trampoline_kernelINS0_14default_configENS1_20scan_config_selectorIdEEZZNS1_9scan_implILNS1_25lookback_scan_determinismE0ELb0ELb0ES3_PKdPddZZZN2at6native31launch_logcumsumexp_cuda_kernelERKNSB_10TensorBaseESF_lENKUlvE_clEvENKUlvE_clEvEUlddE_dEEDaPvRmT3_T4_T5_mT6_P12ihipStream_tbENKUlT_T0_E_clISt17integral_constantIbLb1EESW_EEDaSR_SS_EUlSR_E0_NS1_11comp_targetILNS1_3genE3ELNS1_11target_archE908ELNS1_3gpuE7ELNS1_3repE0EEENS1_30default_config_static_selectorELNS0_4arch9wavefront6targetE0EEEvT1_: ; @_ZN7rocprim17ROCPRIM_400000_NS6detail17trampoline_kernelINS0_14default_configENS1_20scan_config_selectorIdEEZZNS1_9scan_implILNS1_25lookback_scan_determinismE0ELb0ELb0ES3_PKdPddZZZN2at6native31launch_logcumsumexp_cuda_kernelERKNSB_10TensorBaseESF_lENKUlvE_clEvENKUlvE_clEvEUlddE_dEEDaPvRmT3_T4_T5_mT6_P12ihipStream_tbENKUlT_T0_E_clISt17integral_constantIbLb1EESW_EEDaSR_SS_EUlSR_E0_NS1_11comp_targetILNS1_3genE3ELNS1_11target_archE908ELNS1_3gpuE7ELNS1_3repE0EEENS1_30default_config_static_selectorELNS0_4arch9wavefront6targetE0EEEvT1_
; %bb.0:
	.section	.rodata,"a",@progbits
	.p2align	6, 0x0
	.amdhsa_kernel _ZN7rocprim17ROCPRIM_400000_NS6detail17trampoline_kernelINS0_14default_configENS1_20scan_config_selectorIdEEZZNS1_9scan_implILNS1_25lookback_scan_determinismE0ELb0ELb0ES3_PKdPddZZZN2at6native31launch_logcumsumexp_cuda_kernelERKNSB_10TensorBaseESF_lENKUlvE_clEvENKUlvE_clEvEUlddE_dEEDaPvRmT3_T4_T5_mT6_P12ihipStream_tbENKUlT_T0_E_clISt17integral_constantIbLb1EESW_EEDaSR_SS_EUlSR_E0_NS1_11comp_targetILNS1_3genE3ELNS1_11target_archE908ELNS1_3gpuE7ELNS1_3repE0EEENS1_30default_config_static_selectorELNS0_4arch9wavefront6targetE0EEEvT1_
		.amdhsa_group_segment_fixed_size 0
		.amdhsa_private_segment_fixed_size 0
		.amdhsa_kernarg_size 40
		.amdhsa_user_sgpr_count 6
		.amdhsa_user_sgpr_private_segment_buffer 1
		.amdhsa_user_sgpr_dispatch_ptr 0
		.amdhsa_user_sgpr_queue_ptr 0
		.amdhsa_user_sgpr_kernarg_segment_ptr 1
		.amdhsa_user_sgpr_dispatch_id 0
		.amdhsa_user_sgpr_flat_scratch_init 0
		.amdhsa_user_sgpr_private_segment_size 0
		.amdhsa_wavefront_size32 1
		.amdhsa_uses_dynamic_stack 0
		.amdhsa_system_sgpr_private_segment_wavefront_offset 0
		.amdhsa_system_sgpr_workgroup_id_x 1
		.amdhsa_system_sgpr_workgroup_id_y 0
		.amdhsa_system_sgpr_workgroup_id_z 0
		.amdhsa_system_sgpr_workgroup_info 0
		.amdhsa_system_vgpr_workitem_id 0
		.amdhsa_next_free_vgpr 1
		.amdhsa_next_free_sgpr 1
		.amdhsa_reserve_vcc 0
		.amdhsa_reserve_flat_scratch 0
		.amdhsa_float_round_mode_32 0
		.amdhsa_float_round_mode_16_64 0
		.amdhsa_float_denorm_mode_32 3
		.amdhsa_float_denorm_mode_16_64 3
		.amdhsa_dx10_clamp 1
		.amdhsa_ieee_mode 1
		.amdhsa_fp16_overflow 0
		.amdhsa_workgroup_processor_mode 1
		.amdhsa_memory_ordered 1
		.amdhsa_forward_progress 1
		.amdhsa_shared_vgpr_count 0
		.amdhsa_exception_fp_ieee_invalid_op 0
		.amdhsa_exception_fp_denorm_src 0
		.amdhsa_exception_fp_ieee_div_zero 0
		.amdhsa_exception_fp_ieee_overflow 0
		.amdhsa_exception_fp_ieee_underflow 0
		.amdhsa_exception_fp_ieee_inexact 0
		.amdhsa_exception_int_div_zero 0
	.end_amdhsa_kernel
	.section	.text._ZN7rocprim17ROCPRIM_400000_NS6detail17trampoline_kernelINS0_14default_configENS1_20scan_config_selectorIdEEZZNS1_9scan_implILNS1_25lookback_scan_determinismE0ELb0ELb0ES3_PKdPddZZZN2at6native31launch_logcumsumexp_cuda_kernelERKNSB_10TensorBaseESF_lENKUlvE_clEvENKUlvE_clEvEUlddE_dEEDaPvRmT3_T4_T5_mT6_P12ihipStream_tbENKUlT_T0_E_clISt17integral_constantIbLb1EESW_EEDaSR_SS_EUlSR_E0_NS1_11comp_targetILNS1_3genE3ELNS1_11target_archE908ELNS1_3gpuE7ELNS1_3repE0EEENS1_30default_config_static_selectorELNS0_4arch9wavefront6targetE0EEEvT1_,"axG",@progbits,_ZN7rocprim17ROCPRIM_400000_NS6detail17trampoline_kernelINS0_14default_configENS1_20scan_config_selectorIdEEZZNS1_9scan_implILNS1_25lookback_scan_determinismE0ELb0ELb0ES3_PKdPddZZZN2at6native31launch_logcumsumexp_cuda_kernelERKNSB_10TensorBaseESF_lENKUlvE_clEvENKUlvE_clEvEUlddE_dEEDaPvRmT3_T4_T5_mT6_P12ihipStream_tbENKUlT_T0_E_clISt17integral_constantIbLb1EESW_EEDaSR_SS_EUlSR_E0_NS1_11comp_targetILNS1_3genE3ELNS1_11target_archE908ELNS1_3gpuE7ELNS1_3repE0EEENS1_30default_config_static_selectorELNS0_4arch9wavefront6targetE0EEEvT1_,comdat
.Lfunc_end40:
	.size	_ZN7rocprim17ROCPRIM_400000_NS6detail17trampoline_kernelINS0_14default_configENS1_20scan_config_selectorIdEEZZNS1_9scan_implILNS1_25lookback_scan_determinismE0ELb0ELb0ES3_PKdPddZZZN2at6native31launch_logcumsumexp_cuda_kernelERKNSB_10TensorBaseESF_lENKUlvE_clEvENKUlvE_clEvEUlddE_dEEDaPvRmT3_T4_T5_mT6_P12ihipStream_tbENKUlT_T0_E_clISt17integral_constantIbLb1EESW_EEDaSR_SS_EUlSR_E0_NS1_11comp_targetILNS1_3genE3ELNS1_11target_archE908ELNS1_3gpuE7ELNS1_3repE0EEENS1_30default_config_static_selectorELNS0_4arch9wavefront6targetE0EEEvT1_, .Lfunc_end40-_ZN7rocprim17ROCPRIM_400000_NS6detail17trampoline_kernelINS0_14default_configENS1_20scan_config_selectorIdEEZZNS1_9scan_implILNS1_25lookback_scan_determinismE0ELb0ELb0ES3_PKdPddZZZN2at6native31launch_logcumsumexp_cuda_kernelERKNSB_10TensorBaseESF_lENKUlvE_clEvENKUlvE_clEvEUlddE_dEEDaPvRmT3_T4_T5_mT6_P12ihipStream_tbENKUlT_T0_E_clISt17integral_constantIbLb1EESW_EEDaSR_SS_EUlSR_E0_NS1_11comp_targetILNS1_3genE3ELNS1_11target_archE908ELNS1_3gpuE7ELNS1_3repE0EEENS1_30default_config_static_selectorELNS0_4arch9wavefront6targetE0EEEvT1_
                                        ; -- End function
	.set _ZN7rocprim17ROCPRIM_400000_NS6detail17trampoline_kernelINS0_14default_configENS1_20scan_config_selectorIdEEZZNS1_9scan_implILNS1_25lookback_scan_determinismE0ELb0ELb0ES3_PKdPddZZZN2at6native31launch_logcumsumexp_cuda_kernelERKNSB_10TensorBaseESF_lENKUlvE_clEvENKUlvE_clEvEUlddE_dEEDaPvRmT3_T4_T5_mT6_P12ihipStream_tbENKUlT_T0_E_clISt17integral_constantIbLb1EESW_EEDaSR_SS_EUlSR_E0_NS1_11comp_targetILNS1_3genE3ELNS1_11target_archE908ELNS1_3gpuE7ELNS1_3repE0EEENS1_30default_config_static_selectorELNS0_4arch9wavefront6targetE0EEEvT1_.num_vgpr, 0
	.set _ZN7rocprim17ROCPRIM_400000_NS6detail17trampoline_kernelINS0_14default_configENS1_20scan_config_selectorIdEEZZNS1_9scan_implILNS1_25lookback_scan_determinismE0ELb0ELb0ES3_PKdPddZZZN2at6native31launch_logcumsumexp_cuda_kernelERKNSB_10TensorBaseESF_lENKUlvE_clEvENKUlvE_clEvEUlddE_dEEDaPvRmT3_T4_T5_mT6_P12ihipStream_tbENKUlT_T0_E_clISt17integral_constantIbLb1EESW_EEDaSR_SS_EUlSR_E0_NS1_11comp_targetILNS1_3genE3ELNS1_11target_archE908ELNS1_3gpuE7ELNS1_3repE0EEENS1_30default_config_static_selectorELNS0_4arch9wavefront6targetE0EEEvT1_.num_agpr, 0
	.set _ZN7rocprim17ROCPRIM_400000_NS6detail17trampoline_kernelINS0_14default_configENS1_20scan_config_selectorIdEEZZNS1_9scan_implILNS1_25lookback_scan_determinismE0ELb0ELb0ES3_PKdPddZZZN2at6native31launch_logcumsumexp_cuda_kernelERKNSB_10TensorBaseESF_lENKUlvE_clEvENKUlvE_clEvEUlddE_dEEDaPvRmT3_T4_T5_mT6_P12ihipStream_tbENKUlT_T0_E_clISt17integral_constantIbLb1EESW_EEDaSR_SS_EUlSR_E0_NS1_11comp_targetILNS1_3genE3ELNS1_11target_archE908ELNS1_3gpuE7ELNS1_3repE0EEENS1_30default_config_static_selectorELNS0_4arch9wavefront6targetE0EEEvT1_.numbered_sgpr, 0
	.set _ZN7rocprim17ROCPRIM_400000_NS6detail17trampoline_kernelINS0_14default_configENS1_20scan_config_selectorIdEEZZNS1_9scan_implILNS1_25lookback_scan_determinismE0ELb0ELb0ES3_PKdPddZZZN2at6native31launch_logcumsumexp_cuda_kernelERKNSB_10TensorBaseESF_lENKUlvE_clEvENKUlvE_clEvEUlddE_dEEDaPvRmT3_T4_T5_mT6_P12ihipStream_tbENKUlT_T0_E_clISt17integral_constantIbLb1EESW_EEDaSR_SS_EUlSR_E0_NS1_11comp_targetILNS1_3genE3ELNS1_11target_archE908ELNS1_3gpuE7ELNS1_3repE0EEENS1_30default_config_static_selectorELNS0_4arch9wavefront6targetE0EEEvT1_.num_named_barrier, 0
	.set _ZN7rocprim17ROCPRIM_400000_NS6detail17trampoline_kernelINS0_14default_configENS1_20scan_config_selectorIdEEZZNS1_9scan_implILNS1_25lookback_scan_determinismE0ELb0ELb0ES3_PKdPddZZZN2at6native31launch_logcumsumexp_cuda_kernelERKNSB_10TensorBaseESF_lENKUlvE_clEvENKUlvE_clEvEUlddE_dEEDaPvRmT3_T4_T5_mT6_P12ihipStream_tbENKUlT_T0_E_clISt17integral_constantIbLb1EESW_EEDaSR_SS_EUlSR_E0_NS1_11comp_targetILNS1_3genE3ELNS1_11target_archE908ELNS1_3gpuE7ELNS1_3repE0EEENS1_30default_config_static_selectorELNS0_4arch9wavefront6targetE0EEEvT1_.private_seg_size, 0
	.set _ZN7rocprim17ROCPRIM_400000_NS6detail17trampoline_kernelINS0_14default_configENS1_20scan_config_selectorIdEEZZNS1_9scan_implILNS1_25lookback_scan_determinismE0ELb0ELb0ES3_PKdPddZZZN2at6native31launch_logcumsumexp_cuda_kernelERKNSB_10TensorBaseESF_lENKUlvE_clEvENKUlvE_clEvEUlddE_dEEDaPvRmT3_T4_T5_mT6_P12ihipStream_tbENKUlT_T0_E_clISt17integral_constantIbLb1EESW_EEDaSR_SS_EUlSR_E0_NS1_11comp_targetILNS1_3genE3ELNS1_11target_archE908ELNS1_3gpuE7ELNS1_3repE0EEENS1_30default_config_static_selectorELNS0_4arch9wavefront6targetE0EEEvT1_.uses_vcc, 0
	.set _ZN7rocprim17ROCPRIM_400000_NS6detail17trampoline_kernelINS0_14default_configENS1_20scan_config_selectorIdEEZZNS1_9scan_implILNS1_25lookback_scan_determinismE0ELb0ELb0ES3_PKdPddZZZN2at6native31launch_logcumsumexp_cuda_kernelERKNSB_10TensorBaseESF_lENKUlvE_clEvENKUlvE_clEvEUlddE_dEEDaPvRmT3_T4_T5_mT6_P12ihipStream_tbENKUlT_T0_E_clISt17integral_constantIbLb1EESW_EEDaSR_SS_EUlSR_E0_NS1_11comp_targetILNS1_3genE3ELNS1_11target_archE908ELNS1_3gpuE7ELNS1_3repE0EEENS1_30default_config_static_selectorELNS0_4arch9wavefront6targetE0EEEvT1_.uses_flat_scratch, 0
	.set _ZN7rocprim17ROCPRIM_400000_NS6detail17trampoline_kernelINS0_14default_configENS1_20scan_config_selectorIdEEZZNS1_9scan_implILNS1_25lookback_scan_determinismE0ELb0ELb0ES3_PKdPddZZZN2at6native31launch_logcumsumexp_cuda_kernelERKNSB_10TensorBaseESF_lENKUlvE_clEvENKUlvE_clEvEUlddE_dEEDaPvRmT3_T4_T5_mT6_P12ihipStream_tbENKUlT_T0_E_clISt17integral_constantIbLb1EESW_EEDaSR_SS_EUlSR_E0_NS1_11comp_targetILNS1_3genE3ELNS1_11target_archE908ELNS1_3gpuE7ELNS1_3repE0EEENS1_30default_config_static_selectorELNS0_4arch9wavefront6targetE0EEEvT1_.has_dyn_sized_stack, 0
	.set _ZN7rocprim17ROCPRIM_400000_NS6detail17trampoline_kernelINS0_14default_configENS1_20scan_config_selectorIdEEZZNS1_9scan_implILNS1_25lookback_scan_determinismE0ELb0ELb0ES3_PKdPddZZZN2at6native31launch_logcumsumexp_cuda_kernelERKNSB_10TensorBaseESF_lENKUlvE_clEvENKUlvE_clEvEUlddE_dEEDaPvRmT3_T4_T5_mT6_P12ihipStream_tbENKUlT_T0_E_clISt17integral_constantIbLb1EESW_EEDaSR_SS_EUlSR_E0_NS1_11comp_targetILNS1_3genE3ELNS1_11target_archE908ELNS1_3gpuE7ELNS1_3repE0EEENS1_30default_config_static_selectorELNS0_4arch9wavefront6targetE0EEEvT1_.has_recursion, 0
	.set _ZN7rocprim17ROCPRIM_400000_NS6detail17trampoline_kernelINS0_14default_configENS1_20scan_config_selectorIdEEZZNS1_9scan_implILNS1_25lookback_scan_determinismE0ELb0ELb0ES3_PKdPddZZZN2at6native31launch_logcumsumexp_cuda_kernelERKNSB_10TensorBaseESF_lENKUlvE_clEvENKUlvE_clEvEUlddE_dEEDaPvRmT3_T4_T5_mT6_P12ihipStream_tbENKUlT_T0_E_clISt17integral_constantIbLb1EESW_EEDaSR_SS_EUlSR_E0_NS1_11comp_targetILNS1_3genE3ELNS1_11target_archE908ELNS1_3gpuE7ELNS1_3repE0EEENS1_30default_config_static_selectorELNS0_4arch9wavefront6targetE0EEEvT1_.has_indirect_call, 0
	.section	.AMDGPU.csdata,"",@progbits
; Kernel info:
; codeLenInByte = 0
; TotalNumSgprs: 0
; NumVgprs: 0
; ScratchSize: 0
; MemoryBound: 0
; FloatMode: 240
; IeeeMode: 1
; LDSByteSize: 0 bytes/workgroup (compile time only)
; SGPRBlocks: 0
; VGPRBlocks: 0
; NumSGPRsForWavesPerEU: 1
; NumVGPRsForWavesPerEU: 1
; Occupancy: 16
; WaveLimiterHint : 0
; COMPUTE_PGM_RSRC2:SCRATCH_EN: 0
; COMPUTE_PGM_RSRC2:USER_SGPR: 6
; COMPUTE_PGM_RSRC2:TRAP_HANDLER: 0
; COMPUTE_PGM_RSRC2:TGID_X_EN: 1
; COMPUTE_PGM_RSRC2:TGID_Y_EN: 0
; COMPUTE_PGM_RSRC2:TGID_Z_EN: 0
; COMPUTE_PGM_RSRC2:TIDIG_COMP_CNT: 0
	.section	.text._ZN7rocprim17ROCPRIM_400000_NS6detail17trampoline_kernelINS0_14default_configENS1_20scan_config_selectorIdEEZZNS1_9scan_implILNS1_25lookback_scan_determinismE0ELb0ELb0ES3_PKdPddZZZN2at6native31launch_logcumsumexp_cuda_kernelERKNSB_10TensorBaseESF_lENKUlvE_clEvENKUlvE_clEvEUlddE_dEEDaPvRmT3_T4_T5_mT6_P12ihipStream_tbENKUlT_T0_E_clISt17integral_constantIbLb1EESW_EEDaSR_SS_EUlSR_E0_NS1_11comp_targetILNS1_3genE2ELNS1_11target_archE906ELNS1_3gpuE6ELNS1_3repE0EEENS1_30default_config_static_selectorELNS0_4arch9wavefront6targetE0EEEvT1_,"axG",@progbits,_ZN7rocprim17ROCPRIM_400000_NS6detail17trampoline_kernelINS0_14default_configENS1_20scan_config_selectorIdEEZZNS1_9scan_implILNS1_25lookback_scan_determinismE0ELb0ELb0ES3_PKdPddZZZN2at6native31launch_logcumsumexp_cuda_kernelERKNSB_10TensorBaseESF_lENKUlvE_clEvENKUlvE_clEvEUlddE_dEEDaPvRmT3_T4_T5_mT6_P12ihipStream_tbENKUlT_T0_E_clISt17integral_constantIbLb1EESW_EEDaSR_SS_EUlSR_E0_NS1_11comp_targetILNS1_3genE2ELNS1_11target_archE906ELNS1_3gpuE6ELNS1_3repE0EEENS1_30default_config_static_selectorELNS0_4arch9wavefront6targetE0EEEvT1_,comdat
	.globl	_ZN7rocprim17ROCPRIM_400000_NS6detail17trampoline_kernelINS0_14default_configENS1_20scan_config_selectorIdEEZZNS1_9scan_implILNS1_25lookback_scan_determinismE0ELb0ELb0ES3_PKdPddZZZN2at6native31launch_logcumsumexp_cuda_kernelERKNSB_10TensorBaseESF_lENKUlvE_clEvENKUlvE_clEvEUlddE_dEEDaPvRmT3_T4_T5_mT6_P12ihipStream_tbENKUlT_T0_E_clISt17integral_constantIbLb1EESW_EEDaSR_SS_EUlSR_E0_NS1_11comp_targetILNS1_3genE2ELNS1_11target_archE906ELNS1_3gpuE6ELNS1_3repE0EEENS1_30default_config_static_selectorELNS0_4arch9wavefront6targetE0EEEvT1_ ; -- Begin function _ZN7rocprim17ROCPRIM_400000_NS6detail17trampoline_kernelINS0_14default_configENS1_20scan_config_selectorIdEEZZNS1_9scan_implILNS1_25lookback_scan_determinismE0ELb0ELb0ES3_PKdPddZZZN2at6native31launch_logcumsumexp_cuda_kernelERKNSB_10TensorBaseESF_lENKUlvE_clEvENKUlvE_clEvEUlddE_dEEDaPvRmT3_T4_T5_mT6_P12ihipStream_tbENKUlT_T0_E_clISt17integral_constantIbLb1EESW_EEDaSR_SS_EUlSR_E0_NS1_11comp_targetILNS1_3genE2ELNS1_11target_archE906ELNS1_3gpuE6ELNS1_3repE0EEENS1_30default_config_static_selectorELNS0_4arch9wavefront6targetE0EEEvT1_
	.p2align	8
	.type	_ZN7rocprim17ROCPRIM_400000_NS6detail17trampoline_kernelINS0_14default_configENS1_20scan_config_selectorIdEEZZNS1_9scan_implILNS1_25lookback_scan_determinismE0ELb0ELb0ES3_PKdPddZZZN2at6native31launch_logcumsumexp_cuda_kernelERKNSB_10TensorBaseESF_lENKUlvE_clEvENKUlvE_clEvEUlddE_dEEDaPvRmT3_T4_T5_mT6_P12ihipStream_tbENKUlT_T0_E_clISt17integral_constantIbLb1EESW_EEDaSR_SS_EUlSR_E0_NS1_11comp_targetILNS1_3genE2ELNS1_11target_archE906ELNS1_3gpuE6ELNS1_3repE0EEENS1_30default_config_static_selectorELNS0_4arch9wavefront6targetE0EEEvT1_,@function
_ZN7rocprim17ROCPRIM_400000_NS6detail17trampoline_kernelINS0_14default_configENS1_20scan_config_selectorIdEEZZNS1_9scan_implILNS1_25lookback_scan_determinismE0ELb0ELb0ES3_PKdPddZZZN2at6native31launch_logcumsumexp_cuda_kernelERKNSB_10TensorBaseESF_lENKUlvE_clEvENKUlvE_clEvEUlddE_dEEDaPvRmT3_T4_T5_mT6_P12ihipStream_tbENKUlT_T0_E_clISt17integral_constantIbLb1EESW_EEDaSR_SS_EUlSR_E0_NS1_11comp_targetILNS1_3genE2ELNS1_11target_archE906ELNS1_3gpuE6ELNS1_3repE0EEENS1_30default_config_static_selectorELNS0_4arch9wavefront6targetE0EEEvT1_: ; @_ZN7rocprim17ROCPRIM_400000_NS6detail17trampoline_kernelINS0_14default_configENS1_20scan_config_selectorIdEEZZNS1_9scan_implILNS1_25lookback_scan_determinismE0ELb0ELb0ES3_PKdPddZZZN2at6native31launch_logcumsumexp_cuda_kernelERKNSB_10TensorBaseESF_lENKUlvE_clEvENKUlvE_clEvEUlddE_dEEDaPvRmT3_T4_T5_mT6_P12ihipStream_tbENKUlT_T0_E_clISt17integral_constantIbLb1EESW_EEDaSR_SS_EUlSR_E0_NS1_11comp_targetILNS1_3genE2ELNS1_11target_archE906ELNS1_3gpuE6ELNS1_3repE0EEENS1_30default_config_static_selectorELNS0_4arch9wavefront6targetE0EEEvT1_
; %bb.0:
	.section	.rodata,"a",@progbits
	.p2align	6, 0x0
	.amdhsa_kernel _ZN7rocprim17ROCPRIM_400000_NS6detail17trampoline_kernelINS0_14default_configENS1_20scan_config_selectorIdEEZZNS1_9scan_implILNS1_25lookback_scan_determinismE0ELb0ELb0ES3_PKdPddZZZN2at6native31launch_logcumsumexp_cuda_kernelERKNSB_10TensorBaseESF_lENKUlvE_clEvENKUlvE_clEvEUlddE_dEEDaPvRmT3_T4_T5_mT6_P12ihipStream_tbENKUlT_T0_E_clISt17integral_constantIbLb1EESW_EEDaSR_SS_EUlSR_E0_NS1_11comp_targetILNS1_3genE2ELNS1_11target_archE906ELNS1_3gpuE6ELNS1_3repE0EEENS1_30default_config_static_selectorELNS0_4arch9wavefront6targetE0EEEvT1_
		.amdhsa_group_segment_fixed_size 0
		.amdhsa_private_segment_fixed_size 0
		.amdhsa_kernarg_size 40
		.amdhsa_user_sgpr_count 6
		.amdhsa_user_sgpr_private_segment_buffer 1
		.amdhsa_user_sgpr_dispatch_ptr 0
		.amdhsa_user_sgpr_queue_ptr 0
		.amdhsa_user_sgpr_kernarg_segment_ptr 1
		.amdhsa_user_sgpr_dispatch_id 0
		.amdhsa_user_sgpr_flat_scratch_init 0
		.amdhsa_user_sgpr_private_segment_size 0
		.amdhsa_wavefront_size32 1
		.amdhsa_uses_dynamic_stack 0
		.amdhsa_system_sgpr_private_segment_wavefront_offset 0
		.amdhsa_system_sgpr_workgroup_id_x 1
		.amdhsa_system_sgpr_workgroup_id_y 0
		.amdhsa_system_sgpr_workgroup_id_z 0
		.amdhsa_system_sgpr_workgroup_info 0
		.amdhsa_system_vgpr_workitem_id 0
		.amdhsa_next_free_vgpr 1
		.amdhsa_next_free_sgpr 1
		.amdhsa_reserve_vcc 0
		.amdhsa_reserve_flat_scratch 0
		.amdhsa_float_round_mode_32 0
		.amdhsa_float_round_mode_16_64 0
		.amdhsa_float_denorm_mode_32 3
		.amdhsa_float_denorm_mode_16_64 3
		.amdhsa_dx10_clamp 1
		.amdhsa_ieee_mode 1
		.amdhsa_fp16_overflow 0
		.amdhsa_workgroup_processor_mode 1
		.amdhsa_memory_ordered 1
		.amdhsa_forward_progress 1
		.amdhsa_shared_vgpr_count 0
		.amdhsa_exception_fp_ieee_invalid_op 0
		.amdhsa_exception_fp_denorm_src 0
		.amdhsa_exception_fp_ieee_div_zero 0
		.amdhsa_exception_fp_ieee_overflow 0
		.amdhsa_exception_fp_ieee_underflow 0
		.amdhsa_exception_fp_ieee_inexact 0
		.amdhsa_exception_int_div_zero 0
	.end_amdhsa_kernel
	.section	.text._ZN7rocprim17ROCPRIM_400000_NS6detail17trampoline_kernelINS0_14default_configENS1_20scan_config_selectorIdEEZZNS1_9scan_implILNS1_25lookback_scan_determinismE0ELb0ELb0ES3_PKdPddZZZN2at6native31launch_logcumsumexp_cuda_kernelERKNSB_10TensorBaseESF_lENKUlvE_clEvENKUlvE_clEvEUlddE_dEEDaPvRmT3_T4_T5_mT6_P12ihipStream_tbENKUlT_T0_E_clISt17integral_constantIbLb1EESW_EEDaSR_SS_EUlSR_E0_NS1_11comp_targetILNS1_3genE2ELNS1_11target_archE906ELNS1_3gpuE6ELNS1_3repE0EEENS1_30default_config_static_selectorELNS0_4arch9wavefront6targetE0EEEvT1_,"axG",@progbits,_ZN7rocprim17ROCPRIM_400000_NS6detail17trampoline_kernelINS0_14default_configENS1_20scan_config_selectorIdEEZZNS1_9scan_implILNS1_25lookback_scan_determinismE0ELb0ELb0ES3_PKdPddZZZN2at6native31launch_logcumsumexp_cuda_kernelERKNSB_10TensorBaseESF_lENKUlvE_clEvENKUlvE_clEvEUlddE_dEEDaPvRmT3_T4_T5_mT6_P12ihipStream_tbENKUlT_T0_E_clISt17integral_constantIbLb1EESW_EEDaSR_SS_EUlSR_E0_NS1_11comp_targetILNS1_3genE2ELNS1_11target_archE906ELNS1_3gpuE6ELNS1_3repE0EEENS1_30default_config_static_selectorELNS0_4arch9wavefront6targetE0EEEvT1_,comdat
.Lfunc_end41:
	.size	_ZN7rocprim17ROCPRIM_400000_NS6detail17trampoline_kernelINS0_14default_configENS1_20scan_config_selectorIdEEZZNS1_9scan_implILNS1_25lookback_scan_determinismE0ELb0ELb0ES3_PKdPddZZZN2at6native31launch_logcumsumexp_cuda_kernelERKNSB_10TensorBaseESF_lENKUlvE_clEvENKUlvE_clEvEUlddE_dEEDaPvRmT3_T4_T5_mT6_P12ihipStream_tbENKUlT_T0_E_clISt17integral_constantIbLb1EESW_EEDaSR_SS_EUlSR_E0_NS1_11comp_targetILNS1_3genE2ELNS1_11target_archE906ELNS1_3gpuE6ELNS1_3repE0EEENS1_30default_config_static_selectorELNS0_4arch9wavefront6targetE0EEEvT1_, .Lfunc_end41-_ZN7rocprim17ROCPRIM_400000_NS6detail17trampoline_kernelINS0_14default_configENS1_20scan_config_selectorIdEEZZNS1_9scan_implILNS1_25lookback_scan_determinismE0ELb0ELb0ES3_PKdPddZZZN2at6native31launch_logcumsumexp_cuda_kernelERKNSB_10TensorBaseESF_lENKUlvE_clEvENKUlvE_clEvEUlddE_dEEDaPvRmT3_T4_T5_mT6_P12ihipStream_tbENKUlT_T0_E_clISt17integral_constantIbLb1EESW_EEDaSR_SS_EUlSR_E0_NS1_11comp_targetILNS1_3genE2ELNS1_11target_archE906ELNS1_3gpuE6ELNS1_3repE0EEENS1_30default_config_static_selectorELNS0_4arch9wavefront6targetE0EEEvT1_
                                        ; -- End function
	.set _ZN7rocprim17ROCPRIM_400000_NS6detail17trampoline_kernelINS0_14default_configENS1_20scan_config_selectorIdEEZZNS1_9scan_implILNS1_25lookback_scan_determinismE0ELb0ELb0ES3_PKdPddZZZN2at6native31launch_logcumsumexp_cuda_kernelERKNSB_10TensorBaseESF_lENKUlvE_clEvENKUlvE_clEvEUlddE_dEEDaPvRmT3_T4_T5_mT6_P12ihipStream_tbENKUlT_T0_E_clISt17integral_constantIbLb1EESW_EEDaSR_SS_EUlSR_E0_NS1_11comp_targetILNS1_3genE2ELNS1_11target_archE906ELNS1_3gpuE6ELNS1_3repE0EEENS1_30default_config_static_selectorELNS0_4arch9wavefront6targetE0EEEvT1_.num_vgpr, 0
	.set _ZN7rocprim17ROCPRIM_400000_NS6detail17trampoline_kernelINS0_14default_configENS1_20scan_config_selectorIdEEZZNS1_9scan_implILNS1_25lookback_scan_determinismE0ELb0ELb0ES3_PKdPddZZZN2at6native31launch_logcumsumexp_cuda_kernelERKNSB_10TensorBaseESF_lENKUlvE_clEvENKUlvE_clEvEUlddE_dEEDaPvRmT3_T4_T5_mT6_P12ihipStream_tbENKUlT_T0_E_clISt17integral_constantIbLb1EESW_EEDaSR_SS_EUlSR_E0_NS1_11comp_targetILNS1_3genE2ELNS1_11target_archE906ELNS1_3gpuE6ELNS1_3repE0EEENS1_30default_config_static_selectorELNS0_4arch9wavefront6targetE0EEEvT1_.num_agpr, 0
	.set _ZN7rocprim17ROCPRIM_400000_NS6detail17trampoline_kernelINS0_14default_configENS1_20scan_config_selectorIdEEZZNS1_9scan_implILNS1_25lookback_scan_determinismE0ELb0ELb0ES3_PKdPddZZZN2at6native31launch_logcumsumexp_cuda_kernelERKNSB_10TensorBaseESF_lENKUlvE_clEvENKUlvE_clEvEUlddE_dEEDaPvRmT3_T4_T5_mT6_P12ihipStream_tbENKUlT_T0_E_clISt17integral_constantIbLb1EESW_EEDaSR_SS_EUlSR_E0_NS1_11comp_targetILNS1_3genE2ELNS1_11target_archE906ELNS1_3gpuE6ELNS1_3repE0EEENS1_30default_config_static_selectorELNS0_4arch9wavefront6targetE0EEEvT1_.numbered_sgpr, 0
	.set _ZN7rocprim17ROCPRIM_400000_NS6detail17trampoline_kernelINS0_14default_configENS1_20scan_config_selectorIdEEZZNS1_9scan_implILNS1_25lookback_scan_determinismE0ELb0ELb0ES3_PKdPddZZZN2at6native31launch_logcumsumexp_cuda_kernelERKNSB_10TensorBaseESF_lENKUlvE_clEvENKUlvE_clEvEUlddE_dEEDaPvRmT3_T4_T5_mT6_P12ihipStream_tbENKUlT_T0_E_clISt17integral_constantIbLb1EESW_EEDaSR_SS_EUlSR_E0_NS1_11comp_targetILNS1_3genE2ELNS1_11target_archE906ELNS1_3gpuE6ELNS1_3repE0EEENS1_30default_config_static_selectorELNS0_4arch9wavefront6targetE0EEEvT1_.num_named_barrier, 0
	.set _ZN7rocprim17ROCPRIM_400000_NS6detail17trampoline_kernelINS0_14default_configENS1_20scan_config_selectorIdEEZZNS1_9scan_implILNS1_25lookback_scan_determinismE0ELb0ELb0ES3_PKdPddZZZN2at6native31launch_logcumsumexp_cuda_kernelERKNSB_10TensorBaseESF_lENKUlvE_clEvENKUlvE_clEvEUlddE_dEEDaPvRmT3_T4_T5_mT6_P12ihipStream_tbENKUlT_T0_E_clISt17integral_constantIbLb1EESW_EEDaSR_SS_EUlSR_E0_NS1_11comp_targetILNS1_3genE2ELNS1_11target_archE906ELNS1_3gpuE6ELNS1_3repE0EEENS1_30default_config_static_selectorELNS0_4arch9wavefront6targetE0EEEvT1_.private_seg_size, 0
	.set _ZN7rocprim17ROCPRIM_400000_NS6detail17trampoline_kernelINS0_14default_configENS1_20scan_config_selectorIdEEZZNS1_9scan_implILNS1_25lookback_scan_determinismE0ELb0ELb0ES3_PKdPddZZZN2at6native31launch_logcumsumexp_cuda_kernelERKNSB_10TensorBaseESF_lENKUlvE_clEvENKUlvE_clEvEUlddE_dEEDaPvRmT3_T4_T5_mT6_P12ihipStream_tbENKUlT_T0_E_clISt17integral_constantIbLb1EESW_EEDaSR_SS_EUlSR_E0_NS1_11comp_targetILNS1_3genE2ELNS1_11target_archE906ELNS1_3gpuE6ELNS1_3repE0EEENS1_30default_config_static_selectorELNS0_4arch9wavefront6targetE0EEEvT1_.uses_vcc, 0
	.set _ZN7rocprim17ROCPRIM_400000_NS6detail17trampoline_kernelINS0_14default_configENS1_20scan_config_selectorIdEEZZNS1_9scan_implILNS1_25lookback_scan_determinismE0ELb0ELb0ES3_PKdPddZZZN2at6native31launch_logcumsumexp_cuda_kernelERKNSB_10TensorBaseESF_lENKUlvE_clEvENKUlvE_clEvEUlddE_dEEDaPvRmT3_T4_T5_mT6_P12ihipStream_tbENKUlT_T0_E_clISt17integral_constantIbLb1EESW_EEDaSR_SS_EUlSR_E0_NS1_11comp_targetILNS1_3genE2ELNS1_11target_archE906ELNS1_3gpuE6ELNS1_3repE0EEENS1_30default_config_static_selectorELNS0_4arch9wavefront6targetE0EEEvT1_.uses_flat_scratch, 0
	.set _ZN7rocprim17ROCPRIM_400000_NS6detail17trampoline_kernelINS0_14default_configENS1_20scan_config_selectorIdEEZZNS1_9scan_implILNS1_25lookback_scan_determinismE0ELb0ELb0ES3_PKdPddZZZN2at6native31launch_logcumsumexp_cuda_kernelERKNSB_10TensorBaseESF_lENKUlvE_clEvENKUlvE_clEvEUlddE_dEEDaPvRmT3_T4_T5_mT6_P12ihipStream_tbENKUlT_T0_E_clISt17integral_constantIbLb1EESW_EEDaSR_SS_EUlSR_E0_NS1_11comp_targetILNS1_3genE2ELNS1_11target_archE906ELNS1_3gpuE6ELNS1_3repE0EEENS1_30default_config_static_selectorELNS0_4arch9wavefront6targetE0EEEvT1_.has_dyn_sized_stack, 0
	.set _ZN7rocprim17ROCPRIM_400000_NS6detail17trampoline_kernelINS0_14default_configENS1_20scan_config_selectorIdEEZZNS1_9scan_implILNS1_25lookback_scan_determinismE0ELb0ELb0ES3_PKdPddZZZN2at6native31launch_logcumsumexp_cuda_kernelERKNSB_10TensorBaseESF_lENKUlvE_clEvENKUlvE_clEvEUlddE_dEEDaPvRmT3_T4_T5_mT6_P12ihipStream_tbENKUlT_T0_E_clISt17integral_constantIbLb1EESW_EEDaSR_SS_EUlSR_E0_NS1_11comp_targetILNS1_3genE2ELNS1_11target_archE906ELNS1_3gpuE6ELNS1_3repE0EEENS1_30default_config_static_selectorELNS0_4arch9wavefront6targetE0EEEvT1_.has_recursion, 0
	.set _ZN7rocprim17ROCPRIM_400000_NS6detail17trampoline_kernelINS0_14default_configENS1_20scan_config_selectorIdEEZZNS1_9scan_implILNS1_25lookback_scan_determinismE0ELb0ELb0ES3_PKdPddZZZN2at6native31launch_logcumsumexp_cuda_kernelERKNSB_10TensorBaseESF_lENKUlvE_clEvENKUlvE_clEvEUlddE_dEEDaPvRmT3_T4_T5_mT6_P12ihipStream_tbENKUlT_T0_E_clISt17integral_constantIbLb1EESW_EEDaSR_SS_EUlSR_E0_NS1_11comp_targetILNS1_3genE2ELNS1_11target_archE906ELNS1_3gpuE6ELNS1_3repE0EEENS1_30default_config_static_selectorELNS0_4arch9wavefront6targetE0EEEvT1_.has_indirect_call, 0
	.section	.AMDGPU.csdata,"",@progbits
; Kernel info:
; codeLenInByte = 0
; TotalNumSgprs: 0
; NumVgprs: 0
; ScratchSize: 0
; MemoryBound: 0
; FloatMode: 240
; IeeeMode: 1
; LDSByteSize: 0 bytes/workgroup (compile time only)
; SGPRBlocks: 0
; VGPRBlocks: 0
; NumSGPRsForWavesPerEU: 1
; NumVGPRsForWavesPerEU: 1
; Occupancy: 16
; WaveLimiterHint : 0
; COMPUTE_PGM_RSRC2:SCRATCH_EN: 0
; COMPUTE_PGM_RSRC2:USER_SGPR: 6
; COMPUTE_PGM_RSRC2:TRAP_HANDLER: 0
; COMPUTE_PGM_RSRC2:TGID_X_EN: 1
; COMPUTE_PGM_RSRC2:TGID_Y_EN: 0
; COMPUTE_PGM_RSRC2:TGID_Z_EN: 0
; COMPUTE_PGM_RSRC2:TIDIG_COMP_CNT: 0
	.section	.text._ZN7rocprim17ROCPRIM_400000_NS6detail17trampoline_kernelINS0_14default_configENS1_20scan_config_selectorIdEEZZNS1_9scan_implILNS1_25lookback_scan_determinismE0ELb0ELb0ES3_PKdPddZZZN2at6native31launch_logcumsumexp_cuda_kernelERKNSB_10TensorBaseESF_lENKUlvE_clEvENKUlvE_clEvEUlddE_dEEDaPvRmT3_T4_T5_mT6_P12ihipStream_tbENKUlT_T0_E_clISt17integral_constantIbLb1EESW_EEDaSR_SS_EUlSR_E0_NS1_11comp_targetILNS1_3genE10ELNS1_11target_archE1201ELNS1_3gpuE5ELNS1_3repE0EEENS1_30default_config_static_selectorELNS0_4arch9wavefront6targetE0EEEvT1_,"axG",@progbits,_ZN7rocprim17ROCPRIM_400000_NS6detail17trampoline_kernelINS0_14default_configENS1_20scan_config_selectorIdEEZZNS1_9scan_implILNS1_25lookback_scan_determinismE0ELb0ELb0ES3_PKdPddZZZN2at6native31launch_logcumsumexp_cuda_kernelERKNSB_10TensorBaseESF_lENKUlvE_clEvENKUlvE_clEvEUlddE_dEEDaPvRmT3_T4_T5_mT6_P12ihipStream_tbENKUlT_T0_E_clISt17integral_constantIbLb1EESW_EEDaSR_SS_EUlSR_E0_NS1_11comp_targetILNS1_3genE10ELNS1_11target_archE1201ELNS1_3gpuE5ELNS1_3repE0EEENS1_30default_config_static_selectorELNS0_4arch9wavefront6targetE0EEEvT1_,comdat
	.globl	_ZN7rocprim17ROCPRIM_400000_NS6detail17trampoline_kernelINS0_14default_configENS1_20scan_config_selectorIdEEZZNS1_9scan_implILNS1_25lookback_scan_determinismE0ELb0ELb0ES3_PKdPddZZZN2at6native31launch_logcumsumexp_cuda_kernelERKNSB_10TensorBaseESF_lENKUlvE_clEvENKUlvE_clEvEUlddE_dEEDaPvRmT3_T4_T5_mT6_P12ihipStream_tbENKUlT_T0_E_clISt17integral_constantIbLb1EESW_EEDaSR_SS_EUlSR_E0_NS1_11comp_targetILNS1_3genE10ELNS1_11target_archE1201ELNS1_3gpuE5ELNS1_3repE0EEENS1_30default_config_static_selectorELNS0_4arch9wavefront6targetE0EEEvT1_ ; -- Begin function _ZN7rocprim17ROCPRIM_400000_NS6detail17trampoline_kernelINS0_14default_configENS1_20scan_config_selectorIdEEZZNS1_9scan_implILNS1_25lookback_scan_determinismE0ELb0ELb0ES3_PKdPddZZZN2at6native31launch_logcumsumexp_cuda_kernelERKNSB_10TensorBaseESF_lENKUlvE_clEvENKUlvE_clEvEUlddE_dEEDaPvRmT3_T4_T5_mT6_P12ihipStream_tbENKUlT_T0_E_clISt17integral_constantIbLb1EESW_EEDaSR_SS_EUlSR_E0_NS1_11comp_targetILNS1_3genE10ELNS1_11target_archE1201ELNS1_3gpuE5ELNS1_3repE0EEENS1_30default_config_static_selectorELNS0_4arch9wavefront6targetE0EEEvT1_
	.p2align	8
	.type	_ZN7rocprim17ROCPRIM_400000_NS6detail17trampoline_kernelINS0_14default_configENS1_20scan_config_selectorIdEEZZNS1_9scan_implILNS1_25lookback_scan_determinismE0ELb0ELb0ES3_PKdPddZZZN2at6native31launch_logcumsumexp_cuda_kernelERKNSB_10TensorBaseESF_lENKUlvE_clEvENKUlvE_clEvEUlddE_dEEDaPvRmT3_T4_T5_mT6_P12ihipStream_tbENKUlT_T0_E_clISt17integral_constantIbLb1EESW_EEDaSR_SS_EUlSR_E0_NS1_11comp_targetILNS1_3genE10ELNS1_11target_archE1201ELNS1_3gpuE5ELNS1_3repE0EEENS1_30default_config_static_selectorELNS0_4arch9wavefront6targetE0EEEvT1_,@function
_ZN7rocprim17ROCPRIM_400000_NS6detail17trampoline_kernelINS0_14default_configENS1_20scan_config_selectorIdEEZZNS1_9scan_implILNS1_25lookback_scan_determinismE0ELb0ELb0ES3_PKdPddZZZN2at6native31launch_logcumsumexp_cuda_kernelERKNSB_10TensorBaseESF_lENKUlvE_clEvENKUlvE_clEvEUlddE_dEEDaPvRmT3_T4_T5_mT6_P12ihipStream_tbENKUlT_T0_E_clISt17integral_constantIbLb1EESW_EEDaSR_SS_EUlSR_E0_NS1_11comp_targetILNS1_3genE10ELNS1_11target_archE1201ELNS1_3gpuE5ELNS1_3repE0EEENS1_30default_config_static_selectorELNS0_4arch9wavefront6targetE0EEEvT1_: ; @_ZN7rocprim17ROCPRIM_400000_NS6detail17trampoline_kernelINS0_14default_configENS1_20scan_config_selectorIdEEZZNS1_9scan_implILNS1_25lookback_scan_determinismE0ELb0ELb0ES3_PKdPddZZZN2at6native31launch_logcumsumexp_cuda_kernelERKNSB_10TensorBaseESF_lENKUlvE_clEvENKUlvE_clEvEUlddE_dEEDaPvRmT3_T4_T5_mT6_P12ihipStream_tbENKUlT_T0_E_clISt17integral_constantIbLb1EESW_EEDaSR_SS_EUlSR_E0_NS1_11comp_targetILNS1_3genE10ELNS1_11target_archE1201ELNS1_3gpuE5ELNS1_3repE0EEENS1_30default_config_static_selectorELNS0_4arch9wavefront6targetE0EEEvT1_
; %bb.0:
	.section	.rodata,"a",@progbits
	.p2align	6, 0x0
	.amdhsa_kernel _ZN7rocprim17ROCPRIM_400000_NS6detail17trampoline_kernelINS0_14default_configENS1_20scan_config_selectorIdEEZZNS1_9scan_implILNS1_25lookback_scan_determinismE0ELb0ELb0ES3_PKdPddZZZN2at6native31launch_logcumsumexp_cuda_kernelERKNSB_10TensorBaseESF_lENKUlvE_clEvENKUlvE_clEvEUlddE_dEEDaPvRmT3_T4_T5_mT6_P12ihipStream_tbENKUlT_T0_E_clISt17integral_constantIbLb1EESW_EEDaSR_SS_EUlSR_E0_NS1_11comp_targetILNS1_3genE10ELNS1_11target_archE1201ELNS1_3gpuE5ELNS1_3repE0EEENS1_30default_config_static_selectorELNS0_4arch9wavefront6targetE0EEEvT1_
		.amdhsa_group_segment_fixed_size 0
		.amdhsa_private_segment_fixed_size 0
		.amdhsa_kernarg_size 40
		.amdhsa_user_sgpr_count 6
		.amdhsa_user_sgpr_private_segment_buffer 1
		.amdhsa_user_sgpr_dispatch_ptr 0
		.amdhsa_user_sgpr_queue_ptr 0
		.amdhsa_user_sgpr_kernarg_segment_ptr 1
		.amdhsa_user_sgpr_dispatch_id 0
		.amdhsa_user_sgpr_flat_scratch_init 0
		.amdhsa_user_sgpr_private_segment_size 0
		.amdhsa_wavefront_size32 1
		.amdhsa_uses_dynamic_stack 0
		.amdhsa_system_sgpr_private_segment_wavefront_offset 0
		.amdhsa_system_sgpr_workgroup_id_x 1
		.amdhsa_system_sgpr_workgroup_id_y 0
		.amdhsa_system_sgpr_workgroup_id_z 0
		.amdhsa_system_sgpr_workgroup_info 0
		.amdhsa_system_vgpr_workitem_id 0
		.amdhsa_next_free_vgpr 1
		.amdhsa_next_free_sgpr 1
		.amdhsa_reserve_vcc 0
		.amdhsa_reserve_flat_scratch 0
		.amdhsa_float_round_mode_32 0
		.amdhsa_float_round_mode_16_64 0
		.amdhsa_float_denorm_mode_32 3
		.amdhsa_float_denorm_mode_16_64 3
		.amdhsa_dx10_clamp 1
		.amdhsa_ieee_mode 1
		.amdhsa_fp16_overflow 0
		.amdhsa_workgroup_processor_mode 1
		.amdhsa_memory_ordered 1
		.amdhsa_forward_progress 1
		.amdhsa_shared_vgpr_count 0
		.amdhsa_exception_fp_ieee_invalid_op 0
		.amdhsa_exception_fp_denorm_src 0
		.amdhsa_exception_fp_ieee_div_zero 0
		.amdhsa_exception_fp_ieee_overflow 0
		.amdhsa_exception_fp_ieee_underflow 0
		.amdhsa_exception_fp_ieee_inexact 0
		.amdhsa_exception_int_div_zero 0
	.end_amdhsa_kernel
	.section	.text._ZN7rocprim17ROCPRIM_400000_NS6detail17trampoline_kernelINS0_14default_configENS1_20scan_config_selectorIdEEZZNS1_9scan_implILNS1_25lookback_scan_determinismE0ELb0ELb0ES3_PKdPddZZZN2at6native31launch_logcumsumexp_cuda_kernelERKNSB_10TensorBaseESF_lENKUlvE_clEvENKUlvE_clEvEUlddE_dEEDaPvRmT3_T4_T5_mT6_P12ihipStream_tbENKUlT_T0_E_clISt17integral_constantIbLb1EESW_EEDaSR_SS_EUlSR_E0_NS1_11comp_targetILNS1_3genE10ELNS1_11target_archE1201ELNS1_3gpuE5ELNS1_3repE0EEENS1_30default_config_static_selectorELNS0_4arch9wavefront6targetE0EEEvT1_,"axG",@progbits,_ZN7rocprim17ROCPRIM_400000_NS6detail17trampoline_kernelINS0_14default_configENS1_20scan_config_selectorIdEEZZNS1_9scan_implILNS1_25lookback_scan_determinismE0ELb0ELb0ES3_PKdPddZZZN2at6native31launch_logcumsumexp_cuda_kernelERKNSB_10TensorBaseESF_lENKUlvE_clEvENKUlvE_clEvEUlddE_dEEDaPvRmT3_T4_T5_mT6_P12ihipStream_tbENKUlT_T0_E_clISt17integral_constantIbLb1EESW_EEDaSR_SS_EUlSR_E0_NS1_11comp_targetILNS1_3genE10ELNS1_11target_archE1201ELNS1_3gpuE5ELNS1_3repE0EEENS1_30default_config_static_selectorELNS0_4arch9wavefront6targetE0EEEvT1_,comdat
.Lfunc_end42:
	.size	_ZN7rocprim17ROCPRIM_400000_NS6detail17trampoline_kernelINS0_14default_configENS1_20scan_config_selectorIdEEZZNS1_9scan_implILNS1_25lookback_scan_determinismE0ELb0ELb0ES3_PKdPddZZZN2at6native31launch_logcumsumexp_cuda_kernelERKNSB_10TensorBaseESF_lENKUlvE_clEvENKUlvE_clEvEUlddE_dEEDaPvRmT3_T4_T5_mT6_P12ihipStream_tbENKUlT_T0_E_clISt17integral_constantIbLb1EESW_EEDaSR_SS_EUlSR_E0_NS1_11comp_targetILNS1_3genE10ELNS1_11target_archE1201ELNS1_3gpuE5ELNS1_3repE0EEENS1_30default_config_static_selectorELNS0_4arch9wavefront6targetE0EEEvT1_, .Lfunc_end42-_ZN7rocprim17ROCPRIM_400000_NS6detail17trampoline_kernelINS0_14default_configENS1_20scan_config_selectorIdEEZZNS1_9scan_implILNS1_25lookback_scan_determinismE0ELb0ELb0ES3_PKdPddZZZN2at6native31launch_logcumsumexp_cuda_kernelERKNSB_10TensorBaseESF_lENKUlvE_clEvENKUlvE_clEvEUlddE_dEEDaPvRmT3_T4_T5_mT6_P12ihipStream_tbENKUlT_T0_E_clISt17integral_constantIbLb1EESW_EEDaSR_SS_EUlSR_E0_NS1_11comp_targetILNS1_3genE10ELNS1_11target_archE1201ELNS1_3gpuE5ELNS1_3repE0EEENS1_30default_config_static_selectorELNS0_4arch9wavefront6targetE0EEEvT1_
                                        ; -- End function
	.set _ZN7rocprim17ROCPRIM_400000_NS6detail17trampoline_kernelINS0_14default_configENS1_20scan_config_selectorIdEEZZNS1_9scan_implILNS1_25lookback_scan_determinismE0ELb0ELb0ES3_PKdPddZZZN2at6native31launch_logcumsumexp_cuda_kernelERKNSB_10TensorBaseESF_lENKUlvE_clEvENKUlvE_clEvEUlddE_dEEDaPvRmT3_T4_T5_mT6_P12ihipStream_tbENKUlT_T0_E_clISt17integral_constantIbLb1EESW_EEDaSR_SS_EUlSR_E0_NS1_11comp_targetILNS1_3genE10ELNS1_11target_archE1201ELNS1_3gpuE5ELNS1_3repE0EEENS1_30default_config_static_selectorELNS0_4arch9wavefront6targetE0EEEvT1_.num_vgpr, 0
	.set _ZN7rocprim17ROCPRIM_400000_NS6detail17trampoline_kernelINS0_14default_configENS1_20scan_config_selectorIdEEZZNS1_9scan_implILNS1_25lookback_scan_determinismE0ELb0ELb0ES3_PKdPddZZZN2at6native31launch_logcumsumexp_cuda_kernelERKNSB_10TensorBaseESF_lENKUlvE_clEvENKUlvE_clEvEUlddE_dEEDaPvRmT3_T4_T5_mT6_P12ihipStream_tbENKUlT_T0_E_clISt17integral_constantIbLb1EESW_EEDaSR_SS_EUlSR_E0_NS1_11comp_targetILNS1_3genE10ELNS1_11target_archE1201ELNS1_3gpuE5ELNS1_3repE0EEENS1_30default_config_static_selectorELNS0_4arch9wavefront6targetE0EEEvT1_.num_agpr, 0
	.set _ZN7rocprim17ROCPRIM_400000_NS6detail17trampoline_kernelINS0_14default_configENS1_20scan_config_selectorIdEEZZNS1_9scan_implILNS1_25lookback_scan_determinismE0ELb0ELb0ES3_PKdPddZZZN2at6native31launch_logcumsumexp_cuda_kernelERKNSB_10TensorBaseESF_lENKUlvE_clEvENKUlvE_clEvEUlddE_dEEDaPvRmT3_T4_T5_mT6_P12ihipStream_tbENKUlT_T0_E_clISt17integral_constantIbLb1EESW_EEDaSR_SS_EUlSR_E0_NS1_11comp_targetILNS1_3genE10ELNS1_11target_archE1201ELNS1_3gpuE5ELNS1_3repE0EEENS1_30default_config_static_selectorELNS0_4arch9wavefront6targetE0EEEvT1_.numbered_sgpr, 0
	.set _ZN7rocprim17ROCPRIM_400000_NS6detail17trampoline_kernelINS0_14default_configENS1_20scan_config_selectorIdEEZZNS1_9scan_implILNS1_25lookback_scan_determinismE0ELb0ELb0ES3_PKdPddZZZN2at6native31launch_logcumsumexp_cuda_kernelERKNSB_10TensorBaseESF_lENKUlvE_clEvENKUlvE_clEvEUlddE_dEEDaPvRmT3_T4_T5_mT6_P12ihipStream_tbENKUlT_T0_E_clISt17integral_constantIbLb1EESW_EEDaSR_SS_EUlSR_E0_NS1_11comp_targetILNS1_3genE10ELNS1_11target_archE1201ELNS1_3gpuE5ELNS1_3repE0EEENS1_30default_config_static_selectorELNS0_4arch9wavefront6targetE0EEEvT1_.num_named_barrier, 0
	.set _ZN7rocprim17ROCPRIM_400000_NS6detail17trampoline_kernelINS0_14default_configENS1_20scan_config_selectorIdEEZZNS1_9scan_implILNS1_25lookback_scan_determinismE0ELb0ELb0ES3_PKdPddZZZN2at6native31launch_logcumsumexp_cuda_kernelERKNSB_10TensorBaseESF_lENKUlvE_clEvENKUlvE_clEvEUlddE_dEEDaPvRmT3_T4_T5_mT6_P12ihipStream_tbENKUlT_T0_E_clISt17integral_constantIbLb1EESW_EEDaSR_SS_EUlSR_E0_NS1_11comp_targetILNS1_3genE10ELNS1_11target_archE1201ELNS1_3gpuE5ELNS1_3repE0EEENS1_30default_config_static_selectorELNS0_4arch9wavefront6targetE0EEEvT1_.private_seg_size, 0
	.set _ZN7rocprim17ROCPRIM_400000_NS6detail17trampoline_kernelINS0_14default_configENS1_20scan_config_selectorIdEEZZNS1_9scan_implILNS1_25lookback_scan_determinismE0ELb0ELb0ES3_PKdPddZZZN2at6native31launch_logcumsumexp_cuda_kernelERKNSB_10TensorBaseESF_lENKUlvE_clEvENKUlvE_clEvEUlddE_dEEDaPvRmT3_T4_T5_mT6_P12ihipStream_tbENKUlT_T0_E_clISt17integral_constantIbLb1EESW_EEDaSR_SS_EUlSR_E0_NS1_11comp_targetILNS1_3genE10ELNS1_11target_archE1201ELNS1_3gpuE5ELNS1_3repE0EEENS1_30default_config_static_selectorELNS0_4arch9wavefront6targetE0EEEvT1_.uses_vcc, 0
	.set _ZN7rocprim17ROCPRIM_400000_NS6detail17trampoline_kernelINS0_14default_configENS1_20scan_config_selectorIdEEZZNS1_9scan_implILNS1_25lookback_scan_determinismE0ELb0ELb0ES3_PKdPddZZZN2at6native31launch_logcumsumexp_cuda_kernelERKNSB_10TensorBaseESF_lENKUlvE_clEvENKUlvE_clEvEUlddE_dEEDaPvRmT3_T4_T5_mT6_P12ihipStream_tbENKUlT_T0_E_clISt17integral_constantIbLb1EESW_EEDaSR_SS_EUlSR_E0_NS1_11comp_targetILNS1_3genE10ELNS1_11target_archE1201ELNS1_3gpuE5ELNS1_3repE0EEENS1_30default_config_static_selectorELNS0_4arch9wavefront6targetE0EEEvT1_.uses_flat_scratch, 0
	.set _ZN7rocprim17ROCPRIM_400000_NS6detail17trampoline_kernelINS0_14default_configENS1_20scan_config_selectorIdEEZZNS1_9scan_implILNS1_25lookback_scan_determinismE0ELb0ELb0ES3_PKdPddZZZN2at6native31launch_logcumsumexp_cuda_kernelERKNSB_10TensorBaseESF_lENKUlvE_clEvENKUlvE_clEvEUlddE_dEEDaPvRmT3_T4_T5_mT6_P12ihipStream_tbENKUlT_T0_E_clISt17integral_constantIbLb1EESW_EEDaSR_SS_EUlSR_E0_NS1_11comp_targetILNS1_3genE10ELNS1_11target_archE1201ELNS1_3gpuE5ELNS1_3repE0EEENS1_30default_config_static_selectorELNS0_4arch9wavefront6targetE0EEEvT1_.has_dyn_sized_stack, 0
	.set _ZN7rocprim17ROCPRIM_400000_NS6detail17trampoline_kernelINS0_14default_configENS1_20scan_config_selectorIdEEZZNS1_9scan_implILNS1_25lookback_scan_determinismE0ELb0ELb0ES3_PKdPddZZZN2at6native31launch_logcumsumexp_cuda_kernelERKNSB_10TensorBaseESF_lENKUlvE_clEvENKUlvE_clEvEUlddE_dEEDaPvRmT3_T4_T5_mT6_P12ihipStream_tbENKUlT_T0_E_clISt17integral_constantIbLb1EESW_EEDaSR_SS_EUlSR_E0_NS1_11comp_targetILNS1_3genE10ELNS1_11target_archE1201ELNS1_3gpuE5ELNS1_3repE0EEENS1_30default_config_static_selectorELNS0_4arch9wavefront6targetE0EEEvT1_.has_recursion, 0
	.set _ZN7rocprim17ROCPRIM_400000_NS6detail17trampoline_kernelINS0_14default_configENS1_20scan_config_selectorIdEEZZNS1_9scan_implILNS1_25lookback_scan_determinismE0ELb0ELb0ES3_PKdPddZZZN2at6native31launch_logcumsumexp_cuda_kernelERKNSB_10TensorBaseESF_lENKUlvE_clEvENKUlvE_clEvEUlddE_dEEDaPvRmT3_T4_T5_mT6_P12ihipStream_tbENKUlT_T0_E_clISt17integral_constantIbLb1EESW_EEDaSR_SS_EUlSR_E0_NS1_11comp_targetILNS1_3genE10ELNS1_11target_archE1201ELNS1_3gpuE5ELNS1_3repE0EEENS1_30default_config_static_selectorELNS0_4arch9wavefront6targetE0EEEvT1_.has_indirect_call, 0
	.section	.AMDGPU.csdata,"",@progbits
; Kernel info:
; codeLenInByte = 0
; TotalNumSgprs: 0
; NumVgprs: 0
; ScratchSize: 0
; MemoryBound: 0
; FloatMode: 240
; IeeeMode: 1
; LDSByteSize: 0 bytes/workgroup (compile time only)
; SGPRBlocks: 0
; VGPRBlocks: 0
; NumSGPRsForWavesPerEU: 1
; NumVGPRsForWavesPerEU: 1
; Occupancy: 16
; WaveLimiterHint : 0
; COMPUTE_PGM_RSRC2:SCRATCH_EN: 0
; COMPUTE_PGM_RSRC2:USER_SGPR: 6
; COMPUTE_PGM_RSRC2:TRAP_HANDLER: 0
; COMPUTE_PGM_RSRC2:TGID_X_EN: 1
; COMPUTE_PGM_RSRC2:TGID_Y_EN: 0
; COMPUTE_PGM_RSRC2:TGID_Z_EN: 0
; COMPUTE_PGM_RSRC2:TIDIG_COMP_CNT: 0
	.section	.text._ZN7rocprim17ROCPRIM_400000_NS6detail17trampoline_kernelINS0_14default_configENS1_20scan_config_selectorIdEEZZNS1_9scan_implILNS1_25lookback_scan_determinismE0ELb0ELb0ES3_PKdPddZZZN2at6native31launch_logcumsumexp_cuda_kernelERKNSB_10TensorBaseESF_lENKUlvE_clEvENKUlvE_clEvEUlddE_dEEDaPvRmT3_T4_T5_mT6_P12ihipStream_tbENKUlT_T0_E_clISt17integral_constantIbLb1EESW_EEDaSR_SS_EUlSR_E0_NS1_11comp_targetILNS1_3genE10ELNS1_11target_archE1200ELNS1_3gpuE4ELNS1_3repE0EEENS1_30default_config_static_selectorELNS0_4arch9wavefront6targetE0EEEvT1_,"axG",@progbits,_ZN7rocprim17ROCPRIM_400000_NS6detail17trampoline_kernelINS0_14default_configENS1_20scan_config_selectorIdEEZZNS1_9scan_implILNS1_25lookback_scan_determinismE0ELb0ELb0ES3_PKdPddZZZN2at6native31launch_logcumsumexp_cuda_kernelERKNSB_10TensorBaseESF_lENKUlvE_clEvENKUlvE_clEvEUlddE_dEEDaPvRmT3_T4_T5_mT6_P12ihipStream_tbENKUlT_T0_E_clISt17integral_constantIbLb1EESW_EEDaSR_SS_EUlSR_E0_NS1_11comp_targetILNS1_3genE10ELNS1_11target_archE1200ELNS1_3gpuE4ELNS1_3repE0EEENS1_30default_config_static_selectorELNS0_4arch9wavefront6targetE0EEEvT1_,comdat
	.globl	_ZN7rocprim17ROCPRIM_400000_NS6detail17trampoline_kernelINS0_14default_configENS1_20scan_config_selectorIdEEZZNS1_9scan_implILNS1_25lookback_scan_determinismE0ELb0ELb0ES3_PKdPddZZZN2at6native31launch_logcumsumexp_cuda_kernelERKNSB_10TensorBaseESF_lENKUlvE_clEvENKUlvE_clEvEUlddE_dEEDaPvRmT3_T4_T5_mT6_P12ihipStream_tbENKUlT_T0_E_clISt17integral_constantIbLb1EESW_EEDaSR_SS_EUlSR_E0_NS1_11comp_targetILNS1_3genE10ELNS1_11target_archE1200ELNS1_3gpuE4ELNS1_3repE0EEENS1_30default_config_static_selectorELNS0_4arch9wavefront6targetE0EEEvT1_ ; -- Begin function _ZN7rocprim17ROCPRIM_400000_NS6detail17trampoline_kernelINS0_14default_configENS1_20scan_config_selectorIdEEZZNS1_9scan_implILNS1_25lookback_scan_determinismE0ELb0ELb0ES3_PKdPddZZZN2at6native31launch_logcumsumexp_cuda_kernelERKNSB_10TensorBaseESF_lENKUlvE_clEvENKUlvE_clEvEUlddE_dEEDaPvRmT3_T4_T5_mT6_P12ihipStream_tbENKUlT_T0_E_clISt17integral_constantIbLb1EESW_EEDaSR_SS_EUlSR_E0_NS1_11comp_targetILNS1_3genE10ELNS1_11target_archE1200ELNS1_3gpuE4ELNS1_3repE0EEENS1_30default_config_static_selectorELNS0_4arch9wavefront6targetE0EEEvT1_
	.p2align	8
	.type	_ZN7rocprim17ROCPRIM_400000_NS6detail17trampoline_kernelINS0_14default_configENS1_20scan_config_selectorIdEEZZNS1_9scan_implILNS1_25lookback_scan_determinismE0ELb0ELb0ES3_PKdPddZZZN2at6native31launch_logcumsumexp_cuda_kernelERKNSB_10TensorBaseESF_lENKUlvE_clEvENKUlvE_clEvEUlddE_dEEDaPvRmT3_T4_T5_mT6_P12ihipStream_tbENKUlT_T0_E_clISt17integral_constantIbLb1EESW_EEDaSR_SS_EUlSR_E0_NS1_11comp_targetILNS1_3genE10ELNS1_11target_archE1200ELNS1_3gpuE4ELNS1_3repE0EEENS1_30default_config_static_selectorELNS0_4arch9wavefront6targetE0EEEvT1_,@function
_ZN7rocprim17ROCPRIM_400000_NS6detail17trampoline_kernelINS0_14default_configENS1_20scan_config_selectorIdEEZZNS1_9scan_implILNS1_25lookback_scan_determinismE0ELb0ELb0ES3_PKdPddZZZN2at6native31launch_logcumsumexp_cuda_kernelERKNSB_10TensorBaseESF_lENKUlvE_clEvENKUlvE_clEvEUlddE_dEEDaPvRmT3_T4_T5_mT6_P12ihipStream_tbENKUlT_T0_E_clISt17integral_constantIbLb1EESW_EEDaSR_SS_EUlSR_E0_NS1_11comp_targetILNS1_3genE10ELNS1_11target_archE1200ELNS1_3gpuE4ELNS1_3repE0EEENS1_30default_config_static_selectorELNS0_4arch9wavefront6targetE0EEEvT1_: ; @_ZN7rocprim17ROCPRIM_400000_NS6detail17trampoline_kernelINS0_14default_configENS1_20scan_config_selectorIdEEZZNS1_9scan_implILNS1_25lookback_scan_determinismE0ELb0ELb0ES3_PKdPddZZZN2at6native31launch_logcumsumexp_cuda_kernelERKNSB_10TensorBaseESF_lENKUlvE_clEvENKUlvE_clEvEUlddE_dEEDaPvRmT3_T4_T5_mT6_P12ihipStream_tbENKUlT_T0_E_clISt17integral_constantIbLb1EESW_EEDaSR_SS_EUlSR_E0_NS1_11comp_targetILNS1_3genE10ELNS1_11target_archE1200ELNS1_3gpuE4ELNS1_3repE0EEENS1_30default_config_static_selectorELNS0_4arch9wavefront6targetE0EEEvT1_
; %bb.0:
	.section	.rodata,"a",@progbits
	.p2align	6, 0x0
	.amdhsa_kernel _ZN7rocprim17ROCPRIM_400000_NS6detail17trampoline_kernelINS0_14default_configENS1_20scan_config_selectorIdEEZZNS1_9scan_implILNS1_25lookback_scan_determinismE0ELb0ELb0ES3_PKdPddZZZN2at6native31launch_logcumsumexp_cuda_kernelERKNSB_10TensorBaseESF_lENKUlvE_clEvENKUlvE_clEvEUlddE_dEEDaPvRmT3_T4_T5_mT6_P12ihipStream_tbENKUlT_T0_E_clISt17integral_constantIbLb1EESW_EEDaSR_SS_EUlSR_E0_NS1_11comp_targetILNS1_3genE10ELNS1_11target_archE1200ELNS1_3gpuE4ELNS1_3repE0EEENS1_30default_config_static_selectorELNS0_4arch9wavefront6targetE0EEEvT1_
		.amdhsa_group_segment_fixed_size 0
		.amdhsa_private_segment_fixed_size 0
		.amdhsa_kernarg_size 40
		.amdhsa_user_sgpr_count 6
		.amdhsa_user_sgpr_private_segment_buffer 1
		.amdhsa_user_sgpr_dispatch_ptr 0
		.amdhsa_user_sgpr_queue_ptr 0
		.amdhsa_user_sgpr_kernarg_segment_ptr 1
		.amdhsa_user_sgpr_dispatch_id 0
		.amdhsa_user_sgpr_flat_scratch_init 0
		.amdhsa_user_sgpr_private_segment_size 0
		.amdhsa_wavefront_size32 1
		.amdhsa_uses_dynamic_stack 0
		.amdhsa_system_sgpr_private_segment_wavefront_offset 0
		.amdhsa_system_sgpr_workgroup_id_x 1
		.amdhsa_system_sgpr_workgroup_id_y 0
		.amdhsa_system_sgpr_workgroup_id_z 0
		.amdhsa_system_sgpr_workgroup_info 0
		.amdhsa_system_vgpr_workitem_id 0
		.amdhsa_next_free_vgpr 1
		.amdhsa_next_free_sgpr 1
		.amdhsa_reserve_vcc 0
		.amdhsa_reserve_flat_scratch 0
		.amdhsa_float_round_mode_32 0
		.amdhsa_float_round_mode_16_64 0
		.amdhsa_float_denorm_mode_32 3
		.amdhsa_float_denorm_mode_16_64 3
		.amdhsa_dx10_clamp 1
		.amdhsa_ieee_mode 1
		.amdhsa_fp16_overflow 0
		.amdhsa_workgroup_processor_mode 1
		.amdhsa_memory_ordered 1
		.amdhsa_forward_progress 1
		.amdhsa_shared_vgpr_count 0
		.amdhsa_exception_fp_ieee_invalid_op 0
		.amdhsa_exception_fp_denorm_src 0
		.amdhsa_exception_fp_ieee_div_zero 0
		.amdhsa_exception_fp_ieee_overflow 0
		.amdhsa_exception_fp_ieee_underflow 0
		.amdhsa_exception_fp_ieee_inexact 0
		.amdhsa_exception_int_div_zero 0
	.end_amdhsa_kernel
	.section	.text._ZN7rocprim17ROCPRIM_400000_NS6detail17trampoline_kernelINS0_14default_configENS1_20scan_config_selectorIdEEZZNS1_9scan_implILNS1_25lookback_scan_determinismE0ELb0ELb0ES3_PKdPddZZZN2at6native31launch_logcumsumexp_cuda_kernelERKNSB_10TensorBaseESF_lENKUlvE_clEvENKUlvE_clEvEUlddE_dEEDaPvRmT3_T4_T5_mT6_P12ihipStream_tbENKUlT_T0_E_clISt17integral_constantIbLb1EESW_EEDaSR_SS_EUlSR_E0_NS1_11comp_targetILNS1_3genE10ELNS1_11target_archE1200ELNS1_3gpuE4ELNS1_3repE0EEENS1_30default_config_static_selectorELNS0_4arch9wavefront6targetE0EEEvT1_,"axG",@progbits,_ZN7rocprim17ROCPRIM_400000_NS6detail17trampoline_kernelINS0_14default_configENS1_20scan_config_selectorIdEEZZNS1_9scan_implILNS1_25lookback_scan_determinismE0ELb0ELb0ES3_PKdPddZZZN2at6native31launch_logcumsumexp_cuda_kernelERKNSB_10TensorBaseESF_lENKUlvE_clEvENKUlvE_clEvEUlddE_dEEDaPvRmT3_T4_T5_mT6_P12ihipStream_tbENKUlT_T0_E_clISt17integral_constantIbLb1EESW_EEDaSR_SS_EUlSR_E0_NS1_11comp_targetILNS1_3genE10ELNS1_11target_archE1200ELNS1_3gpuE4ELNS1_3repE0EEENS1_30default_config_static_selectorELNS0_4arch9wavefront6targetE0EEEvT1_,comdat
.Lfunc_end43:
	.size	_ZN7rocprim17ROCPRIM_400000_NS6detail17trampoline_kernelINS0_14default_configENS1_20scan_config_selectorIdEEZZNS1_9scan_implILNS1_25lookback_scan_determinismE0ELb0ELb0ES3_PKdPddZZZN2at6native31launch_logcumsumexp_cuda_kernelERKNSB_10TensorBaseESF_lENKUlvE_clEvENKUlvE_clEvEUlddE_dEEDaPvRmT3_T4_T5_mT6_P12ihipStream_tbENKUlT_T0_E_clISt17integral_constantIbLb1EESW_EEDaSR_SS_EUlSR_E0_NS1_11comp_targetILNS1_3genE10ELNS1_11target_archE1200ELNS1_3gpuE4ELNS1_3repE0EEENS1_30default_config_static_selectorELNS0_4arch9wavefront6targetE0EEEvT1_, .Lfunc_end43-_ZN7rocprim17ROCPRIM_400000_NS6detail17trampoline_kernelINS0_14default_configENS1_20scan_config_selectorIdEEZZNS1_9scan_implILNS1_25lookback_scan_determinismE0ELb0ELb0ES3_PKdPddZZZN2at6native31launch_logcumsumexp_cuda_kernelERKNSB_10TensorBaseESF_lENKUlvE_clEvENKUlvE_clEvEUlddE_dEEDaPvRmT3_T4_T5_mT6_P12ihipStream_tbENKUlT_T0_E_clISt17integral_constantIbLb1EESW_EEDaSR_SS_EUlSR_E0_NS1_11comp_targetILNS1_3genE10ELNS1_11target_archE1200ELNS1_3gpuE4ELNS1_3repE0EEENS1_30default_config_static_selectorELNS0_4arch9wavefront6targetE0EEEvT1_
                                        ; -- End function
	.set _ZN7rocprim17ROCPRIM_400000_NS6detail17trampoline_kernelINS0_14default_configENS1_20scan_config_selectorIdEEZZNS1_9scan_implILNS1_25lookback_scan_determinismE0ELb0ELb0ES3_PKdPddZZZN2at6native31launch_logcumsumexp_cuda_kernelERKNSB_10TensorBaseESF_lENKUlvE_clEvENKUlvE_clEvEUlddE_dEEDaPvRmT3_T4_T5_mT6_P12ihipStream_tbENKUlT_T0_E_clISt17integral_constantIbLb1EESW_EEDaSR_SS_EUlSR_E0_NS1_11comp_targetILNS1_3genE10ELNS1_11target_archE1200ELNS1_3gpuE4ELNS1_3repE0EEENS1_30default_config_static_selectorELNS0_4arch9wavefront6targetE0EEEvT1_.num_vgpr, 0
	.set _ZN7rocprim17ROCPRIM_400000_NS6detail17trampoline_kernelINS0_14default_configENS1_20scan_config_selectorIdEEZZNS1_9scan_implILNS1_25lookback_scan_determinismE0ELb0ELb0ES3_PKdPddZZZN2at6native31launch_logcumsumexp_cuda_kernelERKNSB_10TensorBaseESF_lENKUlvE_clEvENKUlvE_clEvEUlddE_dEEDaPvRmT3_T4_T5_mT6_P12ihipStream_tbENKUlT_T0_E_clISt17integral_constantIbLb1EESW_EEDaSR_SS_EUlSR_E0_NS1_11comp_targetILNS1_3genE10ELNS1_11target_archE1200ELNS1_3gpuE4ELNS1_3repE0EEENS1_30default_config_static_selectorELNS0_4arch9wavefront6targetE0EEEvT1_.num_agpr, 0
	.set _ZN7rocprim17ROCPRIM_400000_NS6detail17trampoline_kernelINS0_14default_configENS1_20scan_config_selectorIdEEZZNS1_9scan_implILNS1_25lookback_scan_determinismE0ELb0ELb0ES3_PKdPddZZZN2at6native31launch_logcumsumexp_cuda_kernelERKNSB_10TensorBaseESF_lENKUlvE_clEvENKUlvE_clEvEUlddE_dEEDaPvRmT3_T4_T5_mT6_P12ihipStream_tbENKUlT_T0_E_clISt17integral_constantIbLb1EESW_EEDaSR_SS_EUlSR_E0_NS1_11comp_targetILNS1_3genE10ELNS1_11target_archE1200ELNS1_3gpuE4ELNS1_3repE0EEENS1_30default_config_static_selectorELNS0_4arch9wavefront6targetE0EEEvT1_.numbered_sgpr, 0
	.set _ZN7rocprim17ROCPRIM_400000_NS6detail17trampoline_kernelINS0_14default_configENS1_20scan_config_selectorIdEEZZNS1_9scan_implILNS1_25lookback_scan_determinismE0ELb0ELb0ES3_PKdPddZZZN2at6native31launch_logcumsumexp_cuda_kernelERKNSB_10TensorBaseESF_lENKUlvE_clEvENKUlvE_clEvEUlddE_dEEDaPvRmT3_T4_T5_mT6_P12ihipStream_tbENKUlT_T0_E_clISt17integral_constantIbLb1EESW_EEDaSR_SS_EUlSR_E0_NS1_11comp_targetILNS1_3genE10ELNS1_11target_archE1200ELNS1_3gpuE4ELNS1_3repE0EEENS1_30default_config_static_selectorELNS0_4arch9wavefront6targetE0EEEvT1_.num_named_barrier, 0
	.set _ZN7rocprim17ROCPRIM_400000_NS6detail17trampoline_kernelINS0_14default_configENS1_20scan_config_selectorIdEEZZNS1_9scan_implILNS1_25lookback_scan_determinismE0ELb0ELb0ES3_PKdPddZZZN2at6native31launch_logcumsumexp_cuda_kernelERKNSB_10TensorBaseESF_lENKUlvE_clEvENKUlvE_clEvEUlddE_dEEDaPvRmT3_T4_T5_mT6_P12ihipStream_tbENKUlT_T0_E_clISt17integral_constantIbLb1EESW_EEDaSR_SS_EUlSR_E0_NS1_11comp_targetILNS1_3genE10ELNS1_11target_archE1200ELNS1_3gpuE4ELNS1_3repE0EEENS1_30default_config_static_selectorELNS0_4arch9wavefront6targetE0EEEvT1_.private_seg_size, 0
	.set _ZN7rocprim17ROCPRIM_400000_NS6detail17trampoline_kernelINS0_14default_configENS1_20scan_config_selectorIdEEZZNS1_9scan_implILNS1_25lookback_scan_determinismE0ELb0ELb0ES3_PKdPddZZZN2at6native31launch_logcumsumexp_cuda_kernelERKNSB_10TensorBaseESF_lENKUlvE_clEvENKUlvE_clEvEUlddE_dEEDaPvRmT3_T4_T5_mT6_P12ihipStream_tbENKUlT_T0_E_clISt17integral_constantIbLb1EESW_EEDaSR_SS_EUlSR_E0_NS1_11comp_targetILNS1_3genE10ELNS1_11target_archE1200ELNS1_3gpuE4ELNS1_3repE0EEENS1_30default_config_static_selectorELNS0_4arch9wavefront6targetE0EEEvT1_.uses_vcc, 0
	.set _ZN7rocprim17ROCPRIM_400000_NS6detail17trampoline_kernelINS0_14default_configENS1_20scan_config_selectorIdEEZZNS1_9scan_implILNS1_25lookback_scan_determinismE0ELb0ELb0ES3_PKdPddZZZN2at6native31launch_logcumsumexp_cuda_kernelERKNSB_10TensorBaseESF_lENKUlvE_clEvENKUlvE_clEvEUlddE_dEEDaPvRmT3_T4_T5_mT6_P12ihipStream_tbENKUlT_T0_E_clISt17integral_constantIbLb1EESW_EEDaSR_SS_EUlSR_E0_NS1_11comp_targetILNS1_3genE10ELNS1_11target_archE1200ELNS1_3gpuE4ELNS1_3repE0EEENS1_30default_config_static_selectorELNS0_4arch9wavefront6targetE0EEEvT1_.uses_flat_scratch, 0
	.set _ZN7rocprim17ROCPRIM_400000_NS6detail17trampoline_kernelINS0_14default_configENS1_20scan_config_selectorIdEEZZNS1_9scan_implILNS1_25lookback_scan_determinismE0ELb0ELb0ES3_PKdPddZZZN2at6native31launch_logcumsumexp_cuda_kernelERKNSB_10TensorBaseESF_lENKUlvE_clEvENKUlvE_clEvEUlddE_dEEDaPvRmT3_T4_T5_mT6_P12ihipStream_tbENKUlT_T0_E_clISt17integral_constantIbLb1EESW_EEDaSR_SS_EUlSR_E0_NS1_11comp_targetILNS1_3genE10ELNS1_11target_archE1200ELNS1_3gpuE4ELNS1_3repE0EEENS1_30default_config_static_selectorELNS0_4arch9wavefront6targetE0EEEvT1_.has_dyn_sized_stack, 0
	.set _ZN7rocprim17ROCPRIM_400000_NS6detail17trampoline_kernelINS0_14default_configENS1_20scan_config_selectorIdEEZZNS1_9scan_implILNS1_25lookback_scan_determinismE0ELb0ELb0ES3_PKdPddZZZN2at6native31launch_logcumsumexp_cuda_kernelERKNSB_10TensorBaseESF_lENKUlvE_clEvENKUlvE_clEvEUlddE_dEEDaPvRmT3_T4_T5_mT6_P12ihipStream_tbENKUlT_T0_E_clISt17integral_constantIbLb1EESW_EEDaSR_SS_EUlSR_E0_NS1_11comp_targetILNS1_3genE10ELNS1_11target_archE1200ELNS1_3gpuE4ELNS1_3repE0EEENS1_30default_config_static_selectorELNS0_4arch9wavefront6targetE0EEEvT1_.has_recursion, 0
	.set _ZN7rocprim17ROCPRIM_400000_NS6detail17trampoline_kernelINS0_14default_configENS1_20scan_config_selectorIdEEZZNS1_9scan_implILNS1_25lookback_scan_determinismE0ELb0ELb0ES3_PKdPddZZZN2at6native31launch_logcumsumexp_cuda_kernelERKNSB_10TensorBaseESF_lENKUlvE_clEvENKUlvE_clEvEUlddE_dEEDaPvRmT3_T4_T5_mT6_P12ihipStream_tbENKUlT_T0_E_clISt17integral_constantIbLb1EESW_EEDaSR_SS_EUlSR_E0_NS1_11comp_targetILNS1_3genE10ELNS1_11target_archE1200ELNS1_3gpuE4ELNS1_3repE0EEENS1_30default_config_static_selectorELNS0_4arch9wavefront6targetE0EEEvT1_.has_indirect_call, 0
	.section	.AMDGPU.csdata,"",@progbits
; Kernel info:
; codeLenInByte = 0
; TotalNumSgprs: 0
; NumVgprs: 0
; ScratchSize: 0
; MemoryBound: 0
; FloatMode: 240
; IeeeMode: 1
; LDSByteSize: 0 bytes/workgroup (compile time only)
; SGPRBlocks: 0
; VGPRBlocks: 0
; NumSGPRsForWavesPerEU: 1
; NumVGPRsForWavesPerEU: 1
; Occupancy: 16
; WaveLimiterHint : 0
; COMPUTE_PGM_RSRC2:SCRATCH_EN: 0
; COMPUTE_PGM_RSRC2:USER_SGPR: 6
; COMPUTE_PGM_RSRC2:TRAP_HANDLER: 0
; COMPUTE_PGM_RSRC2:TGID_X_EN: 1
; COMPUTE_PGM_RSRC2:TGID_Y_EN: 0
; COMPUTE_PGM_RSRC2:TGID_Z_EN: 0
; COMPUTE_PGM_RSRC2:TIDIG_COMP_CNT: 0
	.section	.text._ZN7rocprim17ROCPRIM_400000_NS6detail17trampoline_kernelINS0_14default_configENS1_20scan_config_selectorIdEEZZNS1_9scan_implILNS1_25lookback_scan_determinismE0ELb0ELb0ES3_PKdPddZZZN2at6native31launch_logcumsumexp_cuda_kernelERKNSB_10TensorBaseESF_lENKUlvE_clEvENKUlvE_clEvEUlddE_dEEDaPvRmT3_T4_T5_mT6_P12ihipStream_tbENKUlT_T0_E_clISt17integral_constantIbLb1EESW_EEDaSR_SS_EUlSR_E0_NS1_11comp_targetILNS1_3genE9ELNS1_11target_archE1100ELNS1_3gpuE3ELNS1_3repE0EEENS1_30default_config_static_selectorELNS0_4arch9wavefront6targetE0EEEvT1_,"axG",@progbits,_ZN7rocprim17ROCPRIM_400000_NS6detail17trampoline_kernelINS0_14default_configENS1_20scan_config_selectorIdEEZZNS1_9scan_implILNS1_25lookback_scan_determinismE0ELb0ELb0ES3_PKdPddZZZN2at6native31launch_logcumsumexp_cuda_kernelERKNSB_10TensorBaseESF_lENKUlvE_clEvENKUlvE_clEvEUlddE_dEEDaPvRmT3_T4_T5_mT6_P12ihipStream_tbENKUlT_T0_E_clISt17integral_constantIbLb1EESW_EEDaSR_SS_EUlSR_E0_NS1_11comp_targetILNS1_3genE9ELNS1_11target_archE1100ELNS1_3gpuE3ELNS1_3repE0EEENS1_30default_config_static_selectorELNS0_4arch9wavefront6targetE0EEEvT1_,comdat
	.globl	_ZN7rocprim17ROCPRIM_400000_NS6detail17trampoline_kernelINS0_14default_configENS1_20scan_config_selectorIdEEZZNS1_9scan_implILNS1_25lookback_scan_determinismE0ELb0ELb0ES3_PKdPddZZZN2at6native31launch_logcumsumexp_cuda_kernelERKNSB_10TensorBaseESF_lENKUlvE_clEvENKUlvE_clEvEUlddE_dEEDaPvRmT3_T4_T5_mT6_P12ihipStream_tbENKUlT_T0_E_clISt17integral_constantIbLb1EESW_EEDaSR_SS_EUlSR_E0_NS1_11comp_targetILNS1_3genE9ELNS1_11target_archE1100ELNS1_3gpuE3ELNS1_3repE0EEENS1_30default_config_static_selectorELNS0_4arch9wavefront6targetE0EEEvT1_ ; -- Begin function _ZN7rocprim17ROCPRIM_400000_NS6detail17trampoline_kernelINS0_14default_configENS1_20scan_config_selectorIdEEZZNS1_9scan_implILNS1_25lookback_scan_determinismE0ELb0ELb0ES3_PKdPddZZZN2at6native31launch_logcumsumexp_cuda_kernelERKNSB_10TensorBaseESF_lENKUlvE_clEvENKUlvE_clEvEUlddE_dEEDaPvRmT3_T4_T5_mT6_P12ihipStream_tbENKUlT_T0_E_clISt17integral_constantIbLb1EESW_EEDaSR_SS_EUlSR_E0_NS1_11comp_targetILNS1_3genE9ELNS1_11target_archE1100ELNS1_3gpuE3ELNS1_3repE0EEENS1_30default_config_static_selectorELNS0_4arch9wavefront6targetE0EEEvT1_
	.p2align	8
	.type	_ZN7rocprim17ROCPRIM_400000_NS6detail17trampoline_kernelINS0_14default_configENS1_20scan_config_selectorIdEEZZNS1_9scan_implILNS1_25lookback_scan_determinismE0ELb0ELb0ES3_PKdPddZZZN2at6native31launch_logcumsumexp_cuda_kernelERKNSB_10TensorBaseESF_lENKUlvE_clEvENKUlvE_clEvEUlddE_dEEDaPvRmT3_T4_T5_mT6_P12ihipStream_tbENKUlT_T0_E_clISt17integral_constantIbLb1EESW_EEDaSR_SS_EUlSR_E0_NS1_11comp_targetILNS1_3genE9ELNS1_11target_archE1100ELNS1_3gpuE3ELNS1_3repE0EEENS1_30default_config_static_selectorELNS0_4arch9wavefront6targetE0EEEvT1_,@function
_ZN7rocprim17ROCPRIM_400000_NS6detail17trampoline_kernelINS0_14default_configENS1_20scan_config_selectorIdEEZZNS1_9scan_implILNS1_25lookback_scan_determinismE0ELb0ELb0ES3_PKdPddZZZN2at6native31launch_logcumsumexp_cuda_kernelERKNSB_10TensorBaseESF_lENKUlvE_clEvENKUlvE_clEvEUlddE_dEEDaPvRmT3_T4_T5_mT6_P12ihipStream_tbENKUlT_T0_E_clISt17integral_constantIbLb1EESW_EEDaSR_SS_EUlSR_E0_NS1_11comp_targetILNS1_3genE9ELNS1_11target_archE1100ELNS1_3gpuE3ELNS1_3repE0EEENS1_30default_config_static_selectorELNS0_4arch9wavefront6targetE0EEEvT1_: ; @_ZN7rocprim17ROCPRIM_400000_NS6detail17trampoline_kernelINS0_14default_configENS1_20scan_config_selectorIdEEZZNS1_9scan_implILNS1_25lookback_scan_determinismE0ELb0ELb0ES3_PKdPddZZZN2at6native31launch_logcumsumexp_cuda_kernelERKNSB_10TensorBaseESF_lENKUlvE_clEvENKUlvE_clEvEUlddE_dEEDaPvRmT3_T4_T5_mT6_P12ihipStream_tbENKUlT_T0_E_clISt17integral_constantIbLb1EESW_EEDaSR_SS_EUlSR_E0_NS1_11comp_targetILNS1_3genE9ELNS1_11target_archE1100ELNS1_3gpuE3ELNS1_3repE0EEENS1_30default_config_static_selectorELNS0_4arch9wavefront6targetE0EEEvT1_
; %bb.0:
	.section	.rodata,"a",@progbits
	.p2align	6, 0x0
	.amdhsa_kernel _ZN7rocprim17ROCPRIM_400000_NS6detail17trampoline_kernelINS0_14default_configENS1_20scan_config_selectorIdEEZZNS1_9scan_implILNS1_25lookback_scan_determinismE0ELb0ELb0ES3_PKdPddZZZN2at6native31launch_logcumsumexp_cuda_kernelERKNSB_10TensorBaseESF_lENKUlvE_clEvENKUlvE_clEvEUlddE_dEEDaPvRmT3_T4_T5_mT6_P12ihipStream_tbENKUlT_T0_E_clISt17integral_constantIbLb1EESW_EEDaSR_SS_EUlSR_E0_NS1_11comp_targetILNS1_3genE9ELNS1_11target_archE1100ELNS1_3gpuE3ELNS1_3repE0EEENS1_30default_config_static_selectorELNS0_4arch9wavefront6targetE0EEEvT1_
		.amdhsa_group_segment_fixed_size 0
		.amdhsa_private_segment_fixed_size 0
		.amdhsa_kernarg_size 40
		.amdhsa_user_sgpr_count 6
		.amdhsa_user_sgpr_private_segment_buffer 1
		.amdhsa_user_sgpr_dispatch_ptr 0
		.amdhsa_user_sgpr_queue_ptr 0
		.amdhsa_user_sgpr_kernarg_segment_ptr 1
		.amdhsa_user_sgpr_dispatch_id 0
		.amdhsa_user_sgpr_flat_scratch_init 0
		.amdhsa_user_sgpr_private_segment_size 0
		.amdhsa_wavefront_size32 1
		.amdhsa_uses_dynamic_stack 0
		.amdhsa_system_sgpr_private_segment_wavefront_offset 0
		.amdhsa_system_sgpr_workgroup_id_x 1
		.amdhsa_system_sgpr_workgroup_id_y 0
		.amdhsa_system_sgpr_workgroup_id_z 0
		.amdhsa_system_sgpr_workgroup_info 0
		.amdhsa_system_vgpr_workitem_id 0
		.amdhsa_next_free_vgpr 1
		.amdhsa_next_free_sgpr 1
		.amdhsa_reserve_vcc 0
		.amdhsa_reserve_flat_scratch 0
		.amdhsa_float_round_mode_32 0
		.amdhsa_float_round_mode_16_64 0
		.amdhsa_float_denorm_mode_32 3
		.amdhsa_float_denorm_mode_16_64 3
		.amdhsa_dx10_clamp 1
		.amdhsa_ieee_mode 1
		.amdhsa_fp16_overflow 0
		.amdhsa_workgroup_processor_mode 1
		.amdhsa_memory_ordered 1
		.amdhsa_forward_progress 1
		.amdhsa_shared_vgpr_count 0
		.amdhsa_exception_fp_ieee_invalid_op 0
		.amdhsa_exception_fp_denorm_src 0
		.amdhsa_exception_fp_ieee_div_zero 0
		.amdhsa_exception_fp_ieee_overflow 0
		.amdhsa_exception_fp_ieee_underflow 0
		.amdhsa_exception_fp_ieee_inexact 0
		.amdhsa_exception_int_div_zero 0
	.end_amdhsa_kernel
	.section	.text._ZN7rocprim17ROCPRIM_400000_NS6detail17trampoline_kernelINS0_14default_configENS1_20scan_config_selectorIdEEZZNS1_9scan_implILNS1_25lookback_scan_determinismE0ELb0ELb0ES3_PKdPddZZZN2at6native31launch_logcumsumexp_cuda_kernelERKNSB_10TensorBaseESF_lENKUlvE_clEvENKUlvE_clEvEUlddE_dEEDaPvRmT3_T4_T5_mT6_P12ihipStream_tbENKUlT_T0_E_clISt17integral_constantIbLb1EESW_EEDaSR_SS_EUlSR_E0_NS1_11comp_targetILNS1_3genE9ELNS1_11target_archE1100ELNS1_3gpuE3ELNS1_3repE0EEENS1_30default_config_static_selectorELNS0_4arch9wavefront6targetE0EEEvT1_,"axG",@progbits,_ZN7rocprim17ROCPRIM_400000_NS6detail17trampoline_kernelINS0_14default_configENS1_20scan_config_selectorIdEEZZNS1_9scan_implILNS1_25lookback_scan_determinismE0ELb0ELb0ES3_PKdPddZZZN2at6native31launch_logcumsumexp_cuda_kernelERKNSB_10TensorBaseESF_lENKUlvE_clEvENKUlvE_clEvEUlddE_dEEDaPvRmT3_T4_T5_mT6_P12ihipStream_tbENKUlT_T0_E_clISt17integral_constantIbLb1EESW_EEDaSR_SS_EUlSR_E0_NS1_11comp_targetILNS1_3genE9ELNS1_11target_archE1100ELNS1_3gpuE3ELNS1_3repE0EEENS1_30default_config_static_selectorELNS0_4arch9wavefront6targetE0EEEvT1_,comdat
.Lfunc_end44:
	.size	_ZN7rocprim17ROCPRIM_400000_NS6detail17trampoline_kernelINS0_14default_configENS1_20scan_config_selectorIdEEZZNS1_9scan_implILNS1_25lookback_scan_determinismE0ELb0ELb0ES3_PKdPddZZZN2at6native31launch_logcumsumexp_cuda_kernelERKNSB_10TensorBaseESF_lENKUlvE_clEvENKUlvE_clEvEUlddE_dEEDaPvRmT3_T4_T5_mT6_P12ihipStream_tbENKUlT_T0_E_clISt17integral_constantIbLb1EESW_EEDaSR_SS_EUlSR_E0_NS1_11comp_targetILNS1_3genE9ELNS1_11target_archE1100ELNS1_3gpuE3ELNS1_3repE0EEENS1_30default_config_static_selectorELNS0_4arch9wavefront6targetE0EEEvT1_, .Lfunc_end44-_ZN7rocprim17ROCPRIM_400000_NS6detail17trampoline_kernelINS0_14default_configENS1_20scan_config_selectorIdEEZZNS1_9scan_implILNS1_25lookback_scan_determinismE0ELb0ELb0ES3_PKdPddZZZN2at6native31launch_logcumsumexp_cuda_kernelERKNSB_10TensorBaseESF_lENKUlvE_clEvENKUlvE_clEvEUlddE_dEEDaPvRmT3_T4_T5_mT6_P12ihipStream_tbENKUlT_T0_E_clISt17integral_constantIbLb1EESW_EEDaSR_SS_EUlSR_E0_NS1_11comp_targetILNS1_3genE9ELNS1_11target_archE1100ELNS1_3gpuE3ELNS1_3repE0EEENS1_30default_config_static_selectorELNS0_4arch9wavefront6targetE0EEEvT1_
                                        ; -- End function
	.set _ZN7rocprim17ROCPRIM_400000_NS6detail17trampoline_kernelINS0_14default_configENS1_20scan_config_selectorIdEEZZNS1_9scan_implILNS1_25lookback_scan_determinismE0ELb0ELb0ES3_PKdPddZZZN2at6native31launch_logcumsumexp_cuda_kernelERKNSB_10TensorBaseESF_lENKUlvE_clEvENKUlvE_clEvEUlddE_dEEDaPvRmT3_T4_T5_mT6_P12ihipStream_tbENKUlT_T0_E_clISt17integral_constantIbLb1EESW_EEDaSR_SS_EUlSR_E0_NS1_11comp_targetILNS1_3genE9ELNS1_11target_archE1100ELNS1_3gpuE3ELNS1_3repE0EEENS1_30default_config_static_selectorELNS0_4arch9wavefront6targetE0EEEvT1_.num_vgpr, 0
	.set _ZN7rocprim17ROCPRIM_400000_NS6detail17trampoline_kernelINS0_14default_configENS1_20scan_config_selectorIdEEZZNS1_9scan_implILNS1_25lookback_scan_determinismE0ELb0ELb0ES3_PKdPddZZZN2at6native31launch_logcumsumexp_cuda_kernelERKNSB_10TensorBaseESF_lENKUlvE_clEvENKUlvE_clEvEUlddE_dEEDaPvRmT3_T4_T5_mT6_P12ihipStream_tbENKUlT_T0_E_clISt17integral_constantIbLb1EESW_EEDaSR_SS_EUlSR_E0_NS1_11comp_targetILNS1_3genE9ELNS1_11target_archE1100ELNS1_3gpuE3ELNS1_3repE0EEENS1_30default_config_static_selectorELNS0_4arch9wavefront6targetE0EEEvT1_.num_agpr, 0
	.set _ZN7rocprim17ROCPRIM_400000_NS6detail17trampoline_kernelINS0_14default_configENS1_20scan_config_selectorIdEEZZNS1_9scan_implILNS1_25lookback_scan_determinismE0ELb0ELb0ES3_PKdPddZZZN2at6native31launch_logcumsumexp_cuda_kernelERKNSB_10TensorBaseESF_lENKUlvE_clEvENKUlvE_clEvEUlddE_dEEDaPvRmT3_T4_T5_mT6_P12ihipStream_tbENKUlT_T0_E_clISt17integral_constantIbLb1EESW_EEDaSR_SS_EUlSR_E0_NS1_11comp_targetILNS1_3genE9ELNS1_11target_archE1100ELNS1_3gpuE3ELNS1_3repE0EEENS1_30default_config_static_selectorELNS0_4arch9wavefront6targetE0EEEvT1_.numbered_sgpr, 0
	.set _ZN7rocprim17ROCPRIM_400000_NS6detail17trampoline_kernelINS0_14default_configENS1_20scan_config_selectorIdEEZZNS1_9scan_implILNS1_25lookback_scan_determinismE0ELb0ELb0ES3_PKdPddZZZN2at6native31launch_logcumsumexp_cuda_kernelERKNSB_10TensorBaseESF_lENKUlvE_clEvENKUlvE_clEvEUlddE_dEEDaPvRmT3_T4_T5_mT6_P12ihipStream_tbENKUlT_T0_E_clISt17integral_constantIbLb1EESW_EEDaSR_SS_EUlSR_E0_NS1_11comp_targetILNS1_3genE9ELNS1_11target_archE1100ELNS1_3gpuE3ELNS1_3repE0EEENS1_30default_config_static_selectorELNS0_4arch9wavefront6targetE0EEEvT1_.num_named_barrier, 0
	.set _ZN7rocprim17ROCPRIM_400000_NS6detail17trampoline_kernelINS0_14default_configENS1_20scan_config_selectorIdEEZZNS1_9scan_implILNS1_25lookback_scan_determinismE0ELb0ELb0ES3_PKdPddZZZN2at6native31launch_logcumsumexp_cuda_kernelERKNSB_10TensorBaseESF_lENKUlvE_clEvENKUlvE_clEvEUlddE_dEEDaPvRmT3_T4_T5_mT6_P12ihipStream_tbENKUlT_T0_E_clISt17integral_constantIbLb1EESW_EEDaSR_SS_EUlSR_E0_NS1_11comp_targetILNS1_3genE9ELNS1_11target_archE1100ELNS1_3gpuE3ELNS1_3repE0EEENS1_30default_config_static_selectorELNS0_4arch9wavefront6targetE0EEEvT1_.private_seg_size, 0
	.set _ZN7rocprim17ROCPRIM_400000_NS6detail17trampoline_kernelINS0_14default_configENS1_20scan_config_selectorIdEEZZNS1_9scan_implILNS1_25lookback_scan_determinismE0ELb0ELb0ES3_PKdPddZZZN2at6native31launch_logcumsumexp_cuda_kernelERKNSB_10TensorBaseESF_lENKUlvE_clEvENKUlvE_clEvEUlddE_dEEDaPvRmT3_T4_T5_mT6_P12ihipStream_tbENKUlT_T0_E_clISt17integral_constantIbLb1EESW_EEDaSR_SS_EUlSR_E0_NS1_11comp_targetILNS1_3genE9ELNS1_11target_archE1100ELNS1_3gpuE3ELNS1_3repE0EEENS1_30default_config_static_selectorELNS0_4arch9wavefront6targetE0EEEvT1_.uses_vcc, 0
	.set _ZN7rocprim17ROCPRIM_400000_NS6detail17trampoline_kernelINS0_14default_configENS1_20scan_config_selectorIdEEZZNS1_9scan_implILNS1_25lookback_scan_determinismE0ELb0ELb0ES3_PKdPddZZZN2at6native31launch_logcumsumexp_cuda_kernelERKNSB_10TensorBaseESF_lENKUlvE_clEvENKUlvE_clEvEUlddE_dEEDaPvRmT3_T4_T5_mT6_P12ihipStream_tbENKUlT_T0_E_clISt17integral_constantIbLb1EESW_EEDaSR_SS_EUlSR_E0_NS1_11comp_targetILNS1_3genE9ELNS1_11target_archE1100ELNS1_3gpuE3ELNS1_3repE0EEENS1_30default_config_static_selectorELNS0_4arch9wavefront6targetE0EEEvT1_.uses_flat_scratch, 0
	.set _ZN7rocprim17ROCPRIM_400000_NS6detail17trampoline_kernelINS0_14default_configENS1_20scan_config_selectorIdEEZZNS1_9scan_implILNS1_25lookback_scan_determinismE0ELb0ELb0ES3_PKdPddZZZN2at6native31launch_logcumsumexp_cuda_kernelERKNSB_10TensorBaseESF_lENKUlvE_clEvENKUlvE_clEvEUlddE_dEEDaPvRmT3_T4_T5_mT6_P12ihipStream_tbENKUlT_T0_E_clISt17integral_constantIbLb1EESW_EEDaSR_SS_EUlSR_E0_NS1_11comp_targetILNS1_3genE9ELNS1_11target_archE1100ELNS1_3gpuE3ELNS1_3repE0EEENS1_30default_config_static_selectorELNS0_4arch9wavefront6targetE0EEEvT1_.has_dyn_sized_stack, 0
	.set _ZN7rocprim17ROCPRIM_400000_NS6detail17trampoline_kernelINS0_14default_configENS1_20scan_config_selectorIdEEZZNS1_9scan_implILNS1_25lookback_scan_determinismE0ELb0ELb0ES3_PKdPddZZZN2at6native31launch_logcumsumexp_cuda_kernelERKNSB_10TensorBaseESF_lENKUlvE_clEvENKUlvE_clEvEUlddE_dEEDaPvRmT3_T4_T5_mT6_P12ihipStream_tbENKUlT_T0_E_clISt17integral_constantIbLb1EESW_EEDaSR_SS_EUlSR_E0_NS1_11comp_targetILNS1_3genE9ELNS1_11target_archE1100ELNS1_3gpuE3ELNS1_3repE0EEENS1_30default_config_static_selectorELNS0_4arch9wavefront6targetE0EEEvT1_.has_recursion, 0
	.set _ZN7rocprim17ROCPRIM_400000_NS6detail17trampoline_kernelINS0_14default_configENS1_20scan_config_selectorIdEEZZNS1_9scan_implILNS1_25lookback_scan_determinismE0ELb0ELb0ES3_PKdPddZZZN2at6native31launch_logcumsumexp_cuda_kernelERKNSB_10TensorBaseESF_lENKUlvE_clEvENKUlvE_clEvEUlddE_dEEDaPvRmT3_T4_T5_mT6_P12ihipStream_tbENKUlT_T0_E_clISt17integral_constantIbLb1EESW_EEDaSR_SS_EUlSR_E0_NS1_11comp_targetILNS1_3genE9ELNS1_11target_archE1100ELNS1_3gpuE3ELNS1_3repE0EEENS1_30default_config_static_selectorELNS0_4arch9wavefront6targetE0EEEvT1_.has_indirect_call, 0
	.section	.AMDGPU.csdata,"",@progbits
; Kernel info:
; codeLenInByte = 0
; TotalNumSgprs: 0
; NumVgprs: 0
; ScratchSize: 0
; MemoryBound: 0
; FloatMode: 240
; IeeeMode: 1
; LDSByteSize: 0 bytes/workgroup (compile time only)
; SGPRBlocks: 0
; VGPRBlocks: 0
; NumSGPRsForWavesPerEU: 1
; NumVGPRsForWavesPerEU: 1
; Occupancy: 16
; WaveLimiterHint : 0
; COMPUTE_PGM_RSRC2:SCRATCH_EN: 0
; COMPUTE_PGM_RSRC2:USER_SGPR: 6
; COMPUTE_PGM_RSRC2:TRAP_HANDLER: 0
; COMPUTE_PGM_RSRC2:TGID_X_EN: 1
; COMPUTE_PGM_RSRC2:TGID_Y_EN: 0
; COMPUTE_PGM_RSRC2:TGID_Z_EN: 0
; COMPUTE_PGM_RSRC2:TIDIG_COMP_CNT: 0
	.section	.text._ZN7rocprim17ROCPRIM_400000_NS6detail17trampoline_kernelINS0_14default_configENS1_20scan_config_selectorIdEEZZNS1_9scan_implILNS1_25lookback_scan_determinismE0ELb0ELb0ES3_PKdPddZZZN2at6native31launch_logcumsumexp_cuda_kernelERKNSB_10TensorBaseESF_lENKUlvE_clEvENKUlvE_clEvEUlddE_dEEDaPvRmT3_T4_T5_mT6_P12ihipStream_tbENKUlT_T0_E_clISt17integral_constantIbLb1EESW_EEDaSR_SS_EUlSR_E0_NS1_11comp_targetILNS1_3genE8ELNS1_11target_archE1030ELNS1_3gpuE2ELNS1_3repE0EEENS1_30default_config_static_selectorELNS0_4arch9wavefront6targetE0EEEvT1_,"axG",@progbits,_ZN7rocprim17ROCPRIM_400000_NS6detail17trampoline_kernelINS0_14default_configENS1_20scan_config_selectorIdEEZZNS1_9scan_implILNS1_25lookback_scan_determinismE0ELb0ELb0ES3_PKdPddZZZN2at6native31launch_logcumsumexp_cuda_kernelERKNSB_10TensorBaseESF_lENKUlvE_clEvENKUlvE_clEvEUlddE_dEEDaPvRmT3_T4_T5_mT6_P12ihipStream_tbENKUlT_T0_E_clISt17integral_constantIbLb1EESW_EEDaSR_SS_EUlSR_E0_NS1_11comp_targetILNS1_3genE8ELNS1_11target_archE1030ELNS1_3gpuE2ELNS1_3repE0EEENS1_30default_config_static_selectorELNS0_4arch9wavefront6targetE0EEEvT1_,comdat
	.globl	_ZN7rocprim17ROCPRIM_400000_NS6detail17trampoline_kernelINS0_14default_configENS1_20scan_config_selectorIdEEZZNS1_9scan_implILNS1_25lookback_scan_determinismE0ELb0ELb0ES3_PKdPddZZZN2at6native31launch_logcumsumexp_cuda_kernelERKNSB_10TensorBaseESF_lENKUlvE_clEvENKUlvE_clEvEUlddE_dEEDaPvRmT3_T4_T5_mT6_P12ihipStream_tbENKUlT_T0_E_clISt17integral_constantIbLb1EESW_EEDaSR_SS_EUlSR_E0_NS1_11comp_targetILNS1_3genE8ELNS1_11target_archE1030ELNS1_3gpuE2ELNS1_3repE0EEENS1_30default_config_static_selectorELNS0_4arch9wavefront6targetE0EEEvT1_ ; -- Begin function _ZN7rocprim17ROCPRIM_400000_NS6detail17trampoline_kernelINS0_14default_configENS1_20scan_config_selectorIdEEZZNS1_9scan_implILNS1_25lookback_scan_determinismE0ELb0ELb0ES3_PKdPddZZZN2at6native31launch_logcumsumexp_cuda_kernelERKNSB_10TensorBaseESF_lENKUlvE_clEvENKUlvE_clEvEUlddE_dEEDaPvRmT3_T4_T5_mT6_P12ihipStream_tbENKUlT_T0_E_clISt17integral_constantIbLb1EESW_EEDaSR_SS_EUlSR_E0_NS1_11comp_targetILNS1_3genE8ELNS1_11target_archE1030ELNS1_3gpuE2ELNS1_3repE0EEENS1_30default_config_static_selectorELNS0_4arch9wavefront6targetE0EEEvT1_
	.p2align	8
	.type	_ZN7rocprim17ROCPRIM_400000_NS6detail17trampoline_kernelINS0_14default_configENS1_20scan_config_selectorIdEEZZNS1_9scan_implILNS1_25lookback_scan_determinismE0ELb0ELb0ES3_PKdPddZZZN2at6native31launch_logcumsumexp_cuda_kernelERKNSB_10TensorBaseESF_lENKUlvE_clEvENKUlvE_clEvEUlddE_dEEDaPvRmT3_T4_T5_mT6_P12ihipStream_tbENKUlT_T0_E_clISt17integral_constantIbLb1EESW_EEDaSR_SS_EUlSR_E0_NS1_11comp_targetILNS1_3genE8ELNS1_11target_archE1030ELNS1_3gpuE2ELNS1_3repE0EEENS1_30default_config_static_selectorELNS0_4arch9wavefront6targetE0EEEvT1_,@function
_ZN7rocprim17ROCPRIM_400000_NS6detail17trampoline_kernelINS0_14default_configENS1_20scan_config_selectorIdEEZZNS1_9scan_implILNS1_25lookback_scan_determinismE0ELb0ELb0ES3_PKdPddZZZN2at6native31launch_logcumsumexp_cuda_kernelERKNSB_10TensorBaseESF_lENKUlvE_clEvENKUlvE_clEvEUlddE_dEEDaPvRmT3_T4_T5_mT6_P12ihipStream_tbENKUlT_T0_E_clISt17integral_constantIbLb1EESW_EEDaSR_SS_EUlSR_E0_NS1_11comp_targetILNS1_3genE8ELNS1_11target_archE1030ELNS1_3gpuE2ELNS1_3repE0EEENS1_30default_config_static_selectorELNS0_4arch9wavefront6targetE0EEEvT1_: ; @_ZN7rocprim17ROCPRIM_400000_NS6detail17trampoline_kernelINS0_14default_configENS1_20scan_config_selectorIdEEZZNS1_9scan_implILNS1_25lookback_scan_determinismE0ELb0ELb0ES3_PKdPddZZZN2at6native31launch_logcumsumexp_cuda_kernelERKNSB_10TensorBaseESF_lENKUlvE_clEvENKUlvE_clEvEUlddE_dEEDaPvRmT3_T4_T5_mT6_P12ihipStream_tbENKUlT_T0_E_clISt17integral_constantIbLb1EESW_EEDaSR_SS_EUlSR_E0_NS1_11comp_targetILNS1_3genE8ELNS1_11target_archE1030ELNS1_3gpuE2ELNS1_3repE0EEENS1_30default_config_static_selectorELNS0_4arch9wavefront6targetE0EEEvT1_
; %bb.0:
	s_load_dwordx4 s[16:19], s[4:5], 0x0
	v_lshlrev_b32_e32 v69, 3, v0
	s_waitcnt lgkmcnt(0)
	s_load_dwordx2 s[20:21], s[16:17], 0x0
	v_cmp_gt_u32_e32 vcc_lo, s18, v0
	s_waitcnt lgkmcnt(0)
	v_mov_b32_e32 v1, s20
	v_mov_b32_e32 v2, s21
	s_and_saveexec_b32 s0, vcc_lo
	s_cbranch_execz .LBB45_2
; %bb.1:
	global_load_dwordx2 v[1:2], v69, s[16:17]
.LBB45_2:
	s_or_b32 exec_lo, exec_lo, s0
	v_or_b32_e32 v3, 0x80, v0
	v_cmp_gt_u32_e64 s0, s18, v3
	v_mov_b32_e32 v3, s20
	v_mov_b32_e32 v4, s21
	s_and_saveexec_b32 s1, s0
	s_cbranch_execz .LBB45_4
; %bb.3:
	global_load_dwordx2 v[3:4], v69, s[16:17] offset:1024
.LBB45_4:
	s_or_b32 exec_lo, exec_lo, s1
	v_or_b32_e32 v7, 0x100, v0
	v_mov_b32_e32 v5, s20
	v_mov_b32_e32 v6, s21
	v_cmp_gt_u32_e64 s1, s18, v7
	s_and_saveexec_b32 s2, s1
	s_cbranch_execz .LBB45_6
; %bb.5:
	v_lshlrev_b32_e32 v5, 3, v7
	global_load_dwordx2 v[5:6], v5, s[16:17]
.LBB45_6:
	s_or_b32 exec_lo, exec_lo, s2
	v_or_b32_e32 v9, 0x180, v0
	v_mov_b32_e32 v7, s20
	v_mov_b32_e32 v8, s21
	v_cmp_gt_u32_e64 s2, s18, v9
	s_and_saveexec_b32 s3, s2
	s_cbranch_execz .LBB45_8
; %bb.7:
	v_lshlrev_b32_e32 v7, 3, v9
	global_load_dwordx2 v[7:8], v7, s[16:17]
.LBB45_8:
	;; [unrolled: 11-line block ×12, first 2 shown]
	s_or_b32 exec_lo, exec_lo, s15
	s_waitcnt vmcnt(0)
	ds_write2st64_b64 v69, v[1:2], v[3:4] offset1:2
	ds_write2st64_b64 v69, v[5:6], v[7:8] offset0:4 offset1:6
	ds_write2st64_b64 v69, v[9:10], v[11:12] offset0:8 offset1:10
	ds_write2st64_b64 v69, v[13:14], v[15:16] offset0:12 offset1:14
	ds_write2st64_b64 v69, v[17:18], v[19:20] offset0:16 offset1:18
	ds_write2st64_b64 v69, v[21:22], v[23:24] offset0:20 offset1:22
	v_mad_u32_u24 v5, 0x68, v0, v69
	ds_write2st64_b64 v69, v[25:26], v[27:28] offset0:24 offset1:26
	s_waitcnt lgkmcnt(0)
	s_barrier
	buffer_gl0_inv
	ds_read_b128 v[1:4], v5
	ds_read_b128 v[25:28], v5 offset:16
	s_waitcnt lgkmcnt(1)
	v_max_f64 v[33:34], v[3:4], v[3:4]
	v_max_f64 v[55:56], v[1:2], v[1:2]
	v_cmp_u_f64_e64 s28, v[1:2], v[1:2]
	v_cmp_u_f64_e64 s15, v[3:4], v[3:4]
	v_mov_b32_e32 v62, v2
	v_mov_b32_e32 v61, v1
	v_min_f64 v[57:58], v[55:56], v[33:34]
	v_max_f64 v[59:60], v[55:56], v[33:34]
	v_cndmask_b32_e64 v6, v57, v1, s28
	v_cndmask_b32_e64 v7, v58, v2, s28
	;; [unrolled: 1-line block ×8, first 2 shown]
	ds_read_b128 v[21:24], v5 offset:32
	ds_read_b128 v[17:20], v5 offset:48
	;; [unrolled: 1-line block ×5, first 2 shown]
	s_waitcnt lgkmcnt(0)
	v_cmp_class_f64_e64 s17, v[31:32], 0x1f8
	s_barrier
	v_cmp_neq_f64_e64 s16, v[31:32], v[29:30]
	buffer_gl0_inv
	s_or_b32 s16, s16, s17
	s_and_saveexec_b32 s22, s16
	s_cbranch_execz .LBB45_30
; %bb.29:
	v_add_f64 v[31:32], v[31:32], -v[29:30]
	s_mov_b32 s16, 0x652b82fe
	s_mov_b32 s17, 0x3ff71547
	s_mov_b32 s19, 0xbfe62e42
	s_mov_b32 s18, 0xfefa39ef
	s_mov_b32 s21, 0xbc7abc9e
	s_mov_b32 s20, 0x3b39803f
	s_mov_b32 s24, 0x6a5dcb37
	s_mov_b32 s25, 0x3e5ade15
	s_mov_b32 s26, 0xbf559e2b
	s_mov_b32 s27, 0x3fc3ab76
	v_mul_f64 v[35:36], v[31:32], s[16:17]
	s_mov_b32 s16, 0xfca7ab0c
	s_mov_b32 s17, 0x3e928af3
	v_rndne_f64_e32 v[35:36], v[35:36]
	v_fma_f64 v[37:38], v[35:36], s[18:19], v[31:32]
	v_cvt_i32_f64_e32 v41, v[35:36]
	s_mov_b32 s19, 0x3fe62e42
	v_fma_f64 v[37:38], v[35:36], s[20:21], v[37:38]
	s_mov_b32 s21, 0x3c7abc9e
	v_fma_f64 v[39:40], v[37:38], s[24:25], s[16:17]
	s_mov_b32 s16, 0x623fde64
	s_mov_b32 s17, 0x3ec71dee
	;; [unrolled: 1-line block ×4, first 2 shown]
	v_fma_f64 v[39:40], v[37:38], v[39:40], s[16:17]
	s_mov_b32 s16, 0x7c89e6b0
	s_mov_b32 s17, 0x3efa0199
	v_fma_f64 v[39:40], v[37:38], v[39:40], s[16:17]
	s_mov_b32 s16, 0x14761f6e
	s_mov_b32 s17, 0x3f2a01a0
	;; [unrolled: 3-line block ×7, first 2 shown]
	v_fma_f64 v[39:40], v[37:38], v[39:40], s[16:17]
	v_cmp_nlt_f64_e64 s16, 0x40900000, v[31:32]
	v_cmp_ngt_f64_e64 s17, 0xc090cc00, v[31:32]
	v_fma_f64 v[39:40], v[37:38], v[39:40], 1.0
	v_fma_f64 v[35:36], v[37:38], v[39:40], 1.0
	v_ldexp_f64 v[35:36], v[35:36], v41
	v_cndmask_b32_e64 v36, 0x7ff00000, v36, s16
	s_and_b32 s16, s17, s16
	v_cndmask_b32_e64 v31, 0, v35, s16
	s_mov_b32 s16, 0x55555555
	v_cndmask_b32_e64 v32, 0, v36, s17
	s_mov_b32 s17, 0x3fe55555
	v_add_f64 v[35:36], v[31:32], 1.0
	v_frexp_mant_f64_e32 v[37:38], v[35:36]
	v_frexp_exp_i32_f64_e32 v41, v[35:36]
	v_add_f64 v[39:40], v[35:36], -1.0
	v_cmp_gt_f64_e64 s16, s[16:17], v[37:38]
	v_add_f64 v[37:38], v[39:40], -v[35:36]
	v_add_f64 v[39:40], v[31:32], -v[39:40]
	v_subrev_co_ci_u32_e64 v63, null, 0, v41, s16
	v_add_f64 v[37:38], v[37:38], 1.0
	s_mov_b32 s16, 0x55555780
	v_sub_nc_u32_e32 v43, 0, v63
	v_ldexp_f64 v[35:36], v[35:36], v43
	v_add_f64 v[37:38], v[39:40], v[37:38]
	v_add_f64 v[41:42], v[35:36], 1.0
	v_add_f64 v[47:48], v[35:36], -1.0
	v_ldexp_f64 v[37:38], v[37:38], v43
	v_add_f64 v[39:40], v[41:42], -1.0
	v_add_f64 v[49:50], v[47:48], 1.0
	v_add_f64 v[39:40], v[35:36], -v[39:40]
	v_add_f64 v[35:36], v[35:36], -v[49:50]
	v_add_f64 v[39:40], v[37:38], v[39:40]
	v_add_f64 v[35:36], v[37:38], v[35:36]
	;; [unrolled: 1-line block ×4, first 2 shown]
	v_rcp_f64_e32 v[45:46], v[43:44]
	v_add_f64 v[41:42], v[43:44], -v[41:42]
	v_add_f64 v[47:48], v[49:50], -v[47:48]
	;; [unrolled: 1-line block ×3, first 2 shown]
	v_fma_f64 v[51:52], -v[43:44], v[45:46], 1.0
	v_add_f64 v[35:36], v[35:36], -v[47:48]
	v_fma_f64 v[45:46], v[51:52], v[45:46], v[45:46]
	v_fma_f64 v[37:38], -v[43:44], v[45:46], 1.0
	v_fma_f64 v[37:38], v[37:38], v[45:46], v[45:46]
	v_mul_f64 v[45:46], v[49:50], v[37:38]
	v_mul_f64 v[51:52], v[43:44], v[45:46]
	v_fma_f64 v[41:42], v[45:46], v[43:44], -v[51:52]
	v_fma_f64 v[41:42], v[45:46], v[39:40], v[41:42]
	v_add_f64 v[53:54], v[51:52], v[41:42]
	v_add_f64 v[61:62], v[49:50], -v[53:54]
	v_add_f64 v[47:48], v[53:54], -v[51:52]
	;; [unrolled: 1-line block ×5, first 2 shown]
	v_add_f64 v[35:36], v[35:36], v[49:50]
	v_add_f64 v[35:36], v[41:42], v[35:36]
	;; [unrolled: 1-line block ×3, first 2 shown]
	v_mul_f64 v[47:48], v[37:38], v[41:42]
	v_add_f64 v[53:54], v[61:62], -v[41:42]
	v_mul_f64 v[49:50], v[43:44], v[47:48]
	v_add_f64 v[35:36], v[35:36], v[53:54]
	v_fma_f64 v[43:44], v[47:48], v[43:44], -v[49:50]
	v_fma_f64 v[39:40], v[47:48], v[39:40], v[43:44]
	v_add_f64 v[43:44], v[49:50], v[39:40]
	v_add_f64 v[51:52], v[41:42], -v[43:44]
	v_add_f64 v[49:50], v[43:44], -v[49:50]
	;; [unrolled: 1-line block ×5, first 2 shown]
	v_add_f64 v[35:36], v[35:36], v[41:42]
	v_add_f64 v[41:42], v[45:46], v[47:48]
	;; [unrolled: 1-line block ×3, first 2 shown]
	v_add_f64 v[39:40], v[41:42], -v[45:46]
	v_add_f64 v[35:36], v[51:52], v[35:36]
	v_add_f64 v[39:40], v[47:48], -v[39:40]
	v_mul_f64 v[35:36], v[37:38], v[35:36]
	v_add_f64 v[35:36], v[39:40], v[35:36]
	v_add_f64 v[37:38], v[41:42], v[35:36]
	v_mul_f64 v[39:40], v[37:38], v[37:38]
	v_fma_f64 v[43:44], v[39:40], s[26:27], s[24:25]
	s_mov_b32 s24, 0xd7f4df2e
	s_mov_b32 s25, 0x3fc7474d
	v_mul_f64 v[45:46], v[37:38], v[39:40]
	v_fma_f64 v[43:44], v[39:40], v[43:44], s[24:25]
	s_mov_b32 s24, 0x16291751
	s_mov_b32 s25, 0x3fcc71c0
	v_fma_f64 v[43:44], v[39:40], v[43:44], s[24:25]
	s_mov_b32 s24, 0x9b27acf1
	s_mov_b32 s25, 0x3fd24924
	;; [unrolled: 3-line block ×3, first 2 shown]
	v_fma_f64 v[43:44], v[39:40], v[43:44], s[24:25]
	v_fma_f64 v[39:40], v[39:40], v[43:44], s[16:17]
	v_ldexp_f64 v[43:44], v[37:38], 1
	v_add_f64 v[37:38], v[37:38], -v[41:42]
	v_cmp_nge_f64_e64 s16, -1.0, v[31:32]
	v_cmp_neq_f64_e64 s17, 0x7ff00000, v[31:32]
	v_mul_f64 v[39:40], v[45:46], v[39:40]
	v_cvt_f64_i32_e32 v[45:46], v63
	v_add_f64 v[35:36], v[35:36], -v[37:38]
	s_and_b32 s16, s16, s17
	v_add_f64 v[41:42], v[43:44], v[39:40]
	v_mul_f64 v[47:48], v[45:46], s[18:19]
	v_ldexp_f64 v[35:36], v[35:36], 1
	v_add_f64 v[37:38], v[41:42], -v[43:44]
	v_fma_f64 v[43:44], v[45:46], s[18:19], -v[47:48]
	v_cmp_ngt_f64_e64 s18, -1.0, v[31:32]
	v_add_f64 v[37:38], v[39:40], -v[37:38]
	v_fma_f64 v[39:40], v[45:46], s[20:21], v[43:44]
	v_add_f64 v[35:36], v[35:36], v[37:38]
	v_add_f64 v[37:38], v[47:48], v[39:40]
	;; [unrolled: 1-line block ×3, first 2 shown]
	v_add_f64 v[47:48], v[37:38], -v[47:48]
	v_add_f64 v[45:46], v[37:38], v[43:44]
	v_add_f64 v[41:42], v[43:44], -v[41:42]
	v_add_f64 v[39:40], v[39:40], -v[47:48]
	;; [unrolled: 1-line block ×6, first 2 shown]
	v_add_f64 v[43:44], v[39:40], v[35:36]
	v_add_f64 v[37:38], v[37:38], -v[51:52]
	v_add_f64 v[37:38], v[41:42], v[37:38]
	v_add_f64 v[41:42], v[43:44], -v[39:40]
	;; [unrolled: 2-line block ×3, first 2 shown]
	v_add_f64 v[35:36], v[35:36], -v[41:42]
	v_add_f64 v[47:48], v[45:46], v[37:38]
	v_add_f64 v[39:40], v[39:40], -v[43:44]
	v_add_f64 v[41:42], v[47:48], -v[45:46]
	v_add_f64 v[35:36], v[35:36], v[39:40]
	v_add_f64 v[37:38], v[37:38], -v[41:42]
	v_add_f64 v[35:36], v[35:36], v[37:38]
	v_add_f64 v[35:36], v[47:48], v[35:36]
	v_cndmask_b32_e64 v35, 0, v35, s16
	v_cmp_neq_f64_e64 s16, -1.0, v[31:32]
	v_cndmask_b32_e64 v36, 0x7ff00000, v36, s17
	v_cndmask_b32_e64 v36, 0x7ff80000, v36, s18
	v_cndmask_b32_e64 v36, 0xfff00000, v36, s16
	v_add_f64 v[61:62], v[29:30], v[35:36]
.LBB45_30:
	s_or_b32 exec_lo, exec_lo, s22
	v_max_f64 v[29:30], v[25:26], v[25:26]
	v_max_f64 v[31:32], v[61:62], v[61:62]
	v_cmp_u_f64_e64 s17, v[61:62], v[61:62]
	v_cmp_u_f64_e64 s16, v[25:26], v[25:26]
	v_min_f64 v[35:36], v[31:32], v[29:30]
	v_max_f64 v[31:32], v[31:32], v[29:30]
	v_cndmask_b32_e64 v35, v35, v61, s17
	v_cndmask_b32_e64 v36, v36, v62, s17
	;; [unrolled: 1-line block ×8, first 2 shown]
	v_cmp_class_f64_e64 s18, v[35:36], 0x1f8
	v_cmp_neq_f64_e64 s17, v[35:36], v[31:32]
	s_or_b32 s17, s17, s18
	s_and_saveexec_b32 s24, s17
	s_cbranch_execz .LBB45_32
; %bb.31:
	v_add_f64 v[35:36], v[35:36], -v[31:32]
	s_mov_b32 s18, 0x652b82fe
	s_mov_b32 s19, 0x3ff71547
	;; [unrolled: 1-line block ×10, first 2 shown]
	v_mul_f64 v[37:38], v[35:36], s[18:19]
	s_mov_b32 s18, 0xfca7ab0c
	s_mov_b32 s19, 0x3e928af3
	v_cmp_nlt_f64_e64 s17, 0x40900000, v[35:36]
	v_rndne_f64_e32 v[37:38], v[37:38]
	v_fma_f64 v[39:40], v[37:38], s[20:21], v[35:36]
	v_cvt_i32_f64_e32 v43, v[37:38]
	s_mov_b32 s21, 0x3fe62e42
	v_fma_f64 v[39:40], v[37:38], s[22:23], v[39:40]
	s_mov_b32 s23, 0x3c7abc9e
	v_fma_f64 v[41:42], v[39:40], s[26:27], s[18:19]
	s_mov_b32 s18, 0x623fde64
	s_mov_b32 s19, 0x3ec71dee
	;; [unrolled: 1-line block ×4, first 2 shown]
	v_fma_f64 v[41:42], v[39:40], v[41:42], s[18:19]
	s_mov_b32 s18, 0x7c89e6b0
	s_mov_b32 s19, 0x3efa0199
	v_fma_f64 v[41:42], v[39:40], v[41:42], s[18:19]
	s_mov_b32 s18, 0x14761f6e
	s_mov_b32 s19, 0x3f2a01a0
	;; [unrolled: 3-line block ×7, first 2 shown]
	v_fma_f64 v[41:42], v[39:40], v[41:42], s[18:19]
	v_cmp_ngt_f64_e64 s18, 0xc090cc00, v[35:36]
	s_mov_b32 s19, 0x3fe55555
	v_fma_f64 v[41:42], v[39:40], v[41:42], 1.0
	v_fma_f64 v[37:38], v[39:40], v[41:42], 1.0
	v_ldexp_f64 v[37:38], v[37:38], v43
	v_cndmask_b32_e64 v38, 0x7ff00000, v38, s17
	s_and_b32 s17, s18, s17
	v_cndmask_b32_e64 v35, 0, v37, s17
	v_cndmask_b32_e64 v36, 0, v38, s18
	s_mov_b32 s18, 0x55555555
	v_add_f64 v[37:38], v[35:36], 1.0
	v_frexp_mant_f64_e32 v[39:40], v[37:38]
	v_frexp_exp_i32_f64_e32 v43, v[37:38]
	v_add_f64 v[41:42], v[37:38], -1.0
	v_cmp_gt_f64_e64 s17, s[18:19], v[39:40]
	s_mov_b32 s18, 0x55555780
	v_add_f64 v[39:40], v[41:42], -v[37:38]
	v_add_f64 v[41:42], v[35:36], -v[41:42]
	v_subrev_co_ci_u32_e64 v65, null, 0, v43, s17
	v_add_f64 v[39:40], v[39:40], 1.0
	v_cmp_nge_f64_e64 s17, -1.0, v[35:36]
	v_sub_nc_u32_e32 v45, 0, v65
	v_ldexp_f64 v[37:38], v[37:38], v45
	v_add_f64 v[39:40], v[41:42], v[39:40]
	v_add_f64 v[43:44], v[37:38], 1.0
	v_add_f64 v[49:50], v[37:38], -1.0
	v_ldexp_f64 v[39:40], v[39:40], v45
	v_add_f64 v[41:42], v[43:44], -1.0
	v_add_f64 v[51:52], v[49:50], 1.0
	v_add_f64 v[41:42], v[37:38], -v[41:42]
	v_add_f64 v[37:38], v[37:38], -v[51:52]
	v_add_f64 v[41:42], v[39:40], v[41:42]
	v_add_f64 v[37:38], v[39:40], v[37:38]
	;; [unrolled: 1-line block ×4, first 2 shown]
	v_rcp_f64_e32 v[47:48], v[45:46]
	v_add_f64 v[43:44], v[45:46], -v[43:44]
	v_add_f64 v[49:50], v[51:52], -v[49:50]
	;; [unrolled: 1-line block ×3, first 2 shown]
	v_fma_f64 v[53:54], -v[45:46], v[47:48], 1.0
	v_add_f64 v[37:38], v[37:38], -v[49:50]
	v_fma_f64 v[47:48], v[53:54], v[47:48], v[47:48]
	v_fma_f64 v[39:40], -v[45:46], v[47:48], 1.0
	v_fma_f64 v[39:40], v[39:40], v[47:48], v[47:48]
	v_mul_f64 v[47:48], v[51:52], v[39:40]
	v_mul_f64 v[53:54], v[45:46], v[47:48]
	v_fma_f64 v[43:44], v[47:48], v[45:46], -v[53:54]
	v_fma_f64 v[43:44], v[47:48], v[41:42], v[43:44]
	v_add_f64 v[61:62], v[53:54], v[43:44]
	v_add_f64 v[63:64], v[51:52], -v[61:62]
	v_add_f64 v[49:50], v[61:62], -v[53:54]
	;; [unrolled: 1-line block ×5, first 2 shown]
	v_add_f64 v[37:38], v[37:38], v[51:52]
	v_add_f64 v[37:38], v[43:44], v[37:38]
	;; [unrolled: 1-line block ×3, first 2 shown]
	v_mul_f64 v[49:50], v[39:40], v[43:44]
	v_add_f64 v[61:62], v[63:64], -v[43:44]
	v_mul_f64 v[51:52], v[45:46], v[49:50]
	v_add_f64 v[37:38], v[37:38], v[61:62]
	v_fma_f64 v[45:46], v[49:50], v[45:46], -v[51:52]
	v_fma_f64 v[41:42], v[49:50], v[41:42], v[45:46]
	v_add_f64 v[45:46], v[51:52], v[41:42]
	v_add_f64 v[53:54], v[43:44], -v[45:46]
	v_add_f64 v[51:52], v[45:46], -v[51:52]
	;; [unrolled: 1-line block ×5, first 2 shown]
	v_add_f64 v[37:38], v[37:38], v[43:44]
	v_add_f64 v[43:44], v[47:48], v[49:50]
	;; [unrolled: 1-line block ×3, first 2 shown]
	v_add_f64 v[41:42], v[43:44], -v[47:48]
	v_add_f64 v[37:38], v[53:54], v[37:38]
	v_add_f64 v[41:42], v[49:50], -v[41:42]
	v_mul_f64 v[37:38], v[39:40], v[37:38]
	v_add_f64 v[37:38], v[41:42], v[37:38]
	v_add_f64 v[39:40], v[43:44], v[37:38]
	v_mul_f64 v[41:42], v[39:40], v[39:40]
	v_fma_f64 v[45:46], v[41:42], s[30:31], s[26:27]
	s_mov_b32 s26, 0xd7f4df2e
	s_mov_b32 s27, 0x3fc7474d
	v_mul_f64 v[47:48], v[39:40], v[41:42]
	v_fma_f64 v[45:46], v[41:42], v[45:46], s[26:27]
	s_mov_b32 s26, 0x16291751
	s_mov_b32 s27, 0x3fcc71c0
	v_fma_f64 v[45:46], v[41:42], v[45:46], s[26:27]
	s_mov_b32 s26, 0x9b27acf1
	s_mov_b32 s27, 0x3fd24924
	;; [unrolled: 3-line block ×3, first 2 shown]
	v_fma_f64 v[45:46], v[41:42], v[45:46], s[26:27]
	v_fma_f64 v[41:42], v[41:42], v[45:46], s[18:19]
	v_ldexp_f64 v[45:46], v[39:40], 1
	v_add_f64 v[39:40], v[39:40], -v[43:44]
	v_cmp_neq_f64_e64 s18, 0x7ff00000, v[35:36]
	v_cmp_ngt_f64_e64 s19, -1.0, v[35:36]
	v_mul_f64 v[41:42], v[47:48], v[41:42]
	v_cvt_f64_i32_e32 v[47:48], v65
	v_add_f64 v[37:38], v[37:38], -v[39:40]
	s_and_b32 s17, s17, s18
	v_add_f64 v[43:44], v[45:46], v[41:42]
	v_mul_f64 v[49:50], v[47:48], s[20:21]
	v_ldexp_f64 v[37:38], v[37:38], 1
	v_add_f64 v[39:40], v[43:44], -v[45:46]
	v_fma_f64 v[45:46], v[47:48], s[20:21], -v[49:50]
	v_add_f64 v[39:40], v[41:42], -v[39:40]
	v_fma_f64 v[41:42], v[47:48], s[22:23], v[45:46]
	v_add_f64 v[37:38], v[37:38], v[39:40]
	v_add_f64 v[39:40], v[49:50], v[41:42]
	;; [unrolled: 1-line block ×3, first 2 shown]
	v_add_f64 v[49:50], v[39:40], -v[49:50]
	v_add_f64 v[47:48], v[39:40], v[45:46]
	v_add_f64 v[43:44], v[45:46], -v[43:44]
	v_add_f64 v[41:42], v[41:42], -v[49:50]
	;; [unrolled: 1-line block ×6, first 2 shown]
	v_add_f64 v[45:46], v[41:42], v[37:38]
	v_add_f64 v[39:40], v[39:40], -v[53:54]
	v_add_f64 v[39:40], v[43:44], v[39:40]
	v_add_f64 v[43:44], v[45:46], -v[41:42]
	;; [unrolled: 2-line block ×3, first 2 shown]
	v_add_f64 v[37:38], v[37:38], -v[43:44]
	v_add_f64 v[49:50], v[47:48], v[39:40]
	v_add_f64 v[41:42], v[41:42], -v[45:46]
	v_add_f64 v[43:44], v[49:50], -v[47:48]
	v_add_f64 v[37:38], v[37:38], v[41:42]
	v_add_f64 v[39:40], v[39:40], -v[43:44]
	v_add_f64 v[37:38], v[37:38], v[39:40]
	v_add_f64 v[37:38], v[49:50], v[37:38]
	v_cndmask_b32_e64 v37, 0, v37, s17
	v_cmp_neq_f64_e64 s17, -1.0, v[35:36]
	v_cndmask_b32_e64 v38, 0x7ff00000, v38, s18
	v_cndmask_b32_e64 v38, 0x7ff80000, v38, s19
	v_cndmask_b32_e64 v38, 0xfff00000, v38, s17
	v_add_f64 v[61:62], v[31:32], v[37:38]
.LBB45_32:
	s_or_b32 exec_lo, exec_lo, s24
	v_max_f64 v[31:32], v[27:28], v[27:28]
	v_max_f64 v[35:36], v[61:62], v[61:62]
	v_cmp_u_f64_e64 s18, v[61:62], v[61:62]
	v_cmp_u_f64_e64 s17, v[27:28], v[27:28]
	v_min_f64 v[37:38], v[35:36], v[31:32]
	v_max_f64 v[35:36], v[35:36], v[31:32]
	v_cndmask_b32_e64 v37, v37, v61, s18
	v_cndmask_b32_e64 v38, v38, v62, s18
	v_cndmask_b32_e64 v36, v36, v62, s18
	v_cndmask_b32_e64 v35, v35, v61, s18
	v_cndmask_b32_e64 v37, v37, v27, s17
	v_cndmask_b32_e64 v38, v38, v28, s17
	v_cndmask_b32_e64 v36, v36, v28, s17
	v_cndmask_b32_e64 v35, v35, v27, s17
	v_cmp_class_f64_e64 s19, v[37:38], 0x1f8
	v_cmp_neq_f64_e64 s18, v[37:38], v[35:36]
	s_or_b32 s18, s18, s19
	s_and_saveexec_b32 s24, s18
	s_cbranch_execz .LBB45_34
; %bb.33:
	v_add_f64 v[37:38], v[37:38], -v[35:36]
	s_mov_b32 s18, 0x652b82fe
	s_mov_b32 s19, 0x3ff71547
	;; [unrolled: 1-line block ×10, first 2 shown]
	v_mul_f64 v[39:40], v[37:38], s[18:19]
	s_mov_b32 s18, 0xfca7ab0c
	s_mov_b32 s19, 0x3e928af3
	v_rndne_f64_e32 v[39:40], v[39:40]
	v_fma_f64 v[41:42], v[39:40], s[20:21], v[37:38]
	v_cvt_i32_f64_e32 v45, v[39:40]
	s_mov_b32 s21, 0x3fe62e42
	v_fma_f64 v[41:42], v[39:40], s[22:23], v[41:42]
	s_mov_b32 s23, 0x3c7abc9e
	v_fma_f64 v[43:44], v[41:42], s[26:27], s[18:19]
	s_mov_b32 s18, 0x623fde64
	s_mov_b32 s19, 0x3ec71dee
	;; [unrolled: 1-line block ×4, first 2 shown]
	v_fma_f64 v[43:44], v[41:42], v[43:44], s[18:19]
	s_mov_b32 s18, 0x7c89e6b0
	s_mov_b32 s19, 0x3efa0199
	v_fma_f64 v[43:44], v[41:42], v[43:44], s[18:19]
	s_mov_b32 s18, 0x14761f6e
	s_mov_b32 s19, 0x3f2a01a0
	;; [unrolled: 3-line block ×7, first 2 shown]
	v_fma_f64 v[43:44], v[41:42], v[43:44], s[18:19]
	v_cmp_nlt_f64_e64 s18, 0x40900000, v[37:38]
	v_cmp_ngt_f64_e64 s19, 0xc090cc00, v[37:38]
	v_fma_f64 v[43:44], v[41:42], v[43:44], 1.0
	v_fma_f64 v[39:40], v[41:42], v[43:44], 1.0
	v_ldexp_f64 v[39:40], v[39:40], v45
	v_cndmask_b32_e64 v40, 0x7ff00000, v40, s18
	s_and_b32 s18, s19, s18
	v_cndmask_b32_e64 v37, 0, v39, s18
	s_mov_b32 s18, 0x55555555
	v_cndmask_b32_e64 v38, 0, v40, s19
	s_mov_b32 s19, 0x3fe55555
	v_add_f64 v[39:40], v[37:38], 1.0
	v_frexp_mant_f64_e32 v[41:42], v[39:40]
	v_frexp_exp_i32_f64_e32 v45, v[39:40]
	v_add_f64 v[43:44], v[39:40], -1.0
	v_cmp_gt_f64_e64 s18, s[18:19], v[41:42]
	v_add_f64 v[41:42], v[43:44], -v[39:40]
	v_add_f64 v[43:44], v[37:38], -v[43:44]
	v_subrev_co_ci_u32_e64 v67, null, 0, v45, s18
	v_add_f64 v[41:42], v[41:42], 1.0
	s_mov_b32 s18, 0x55555780
	v_sub_nc_u32_e32 v47, 0, v67
	v_ldexp_f64 v[39:40], v[39:40], v47
	v_add_f64 v[41:42], v[43:44], v[41:42]
	v_add_f64 v[45:46], v[39:40], 1.0
	v_add_f64 v[51:52], v[39:40], -1.0
	v_ldexp_f64 v[41:42], v[41:42], v47
	v_add_f64 v[43:44], v[45:46], -1.0
	v_add_f64 v[53:54], v[51:52], 1.0
	v_add_f64 v[43:44], v[39:40], -v[43:44]
	v_add_f64 v[39:40], v[39:40], -v[53:54]
	v_add_f64 v[43:44], v[41:42], v[43:44]
	v_add_f64 v[39:40], v[41:42], v[39:40]
	;; [unrolled: 1-line block ×4, first 2 shown]
	v_rcp_f64_e32 v[49:50], v[47:48]
	v_add_f64 v[45:46], v[47:48], -v[45:46]
	v_add_f64 v[51:52], v[53:54], -v[51:52]
	;; [unrolled: 1-line block ×3, first 2 shown]
	v_fma_f64 v[61:62], -v[47:48], v[49:50], 1.0
	v_add_f64 v[39:40], v[39:40], -v[51:52]
	v_fma_f64 v[49:50], v[61:62], v[49:50], v[49:50]
	v_fma_f64 v[41:42], -v[47:48], v[49:50], 1.0
	v_fma_f64 v[41:42], v[41:42], v[49:50], v[49:50]
	v_mul_f64 v[49:50], v[53:54], v[41:42]
	v_mul_f64 v[61:62], v[47:48], v[49:50]
	v_fma_f64 v[45:46], v[49:50], v[47:48], -v[61:62]
	v_fma_f64 v[45:46], v[49:50], v[43:44], v[45:46]
	v_add_f64 v[63:64], v[61:62], v[45:46]
	v_add_f64 v[65:66], v[53:54], -v[63:64]
	v_add_f64 v[51:52], v[63:64], -v[61:62]
	;; [unrolled: 1-line block ×5, first 2 shown]
	v_add_f64 v[39:40], v[39:40], v[53:54]
	v_add_f64 v[39:40], v[45:46], v[39:40]
	;; [unrolled: 1-line block ×3, first 2 shown]
	v_mul_f64 v[51:52], v[41:42], v[45:46]
	v_add_f64 v[63:64], v[65:66], -v[45:46]
	v_mul_f64 v[53:54], v[47:48], v[51:52]
	v_add_f64 v[39:40], v[39:40], v[63:64]
	v_fma_f64 v[47:48], v[51:52], v[47:48], -v[53:54]
	v_fma_f64 v[43:44], v[51:52], v[43:44], v[47:48]
	v_add_f64 v[47:48], v[53:54], v[43:44]
	v_add_f64 v[61:62], v[45:46], -v[47:48]
	v_add_f64 v[53:54], v[47:48], -v[53:54]
	;; [unrolled: 1-line block ×5, first 2 shown]
	v_add_f64 v[39:40], v[39:40], v[45:46]
	v_add_f64 v[45:46], v[49:50], v[51:52]
	;; [unrolled: 1-line block ×3, first 2 shown]
	v_add_f64 v[43:44], v[45:46], -v[49:50]
	v_add_f64 v[39:40], v[61:62], v[39:40]
	v_add_f64 v[43:44], v[51:52], -v[43:44]
	v_mul_f64 v[39:40], v[41:42], v[39:40]
	v_add_f64 v[39:40], v[43:44], v[39:40]
	v_add_f64 v[41:42], v[45:46], v[39:40]
	v_mul_f64 v[43:44], v[41:42], v[41:42]
	v_fma_f64 v[47:48], v[43:44], s[30:31], s[26:27]
	s_mov_b32 s26, 0xd7f4df2e
	s_mov_b32 s27, 0x3fc7474d
	v_mul_f64 v[49:50], v[41:42], v[43:44]
	v_fma_f64 v[47:48], v[43:44], v[47:48], s[26:27]
	s_mov_b32 s26, 0x16291751
	s_mov_b32 s27, 0x3fcc71c0
	v_fma_f64 v[47:48], v[43:44], v[47:48], s[26:27]
	s_mov_b32 s26, 0x9b27acf1
	s_mov_b32 s27, 0x3fd24924
	;; [unrolled: 3-line block ×3, first 2 shown]
	v_fma_f64 v[47:48], v[43:44], v[47:48], s[26:27]
	v_fma_f64 v[43:44], v[43:44], v[47:48], s[18:19]
	v_ldexp_f64 v[47:48], v[41:42], 1
	v_add_f64 v[41:42], v[41:42], -v[45:46]
	v_cmp_nge_f64_e64 s18, -1.0, v[37:38]
	v_cmp_neq_f64_e64 s19, 0x7ff00000, v[37:38]
	v_mul_f64 v[43:44], v[49:50], v[43:44]
	v_cvt_f64_i32_e32 v[49:50], v67
	v_add_f64 v[39:40], v[39:40], -v[41:42]
	s_and_b32 s18, s18, s19
	v_add_f64 v[45:46], v[47:48], v[43:44]
	v_mul_f64 v[51:52], v[49:50], s[20:21]
	v_ldexp_f64 v[39:40], v[39:40], 1
	v_add_f64 v[41:42], v[45:46], -v[47:48]
	v_fma_f64 v[47:48], v[49:50], s[20:21], -v[51:52]
	v_cmp_ngt_f64_e64 s20, -1.0, v[37:38]
	v_add_f64 v[41:42], v[43:44], -v[41:42]
	v_fma_f64 v[43:44], v[49:50], s[22:23], v[47:48]
	v_add_f64 v[39:40], v[39:40], v[41:42]
	v_add_f64 v[41:42], v[51:52], v[43:44]
	;; [unrolled: 1-line block ×3, first 2 shown]
	v_add_f64 v[51:52], v[41:42], -v[51:52]
	v_add_f64 v[49:50], v[41:42], v[47:48]
	v_add_f64 v[45:46], v[47:48], -v[45:46]
	v_add_f64 v[43:44], v[43:44], -v[51:52]
	;; [unrolled: 1-line block ×6, first 2 shown]
	v_add_f64 v[47:48], v[43:44], v[39:40]
	v_add_f64 v[41:42], v[41:42], -v[61:62]
	v_add_f64 v[41:42], v[45:46], v[41:42]
	v_add_f64 v[45:46], v[47:48], -v[43:44]
	;; [unrolled: 2-line block ×3, first 2 shown]
	v_add_f64 v[39:40], v[39:40], -v[45:46]
	v_add_f64 v[51:52], v[49:50], v[41:42]
	v_add_f64 v[43:44], v[43:44], -v[47:48]
	v_add_f64 v[45:46], v[51:52], -v[49:50]
	v_add_f64 v[39:40], v[39:40], v[43:44]
	v_add_f64 v[41:42], v[41:42], -v[45:46]
	v_add_f64 v[39:40], v[39:40], v[41:42]
	v_add_f64 v[39:40], v[51:52], v[39:40]
	v_cndmask_b32_e64 v39, 0, v39, s18
	v_cmp_neq_f64_e64 s18, -1.0, v[37:38]
	v_cndmask_b32_e64 v40, 0x7ff00000, v40, s19
	v_cndmask_b32_e64 v40, 0x7ff80000, v40, s20
	;; [unrolled: 1-line block ×3, first 2 shown]
	v_add_f64 v[61:62], v[35:36], v[39:40]
.LBB45_34:
	s_or_b32 exec_lo, exec_lo, s24
	v_max_f64 v[35:36], v[21:22], v[21:22]
	v_max_f64 v[37:38], v[61:62], v[61:62]
	v_cmp_u_f64_e64 s19, v[61:62], v[61:62]
	v_cmp_u_f64_e64 s18, v[21:22], v[21:22]
	v_min_f64 v[39:40], v[37:38], v[35:36]
	v_max_f64 v[37:38], v[37:38], v[35:36]
	v_cndmask_b32_e64 v39, v39, v61, s19
	v_cndmask_b32_e64 v40, v40, v62, s19
	;; [unrolled: 1-line block ×8, first 2 shown]
	v_cmp_class_f64_e64 s20, v[39:40], 0x1f8
	v_cmp_neq_f64_e64 s19, v[39:40], v[37:38]
	s_or_b32 s19, s19, s20
	s_and_saveexec_b32 s26, s19
	s_cbranch_execz .LBB45_36
; %bb.35:
	v_add_f64 v[39:40], v[39:40], -v[37:38]
	s_mov_b32 s20, 0x652b82fe
	s_mov_b32 s21, 0x3ff71547
	;; [unrolled: 1-line block ×10, first 2 shown]
	v_mul_f64 v[41:42], v[39:40], s[20:21]
	s_mov_b32 s20, 0xfca7ab0c
	s_mov_b32 s21, 0x3e928af3
	v_cmp_nlt_f64_e64 s19, 0x40900000, v[39:40]
	v_rndne_f64_e32 v[41:42], v[41:42]
	v_fma_f64 v[43:44], v[41:42], s[22:23], v[39:40]
	v_cvt_i32_f64_e32 v47, v[41:42]
	s_mov_b32 s23, 0x3fe62e42
	v_fma_f64 v[43:44], v[41:42], s[24:25], v[43:44]
	s_mov_b32 s25, 0x3c7abc9e
	v_fma_f64 v[45:46], v[43:44], s[30:31], s[20:21]
	s_mov_b32 s20, 0x623fde64
	s_mov_b32 s21, 0x3ec71dee
	s_mov_b32 s30, 0x6b47b09a
	s_mov_b32 s31, 0x3fc38538
	v_fma_f64 v[45:46], v[43:44], v[45:46], s[20:21]
	s_mov_b32 s20, 0x7c89e6b0
	s_mov_b32 s21, 0x3efa0199
	v_fma_f64 v[45:46], v[43:44], v[45:46], s[20:21]
	s_mov_b32 s20, 0x14761f6e
	s_mov_b32 s21, 0x3f2a01a0
	;; [unrolled: 3-line block ×7, first 2 shown]
	v_fma_f64 v[45:46], v[43:44], v[45:46], s[20:21]
	v_cmp_ngt_f64_e64 s20, 0xc090cc00, v[39:40]
	s_mov_b32 s21, 0x3fe55555
	v_fma_f64 v[45:46], v[43:44], v[45:46], 1.0
	v_fma_f64 v[41:42], v[43:44], v[45:46], 1.0
	v_ldexp_f64 v[41:42], v[41:42], v47
	v_cndmask_b32_e64 v42, 0x7ff00000, v42, s19
	s_and_b32 s19, s20, s19
	v_cndmask_b32_e64 v39, 0, v41, s19
	v_cndmask_b32_e64 v40, 0, v42, s20
	s_mov_b32 s20, 0x55555555
	v_add_f64 v[41:42], v[39:40], 1.0
	v_frexp_mant_f64_e32 v[43:44], v[41:42]
	v_frexp_exp_i32_f64_e32 v47, v[41:42]
	v_add_f64 v[45:46], v[41:42], -1.0
	v_cmp_gt_f64_e64 s19, s[20:21], v[43:44]
	s_mov_b32 s20, 0x55555780
	v_add_f64 v[43:44], v[45:46], -v[41:42]
	v_add_f64 v[45:46], v[39:40], -v[45:46]
	v_subrev_co_ci_u32_e64 v70, null, 0, v47, s19
	v_add_f64 v[43:44], v[43:44], 1.0
	v_cmp_nge_f64_e64 s19, -1.0, v[39:40]
	v_sub_nc_u32_e32 v49, 0, v70
	v_ldexp_f64 v[41:42], v[41:42], v49
	v_add_f64 v[43:44], v[45:46], v[43:44]
	v_add_f64 v[47:48], v[41:42], 1.0
	v_add_f64 v[53:54], v[41:42], -1.0
	v_ldexp_f64 v[43:44], v[43:44], v49
	v_add_f64 v[45:46], v[47:48], -1.0
	v_add_f64 v[61:62], v[53:54], 1.0
	v_add_f64 v[45:46], v[41:42], -v[45:46]
	v_add_f64 v[41:42], v[41:42], -v[61:62]
	v_add_f64 v[45:46], v[43:44], v[45:46]
	v_add_f64 v[41:42], v[43:44], v[41:42]
	;; [unrolled: 1-line block ×4, first 2 shown]
	v_rcp_f64_e32 v[51:52], v[49:50]
	v_add_f64 v[47:48], v[49:50], -v[47:48]
	v_add_f64 v[53:54], v[61:62], -v[53:54]
	;; [unrolled: 1-line block ×3, first 2 shown]
	v_fma_f64 v[63:64], -v[49:50], v[51:52], 1.0
	v_add_f64 v[41:42], v[41:42], -v[53:54]
	v_fma_f64 v[51:52], v[63:64], v[51:52], v[51:52]
	v_fma_f64 v[43:44], -v[49:50], v[51:52], 1.0
	v_fma_f64 v[43:44], v[43:44], v[51:52], v[51:52]
	v_mul_f64 v[51:52], v[61:62], v[43:44]
	v_mul_f64 v[63:64], v[49:50], v[51:52]
	v_fma_f64 v[47:48], v[51:52], v[49:50], -v[63:64]
	v_fma_f64 v[47:48], v[51:52], v[45:46], v[47:48]
	v_add_f64 v[65:66], v[63:64], v[47:48]
	v_add_f64 v[67:68], v[61:62], -v[65:66]
	v_add_f64 v[53:54], v[65:66], -v[63:64]
	;; [unrolled: 1-line block ×5, first 2 shown]
	v_add_f64 v[41:42], v[41:42], v[61:62]
	v_add_f64 v[41:42], v[47:48], v[41:42]
	;; [unrolled: 1-line block ×3, first 2 shown]
	v_mul_f64 v[53:54], v[43:44], v[47:48]
	v_add_f64 v[65:66], v[67:68], -v[47:48]
	v_mul_f64 v[61:62], v[49:50], v[53:54]
	v_add_f64 v[41:42], v[41:42], v[65:66]
	v_fma_f64 v[49:50], v[53:54], v[49:50], -v[61:62]
	v_fma_f64 v[45:46], v[53:54], v[45:46], v[49:50]
	v_add_f64 v[49:50], v[61:62], v[45:46]
	v_add_f64 v[63:64], v[47:48], -v[49:50]
	v_add_f64 v[61:62], v[49:50], -v[61:62]
	;; [unrolled: 1-line block ×5, first 2 shown]
	v_add_f64 v[41:42], v[41:42], v[47:48]
	v_add_f64 v[47:48], v[51:52], v[53:54]
	;; [unrolled: 1-line block ×3, first 2 shown]
	v_add_f64 v[45:46], v[47:48], -v[51:52]
	v_add_f64 v[41:42], v[63:64], v[41:42]
	v_add_f64 v[45:46], v[53:54], -v[45:46]
	v_mul_f64 v[41:42], v[43:44], v[41:42]
	v_add_f64 v[41:42], v[45:46], v[41:42]
	v_add_f64 v[43:44], v[47:48], v[41:42]
	v_mul_f64 v[45:46], v[43:44], v[43:44]
	v_fma_f64 v[49:50], v[45:46], s[34:35], s[30:31]
	s_mov_b32 s30, 0xd7f4df2e
	s_mov_b32 s31, 0x3fc7474d
	v_mul_f64 v[51:52], v[43:44], v[45:46]
	v_fma_f64 v[49:50], v[45:46], v[49:50], s[30:31]
	s_mov_b32 s30, 0x16291751
	s_mov_b32 s31, 0x3fcc71c0
	v_fma_f64 v[49:50], v[45:46], v[49:50], s[30:31]
	s_mov_b32 s30, 0x9b27acf1
	s_mov_b32 s31, 0x3fd24924
	;; [unrolled: 3-line block ×3, first 2 shown]
	v_fma_f64 v[49:50], v[45:46], v[49:50], s[30:31]
	v_fma_f64 v[45:46], v[45:46], v[49:50], s[20:21]
	v_ldexp_f64 v[49:50], v[43:44], 1
	v_add_f64 v[43:44], v[43:44], -v[47:48]
	v_cmp_neq_f64_e64 s20, 0x7ff00000, v[39:40]
	v_cmp_ngt_f64_e64 s21, -1.0, v[39:40]
	v_mul_f64 v[45:46], v[51:52], v[45:46]
	v_cvt_f64_i32_e32 v[51:52], v70
	v_add_f64 v[41:42], v[41:42], -v[43:44]
	s_and_b32 s19, s19, s20
	v_add_f64 v[47:48], v[49:50], v[45:46]
	v_mul_f64 v[53:54], v[51:52], s[22:23]
	v_ldexp_f64 v[41:42], v[41:42], 1
	v_add_f64 v[43:44], v[47:48], -v[49:50]
	v_fma_f64 v[49:50], v[51:52], s[22:23], -v[53:54]
	v_add_f64 v[43:44], v[45:46], -v[43:44]
	v_fma_f64 v[45:46], v[51:52], s[24:25], v[49:50]
	v_add_f64 v[41:42], v[41:42], v[43:44]
	v_add_f64 v[43:44], v[53:54], v[45:46]
	;; [unrolled: 1-line block ×3, first 2 shown]
	v_add_f64 v[53:54], v[43:44], -v[53:54]
	v_add_f64 v[51:52], v[43:44], v[49:50]
	v_add_f64 v[47:48], v[49:50], -v[47:48]
	v_add_f64 v[45:46], v[45:46], -v[53:54]
	;; [unrolled: 1-line block ×6, first 2 shown]
	v_add_f64 v[49:50], v[45:46], v[41:42]
	v_add_f64 v[43:44], v[43:44], -v[63:64]
	v_add_f64 v[43:44], v[47:48], v[43:44]
	v_add_f64 v[47:48], v[49:50], -v[45:46]
	;; [unrolled: 2-line block ×3, first 2 shown]
	v_add_f64 v[41:42], v[41:42], -v[47:48]
	v_add_f64 v[53:54], v[51:52], v[43:44]
	v_add_f64 v[45:46], v[45:46], -v[49:50]
	v_add_f64 v[47:48], v[53:54], -v[51:52]
	v_add_f64 v[41:42], v[41:42], v[45:46]
	v_add_f64 v[43:44], v[43:44], -v[47:48]
	v_add_f64 v[41:42], v[41:42], v[43:44]
	v_add_f64 v[41:42], v[53:54], v[41:42]
	v_cndmask_b32_e64 v41, 0, v41, s19
	v_cmp_neq_f64_e64 s19, -1.0, v[39:40]
	v_cndmask_b32_e64 v42, 0x7ff00000, v42, s20
	v_cndmask_b32_e64 v42, 0x7ff80000, v42, s21
	;; [unrolled: 1-line block ×3, first 2 shown]
	v_add_f64 v[61:62], v[37:38], v[41:42]
.LBB45_36:
	s_or_b32 exec_lo, exec_lo, s26
	v_max_f64 v[37:38], v[23:24], v[23:24]
	v_max_f64 v[39:40], v[61:62], v[61:62]
	v_cmp_u_f64_e64 s20, v[61:62], v[61:62]
	v_cmp_u_f64_e64 s19, v[23:24], v[23:24]
	v_min_f64 v[41:42], v[39:40], v[37:38]
	v_max_f64 v[39:40], v[39:40], v[37:38]
	v_cndmask_b32_e64 v41, v41, v61, s20
	v_cndmask_b32_e64 v42, v42, v62, s20
	;; [unrolled: 1-line block ×8, first 2 shown]
	v_cmp_class_f64_e64 s21, v[41:42], 0x1f8
	v_cmp_neq_f64_e64 s20, v[41:42], v[39:40]
	s_or_b32 s20, s20, s21
	s_and_saveexec_b32 s26, s20
	s_cbranch_execz .LBB45_38
; %bb.37:
	v_add_f64 v[41:42], v[41:42], -v[39:40]
	s_mov_b32 s20, 0x652b82fe
	s_mov_b32 s21, 0x3ff71547
	s_mov_b32 s23, 0xbfe62e42
	s_mov_b32 s22, 0xfefa39ef
	s_mov_b32 s25, 0xbc7abc9e
	s_mov_b32 s24, 0x3b39803f
	s_mov_b32 s30, 0x6a5dcb37
	s_mov_b32 s31, 0x3e5ade15
	s_mov_b32 s34, 0xbf559e2b
	s_mov_b32 s35, 0x3fc3ab76
	v_mul_f64 v[43:44], v[41:42], s[20:21]
	s_mov_b32 s20, 0xfca7ab0c
	s_mov_b32 s21, 0x3e928af3
	v_rndne_f64_e32 v[43:44], v[43:44]
	v_fma_f64 v[45:46], v[43:44], s[22:23], v[41:42]
	v_cvt_i32_f64_e32 v49, v[43:44]
	s_mov_b32 s23, 0x3fe62e42
	v_fma_f64 v[45:46], v[43:44], s[24:25], v[45:46]
	s_mov_b32 s25, 0x3c7abc9e
	v_fma_f64 v[47:48], v[45:46], s[30:31], s[20:21]
	s_mov_b32 s20, 0x623fde64
	s_mov_b32 s21, 0x3ec71dee
	;; [unrolled: 1-line block ×4, first 2 shown]
	v_fma_f64 v[47:48], v[45:46], v[47:48], s[20:21]
	s_mov_b32 s20, 0x7c89e6b0
	s_mov_b32 s21, 0x3efa0199
	v_fma_f64 v[47:48], v[45:46], v[47:48], s[20:21]
	s_mov_b32 s20, 0x14761f6e
	s_mov_b32 s21, 0x3f2a01a0
	;; [unrolled: 3-line block ×7, first 2 shown]
	v_fma_f64 v[47:48], v[45:46], v[47:48], s[20:21]
	v_cmp_nlt_f64_e64 s20, 0x40900000, v[41:42]
	v_cmp_ngt_f64_e64 s21, 0xc090cc00, v[41:42]
	v_fma_f64 v[47:48], v[45:46], v[47:48], 1.0
	v_fma_f64 v[43:44], v[45:46], v[47:48], 1.0
	v_ldexp_f64 v[43:44], v[43:44], v49
	v_cndmask_b32_e64 v44, 0x7ff00000, v44, s20
	s_and_b32 s20, s21, s20
	v_cndmask_b32_e64 v41, 0, v43, s20
	s_mov_b32 s20, 0x55555555
	v_cndmask_b32_e64 v42, 0, v44, s21
	s_mov_b32 s21, 0x3fe55555
	v_add_f64 v[43:44], v[41:42], 1.0
	v_frexp_mant_f64_e32 v[45:46], v[43:44]
	v_frexp_exp_i32_f64_e32 v49, v[43:44]
	v_add_f64 v[47:48], v[43:44], -1.0
	v_cmp_gt_f64_e64 s20, s[20:21], v[45:46]
	v_add_f64 v[45:46], v[47:48], -v[43:44]
	v_add_f64 v[47:48], v[41:42], -v[47:48]
	v_subrev_co_ci_u32_e64 v72, null, 0, v49, s20
	v_add_f64 v[45:46], v[45:46], 1.0
	s_mov_b32 s20, 0x55555780
	v_sub_nc_u32_e32 v51, 0, v72
	v_ldexp_f64 v[43:44], v[43:44], v51
	v_add_f64 v[45:46], v[47:48], v[45:46]
	v_add_f64 v[49:50], v[43:44], 1.0
	v_add_f64 v[61:62], v[43:44], -1.0
	v_ldexp_f64 v[45:46], v[45:46], v51
	v_add_f64 v[47:48], v[49:50], -1.0
	v_add_f64 v[63:64], v[61:62], 1.0
	v_add_f64 v[47:48], v[43:44], -v[47:48]
	v_add_f64 v[43:44], v[43:44], -v[63:64]
	v_add_f64 v[47:48], v[45:46], v[47:48]
	v_add_f64 v[43:44], v[45:46], v[43:44]
	;; [unrolled: 1-line block ×4, first 2 shown]
	v_rcp_f64_e32 v[53:54], v[51:52]
	v_add_f64 v[49:50], v[51:52], -v[49:50]
	v_add_f64 v[61:62], v[63:64], -v[61:62]
	v_add_f64 v[47:48], v[47:48], -v[49:50]
	v_fma_f64 v[65:66], -v[51:52], v[53:54], 1.0
	v_add_f64 v[43:44], v[43:44], -v[61:62]
	v_fma_f64 v[53:54], v[65:66], v[53:54], v[53:54]
	v_fma_f64 v[45:46], -v[51:52], v[53:54], 1.0
	v_fma_f64 v[45:46], v[45:46], v[53:54], v[53:54]
	v_mul_f64 v[53:54], v[63:64], v[45:46]
	v_mul_f64 v[65:66], v[51:52], v[53:54]
	v_fma_f64 v[49:50], v[53:54], v[51:52], -v[65:66]
	v_fma_f64 v[49:50], v[53:54], v[47:48], v[49:50]
	v_add_f64 v[67:68], v[65:66], v[49:50]
	v_add_f64 v[70:71], v[63:64], -v[67:68]
	v_add_f64 v[61:62], v[67:68], -v[65:66]
	;; [unrolled: 1-line block ×5, first 2 shown]
	v_add_f64 v[43:44], v[43:44], v[63:64]
	v_add_f64 v[43:44], v[49:50], v[43:44]
	;; [unrolled: 1-line block ×3, first 2 shown]
	v_mul_f64 v[61:62], v[45:46], v[49:50]
	v_add_f64 v[67:68], v[70:71], -v[49:50]
	v_mul_f64 v[63:64], v[51:52], v[61:62]
	v_add_f64 v[43:44], v[43:44], v[67:68]
	v_fma_f64 v[51:52], v[61:62], v[51:52], -v[63:64]
	v_fma_f64 v[47:48], v[61:62], v[47:48], v[51:52]
	v_add_f64 v[51:52], v[63:64], v[47:48]
	v_add_f64 v[65:66], v[49:50], -v[51:52]
	v_add_f64 v[63:64], v[51:52], -v[63:64]
	;; [unrolled: 1-line block ×5, first 2 shown]
	v_add_f64 v[43:44], v[43:44], v[49:50]
	v_add_f64 v[49:50], v[53:54], v[61:62]
	;; [unrolled: 1-line block ×3, first 2 shown]
	v_add_f64 v[47:48], v[49:50], -v[53:54]
	v_add_f64 v[43:44], v[65:66], v[43:44]
	v_add_f64 v[47:48], v[61:62], -v[47:48]
	v_mul_f64 v[43:44], v[45:46], v[43:44]
	v_add_f64 v[43:44], v[47:48], v[43:44]
	v_add_f64 v[45:46], v[49:50], v[43:44]
	v_mul_f64 v[47:48], v[45:46], v[45:46]
	v_fma_f64 v[51:52], v[47:48], s[34:35], s[30:31]
	s_mov_b32 s30, 0xd7f4df2e
	s_mov_b32 s31, 0x3fc7474d
	v_mul_f64 v[53:54], v[45:46], v[47:48]
	v_fma_f64 v[51:52], v[47:48], v[51:52], s[30:31]
	s_mov_b32 s30, 0x16291751
	s_mov_b32 s31, 0x3fcc71c0
	v_fma_f64 v[51:52], v[47:48], v[51:52], s[30:31]
	s_mov_b32 s30, 0x9b27acf1
	s_mov_b32 s31, 0x3fd24924
	;; [unrolled: 3-line block ×3, first 2 shown]
	v_fma_f64 v[51:52], v[47:48], v[51:52], s[30:31]
	v_fma_f64 v[47:48], v[47:48], v[51:52], s[20:21]
	v_ldexp_f64 v[51:52], v[45:46], 1
	v_add_f64 v[45:46], v[45:46], -v[49:50]
	v_cmp_nge_f64_e64 s20, -1.0, v[41:42]
	v_cmp_neq_f64_e64 s21, 0x7ff00000, v[41:42]
	v_mul_f64 v[47:48], v[53:54], v[47:48]
	v_cvt_f64_i32_e32 v[53:54], v72
	v_add_f64 v[43:44], v[43:44], -v[45:46]
	s_and_b32 s20, s20, s21
	v_add_f64 v[49:50], v[51:52], v[47:48]
	v_mul_f64 v[61:62], v[53:54], s[22:23]
	v_ldexp_f64 v[43:44], v[43:44], 1
	v_add_f64 v[45:46], v[49:50], -v[51:52]
	v_fma_f64 v[51:52], v[53:54], s[22:23], -v[61:62]
	v_cmp_ngt_f64_e64 s22, -1.0, v[41:42]
	v_add_f64 v[45:46], v[47:48], -v[45:46]
	v_fma_f64 v[47:48], v[53:54], s[24:25], v[51:52]
	v_add_f64 v[43:44], v[43:44], v[45:46]
	v_add_f64 v[45:46], v[61:62], v[47:48]
	;; [unrolled: 1-line block ×3, first 2 shown]
	v_add_f64 v[61:62], v[45:46], -v[61:62]
	v_add_f64 v[53:54], v[45:46], v[51:52]
	v_add_f64 v[49:50], v[51:52], -v[49:50]
	v_add_f64 v[47:48], v[47:48], -v[61:62]
	;; [unrolled: 1-line block ×6, first 2 shown]
	v_add_f64 v[51:52], v[47:48], v[43:44]
	v_add_f64 v[45:46], v[45:46], -v[65:66]
	v_add_f64 v[45:46], v[49:50], v[45:46]
	v_add_f64 v[49:50], v[51:52], -v[47:48]
	;; [unrolled: 2-line block ×3, first 2 shown]
	v_add_f64 v[43:44], v[43:44], -v[49:50]
	v_add_f64 v[61:62], v[53:54], v[45:46]
	v_add_f64 v[47:48], v[47:48], -v[51:52]
	v_add_f64 v[49:50], v[61:62], -v[53:54]
	v_add_f64 v[43:44], v[43:44], v[47:48]
	v_add_f64 v[45:46], v[45:46], -v[49:50]
	v_add_f64 v[43:44], v[43:44], v[45:46]
	v_add_f64 v[43:44], v[61:62], v[43:44]
	v_cndmask_b32_e64 v43, 0, v43, s20
	v_cmp_neq_f64_e64 s20, -1.0, v[41:42]
	v_cndmask_b32_e64 v44, 0x7ff00000, v44, s21
	v_cndmask_b32_e64 v44, 0x7ff80000, v44, s22
	;; [unrolled: 1-line block ×3, first 2 shown]
	v_add_f64 v[61:62], v[39:40], v[43:44]
.LBB45_38:
	s_or_b32 exec_lo, exec_lo, s26
	v_max_f64 v[39:40], v[17:18], v[17:18]
	v_max_f64 v[41:42], v[61:62], v[61:62]
	v_cmp_u_f64_e64 s21, v[61:62], v[61:62]
	v_cmp_u_f64_e64 s20, v[17:18], v[17:18]
	v_min_f64 v[43:44], v[41:42], v[39:40]
	v_max_f64 v[41:42], v[41:42], v[39:40]
	v_cndmask_b32_e64 v43, v43, v61, s21
	v_cndmask_b32_e64 v44, v44, v62, s21
	;; [unrolled: 1-line block ×8, first 2 shown]
	v_cmp_class_f64_e64 s22, v[43:44], 0x1f8
	v_cmp_neq_f64_e64 s21, v[43:44], v[41:42]
	s_or_b32 s21, s21, s22
	s_and_saveexec_b32 s29, s21
	s_cbranch_execz .LBB45_40
; %bb.39:
	v_add_f64 v[43:44], v[43:44], -v[41:42]
	s_mov_b32 s22, 0x652b82fe
	s_mov_b32 s23, 0x3ff71547
	s_mov_b32 s25, 0xbfe62e42
	s_mov_b32 s24, 0xfefa39ef
	s_mov_b32 s27, 0xbc7abc9e
	s_mov_b32 s26, 0x3b39803f
	s_mov_b32 s30, 0x6a5dcb37
	s_mov_b32 s31, 0x3e5ade15
	s_mov_b32 s34, 0xbf559e2b
	s_mov_b32 s35, 0x3fc3ab76
	v_mul_f64 v[45:46], v[43:44], s[22:23]
	s_mov_b32 s22, 0xfca7ab0c
	s_mov_b32 s23, 0x3e928af3
	v_cmp_nlt_f64_e64 s21, 0x40900000, v[43:44]
	v_rndne_f64_e32 v[45:46], v[45:46]
	v_fma_f64 v[47:48], v[45:46], s[24:25], v[43:44]
	v_cvt_i32_f64_e32 v51, v[45:46]
	s_mov_b32 s25, 0x3fe62e42
	v_fma_f64 v[47:48], v[45:46], s[26:27], v[47:48]
	s_mov_b32 s27, 0x3c7abc9e
	v_fma_f64 v[49:50], v[47:48], s[30:31], s[22:23]
	s_mov_b32 s22, 0x623fde64
	s_mov_b32 s23, 0x3ec71dee
	;; [unrolled: 1-line block ×4, first 2 shown]
	v_fma_f64 v[49:50], v[47:48], v[49:50], s[22:23]
	s_mov_b32 s22, 0x7c89e6b0
	s_mov_b32 s23, 0x3efa0199
	v_fma_f64 v[49:50], v[47:48], v[49:50], s[22:23]
	s_mov_b32 s22, 0x14761f6e
	s_mov_b32 s23, 0x3f2a01a0
	;; [unrolled: 3-line block ×7, first 2 shown]
	v_fma_f64 v[49:50], v[47:48], v[49:50], s[22:23]
	v_cmp_ngt_f64_e64 s22, 0xc090cc00, v[43:44]
	s_mov_b32 s23, 0x3fe55555
	v_fma_f64 v[49:50], v[47:48], v[49:50], 1.0
	v_fma_f64 v[45:46], v[47:48], v[49:50], 1.0
	v_ldexp_f64 v[45:46], v[45:46], v51
	v_cndmask_b32_e64 v46, 0x7ff00000, v46, s21
	s_and_b32 s21, s22, s21
	v_cndmask_b32_e64 v43, 0, v45, s21
	v_cndmask_b32_e64 v44, 0, v46, s22
	s_mov_b32 s22, 0x55555555
	v_add_f64 v[45:46], v[43:44], 1.0
	v_frexp_mant_f64_e32 v[47:48], v[45:46]
	v_frexp_exp_i32_f64_e32 v51, v[45:46]
	v_add_f64 v[49:50], v[45:46], -1.0
	v_cmp_gt_f64_e64 s21, s[22:23], v[47:48]
	s_mov_b32 s22, 0x55555780
	v_add_f64 v[47:48], v[49:50], -v[45:46]
	v_add_f64 v[49:50], v[43:44], -v[49:50]
	v_subrev_co_ci_u32_e64 v74, null, 0, v51, s21
	v_add_f64 v[47:48], v[47:48], 1.0
	v_cmp_nge_f64_e64 s21, -1.0, v[43:44]
	v_sub_nc_u32_e32 v53, 0, v74
	v_ldexp_f64 v[45:46], v[45:46], v53
	v_add_f64 v[47:48], v[49:50], v[47:48]
	v_add_f64 v[51:52], v[45:46], 1.0
	v_add_f64 v[63:64], v[45:46], -1.0
	v_ldexp_f64 v[47:48], v[47:48], v53
	v_add_f64 v[49:50], v[51:52], -1.0
	v_add_f64 v[65:66], v[63:64], 1.0
	v_add_f64 v[49:50], v[45:46], -v[49:50]
	v_add_f64 v[45:46], v[45:46], -v[65:66]
	v_add_f64 v[49:50], v[47:48], v[49:50]
	v_add_f64 v[45:46], v[47:48], v[45:46]
	;; [unrolled: 1-line block ×4, first 2 shown]
	v_rcp_f64_e32 v[61:62], v[53:54]
	v_add_f64 v[51:52], v[53:54], -v[51:52]
	v_add_f64 v[63:64], v[65:66], -v[63:64]
	;; [unrolled: 1-line block ×3, first 2 shown]
	v_fma_f64 v[67:68], -v[53:54], v[61:62], 1.0
	v_add_f64 v[45:46], v[45:46], -v[63:64]
	v_fma_f64 v[61:62], v[67:68], v[61:62], v[61:62]
	v_fma_f64 v[47:48], -v[53:54], v[61:62], 1.0
	v_fma_f64 v[47:48], v[47:48], v[61:62], v[61:62]
	v_mul_f64 v[61:62], v[65:66], v[47:48]
	v_mul_f64 v[67:68], v[53:54], v[61:62]
	v_fma_f64 v[51:52], v[61:62], v[53:54], -v[67:68]
	v_fma_f64 v[51:52], v[61:62], v[49:50], v[51:52]
	v_add_f64 v[70:71], v[67:68], v[51:52]
	v_add_f64 v[72:73], v[65:66], -v[70:71]
	v_add_f64 v[63:64], v[70:71], -v[67:68]
	;; [unrolled: 1-line block ×5, first 2 shown]
	v_add_f64 v[45:46], v[45:46], v[65:66]
	v_add_f64 v[45:46], v[51:52], v[45:46]
	;; [unrolled: 1-line block ×3, first 2 shown]
	v_mul_f64 v[63:64], v[47:48], v[51:52]
	v_add_f64 v[70:71], v[72:73], -v[51:52]
	v_mul_f64 v[65:66], v[53:54], v[63:64]
	v_add_f64 v[45:46], v[45:46], v[70:71]
	v_fma_f64 v[53:54], v[63:64], v[53:54], -v[65:66]
	v_fma_f64 v[49:50], v[63:64], v[49:50], v[53:54]
	v_add_f64 v[53:54], v[65:66], v[49:50]
	v_add_f64 v[67:68], v[51:52], -v[53:54]
	v_add_f64 v[65:66], v[53:54], -v[65:66]
	;; [unrolled: 1-line block ×5, first 2 shown]
	v_add_f64 v[45:46], v[45:46], v[51:52]
	v_add_f64 v[51:52], v[61:62], v[63:64]
	;; [unrolled: 1-line block ×3, first 2 shown]
	v_add_f64 v[49:50], v[51:52], -v[61:62]
	v_add_f64 v[45:46], v[67:68], v[45:46]
	v_add_f64 v[49:50], v[63:64], -v[49:50]
	v_mul_f64 v[45:46], v[47:48], v[45:46]
	v_add_f64 v[45:46], v[49:50], v[45:46]
	v_add_f64 v[47:48], v[51:52], v[45:46]
	v_mul_f64 v[49:50], v[47:48], v[47:48]
	v_fma_f64 v[53:54], v[49:50], s[34:35], s[30:31]
	s_mov_b32 s30, 0xd7f4df2e
	s_mov_b32 s31, 0x3fc7474d
	v_mul_f64 v[61:62], v[47:48], v[49:50]
	v_fma_f64 v[53:54], v[49:50], v[53:54], s[30:31]
	s_mov_b32 s30, 0x16291751
	s_mov_b32 s31, 0x3fcc71c0
	v_fma_f64 v[53:54], v[49:50], v[53:54], s[30:31]
	s_mov_b32 s30, 0x9b27acf1
	s_mov_b32 s31, 0x3fd24924
	;; [unrolled: 3-line block ×3, first 2 shown]
	v_fma_f64 v[53:54], v[49:50], v[53:54], s[30:31]
	v_fma_f64 v[49:50], v[49:50], v[53:54], s[22:23]
	v_ldexp_f64 v[53:54], v[47:48], 1
	v_add_f64 v[47:48], v[47:48], -v[51:52]
	v_cmp_neq_f64_e64 s22, 0x7ff00000, v[43:44]
	v_cmp_ngt_f64_e64 s23, -1.0, v[43:44]
	v_mul_f64 v[49:50], v[61:62], v[49:50]
	v_cvt_f64_i32_e32 v[61:62], v74
	v_add_f64 v[45:46], v[45:46], -v[47:48]
	s_and_b32 s21, s21, s22
	v_add_f64 v[51:52], v[53:54], v[49:50]
	v_mul_f64 v[63:64], v[61:62], s[24:25]
	v_ldexp_f64 v[45:46], v[45:46], 1
	v_add_f64 v[47:48], v[51:52], -v[53:54]
	v_fma_f64 v[53:54], v[61:62], s[24:25], -v[63:64]
	v_add_f64 v[47:48], v[49:50], -v[47:48]
	v_fma_f64 v[49:50], v[61:62], s[26:27], v[53:54]
	v_add_f64 v[45:46], v[45:46], v[47:48]
	v_add_f64 v[47:48], v[63:64], v[49:50]
	;; [unrolled: 1-line block ×3, first 2 shown]
	v_add_f64 v[63:64], v[47:48], -v[63:64]
	v_add_f64 v[61:62], v[47:48], v[53:54]
	v_add_f64 v[51:52], v[53:54], -v[51:52]
	v_add_f64 v[49:50], v[49:50], -v[63:64]
	v_add_f64 v[65:66], v[61:62], -v[47:48]
	v_add_f64 v[45:46], v[45:46], -v[51:52]
	v_add_f64 v[67:68], v[61:62], -v[65:66]
	v_add_f64 v[51:52], v[53:54], -v[65:66]
	v_add_f64 v[53:54], v[49:50], v[45:46]
	v_add_f64 v[47:48], v[47:48], -v[67:68]
	v_add_f64 v[47:48], v[51:52], v[47:48]
	v_add_f64 v[51:52], v[53:54], -v[49:50]
	;; [unrolled: 2-line block ×3, first 2 shown]
	v_add_f64 v[45:46], v[45:46], -v[51:52]
	v_add_f64 v[63:64], v[61:62], v[47:48]
	v_add_f64 v[49:50], v[49:50], -v[53:54]
	v_add_f64 v[51:52], v[63:64], -v[61:62]
	v_add_f64 v[45:46], v[45:46], v[49:50]
	v_add_f64 v[47:48], v[47:48], -v[51:52]
	v_add_f64 v[45:46], v[45:46], v[47:48]
	v_add_f64 v[45:46], v[63:64], v[45:46]
	v_cndmask_b32_e64 v45, 0, v45, s21
	v_cmp_neq_f64_e64 s21, -1.0, v[43:44]
	v_cndmask_b32_e64 v46, 0x7ff00000, v46, s22
	v_cndmask_b32_e64 v46, 0x7ff80000, v46, s23
	;; [unrolled: 1-line block ×3, first 2 shown]
	v_add_f64 v[61:62], v[41:42], v[45:46]
.LBB45_40:
	s_or_b32 exec_lo, exec_lo, s29
	v_max_f64 v[41:42], v[19:20], v[19:20]
	v_max_f64 v[43:44], v[61:62], v[61:62]
	v_cmp_u_f64_e64 s22, v[61:62], v[61:62]
	v_cmp_u_f64_e64 s21, v[19:20], v[19:20]
	v_min_f64 v[45:46], v[43:44], v[41:42]
	v_max_f64 v[43:44], v[43:44], v[41:42]
	v_cndmask_b32_e64 v45, v45, v61, s22
	v_cndmask_b32_e64 v46, v46, v62, s22
	;; [unrolled: 1-line block ×8, first 2 shown]
	v_cmp_class_f64_e64 s23, v[45:46], 0x1f8
	v_cmp_neq_f64_e64 s22, v[45:46], v[43:44]
	s_or_b32 s22, s22, s23
	s_and_saveexec_b32 s29, s22
	s_cbranch_execz .LBB45_42
; %bb.41:
	v_add_f64 v[45:46], v[45:46], -v[43:44]
	s_mov_b32 s22, 0x652b82fe
	s_mov_b32 s23, 0x3ff71547
	;; [unrolled: 1-line block ×10, first 2 shown]
	v_mul_f64 v[47:48], v[45:46], s[22:23]
	s_mov_b32 s22, 0xfca7ab0c
	s_mov_b32 s23, 0x3e928af3
	v_rndne_f64_e32 v[47:48], v[47:48]
	v_fma_f64 v[49:50], v[47:48], s[24:25], v[45:46]
	v_cvt_i32_f64_e32 v53, v[47:48]
	s_mov_b32 s25, 0x3fe62e42
	v_fma_f64 v[49:50], v[47:48], s[26:27], v[49:50]
	s_mov_b32 s27, 0x3c7abc9e
	v_fma_f64 v[51:52], v[49:50], s[30:31], s[22:23]
	s_mov_b32 s22, 0x623fde64
	s_mov_b32 s23, 0x3ec71dee
	;; [unrolled: 1-line block ×4, first 2 shown]
	v_fma_f64 v[51:52], v[49:50], v[51:52], s[22:23]
	s_mov_b32 s22, 0x7c89e6b0
	s_mov_b32 s23, 0x3efa0199
	v_fma_f64 v[51:52], v[49:50], v[51:52], s[22:23]
	s_mov_b32 s22, 0x14761f6e
	s_mov_b32 s23, 0x3f2a01a0
	;; [unrolled: 3-line block ×7, first 2 shown]
	v_fma_f64 v[51:52], v[49:50], v[51:52], s[22:23]
	v_cmp_nlt_f64_e64 s22, 0x40900000, v[45:46]
	v_cmp_ngt_f64_e64 s23, 0xc090cc00, v[45:46]
	v_fma_f64 v[51:52], v[49:50], v[51:52], 1.0
	v_fma_f64 v[47:48], v[49:50], v[51:52], 1.0
	v_ldexp_f64 v[47:48], v[47:48], v53
	v_cndmask_b32_e64 v48, 0x7ff00000, v48, s22
	s_and_b32 s22, s23, s22
	v_cndmask_b32_e64 v45, 0, v47, s22
	s_mov_b32 s22, 0x55555555
	v_cndmask_b32_e64 v46, 0, v48, s23
	s_mov_b32 s23, 0x3fe55555
	v_add_f64 v[47:48], v[45:46], 1.0
	v_frexp_mant_f64_e32 v[49:50], v[47:48]
	v_frexp_exp_i32_f64_e32 v53, v[47:48]
	v_add_f64 v[51:52], v[47:48], -1.0
	v_cmp_gt_f64_e64 s22, s[22:23], v[49:50]
	v_add_f64 v[49:50], v[51:52], -v[47:48]
	v_add_f64 v[51:52], v[45:46], -v[51:52]
	v_subrev_co_ci_u32_e64 v76, null, 0, v53, s22
	v_add_f64 v[49:50], v[49:50], 1.0
	s_mov_b32 s22, 0x55555780
	v_sub_nc_u32_e32 v61, 0, v76
	v_ldexp_f64 v[47:48], v[47:48], v61
	v_add_f64 v[49:50], v[51:52], v[49:50]
	v_add_f64 v[53:54], v[47:48], 1.0
	v_add_f64 v[65:66], v[47:48], -1.0
	v_ldexp_f64 v[49:50], v[49:50], v61
	v_add_f64 v[51:52], v[53:54], -1.0
	v_add_f64 v[67:68], v[65:66], 1.0
	v_add_f64 v[51:52], v[47:48], -v[51:52]
	v_add_f64 v[47:48], v[47:48], -v[67:68]
	v_add_f64 v[51:52], v[49:50], v[51:52]
	v_add_f64 v[47:48], v[49:50], v[47:48]
	;; [unrolled: 1-line block ×4, first 2 shown]
	v_rcp_f64_e32 v[63:64], v[61:62]
	v_add_f64 v[53:54], v[61:62], -v[53:54]
	v_add_f64 v[65:66], v[67:68], -v[65:66]
	;; [unrolled: 1-line block ×3, first 2 shown]
	v_fma_f64 v[70:71], -v[61:62], v[63:64], 1.0
	v_add_f64 v[47:48], v[47:48], -v[65:66]
	v_fma_f64 v[63:64], v[70:71], v[63:64], v[63:64]
	v_fma_f64 v[49:50], -v[61:62], v[63:64], 1.0
	v_fma_f64 v[49:50], v[49:50], v[63:64], v[63:64]
	v_mul_f64 v[63:64], v[67:68], v[49:50]
	v_mul_f64 v[70:71], v[61:62], v[63:64]
	v_fma_f64 v[53:54], v[63:64], v[61:62], -v[70:71]
	v_fma_f64 v[53:54], v[63:64], v[51:52], v[53:54]
	v_add_f64 v[72:73], v[70:71], v[53:54]
	v_add_f64 v[74:75], v[67:68], -v[72:73]
	v_add_f64 v[65:66], v[72:73], -v[70:71]
	;; [unrolled: 1-line block ×5, first 2 shown]
	v_add_f64 v[47:48], v[47:48], v[67:68]
	v_add_f64 v[47:48], v[53:54], v[47:48]
	;; [unrolled: 1-line block ×3, first 2 shown]
	v_mul_f64 v[65:66], v[49:50], v[53:54]
	v_add_f64 v[72:73], v[74:75], -v[53:54]
	v_mul_f64 v[67:68], v[61:62], v[65:66]
	v_add_f64 v[47:48], v[47:48], v[72:73]
	v_fma_f64 v[61:62], v[65:66], v[61:62], -v[67:68]
	v_fma_f64 v[51:52], v[65:66], v[51:52], v[61:62]
	v_add_f64 v[61:62], v[67:68], v[51:52]
	v_add_f64 v[70:71], v[53:54], -v[61:62]
	v_add_f64 v[67:68], v[61:62], -v[67:68]
	;; [unrolled: 1-line block ×5, first 2 shown]
	v_add_f64 v[47:48], v[47:48], v[53:54]
	v_add_f64 v[53:54], v[63:64], v[65:66]
	;; [unrolled: 1-line block ×3, first 2 shown]
	v_add_f64 v[51:52], v[53:54], -v[63:64]
	v_add_f64 v[47:48], v[70:71], v[47:48]
	v_add_f64 v[51:52], v[65:66], -v[51:52]
	v_mul_f64 v[47:48], v[49:50], v[47:48]
	v_add_f64 v[47:48], v[51:52], v[47:48]
	v_add_f64 v[49:50], v[53:54], v[47:48]
	v_mul_f64 v[51:52], v[49:50], v[49:50]
	v_fma_f64 v[61:62], v[51:52], s[34:35], s[30:31]
	s_mov_b32 s30, 0xd7f4df2e
	s_mov_b32 s31, 0x3fc7474d
	v_mul_f64 v[63:64], v[49:50], v[51:52]
	v_fma_f64 v[61:62], v[51:52], v[61:62], s[30:31]
	s_mov_b32 s30, 0x16291751
	s_mov_b32 s31, 0x3fcc71c0
	v_fma_f64 v[61:62], v[51:52], v[61:62], s[30:31]
	s_mov_b32 s30, 0x9b27acf1
	s_mov_b32 s31, 0x3fd24924
	;; [unrolled: 3-line block ×3, first 2 shown]
	v_fma_f64 v[61:62], v[51:52], v[61:62], s[30:31]
	v_fma_f64 v[51:52], v[51:52], v[61:62], s[22:23]
	v_ldexp_f64 v[61:62], v[49:50], 1
	v_add_f64 v[49:50], v[49:50], -v[53:54]
	v_cmp_nge_f64_e64 s22, -1.0, v[45:46]
	v_cmp_neq_f64_e64 s23, 0x7ff00000, v[45:46]
	v_mul_f64 v[51:52], v[63:64], v[51:52]
	v_cvt_f64_i32_e32 v[63:64], v76
	v_add_f64 v[47:48], v[47:48], -v[49:50]
	s_and_b32 s22, s22, s23
	v_add_f64 v[53:54], v[61:62], v[51:52]
	v_mul_f64 v[65:66], v[63:64], s[24:25]
	v_ldexp_f64 v[47:48], v[47:48], 1
	v_add_f64 v[49:50], v[53:54], -v[61:62]
	v_fma_f64 v[61:62], v[63:64], s[24:25], -v[65:66]
	v_cmp_ngt_f64_e64 s24, -1.0, v[45:46]
	v_add_f64 v[49:50], v[51:52], -v[49:50]
	v_fma_f64 v[51:52], v[63:64], s[26:27], v[61:62]
	v_add_f64 v[47:48], v[47:48], v[49:50]
	v_add_f64 v[49:50], v[65:66], v[51:52]
	;; [unrolled: 1-line block ×3, first 2 shown]
	v_add_f64 v[65:66], v[49:50], -v[65:66]
	v_add_f64 v[63:64], v[49:50], v[61:62]
	v_add_f64 v[53:54], v[61:62], -v[53:54]
	v_add_f64 v[51:52], v[51:52], -v[65:66]
	;; [unrolled: 1-line block ×6, first 2 shown]
	v_add_f64 v[61:62], v[51:52], v[47:48]
	v_add_f64 v[49:50], v[49:50], -v[70:71]
	v_add_f64 v[49:50], v[53:54], v[49:50]
	v_add_f64 v[53:54], v[61:62], -v[51:52]
	;; [unrolled: 2-line block ×3, first 2 shown]
	v_add_f64 v[47:48], v[47:48], -v[53:54]
	v_add_f64 v[65:66], v[63:64], v[49:50]
	v_add_f64 v[51:52], v[51:52], -v[61:62]
	v_add_f64 v[53:54], v[65:66], -v[63:64]
	v_add_f64 v[47:48], v[47:48], v[51:52]
	v_add_f64 v[49:50], v[49:50], -v[53:54]
	v_add_f64 v[47:48], v[47:48], v[49:50]
	v_add_f64 v[47:48], v[65:66], v[47:48]
	v_cndmask_b32_e64 v47, 0, v47, s22
	v_cmp_neq_f64_e64 s22, -1.0, v[45:46]
	v_cndmask_b32_e64 v48, 0x7ff00000, v48, s23
	v_cndmask_b32_e64 v48, 0x7ff80000, v48, s24
	;; [unrolled: 1-line block ×3, first 2 shown]
	v_add_f64 v[61:62], v[43:44], v[47:48]
.LBB45_42:
	s_or_b32 exec_lo, exec_lo, s29
	v_max_f64 v[43:44], v[13:14], v[13:14]
	v_max_f64 v[45:46], v[61:62], v[61:62]
	v_cmp_u_f64_e64 s23, v[61:62], v[61:62]
	v_cmp_u_f64_e64 s22, v[13:14], v[13:14]
	v_min_f64 v[47:48], v[45:46], v[43:44]
	v_max_f64 v[45:46], v[45:46], v[43:44]
	v_cndmask_b32_e64 v47, v47, v61, s23
	v_cndmask_b32_e64 v48, v48, v62, s23
	;; [unrolled: 1-line block ×8, first 2 shown]
	v_cmp_class_f64_e64 s24, v[47:48], 0x1f8
	v_cmp_neq_f64_e64 s23, v[47:48], v[45:46]
	s_or_b32 s23, s23, s24
	s_and_saveexec_b32 s29, s23
	s_cbranch_execz .LBB45_44
; %bb.43:
	v_add_f64 v[47:48], v[47:48], -v[45:46]
	s_mov_b32 s24, 0x652b82fe
	s_mov_b32 s25, 0x3ff71547
	s_mov_b32 s27, 0xbfe62e42
	s_mov_b32 s26, 0xfefa39ef
	s_mov_b32 s31, 0xbc7abc9e
	s_mov_b32 s30, 0x3b39803f
	s_mov_b32 s34, 0x6a5dcb37
	s_mov_b32 s35, 0x3e5ade15
	s_mov_b32 s36, 0xbf559e2b
	s_mov_b32 s37, 0x3fc3ab76
	v_mul_f64 v[49:50], v[47:48], s[24:25]
	s_mov_b32 s24, 0xfca7ab0c
	s_mov_b32 s25, 0x3e928af3
	v_cmp_nlt_f64_e64 s23, 0x40900000, v[47:48]
	v_rndne_f64_e32 v[49:50], v[49:50]
	v_fma_f64 v[51:52], v[49:50], s[26:27], v[47:48]
	v_cvt_i32_f64_e32 v61, v[49:50]
	s_mov_b32 s27, 0x3fe62e42
	v_fma_f64 v[51:52], v[49:50], s[30:31], v[51:52]
	s_mov_b32 s31, 0x3c7abc9e
	v_fma_f64 v[53:54], v[51:52], s[34:35], s[24:25]
	s_mov_b32 s24, 0x623fde64
	s_mov_b32 s25, 0x3ec71dee
	;; [unrolled: 1-line block ×4, first 2 shown]
	v_fma_f64 v[53:54], v[51:52], v[53:54], s[24:25]
	s_mov_b32 s24, 0x7c89e6b0
	s_mov_b32 s25, 0x3efa0199
	v_fma_f64 v[53:54], v[51:52], v[53:54], s[24:25]
	s_mov_b32 s24, 0x14761f6e
	s_mov_b32 s25, 0x3f2a01a0
	;; [unrolled: 3-line block ×7, first 2 shown]
	v_fma_f64 v[53:54], v[51:52], v[53:54], s[24:25]
	v_cmp_ngt_f64_e64 s24, 0xc090cc00, v[47:48]
	s_mov_b32 s25, 0x3fe55555
	v_fma_f64 v[53:54], v[51:52], v[53:54], 1.0
	v_fma_f64 v[49:50], v[51:52], v[53:54], 1.0
	v_ldexp_f64 v[49:50], v[49:50], v61
	v_cndmask_b32_e64 v50, 0x7ff00000, v50, s23
	s_and_b32 s23, s24, s23
	v_cndmask_b32_e64 v47, 0, v49, s23
	v_cndmask_b32_e64 v48, 0, v50, s24
	s_mov_b32 s24, 0x55555555
	v_add_f64 v[49:50], v[47:48], 1.0
	v_frexp_mant_f64_e32 v[51:52], v[49:50]
	v_frexp_exp_i32_f64_e32 v61, v[49:50]
	v_add_f64 v[53:54], v[49:50], -1.0
	v_cmp_gt_f64_e64 s23, s[24:25], v[51:52]
	s_mov_b32 s24, 0x55555780
	v_add_f64 v[51:52], v[53:54], -v[49:50]
	v_add_f64 v[53:54], v[47:48], -v[53:54]
	v_subrev_co_ci_u32_e64 v78, null, 0, v61, s23
	v_add_f64 v[51:52], v[51:52], 1.0
	v_cmp_nge_f64_e64 s23, -1.0, v[47:48]
	v_sub_nc_u32_e32 v63, 0, v78
	v_ldexp_f64 v[49:50], v[49:50], v63
	v_add_f64 v[51:52], v[53:54], v[51:52]
	v_add_f64 v[61:62], v[49:50], 1.0
	v_add_f64 v[67:68], v[49:50], -1.0
	v_ldexp_f64 v[51:52], v[51:52], v63
	v_add_f64 v[53:54], v[61:62], -1.0
	v_add_f64 v[70:71], v[67:68], 1.0
	v_add_f64 v[53:54], v[49:50], -v[53:54]
	v_add_f64 v[49:50], v[49:50], -v[70:71]
	v_add_f64 v[53:54], v[51:52], v[53:54]
	v_add_f64 v[49:50], v[51:52], v[49:50]
	;; [unrolled: 1-line block ×4, first 2 shown]
	v_rcp_f64_e32 v[65:66], v[63:64]
	v_add_f64 v[61:62], v[63:64], -v[61:62]
	v_add_f64 v[67:68], v[70:71], -v[67:68]
	;; [unrolled: 1-line block ×3, first 2 shown]
	v_fma_f64 v[72:73], -v[63:64], v[65:66], 1.0
	v_add_f64 v[49:50], v[49:50], -v[67:68]
	v_fma_f64 v[65:66], v[72:73], v[65:66], v[65:66]
	v_fma_f64 v[51:52], -v[63:64], v[65:66], 1.0
	v_fma_f64 v[51:52], v[51:52], v[65:66], v[65:66]
	v_mul_f64 v[65:66], v[70:71], v[51:52]
	v_mul_f64 v[72:73], v[63:64], v[65:66]
	v_fma_f64 v[61:62], v[65:66], v[63:64], -v[72:73]
	v_fma_f64 v[61:62], v[65:66], v[53:54], v[61:62]
	v_add_f64 v[74:75], v[72:73], v[61:62]
	v_add_f64 v[76:77], v[70:71], -v[74:75]
	v_add_f64 v[67:68], v[74:75], -v[72:73]
	;; [unrolled: 1-line block ×5, first 2 shown]
	v_add_f64 v[49:50], v[49:50], v[70:71]
	v_add_f64 v[49:50], v[61:62], v[49:50]
	;; [unrolled: 1-line block ×3, first 2 shown]
	v_mul_f64 v[67:68], v[51:52], v[61:62]
	v_add_f64 v[74:75], v[76:77], -v[61:62]
	v_mul_f64 v[70:71], v[63:64], v[67:68]
	v_add_f64 v[49:50], v[49:50], v[74:75]
	v_fma_f64 v[63:64], v[67:68], v[63:64], -v[70:71]
	v_fma_f64 v[53:54], v[67:68], v[53:54], v[63:64]
	v_add_f64 v[63:64], v[70:71], v[53:54]
	v_add_f64 v[72:73], v[61:62], -v[63:64]
	v_add_f64 v[70:71], v[63:64], -v[70:71]
	;; [unrolled: 1-line block ×5, first 2 shown]
	v_add_f64 v[49:50], v[49:50], v[61:62]
	v_add_f64 v[61:62], v[65:66], v[67:68]
	;; [unrolled: 1-line block ×3, first 2 shown]
	v_add_f64 v[53:54], v[61:62], -v[65:66]
	v_add_f64 v[49:50], v[72:73], v[49:50]
	v_add_f64 v[53:54], v[67:68], -v[53:54]
	v_mul_f64 v[49:50], v[51:52], v[49:50]
	v_add_f64 v[49:50], v[53:54], v[49:50]
	v_add_f64 v[51:52], v[61:62], v[49:50]
	v_mul_f64 v[53:54], v[51:52], v[51:52]
	v_fma_f64 v[63:64], v[53:54], s[36:37], s[34:35]
	s_mov_b32 s34, 0xd7f4df2e
	s_mov_b32 s35, 0x3fc7474d
	v_mul_f64 v[65:66], v[51:52], v[53:54]
	v_fma_f64 v[63:64], v[53:54], v[63:64], s[34:35]
	s_mov_b32 s34, 0x16291751
	s_mov_b32 s35, 0x3fcc71c0
	v_fma_f64 v[63:64], v[53:54], v[63:64], s[34:35]
	s_mov_b32 s34, 0x9b27acf1
	s_mov_b32 s35, 0x3fd24924
	;; [unrolled: 3-line block ×3, first 2 shown]
	v_fma_f64 v[63:64], v[53:54], v[63:64], s[34:35]
	v_fma_f64 v[53:54], v[53:54], v[63:64], s[24:25]
	v_ldexp_f64 v[63:64], v[51:52], 1
	v_add_f64 v[51:52], v[51:52], -v[61:62]
	v_cmp_neq_f64_e64 s24, 0x7ff00000, v[47:48]
	v_cmp_ngt_f64_e64 s25, -1.0, v[47:48]
	v_mul_f64 v[53:54], v[65:66], v[53:54]
	v_cvt_f64_i32_e32 v[65:66], v78
	v_add_f64 v[49:50], v[49:50], -v[51:52]
	s_and_b32 s23, s23, s24
	v_add_f64 v[61:62], v[63:64], v[53:54]
	v_mul_f64 v[67:68], v[65:66], s[26:27]
	v_ldexp_f64 v[49:50], v[49:50], 1
	v_add_f64 v[51:52], v[61:62], -v[63:64]
	v_fma_f64 v[63:64], v[65:66], s[26:27], -v[67:68]
	v_add_f64 v[51:52], v[53:54], -v[51:52]
	v_fma_f64 v[53:54], v[65:66], s[30:31], v[63:64]
	v_add_f64 v[49:50], v[49:50], v[51:52]
	v_add_f64 v[51:52], v[67:68], v[53:54]
	;; [unrolled: 1-line block ×3, first 2 shown]
	v_add_f64 v[67:68], v[51:52], -v[67:68]
	v_add_f64 v[65:66], v[51:52], v[63:64]
	v_add_f64 v[61:62], v[63:64], -v[61:62]
	v_add_f64 v[53:54], v[53:54], -v[67:68]
	;; [unrolled: 1-line block ×6, first 2 shown]
	v_add_f64 v[63:64], v[53:54], v[49:50]
	v_add_f64 v[51:52], v[51:52], -v[72:73]
	v_add_f64 v[51:52], v[61:62], v[51:52]
	v_add_f64 v[61:62], v[63:64], -v[53:54]
	;; [unrolled: 2-line block ×3, first 2 shown]
	v_add_f64 v[49:50], v[49:50], -v[61:62]
	v_add_f64 v[67:68], v[65:66], v[51:52]
	v_add_f64 v[53:54], v[53:54], -v[63:64]
	v_add_f64 v[61:62], v[67:68], -v[65:66]
	v_add_f64 v[49:50], v[49:50], v[53:54]
	v_add_f64 v[51:52], v[51:52], -v[61:62]
	v_add_f64 v[49:50], v[49:50], v[51:52]
	v_add_f64 v[49:50], v[67:68], v[49:50]
	v_cndmask_b32_e64 v49, 0, v49, s23
	v_cmp_neq_f64_e64 s23, -1.0, v[47:48]
	v_cndmask_b32_e64 v50, 0x7ff00000, v50, s24
	v_cndmask_b32_e64 v50, 0x7ff80000, v50, s25
	;; [unrolled: 1-line block ×3, first 2 shown]
	v_add_f64 v[61:62], v[45:46], v[49:50]
.LBB45_44:
	s_or_b32 exec_lo, exec_lo, s29
	v_max_f64 v[45:46], v[15:16], v[15:16]
	v_max_f64 v[47:48], v[61:62], v[61:62]
	v_cmp_u_f64_e64 s24, v[61:62], v[61:62]
	v_cmp_u_f64_e64 s23, v[15:16], v[15:16]
	v_min_f64 v[49:50], v[47:48], v[45:46]
	v_max_f64 v[47:48], v[47:48], v[45:46]
	v_cndmask_b32_e64 v49, v49, v61, s24
	v_cndmask_b32_e64 v50, v50, v62, s24
	;; [unrolled: 1-line block ×8, first 2 shown]
	v_cmp_class_f64_e64 s25, v[49:50], 0x1f8
	v_cmp_neq_f64_e64 s24, v[49:50], v[47:48]
	s_or_b32 s24, s24, s25
	s_and_saveexec_b32 s29, s24
	s_cbranch_execz .LBB45_46
; %bb.45:
	v_add_f64 v[49:50], v[49:50], -v[47:48]
	s_mov_b32 s24, 0x652b82fe
	s_mov_b32 s25, 0x3ff71547
	;; [unrolled: 1-line block ×10, first 2 shown]
	v_mul_f64 v[51:52], v[49:50], s[24:25]
	s_mov_b32 s24, 0xfca7ab0c
	s_mov_b32 s25, 0x3e928af3
	v_rndne_f64_e32 v[51:52], v[51:52]
	v_fma_f64 v[53:54], v[51:52], s[26:27], v[49:50]
	v_cvt_i32_f64_e32 v63, v[51:52]
	s_mov_b32 s27, 0x3fe62e42
	v_fma_f64 v[53:54], v[51:52], s[30:31], v[53:54]
	s_mov_b32 s31, 0x3c7abc9e
	v_fma_f64 v[61:62], v[53:54], s[34:35], s[24:25]
	s_mov_b32 s24, 0x623fde64
	s_mov_b32 s25, 0x3ec71dee
	;; [unrolled: 1-line block ×4, first 2 shown]
	v_fma_f64 v[61:62], v[53:54], v[61:62], s[24:25]
	s_mov_b32 s24, 0x7c89e6b0
	s_mov_b32 s25, 0x3efa0199
	v_fma_f64 v[61:62], v[53:54], v[61:62], s[24:25]
	s_mov_b32 s24, 0x14761f6e
	s_mov_b32 s25, 0x3f2a01a0
	;; [unrolled: 3-line block ×7, first 2 shown]
	v_fma_f64 v[61:62], v[53:54], v[61:62], s[24:25]
	v_cmp_nlt_f64_e64 s24, 0x40900000, v[49:50]
	v_cmp_ngt_f64_e64 s25, 0xc090cc00, v[49:50]
	v_fma_f64 v[61:62], v[53:54], v[61:62], 1.0
	v_fma_f64 v[51:52], v[53:54], v[61:62], 1.0
	v_ldexp_f64 v[51:52], v[51:52], v63
	v_cndmask_b32_e64 v52, 0x7ff00000, v52, s24
	s_and_b32 s24, s25, s24
	v_cndmask_b32_e64 v49, 0, v51, s24
	s_mov_b32 s24, 0x55555555
	v_cndmask_b32_e64 v50, 0, v52, s25
	s_mov_b32 s25, 0x3fe55555
	v_add_f64 v[51:52], v[49:50], 1.0
	v_frexp_mant_f64_e32 v[53:54], v[51:52]
	v_frexp_exp_i32_f64_e32 v63, v[51:52]
	v_add_f64 v[61:62], v[51:52], -1.0
	v_cmp_gt_f64_e64 s24, s[24:25], v[53:54]
	v_add_f64 v[53:54], v[61:62], -v[51:52]
	v_add_f64 v[61:62], v[49:50], -v[61:62]
	v_subrev_co_ci_u32_e64 v80, null, 0, v63, s24
	v_add_f64 v[53:54], v[53:54], 1.0
	s_mov_b32 s24, 0x55555780
	v_sub_nc_u32_e32 v65, 0, v80
	v_ldexp_f64 v[51:52], v[51:52], v65
	v_add_f64 v[53:54], v[61:62], v[53:54]
	v_add_f64 v[63:64], v[51:52], 1.0
	v_add_f64 v[70:71], v[51:52], -1.0
	v_ldexp_f64 v[53:54], v[53:54], v65
	v_add_f64 v[61:62], v[63:64], -1.0
	v_add_f64 v[72:73], v[70:71], 1.0
	v_add_f64 v[61:62], v[51:52], -v[61:62]
	v_add_f64 v[51:52], v[51:52], -v[72:73]
	v_add_f64 v[61:62], v[53:54], v[61:62]
	v_add_f64 v[51:52], v[53:54], v[51:52]
	;; [unrolled: 1-line block ×4, first 2 shown]
	v_rcp_f64_e32 v[67:68], v[65:66]
	v_add_f64 v[63:64], v[65:66], -v[63:64]
	v_add_f64 v[70:71], v[72:73], -v[70:71]
	;; [unrolled: 1-line block ×3, first 2 shown]
	v_fma_f64 v[74:75], -v[65:66], v[67:68], 1.0
	v_add_f64 v[51:52], v[51:52], -v[70:71]
	v_fma_f64 v[67:68], v[74:75], v[67:68], v[67:68]
	v_fma_f64 v[53:54], -v[65:66], v[67:68], 1.0
	v_fma_f64 v[53:54], v[53:54], v[67:68], v[67:68]
	v_mul_f64 v[67:68], v[72:73], v[53:54]
	v_mul_f64 v[74:75], v[65:66], v[67:68]
	v_fma_f64 v[63:64], v[67:68], v[65:66], -v[74:75]
	v_fma_f64 v[63:64], v[67:68], v[61:62], v[63:64]
	v_add_f64 v[76:77], v[74:75], v[63:64]
	v_add_f64 v[78:79], v[72:73], -v[76:77]
	v_add_f64 v[70:71], v[76:77], -v[74:75]
	;; [unrolled: 1-line block ×5, first 2 shown]
	v_add_f64 v[51:52], v[51:52], v[72:73]
	v_add_f64 v[51:52], v[63:64], v[51:52]
	;; [unrolled: 1-line block ×3, first 2 shown]
	v_mul_f64 v[70:71], v[53:54], v[63:64]
	v_add_f64 v[76:77], v[78:79], -v[63:64]
	v_mul_f64 v[72:73], v[65:66], v[70:71]
	v_add_f64 v[51:52], v[51:52], v[76:77]
	v_fma_f64 v[65:66], v[70:71], v[65:66], -v[72:73]
	v_fma_f64 v[61:62], v[70:71], v[61:62], v[65:66]
	v_add_f64 v[65:66], v[72:73], v[61:62]
	v_add_f64 v[74:75], v[63:64], -v[65:66]
	v_add_f64 v[72:73], v[65:66], -v[72:73]
	v_add_f64 v[63:64], v[63:64], -v[74:75]
	v_add_f64 v[61:62], v[72:73], -v[61:62]
	v_add_f64 v[63:64], v[63:64], -v[65:66]
	v_add_f64 v[51:52], v[51:52], v[63:64]
	v_add_f64 v[63:64], v[67:68], v[70:71]
	;; [unrolled: 1-line block ×3, first 2 shown]
	v_add_f64 v[61:62], v[63:64], -v[67:68]
	v_add_f64 v[51:52], v[74:75], v[51:52]
	v_add_f64 v[61:62], v[70:71], -v[61:62]
	v_mul_f64 v[51:52], v[53:54], v[51:52]
	v_add_f64 v[51:52], v[61:62], v[51:52]
	v_add_f64 v[53:54], v[63:64], v[51:52]
	v_mul_f64 v[61:62], v[53:54], v[53:54]
	v_fma_f64 v[65:66], v[61:62], s[36:37], s[34:35]
	s_mov_b32 s34, 0xd7f4df2e
	s_mov_b32 s35, 0x3fc7474d
	v_mul_f64 v[67:68], v[53:54], v[61:62]
	v_fma_f64 v[65:66], v[61:62], v[65:66], s[34:35]
	s_mov_b32 s34, 0x16291751
	s_mov_b32 s35, 0x3fcc71c0
	v_fma_f64 v[65:66], v[61:62], v[65:66], s[34:35]
	s_mov_b32 s34, 0x9b27acf1
	s_mov_b32 s35, 0x3fd24924
	;; [unrolled: 3-line block ×3, first 2 shown]
	v_fma_f64 v[65:66], v[61:62], v[65:66], s[34:35]
	v_fma_f64 v[61:62], v[61:62], v[65:66], s[24:25]
	v_ldexp_f64 v[65:66], v[53:54], 1
	v_add_f64 v[53:54], v[53:54], -v[63:64]
	v_cmp_nge_f64_e64 s24, -1.0, v[49:50]
	v_cmp_neq_f64_e64 s25, 0x7ff00000, v[49:50]
	v_mul_f64 v[61:62], v[67:68], v[61:62]
	v_cvt_f64_i32_e32 v[67:68], v80
	v_add_f64 v[51:52], v[51:52], -v[53:54]
	s_and_b32 s24, s24, s25
	v_add_f64 v[63:64], v[65:66], v[61:62]
	v_mul_f64 v[70:71], v[67:68], s[26:27]
	v_ldexp_f64 v[51:52], v[51:52], 1
	v_add_f64 v[53:54], v[63:64], -v[65:66]
	v_fma_f64 v[65:66], v[67:68], s[26:27], -v[70:71]
	v_cmp_ngt_f64_e64 s26, -1.0, v[49:50]
	v_add_f64 v[53:54], v[61:62], -v[53:54]
	v_fma_f64 v[61:62], v[67:68], s[30:31], v[65:66]
	v_add_f64 v[51:52], v[51:52], v[53:54]
	v_add_f64 v[53:54], v[70:71], v[61:62]
	;; [unrolled: 1-line block ×3, first 2 shown]
	v_add_f64 v[70:71], v[53:54], -v[70:71]
	v_add_f64 v[67:68], v[53:54], v[65:66]
	v_add_f64 v[63:64], v[65:66], -v[63:64]
	v_add_f64 v[61:62], v[61:62], -v[70:71]
	;; [unrolled: 1-line block ×6, first 2 shown]
	v_add_f64 v[65:66], v[61:62], v[51:52]
	v_add_f64 v[53:54], v[53:54], -v[74:75]
	v_add_f64 v[53:54], v[63:64], v[53:54]
	v_add_f64 v[63:64], v[65:66], -v[61:62]
	;; [unrolled: 2-line block ×3, first 2 shown]
	v_add_f64 v[51:52], v[51:52], -v[63:64]
	v_add_f64 v[70:71], v[67:68], v[53:54]
	v_add_f64 v[61:62], v[61:62], -v[65:66]
	v_add_f64 v[63:64], v[70:71], -v[67:68]
	v_add_f64 v[51:52], v[51:52], v[61:62]
	v_add_f64 v[53:54], v[53:54], -v[63:64]
	v_add_f64 v[51:52], v[51:52], v[53:54]
	v_add_f64 v[51:52], v[70:71], v[51:52]
	v_cndmask_b32_e64 v51, 0, v51, s24
	v_cmp_neq_f64_e64 s24, -1.0, v[49:50]
	v_cndmask_b32_e64 v52, 0x7ff00000, v52, s25
	v_cndmask_b32_e64 v52, 0x7ff80000, v52, s26
	v_cndmask_b32_e64 v52, 0xfff00000, v52, s24
	v_add_f64 v[61:62], v[47:48], v[51:52]
.LBB45_46:
	s_or_b32 exec_lo, exec_lo, s29
	v_max_f64 v[47:48], v[9:10], v[9:10]
	v_max_f64 v[49:50], v[61:62], v[61:62]
	v_cmp_u_f64_e64 s25, v[61:62], v[61:62]
	v_cmp_u_f64_e64 s24, v[9:10], v[9:10]
	v_min_f64 v[51:52], v[49:50], v[47:48]
	v_max_f64 v[49:50], v[49:50], v[47:48]
	v_cndmask_b32_e64 v51, v51, v61, s25
	v_cndmask_b32_e64 v52, v52, v62, s25
	;; [unrolled: 1-line block ×8, first 2 shown]
	v_cmp_class_f64_e64 s26, v[51:52], 0x1f8
	v_cmp_neq_f64_e64 s25, v[51:52], v[49:50]
	s_or_b32 s25, s25, s26
	s_and_saveexec_b32 s29, s25
	s_cbranch_execz .LBB45_48
; %bb.47:
	v_add_f64 v[51:52], v[51:52], -v[49:50]
	s_mov_b32 s26, 0x652b82fe
	s_mov_b32 s27, 0x3ff71547
	;; [unrolled: 1-line block ×10, first 2 shown]
	v_mul_f64 v[53:54], v[51:52], s[26:27]
	s_mov_b32 s26, 0xfca7ab0c
	s_mov_b32 s27, 0x3e928af3
	v_cmp_nlt_f64_e64 s25, 0x40900000, v[51:52]
	v_rndne_f64_e32 v[53:54], v[53:54]
	v_fma_f64 v[61:62], v[53:54], s[30:31], v[51:52]
	v_cvt_i32_f64_e32 v65, v[53:54]
	s_mov_b32 s31, 0x3fe62e42
	v_fma_f64 v[61:62], v[53:54], s[34:35], v[61:62]
	s_mov_b32 s35, 0x3c7abc9e
	v_fma_f64 v[63:64], v[61:62], s[36:37], s[26:27]
	s_mov_b32 s26, 0x623fde64
	s_mov_b32 s27, 0x3ec71dee
	;; [unrolled: 1-line block ×4, first 2 shown]
	v_fma_f64 v[63:64], v[61:62], v[63:64], s[26:27]
	s_mov_b32 s26, 0x7c89e6b0
	s_mov_b32 s27, 0x3efa0199
	v_fma_f64 v[63:64], v[61:62], v[63:64], s[26:27]
	s_mov_b32 s26, 0x14761f6e
	s_mov_b32 s27, 0x3f2a01a0
	;; [unrolled: 3-line block ×7, first 2 shown]
	v_fma_f64 v[63:64], v[61:62], v[63:64], s[26:27]
	v_cmp_ngt_f64_e64 s26, 0xc090cc00, v[51:52]
	s_mov_b32 s27, 0x3fe55555
	v_fma_f64 v[63:64], v[61:62], v[63:64], 1.0
	v_fma_f64 v[53:54], v[61:62], v[63:64], 1.0
	v_ldexp_f64 v[53:54], v[53:54], v65
	v_cndmask_b32_e64 v54, 0x7ff00000, v54, s25
	s_and_b32 s25, s26, s25
	v_cndmask_b32_e64 v51, 0, v53, s25
	v_cndmask_b32_e64 v52, 0, v54, s26
	s_mov_b32 s26, 0x55555555
	v_add_f64 v[53:54], v[51:52], 1.0
	v_frexp_mant_f64_e32 v[61:62], v[53:54]
	v_frexp_exp_i32_f64_e32 v65, v[53:54]
	v_add_f64 v[63:64], v[53:54], -1.0
	v_cmp_gt_f64_e64 s25, s[26:27], v[61:62]
	s_mov_b32 s26, 0x55555780
	v_add_f64 v[61:62], v[63:64], -v[53:54]
	v_add_f64 v[63:64], v[51:52], -v[63:64]
	v_subrev_co_ci_u32_e64 v82, null, 0, v65, s25
	v_add_f64 v[61:62], v[61:62], 1.0
	v_cmp_nge_f64_e64 s25, -1.0, v[51:52]
	v_sub_nc_u32_e32 v67, 0, v82
	v_ldexp_f64 v[53:54], v[53:54], v67
	v_add_f64 v[61:62], v[63:64], v[61:62]
	v_add_f64 v[65:66], v[53:54], 1.0
	v_add_f64 v[72:73], v[53:54], -1.0
	v_ldexp_f64 v[61:62], v[61:62], v67
	v_add_f64 v[63:64], v[65:66], -1.0
	v_add_f64 v[74:75], v[72:73], 1.0
	v_add_f64 v[63:64], v[53:54], -v[63:64]
	v_add_f64 v[53:54], v[53:54], -v[74:75]
	v_add_f64 v[63:64], v[61:62], v[63:64]
	v_add_f64 v[53:54], v[61:62], v[53:54]
	v_add_f64 v[67:68], v[65:66], v[63:64]
	v_add_f64 v[74:75], v[72:73], v[53:54]
	v_rcp_f64_e32 v[70:71], v[67:68]
	v_add_f64 v[65:66], v[67:68], -v[65:66]
	v_add_f64 v[72:73], v[74:75], -v[72:73]
	;; [unrolled: 1-line block ×3, first 2 shown]
	v_fma_f64 v[76:77], -v[67:68], v[70:71], 1.0
	v_add_f64 v[53:54], v[53:54], -v[72:73]
	v_fma_f64 v[70:71], v[76:77], v[70:71], v[70:71]
	v_fma_f64 v[61:62], -v[67:68], v[70:71], 1.0
	v_fma_f64 v[61:62], v[61:62], v[70:71], v[70:71]
	v_mul_f64 v[70:71], v[74:75], v[61:62]
	v_mul_f64 v[76:77], v[67:68], v[70:71]
	v_fma_f64 v[65:66], v[70:71], v[67:68], -v[76:77]
	v_fma_f64 v[65:66], v[70:71], v[63:64], v[65:66]
	v_add_f64 v[78:79], v[76:77], v[65:66]
	v_add_f64 v[80:81], v[74:75], -v[78:79]
	v_add_f64 v[72:73], v[78:79], -v[76:77]
	;; [unrolled: 1-line block ×5, first 2 shown]
	v_add_f64 v[53:54], v[53:54], v[74:75]
	v_add_f64 v[53:54], v[65:66], v[53:54]
	;; [unrolled: 1-line block ×3, first 2 shown]
	v_mul_f64 v[72:73], v[61:62], v[65:66]
	v_add_f64 v[78:79], v[80:81], -v[65:66]
	v_mul_f64 v[74:75], v[67:68], v[72:73]
	v_add_f64 v[53:54], v[53:54], v[78:79]
	v_fma_f64 v[67:68], v[72:73], v[67:68], -v[74:75]
	v_fma_f64 v[63:64], v[72:73], v[63:64], v[67:68]
	v_add_f64 v[67:68], v[74:75], v[63:64]
	v_add_f64 v[76:77], v[65:66], -v[67:68]
	v_add_f64 v[74:75], v[67:68], -v[74:75]
	;; [unrolled: 1-line block ×5, first 2 shown]
	v_add_f64 v[53:54], v[53:54], v[65:66]
	v_add_f64 v[65:66], v[70:71], v[72:73]
	v_add_f64 v[53:54], v[63:64], v[53:54]
	v_add_f64 v[63:64], v[65:66], -v[70:71]
	v_add_f64 v[53:54], v[76:77], v[53:54]
	v_add_f64 v[63:64], v[72:73], -v[63:64]
	v_mul_f64 v[53:54], v[61:62], v[53:54]
	v_add_f64 v[53:54], v[63:64], v[53:54]
	v_add_f64 v[61:62], v[65:66], v[53:54]
	v_mul_f64 v[63:64], v[61:62], v[61:62]
	v_fma_f64 v[67:68], v[63:64], s[38:39], s[36:37]
	s_mov_b32 s36, 0xd7f4df2e
	s_mov_b32 s37, 0x3fc7474d
	v_mul_f64 v[70:71], v[61:62], v[63:64]
	v_fma_f64 v[67:68], v[63:64], v[67:68], s[36:37]
	s_mov_b32 s36, 0x16291751
	s_mov_b32 s37, 0x3fcc71c0
	v_fma_f64 v[67:68], v[63:64], v[67:68], s[36:37]
	s_mov_b32 s36, 0x9b27acf1
	s_mov_b32 s37, 0x3fd24924
	;; [unrolled: 3-line block ×3, first 2 shown]
	v_fma_f64 v[67:68], v[63:64], v[67:68], s[36:37]
	v_fma_f64 v[63:64], v[63:64], v[67:68], s[26:27]
	v_ldexp_f64 v[67:68], v[61:62], 1
	v_add_f64 v[61:62], v[61:62], -v[65:66]
	v_cmp_neq_f64_e64 s26, 0x7ff00000, v[51:52]
	v_cmp_ngt_f64_e64 s27, -1.0, v[51:52]
	v_mul_f64 v[63:64], v[70:71], v[63:64]
	v_cvt_f64_i32_e32 v[70:71], v82
	v_add_f64 v[53:54], v[53:54], -v[61:62]
	s_and_b32 s25, s25, s26
	v_add_f64 v[65:66], v[67:68], v[63:64]
	v_mul_f64 v[72:73], v[70:71], s[30:31]
	v_ldexp_f64 v[53:54], v[53:54], 1
	v_add_f64 v[61:62], v[65:66], -v[67:68]
	v_fma_f64 v[67:68], v[70:71], s[30:31], -v[72:73]
	v_add_f64 v[61:62], v[63:64], -v[61:62]
	v_fma_f64 v[63:64], v[70:71], s[34:35], v[67:68]
	v_add_f64 v[53:54], v[53:54], v[61:62]
	v_add_f64 v[61:62], v[72:73], v[63:64]
	;; [unrolled: 1-line block ×3, first 2 shown]
	v_add_f64 v[72:73], v[61:62], -v[72:73]
	v_add_f64 v[70:71], v[61:62], v[67:68]
	v_add_f64 v[65:66], v[67:68], -v[65:66]
	v_add_f64 v[63:64], v[63:64], -v[72:73]
	;; [unrolled: 1-line block ×6, first 2 shown]
	v_add_f64 v[67:68], v[63:64], v[53:54]
	v_add_f64 v[61:62], v[61:62], -v[76:77]
	v_add_f64 v[61:62], v[65:66], v[61:62]
	v_add_f64 v[65:66], v[67:68], -v[63:64]
	;; [unrolled: 2-line block ×3, first 2 shown]
	v_add_f64 v[53:54], v[53:54], -v[65:66]
	v_add_f64 v[72:73], v[70:71], v[61:62]
	v_add_f64 v[63:64], v[63:64], -v[67:68]
	v_add_f64 v[65:66], v[72:73], -v[70:71]
	v_add_f64 v[53:54], v[53:54], v[63:64]
	v_add_f64 v[61:62], v[61:62], -v[65:66]
	v_add_f64 v[53:54], v[53:54], v[61:62]
	v_add_f64 v[53:54], v[72:73], v[53:54]
	v_cndmask_b32_e64 v53, 0, v53, s25
	v_cmp_neq_f64_e64 s25, -1.0, v[51:52]
	v_cndmask_b32_e64 v54, 0x7ff00000, v54, s26
	v_cndmask_b32_e64 v54, 0x7ff80000, v54, s27
	;; [unrolled: 1-line block ×3, first 2 shown]
	v_add_f64 v[61:62], v[49:50], v[53:54]
.LBB45_48:
	s_or_b32 exec_lo, exec_lo, s29
	v_max_f64 v[49:50], v[11:12], v[11:12]
	v_max_f64 v[51:52], v[61:62], v[61:62]
	v_cmp_u_f64_e64 s26, v[61:62], v[61:62]
	v_cmp_u_f64_e64 s25, v[11:12], v[11:12]
	v_min_f64 v[53:54], v[51:52], v[49:50]
	v_max_f64 v[51:52], v[51:52], v[49:50]
	v_cndmask_b32_e64 v53, v53, v61, s26
	v_cndmask_b32_e64 v54, v54, v62, s26
	;; [unrolled: 1-line block ×8, first 2 shown]
	v_cmp_class_f64_e64 s27, v[53:54], 0x1f8
	v_cmp_neq_f64_e64 s26, v[53:54], v[51:52]
	s_or_b32 s26, s26, s27
	s_and_saveexec_b32 s33, s26
	s_cbranch_execz .LBB45_50
; %bb.49:
	v_add_f64 v[53:54], v[53:54], -v[51:52]
	s_mov_b32 s26, 0x652b82fe
	s_mov_b32 s27, 0x3ff71547
	;; [unrolled: 1-line block ×10, first 2 shown]
	v_mul_f64 v[61:62], v[53:54], s[26:27]
	s_mov_b32 s26, 0xfca7ab0c
	s_mov_b32 s27, 0x3e928af3
	v_rndne_f64_e32 v[61:62], v[61:62]
	v_fma_f64 v[63:64], v[61:62], s[30:31], v[53:54]
	v_cvt_i32_f64_e32 v67, v[61:62]
	s_mov_b32 s31, 0x3fe62e42
	v_fma_f64 v[63:64], v[61:62], s[34:35], v[63:64]
	s_mov_b32 s35, 0x3c7abc9e
	v_fma_f64 v[65:66], v[63:64], s[36:37], s[26:27]
	s_mov_b32 s26, 0x623fde64
	s_mov_b32 s27, 0x3ec71dee
	;; [unrolled: 1-line block ×4, first 2 shown]
	v_fma_f64 v[65:66], v[63:64], v[65:66], s[26:27]
	s_mov_b32 s26, 0x7c89e6b0
	s_mov_b32 s27, 0x3efa0199
	v_fma_f64 v[65:66], v[63:64], v[65:66], s[26:27]
	s_mov_b32 s26, 0x14761f6e
	s_mov_b32 s27, 0x3f2a01a0
	;; [unrolled: 3-line block ×7, first 2 shown]
	v_fma_f64 v[65:66], v[63:64], v[65:66], s[26:27]
	v_cmp_nlt_f64_e64 s26, 0x40900000, v[53:54]
	v_cmp_ngt_f64_e64 s27, 0xc090cc00, v[53:54]
	v_fma_f64 v[65:66], v[63:64], v[65:66], 1.0
	v_fma_f64 v[61:62], v[63:64], v[65:66], 1.0
	v_ldexp_f64 v[61:62], v[61:62], v67
	v_cndmask_b32_e64 v62, 0x7ff00000, v62, s26
	s_and_b32 s26, s27, s26
	v_cndmask_b32_e64 v53, 0, v61, s26
	s_mov_b32 s26, 0x55555555
	v_cndmask_b32_e64 v54, 0, v62, s27
	s_mov_b32 s27, 0x3fe55555
	v_add_f64 v[61:62], v[53:54], 1.0
	v_cmp_ngt_f64_e64 s29, -1.0, v[53:54]
	v_frexp_mant_f64_e32 v[63:64], v[61:62]
	v_frexp_exp_i32_f64_e32 v67, v[61:62]
	v_add_f64 v[65:66], v[61:62], -1.0
	v_cmp_gt_f64_e64 s26, s[26:27], v[63:64]
	v_add_f64 v[63:64], v[65:66], -v[61:62]
	v_add_f64 v[65:66], v[53:54], -v[65:66]
	v_subrev_co_ci_u32_e64 v84, null, 0, v67, s26
	v_add_f64 v[63:64], v[63:64], 1.0
	s_mov_b32 s26, 0x55555780
	v_sub_nc_u32_e32 v70, 0, v84
	v_ldexp_f64 v[61:62], v[61:62], v70
	v_add_f64 v[63:64], v[65:66], v[63:64]
	v_add_f64 v[67:68], v[61:62], 1.0
	v_add_f64 v[74:75], v[61:62], -1.0
	v_ldexp_f64 v[63:64], v[63:64], v70
	v_add_f64 v[65:66], v[67:68], -1.0
	v_add_f64 v[76:77], v[74:75], 1.0
	v_add_f64 v[65:66], v[61:62], -v[65:66]
	v_add_f64 v[61:62], v[61:62], -v[76:77]
	v_add_f64 v[65:66], v[63:64], v[65:66]
	v_add_f64 v[61:62], v[63:64], v[61:62]
	;; [unrolled: 1-line block ×4, first 2 shown]
	v_rcp_f64_e32 v[72:73], v[70:71]
	v_add_f64 v[67:68], v[70:71], -v[67:68]
	v_add_f64 v[74:75], v[76:77], -v[74:75]
	;; [unrolled: 1-line block ×3, first 2 shown]
	v_fma_f64 v[78:79], -v[70:71], v[72:73], 1.0
	v_add_f64 v[61:62], v[61:62], -v[74:75]
	v_fma_f64 v[72:73], v[78:79], v[72:73], v[72:73]
	v_fma_f64 v[63:64], -v[70:71], v[72:73], 1.0
	v_fma_f64 v[63:64], v[63:64], v[72:73], v[72:73]
	v_mul_f64 v[72:73], v[76:77], v[63:64]
	v_mul_f64 v[78:79], v[70:71], v[72:73]
	v_fma_f64 v[67:68], v[72:73], v[70:71], -v[78:79]
	v_fma_f64 v[67:68], v[72:73], v[65:66], v[67:68]
	v_add_f64 v[80:81], v[78:79], v[67:68]
	v_add_f64 v[82:83], v[76:77], -v[80:81]
	v_add_f64 v[74:75], v[80:81], -v[78:79]
	v_add_f64 v[76:77], v[76:77], -v[82:83]
	v_add_f64 v[67:68], v[74:75], -v[67:68]
	v_add_f64 v[76:77], v[76:77], -v[80:81]
	v_add_f64 v[61:62], v[61:62], v[76:77]
	v_add_f64 v[61:62], v[67:68], v[61:62]
	;; [unrolled: 1-line block ×3, first 2 shown]
	v_mul_f64 v[74:75], v[63:64], v[67:68]
	v_add_f64 v[80:81], v[82:83], -v[67:68]
	v_mul_f64 v[76:77], v[70:71], v[74:75]
	v_add_f64 v[61:62], v[61:62], v[80:81]
	v_fma_f64 v[70:71], v[74:75], v[70:71], -v[76:77]
	v_fma_f64 v[65:66], v[74:75], v[65:66], v[70:71]
	v_add_f64 v[70:71], v[76:77], v[65:66]
	v_add_f64 v[78:79], v[67:68], -v[70:71]
	v_add_f64 v[76:77], v[70:71], -v[76:77]
	;; [unrolled: 1-line block ×5, first 2 shown]
	v_add_f64 v[61:62], v[61:62], v[67:68]
	v_add_f64 v[67:68], v[72:73], v[74:75]
	;; [unrolled: 1-line block ×3, first 2 shown]
	v_add_f64 v[65:66], v[67:68], -v[72:73]
	v_add_f64 v[61:62], v[78:79], v[61:62]
	v_add_f64 v[65:66], v[74:75], -v[65:66]
	v_mul_f64 v[61:62], v[63:64], v[61:62]
	v_add_f64 v[61:62], v[65:66], v[61:62]
	v_add_f64 v[63:64], v[67:68], v[61:62]
	v_mul_f64 v[65:66], v[63:64], v[63:64]
	v_fma_f64 v[70:71], v[65:66], s[38:39], s[36:37]
	s_mov_b32 s36, 0xd7f4df2e
	s_mov_b32 s37, 0x3fc7474d
	v_mul_f64 v[72:73], v[63:64], v[65:66]
	v_fma_f64 v[70:71], v[65:66], v[70:71], s[36:37]
	s_mov_b32 s36, 0x16291751
	s_mov_b32 s37, 0x3fcc71c0
	v_fma_f64 v[70:71], v[65:66], v[70:71], s[36:37]
	s_mov_b32 s36, 0x9b27acf1
	s_mov_b32 s37, 0x3fd24924
	;; [unrolled: 3-line block ×3, first 2 shown]
	v_fma_f64 v[70:71], v[65:66], v[70:71], s[36:37]
	v_fma_f64 v[65:66], v[65:66], v[70:71], s[26:27]
	v_ldexp_f64 v[70:71], v[63:64], 1
	v_add_f64 v[63:64], v[63:64], -v[67:68]
	v_cmp_nge_f64_e64 s26, -1.0, v[53:54]
	v_cmp_neq_f64_e64 s27, 0x7ff00000, v[53:54]
	v_mul_f64 v[65:66], v[72:73], v[65:66]
	v_cvt_f64_i32_e32 v[72:73], v84
	v_add_f64 v[61:62], v[61:62], -v[63:64]
	s_and_b32 s26, s26, s27
	v_add_f64 v[67:68], v[70:71], v[65:66]
	v_mul_f64 v[74:75], v[72:73], s[30:31]
	v_ldexp_f64 v[61:62], v[61:62], 1
	v_add_f64 v[63:64], v[67:68], -v[70:71]
	v_fma_f64 v[70:71], v[72:73], s[30:31], -v[74:75]
	v_add_f64 v[63:64], v[65:66], -v[63:64]
	v_fma_f64 v[65:66], v[72:73], s[34:35], v[70:71]
	v_add_f64 v[61:62], v[61:62], v[63:64]
	v_add_f64 v[63:64], v[74:75], v[65:66]
	;; [unrolled: 1-line block ×3, first 2 shown]
	v_add_f64 v[74:75], v[63:64], -v[74:75]
	v_add_f64 v[72:73], v[63:64], v[70:71]
	v_add_f64 v[67:68], v[70:71], -v[67:68]
	v_add_f64 v[65:66], v[65:66], -v[74:75]
	;; [unrolled: 1-line block ×6, first 2 shown]
	v_add_f64 v[70:71], v[65:66], v[61:62]
	v_add_f64 v[63:64], v[63:64], -v[78:79]
	v_add_f64 v[63:64], v[67:68], v[63:64]
	v_add_f64 v[67:68], v[70:71], -v[65:66]
	;; [unrolled: 2-line block ×3, first 2 shown]
	v_add_f64 v[61:62], v[61:62], -v[67:68]
	v_add_f64 v[74:75], v[72:73], v[63:64]
	v_add_f64 v[65:66], v[65:66], -v[70:71]
	v_add_f64 v[67:68], v[74:75], -v[72:73]
	v_add_f64 v[61:62], v[61:62], v[65:66]
	v_add_f64 v[63:64], v[63:64], -v[67:68]
	v_add_f64 v[61:62], v[61:62], v[63:64]
	v_add_f64 v[61:62], v[74:75], v[61:62]
	v_cndmask_b32_e64 v61, 0, v61, s26
	v_cmp_neq_f64_e64 s26, -1.0, v[53:54]
	v_cndmask_b32_e64 v62, 0x7ff00000, v62, s27
	v_cndmask_b32_e64 v62, 0x7ff80000, v62, s29
	;; [unrolled: 1-line block ×3, first 2 shown]
	v_add_f64 v[61:62], v[51:52], v[61:62]
.LBB45_50:
	s_or_b32 exec_lo, exec_lo, s33
	v_max_f64 v[51:52], v[5:6], v[5:6]
	v_max_f64 v[53:54], v[61:62], v[61:62]
	v_cmp_u_f64_e64 s27, v[61:62], v[61:62]
	v_cmp_u_f64_e64 s26, v[5:6], v[5:6]
	v_min_f64 v[63:64], v[53:54], v[51:52]
	v_max_f64 v[53:54], v[53:54], v[51:52]
	v_cndmask_b32_e64 v63, v63, v61, s27
	v_cndmask_b32_e64 v64, v64, v62, s27
	;; [unrolled: 1-line block ×8, first 2 shown]
	v_cmp_class_f64_e64 s29, v[63:64], 0x1f8
	v_cmp_neq_f64_e64 s27, v[63:64], v[53:54]
	s_or_b32 s27, s27, s29
	s_and_saveexec_b32 s33, s27
	s_cbranch_execz .LBB45_52
; %bb.51:
	v_add_f64 v[61:62], v[63:64], -v[53:54]
	s_mov_b32 s30, 0x652b82fe
	s_mov_b32 s31, 0x3ff71547
	;; [unrolled: 1-line block ×10, first 2 shown]
	v_mul_f64 v[63:64], v[61:62], s[30:31]
	s_mov_b32 s31, 0xbfe62e42
	s_mov_b32 s30, 0xfefa39ef
	v_cmp_nlt_f64_e64 s27, 0x40900000, v[61:62]
	v_cmp_ngt_f64_e64 s29, 0xc090cc00, v[61:62]
	v_rndne_f64_e32 v[63:64], v[63:64]
	v_fma_f64 v[65:66], v[63:64], s[30:31], v[61:62]
	v_cvt_i32_f64_e32 v70, v[63:64]
	s_mov_b32 s31, 0x3fe62e42
	v_fma_f64 v[65:66], v[63:64], s[34:35], v[65:66]
	s_mov_b32 s35, 0x3c7abc9e
	v_fma_f64 v[67:68], v[65:66], s[38:39], s[36:37]
	s_mov_b32 s36, 0x623fde64
	s_mov_b32 s37, 0x3ec71dee
	;; [unrolled: 1-line block ×4, first 2 shown]
	v_fma_f64 v[67:68], v[65:66], v[67:68], s[36:37]
	s_mov_b32 s36, 0x7c89e6b0
	s_mov_b32 s37, 0x3efa0199
	v_fma_f64 v[67:68], v[65:66], v[67:68], s[36:37]
	s_mov_b32 s36, 0x14761f6e
	s_mov_b32 s37, 0x3f2a01a0
	;; [unrolled: 3-line block ×8, first 2 shown]
	v_fma_f64 v[67:68], v[65:66], v[67:68], 1.0
	v_fma_f64 v[63:64], v[65:66], v[67:68], 1.0
	v_ldexp_f64 v[63:64], v[63:64], v70
	v_cndmask_b32_e64 v64, 0x7ff00000, v64, s27
	s_and_b32 s27, s29, s27
	v_cndmask_b32_e64 v61, 0, v63, s27
	v_cndmask_b32_e64 v62, 0, v64, s29
	v_add_f64 v[63:64], v[61:62], 1.0
	v_cmp_neq_f64_e64 s29, 0x7ff00000, v[61:62]
	v_frexp_mant_f64_e32 v[65:66], v[63:64]
	v_frexp_exp_i32_f64_e32 v70, v[63:64]
	v_add_f64 v[67:68], v[63:64], -1.0
	v_cmp_gt_f64_e64 s27, s[36:37], v[65:66]
	s_mov_b32 s36, 0x55555780
	v_add_f64 v[65:66], v[67:68], -v[63:64]
	v_add_f64 v[67:68], v[61:62], -v[67:68]
	v_subrev_co_ci_u32_e64 v86, null, 0, v70, s27
	v_add_f64 v[65:66], v[65:66], 1.0
	v_cmp_nge_f64_e64 s27, -1.0, v[61:62]
	v_sub_nc_u32_e32 v72, 0, v86
	v_ldexp_f64 v[63:64], v[63:64], v72
	v_add_f64 v[65:66], v[67:68], v[65:66]
	s_and_b32 s27, s27, s29
	v_add_f64 v[70:71], v[63:64], 1.0
	v_add_f64 v[76:77], v[63:64], -1.0
	v_ldexp_f64 v[65:66], v[65:66], v72
	v_add_f64 v[67:68], v[70:71], -1.0
	v_add_f64 v[78:79], v[76:77], 1.0
	v_add_f64 v[67:68], v[63:64], -v[67:68]
	v_add_f64 v[63:64], v[63:64], -v[78:79]
	v_add_f64 v[67:68], v[65:66], v[67:68]
	v_add_f64 v[63:64], v[65:66], v[63:64]
	;; [unrolled: 1-line block ×4, first 2 shown]
	v_rcp_f64_e32 v[74:75], v[72:73]
	v_add_f64 v[70:71], v[72:73], -v[70:71]
	v_add_f64 v[76:77], v[78:79], -v[76:77]
	;; [unrolled: 1-line block ×3, first 2 shown]
	v_fma_f64 v[80:81], -v[72:73], v[74:75], 1.0
	v_add_f64 v[63:64], v[63:64], -v[76:77]
	v_fma_f64 v[74:75], v[80:81], v[74:75], v[74:75]
	v_fma_f64 v[65:66], -v[72:73], v[74:75], 1.0
	v_fma_f64 v[65:66], v[65:66], v[74:75], v[74:75]
	v_mul_f64 v[74:75], v[78:79], v[65:66]
	v_mul_f64 v[80:81], v[72:73], v[74:75]
	v_fma_f64 v[70:71], v[74:75], v[72:73], -v[80:81]
	v_fma_f64 v[70:71], v[74:75], v[67:68], v[70:71]
	v_add_f64 v[82:83], v[80:81], v[70:71]
	v_add_f64 v[84:85], v[78:79], -v[82:83]
	v_add_f64 v[76:77], v[82:83], -v[80:81]
	;; [unrolled: 1-line block ×5, first 2 shown]
	v_add_f64 v[63:64], v[63:64], v[78:79]
	v_add_f64 v[63:64], v[70:71], v[63:64]
	;; [unrolled: 1-line block ×3, first 2 shown]
	v_mul_f64 v[76:77], v[65:66], v[70:71]
	v_add_f64 v[82:83], v[84:85], -v[70:71]
	v_mul_f64 v[78:79], v[72:73], v[76:77]
	v_add_f64 v[63:64], v[63:64], v[82:83]
	v_fma_f64 v[72:73], v[76:77], v[72:73], -v[78:79]
	v_fma_f64 v[67:68], v[76:77], v[67:68], v[72:73]
	v_add_f64 v[72:73], v[78:79], v[67:68]
	v_add_f64 v[80:81], v[70:71], -v[72:73]
	v_add_f64 v[78:79], v[72:73], -v[78:79]
	;; [unrolled: 1-line block ×5, first 2 shown]
	v_add_f64 v[63:64], v[63:64], v[70:71]
	v_add_f64 v[70:71], v[74:75], v[76:77]
	;; [unrolled: 1-line block ×3, first 2 shown]
	v_add_f64 v[67:68], v[70:71], -v[74:75]
	v_add_f64 v[63:64], v[80:81], v[63:64]
	v_add_f64 v[67:68], v[76:77], -v[67:68]
	v_mul_f64 v[63:64], v[65:66], v[63:64]
	v_add_f64 v[63:64], v[67:68], v[63:64]
	v_add_f64 v[65:66], v[70:71], v[63:64]
	v_mul_f64 v[67:68], v[65:66], v[65:66]
	v_fma_f64 v[72:73], v[67:68], s[40:41], s[38:39]
	s_mov_b32 s38, 0xd7f4df2e
	s_mov_b32 s39, 0x3fc7474d
	v_mul_f64 v[74:75], v[65:66], v[67:68]
	v_fma_f64 v[72:73], v[67:68], v[72:73], s[38:39]
	s_mov_b32 s38, 0x16291751
	s_mov_b32 s39, 0x3fcc71c0
	v_fma_f64 v[72:73], v[67:68], v[72:73], s[38:39]
	s_mov_b32 s38, 0x9b27acf1
	s_mov_b32 s39, 0x3fd24924
	;; [unrolled: 3-line block ×3, first 2 shown]
	v_fma_f64 v[72:73], v[67:68], v[72:73], s[38:39]
	v_fma_f64 v[67:68], v[67:68], v[72:73], s[36:37]
	v_ldexp_f64 v[72:73], v[65:66], 1
	v_add_f64 v[65:66], v[65:66], -v[70:71]
	v_mul_f64 v[67:68], v[74:75], v[67:68]
	v_cvt_f64_i32_e32 v[74:75], v86
	v_add_f64 v[63:64], v[63:64], -v[65:66]
	v_add_f64 v[70:71], v[72:73], v[67:68]
	v_mul_f64 v[76:77], v[74:75], s[30:31]
	v_ldexp_f64 v[63:64], v[63:64], 1
	v_add_f64 v[65:66], v[70:71], -v[72:73]
	v_fma_f64 v[72:73], v[74:75], s[30:31], -v[76:77]
	v_cmp_ngt_f64_e64 s30, -1.0, v[61:62]
	v_add_f64 v[65:66], v[67:68], -v[65:66]
	v_fma_f64 v[67:68], v[74:75], s[34:35], v[72:73]
	v_add_f64 v[63:64], v[63:64], v[65:66]
	v_add_f64 v[65:66], v[76:77], v[67:68]
	;; [unrolled: 1-line block ×3, first 2 shown]
	v_add_f64 v[76:77], v[65:66], -v[76:77]
	v_add_f64 v[74:75], v[65:66], v[72:73]
	v_add_f64 v[70:71], v[72:73], -v[70:71]
	v_add_f64 v[67:68], v[67:68], -v[76:77]
	;; [unrolled: 1-line block ×6, first 2 shown]
	v_add_f64 v[72:73], v[67:68], v[63:64]
	v_add_f64 v[65:66], v[65:66], -v[80:81]
	v_add_f64 v[65:66], v[70:71], v[65:66]
	v_add_f64 v[70:71], v[72:73], -v[67:68]
	;; [unrolled: 2-line block ×3, first 2 shown]
	v_add_f64 v[63:64], v[63:64], -v[70:71]
	v_add_f64 v[76:77], v[74:75], v[65:66]
	v_add_f64 v[67:68], v[67:68], -v[72:73]
	v_add_f64 v[70:71], v[76:77], -v[74:75]
	v_add_f64 v[63:64], v[63:64], v[67:68]
	v_add_f64 v[65:66], v[65:66], -v[70:71]
	v_add_f64 v[63:64], v[63:64], v[65:66]
	v_add_f64 v[63:64], v[76:77], v[63:64]
	v_cndmask_b32_e64 v63, 0, v63, s27
	v_cmp_neq_f64_e64 s27, -1.0, v[61:62]
	v_cndmask_b32_e64 v64, 0x7ff00000, v64, s29
	v_cndmask_b32_e64 v64, 0x7ff80000, v64, s30
	;; [unrolled: 1-line block ×3, first 2 shown]
	v_add_f64 v[61:62], v[53:54], v[63:64]
.LBB45_52:
	s_or_b32 exec_lo, exec_lo, s33
	v_max_f64 v[53:54], v[7:8], v[7:8]
	v_max_f64 v[63:64], v[61:62], v[61:62]
	v_cmp_u_f64_e64 s29, v[61:62], v[61:62]
	v_cmp_u_f64_e64 s27, v[7:8], v[7:8]
	v_min_f64 v[65:66], v[63:64], v[53:54]
	v_max_f64 v[63:64], v[63:64], v[53:54]
	v_cndmask_b32_e64 v65, v65, v61, s29
	v_cndmask_b32_e64 v66, v66, v62, s29
	;; [unrolled: 1-line block ×8, first 2 shown]
	v_cmp_class_f64_e64 s30, v[65:66], 0x1f8
	v_cmp_neq_f64_e64 s29, v[65:66], v[63:64]
	s_or_b32 s29, s29, s30
	s_and_saveexec_b32 s33, s29
	s_cbranch_execz .LBB45_54
; %bb.53:
	v_add_f64 v[61:62], v[65:66], -v[63:64]
	s_mov_b32 s30, 0x652b82fe
	s_mov_b32 s31, 0x3ff71547
	;; [unrolled: 1-line block ×10, first 2 shown]
	v_mul_f64 v[65:66], v[61:62], s[30:31]
	s_mov_b32 s30, 0xfca7ab0c
	s_mov_b32 s31, 0x3e928af3
	v_cmp_nlt_f64_e64 s29, 0x40900000, v[61:62]
	v_rndne_f64_e32 v[65:66], v[65:66]
	v_fma_f64 v[67:68], v[65:66], s[34:35], v[61:62]
	v_cvt_i32_f64_e32 v72, v[65:66]
	s_mov_b32 s35, 0x3fe62e42
	v_fma_f64 v[67:68], v[65:66], s[36:37], v[67:68]
	s_mov_b32 s37, 0x3c7abc9e
	v_fma_f64 v[70:71], v[67:68], s[38:39], s[30:31]
	s_mov_b32 s30, 0x623fde64
	s_mov_b32 s31, 0x3ec71dee
	;; [unrolled: 1-line block ×4, first 2 shown]
	v_fma_f64 v[70:71], v[67:68], v[70:71], s[30:31]
	s_mov_b32 s30, 0x7c89e6b0
	s_mov_b32 s31, 0x3efa0199
	v_fma_f64 v[70:71], v[67:68], v[70:71], s[30:31]
	s_mov_b32 s30, 0x14761f6e
	s_mov_b32 s31, 0x3f2a01a0
	;; [unrolled: 3-line block ×7, first 2 shown]
	v_fma_f64 v[70:71], v[67:68], v[70:71], s[30:31]
	v_cmp_ngt_f64_e64 s30, 0xc090cc00, v[61:62]
	s_mov_b32 s31, 0x3fe55555
	v_fma_f64 v[70:71], v[67:68], v[70:71], 1.0
	v_fma_f64 v[65:66], v[67:68], v[70:71], 1.0
	v_ldexp_f64 v[65:66], v[65:66], v72
	v_cndmask_b32_e64 v66, 0x7ff00000, v66, s29
	s_and_b32 s29, s30, s29
	v_cndmask_b32_e64 v61, 0, v65, s29
	v_cndmask_b32_e64 v62, 0, v66, s30
	s_mov_b32 s30, 0x55555555
	v_add_f64 v[65:66], v[61:62], 1.0
	v_frexp_mant_f64_e32 v[67:68], v[65:66]
	v_frexp_exp_i32_f64_e32 v72, v[65:66]
	v_add_f64 v[70:71], v[65:66], -1.0
	v_cmp_gt_f64_e64 s29, s[30:31], v[67:68]
	s_mov_b32 s30, 0x55555780
	v_add_f64 v[67:68], v[70:71], -v[65:66]
	v_add_f64 v[70:71], v[61:62], -v[70:71]
	v_subrev_co_ci_u32_e64 v88, null, 0, v72, s29
	v_add_f64 v[67:68], v[67:68], 1.0
	v_cmp_nge_f64_e64 s29, -1.0, v[61:62]
	v_sub_nc_u32_e32 v74, 0, v88
	v_ldexp_f64 v[65:66], v[65:66], v74
	v_add_f64 v[67:68], v[70:71], v[67:68]
	v_add_f64 v[72:73], v[65:66], 1.0
	v_add_f64 v[78:79], v[65:66], -1.0
	v_ldexp_f64 v[67:68], v[67:68], v74
	v_add_f64 v[70:71], v[72:73], -1.0
	v_add_f64 v[80:81], v[78:79], 1.0
	v_add_f64 v[70:71], v[65:66], -v[70:71]
	v_add_f64 v[65:66], v[65:66], -v[80:81]
	v_add_f64 v[70:71], v[67:68], v[70:71]
	v_add_f64 v[65:66], v[67:68], v[65:66]
	v_add_f64 v[74:75], v[72:73], v[70:71]
	v_add_f64 v[80:81], v[78:79], v[65:66]
	v_rcp_f64_e32 v[76:77], v[74:75]
	v_add_f64 v[72:73], v[74:75], -v[72:73]
	v_add_f64 v[78:79], v[80:81], -v[78:79]
	;; [unrolled: 1-line block ×3, first 2 shown]
	v_fma_f64 v[82:83], -v[74:75], v[76:77], 1.0
	v_add_f64 v[65:66], v[65:66], -v[78:79]
	v_fma_f64 v[76:77], v[82:83], v[76:77], v[76:77]
	v_fma_f64 v[67:68], -v[74:75], v[76:77], 1.0
	v_fma_f64 v[67:68], v[67:68], v[76:77], v[76:77]
	v_mul_f64 v[76:77], v[80:81], v[67:68]
	v_mul_f64 v[82:83], v[74:75], v[76:77]
	v_fma_f64 v[72:73], v[76:77], v[74:75], -v[82:83]
	v_fma_f64 v[72:73], v[76:77], v[70:71], v[72:73]
	v_add_f64 v[84:85], v[82:83], v[72:73]
	v_add_f64 v[86:87], v[80:81], -v[84:85]
	v_add_f64 v[78:79], v[84:85], -v[82:83]
	;; [unrolled: 1-line block ×5, first 2 shown]
	v_add_f64 v[65:66], v[65:66], v[80:81]
	v_add_f64 v[65:66], v[72:73], v[65:66]
	v_add_f64 v[72:73], v[86:87], v[65:66]
	v_mul_f64 v[78:79], v[67:68], v[72:73]
	v_add_f64 v[84:85], v[86:87], -v[72:73]
	v_mul_f64 v[80:81], v[74:75], v[78:79]
	v_add_f64 v[65:66], v[65:66], v[84:85]
	v_fma_f64 v[74:75], v[78:79], v[74:75], -v[80:81]
	v_fma_f64 v[70:71], v[78:79], v[70:71], v[74:75]
	v_add_f64 v[74:75], v[80:81], v[70:71]
	v_add_f64 v[82:83], v[72:73], -v[74:75]
	v_add_f64 v[80:81], v[74:75], -v[80:81]
	;; [unrolled: 1-line block ×5, first 2 shown]
	v_add_f64 v[65:66], v[65:66], v[72:73]
	v_add_f64 v[72:73], v[76:77], v[78:79]
	;; [unrolled: 1-line block ×3, first 2 shown]
	v_add_f64 v[70:71], v[72:73], -v[76:77]
	v_add_f64 v[65:66], v[82:83], v[65:66]
	v_add_f64 v[70:71], v[78:79], -v[70:71]
	v_mul_f64 v[65:66], v[67:68], v[65:66]
	v_add_f64 v[65:66], v[70:71], v[65:66]
	v_add_f64 v[67:68], v[72:73], v[65:66]
	v_mul_f64 v[70:71], v[67:68], v[67:68]
	v_fma_f64 v[74:75], v[70:71], s[40:41], s[38:39]
	s_mov_b32 s38, 0xd7f4df2e
	s_mov_b32 s39, 0x3fc7474d
	v_mul_f64 v[76:77], v[67:68], v[70:71]
	v_fma_f64 v[74:75], v[70:71], v[74:75], s[38:39]
	s_mov_b32 s38, 0x16291751
	s_mov_b32 s39, 0x3fcc71c0
	v_fma_f64 v[74:75], v[70:71], v[74:75], s[38:39]
	s_mov_b32 s38, 0x9b27acf1
	s_mov_b32 s39, 0x3fd24924
	;; [unrolled: 3-line block ×3, first 2 shown]
	v_fma_f64 v[74:75], v[70:71], v[74:75], s[38:39]
	v_fma_f64 v[70:71], v[70:71], v[74:75], s[30:31]
	v_ldexp_f64 v[74:75], v[67:68], 1
	v_add_f64 v[67:68], v[67:68], -v[72:73]
	v_cmp_neq_f64_e64 s30, 0x7ff00000, v[61:62]
	v_cmp_ngt_f64_e64 s31, -1.0, v[61:62]
	v_mul_f64 v[70:71], v[76:77], v[70:71]
	v_cvt_f64_i32_e32 v[76:77], v88
	v_add_f64 v[65:66], v[65:66], -v[67:68]
	s_and_b32 s29, s29, s30
	v_add_f64 v[72:73], v[74:75], v[70:71]
	v_mul_f64 v[78:79], v[76:77], s[34:35]
	v_ldexp_f64 v[65:66], v[65:66], 1
	v_add_f64 v[67:68], v[72:73], -v[74:75]
	v_fma_f64 v[74:75], v[76:77], s[34:35], -v[78:79]
	v_add_f64 v[67:68], v[70:71], -v[67:68]
	v_fma_f64 v[70:71], v[76:77], s[36:37], v[74:75]
	v_add_f64 v[65:66], v[65:66], v[67:68]
	v_add_f64 v[67:68], v[78:79], v[70:71]
	;; [unrolled: 1-line block ×3, first 2 shown]
	v_add_f64 v[78:79], v[67:68], -v[78:79]
	v_add_f64 v[76:77], v[67:68], v[74:75]
	v_add_f64 v[72:73], v[74:75], -v[72:73]
	v_add_f64 v[70:71], v[70:71], -v[78:79]
	;; [unrolled: 1-line block ×6, first 2 shown]
	v_add_f64 v[74:75], v[70:71], v[65:66]
	v_add_f64 v[67:68], v[67:68], -v[82:83]
	v_add_f64 v[67:68], v[72:73], v[67:68]
	v_add_f64 v[72:73], v[74:75], -v[70:71]
	;; [unrolled: 2-line block ×3, first 2 shown]
	v_add_f64 v[65:66], v[65:66], -v[72:73]
	v_add_f64 v[78:79], v[76:77], v[67:68]
	v_add_f64 v[70:71], v[70:71], -v[74:75]
	v_add_f64 v[72:73], v[78:79], -v[76:77]
	v_add_f64 v[65:66], v[65:66], v[70:71]
	v_add_f64 v[67:68], v[67:68], -v[72:73]
	v_add_f64 v[65:66], v[65:66], v[67:68]
	v_add_f64 v[65:66], v[78:79], v[65:66]
	v_cndmask_b32_e64 v65, 0, v65, s29
	v_cmp_neq_f64_e64 s29, -1.0, v[61:62]
	v_cndmask_b32_e64 v66, 0x7ff00000, v66, s30
	v_cndmask_b32_e64 v66, 0x7ff80000, v66, s31
	;; [unrolled: 1-line block ×3, first 2 shown]
	v_add_f64 v[61:62], v[63:64], v[65:66]
.LBB45_54:
	s_or_b32 exec_lo, exec_lo, s33
	s_load_dwordx2 s[30:31], s[4:5], 0x20
	v_mbcnt_lo_u32_b32 v71, -1, 0
	v_mov_b32_dpp v63, v61 row_shr:1 row_mask:0xf bank_mask:0xf
	v_mov_b32_dpp v64, v62 row_shr:1 row_mask:0xf bank_mask:0xf
	v_mov_b32_e32 v65, v61
	v_mov_b32_e32 v66, v62
	v_and_b32_e32 v67, 15, v71
	s_mov_b32 s33, exec_lo
	v_cmpx_ne_u32_e32 0, v67
	s_cbranch_execz .LBB45_58
; %bb.55:
	v_max_f64 v[65:66], v[63:64], v[63:64]
	v_max_f64 v[72:73], v[61:62], v[61:62]
	v_cmp_u_f64_e64 s4, v[63:64], v[63:64]
	v_cmp_u_f64_e64 s5, v[61:62], v[61:62]
	v_min_f64 v[74:75], v[65:66], v[72:73]
	v_max_f64 v[65:66], v[65:66], v[72:73]
	v_cndmask_b32_e64 v68, v75, v64, s4
	v_cndmask_b32_e64 v70, v74, v63, s4
	;; [unrolled: 1-line block ×8, first 2 shown]
	v_cmp_class_f64_e64 s5, v[65:66], 0x1f8
	v_cmp_neq_f64_e64 s4, v[65:66], v[61:62]
	s_or_b32 s4, s4, s5
	s_and_saveexec_b32 s38, s4
	s_cbranch_execz .LBB45_57
; %bb.56:
	v_add_f64 v[63:64], v[65:66], -v[61:62]
	s_mov_b32 s4, 0x652b82fe
	s_mov_b32 s5, 0x3ff71547
	;; [unrolled: 1-line block ×10, first 2 shown]
	v_mul_f64 v[65:66], v[63:64], s[4:5]
	s_mov_b32 s4, 0xfca7ab0c
	s_mov_b32 s5, 0x3e928af3
	v_rndne_f64_e32 v[65:66], v[65:66]
	v_fma_f64 v[72:73], v[65:66], s[34:35], v[63:64]
	v_cvt_i32_f64_e32 v68, v[65:66]
	s_mov_b32 s35, 0x3fe62e42
	v_fma_f64 v[72:73], v[65:66], s[36:37], v[72:73]
	s_mov_b32 s37, 0x3c7abc9e
	v_fma_f64 v[74:75], v[72:73], s[40:41], s[4:5]
	s_mov_b32 s4, 0x623fde64
	s_mov_b32 s5, 0x3ec71dee
	;; [unrolled: 1-line block ×4, first 2 shown]
	v_fma_f64 v[74:75], v[72:73], v[74:75], s[4:5]
	s_mov_b32 s4, 0x7c89e6b0
	s_mov_b32 s5, 0x3efa0199
	v_fma_f64 v[74:75], v[72:73], v[74:75], s[4:5]
	s_mov_b32 s4, 0x14761f6e
	s_mov_b32 s5, 0x3f2a01a0
	;; [unrolled: 3-line block ×7, first 2 shown]
	v_fma_f64 v[74:75], v[72:73], v[74:75], s[4:5]
	v_cmp_nlt_f64_e64 s4, 0x40900000, v[63:64]
	v_cmp_ngt_f64_e64 s5, 0xc090cc00, v[63:64]
	v_fma_f64 v[74:75], v[72:73], v[74:75], 1.0
	v_fma_f64 v[65:66], v[72:73], v[74:75], 1.0
	v_ldexp_f64 v[65:66], v[65:66], v68
	v_cndmask_b32_e64 v66, 0x7ff00000, v66, s4
	s_and_b32 s4, s5, s4
	v_cndmask_b32_e64 v63, 0, v65, s4
	s_mov_b32 s4, 0x55555555
	v_cndmask_b32_e64 v64, 0, v66, s5
	s_mov_b32 s5, 0x3fe55555
	v_add_f64 v[65:66], v[63:64], 1.0
	v_cmp_ngt_f64_e64 s29, -1.0, v[63:64]
	v_frexp_mant_f64_e32 v[72:73], v[65:66]
	v_frexp_exp_i32_f64_e32 v68, v[65:66]
	v_add_f64 v[74:75], v[65:66], -1.0
	v_cmp_gt_f64_e64 s4, s[4:5], v[72:73]
	v_add_f64 v[72:73], v[74:75], -v[65:66]
	v_add_f64 v[74:75], v[63:64], -v[74:75]
	v_subrev_co_ci_u32_e64 v68, null, 0, v68, s4
	v_add_f64 v[72:73], v[72:73], 1.0
	s_mov_b32 s4, 0x55555780
	v_sub_nc_u32_e32 v70, 0, v68
	v_ldexp_f64 v[65:66], v[65:66], v70
	v_add_f64 v[72:73], v[74:75], v[72:73]
	v_add_f64 v[76:77], v[65:66], 1.0
	v_add_f64 v[82:83], v[65:66], -1.0
	v_ldexp_f64 v[72:73], v[72:73], v70
	v_add_f64 v[74:75], v[76:77], -1.0
	v_add_f64 v[84:85], v[82:83], 1.0
	v_add_f64 v[74:75], v[65:66], -v[74:75]
	v_add_f64 v[65:66], v[65:66], -v[84:85]
	v_add_f64 v[74:75], v[72:73], v[74:75]
	v_add_f64 v[65:66], v[72:73], v[65:66]
	;; [unrolled: 1-line block ×4, first 2 shown]
	v_rcp_f64_e32 v[80:81], v[78:79]
	v_add_f64 v[76:77], v[78:79], -v[76:77]
	v_add_f64 v[82:83], v[84:85], -v[82:83]
	;; [unrolled: 1-line block ×3, first 2 shown]
	v_fma_f64 v[86:87], -v[78:79], v[80:81], 1.0
	v_add_f64 v[65:66], v[65:66], -v[82:83]
	v_fma_f64 v[80:81], v[86:87], v[80:81], v[80:81]
	v_fma_f64 v[72:73], -v[78:79], v[80:81], 1.0
	v_fma_f64 v[72:73], v[72:73], v[80:81], v[80:81]
	v_mul_f64 v[80:81], v[84:85], v[72:73]
	v_mul_f64 v[86:87], v[78:79], v[80:81]
	v_fma_f64 v[76:77], v[80:81], v[78:79], -v[86:87]
	v_fma_f64 v[76:77], v[80:81], v[74:75], v[76:77]
	v_add_f64 v[88:89], v[86:87], v[76:77]
	v_add_f64 v[90:91], v[84:85], -v[88:89]
	v_add_f64 v[82:83], v[88:89], -v[86:87]
	;; [unrolled: 1-line block ×5, first 2 shown]
	v_add_f64 v[65:66], v[65:66], v[84:85]
	v_add_f64 v[65:66], v[76:77], v[65:66]
	;; [unrolled: 1-line block ×3, first 2 shown]
	v_mul_f64 v[82:83], v[72:73], v[76:77]
	v_add_f64 v[88:89], v[90:91], -v[76:77]
	v_mul_f64 v[84:85], v[78:79], v[82:83]
	v_add_f64 v[65:66], v[65:66], v[88:89]
	v_fma_f64 v[78:79], v[82:83], v[78:79], -v[84:85]
	v_fma_f64 v[74:75], v[82:83], v[74:75], v[78:79]
	v_add_f64 v[78:79], v[84:85], v[74:75]
	v_add_f64 v[86:87], v[76:77], -v[78:79]
	v_add_f64 v[84:85], v[78:79], -v[84:85]
	;; [unrolled: 1-line block ×5, first 2 shown]
	v_add_f64 v[65:66], v[65:66], v[76:77]
	v_add_f64 v[76:77], v[80:81], v[82:83]
	;; [unrolled: 1-line block ×3, first 2 shown]
	v_add_f64 v[74:75], v[76:77], -v[80:81]
	v_add_f64 v[65:66], v[86:87], v[65:66]
	v_add_f64 v[74:75], v[82:83], -v[74:75]
	v_mul_f64 v[65:66], v[72:73], v[65:66]
	v_add_f64 v[65:66], v[74:75], v[65:66]
	v_add_f64 v[72:73], v[76:77], v[65:66]
	v_mul_f64 v[74:75], v[72:73], v[72:73]
	v_fma_f64 v[78:79], v[74:75], s[42:43], s[40:41]
	s_mov_b32 s40, 0xd7f4df2e
	s_mov_b32 s41, 0x3fc7474d
	v_mul_f64 v[80:81], v[72:73], v[74:75]
	v_fma_f64 v[78:79], v[74:75], v[78:79], s[40:41]
	s_mov_b32 s40, 0x16291751
	s_mov_b32 s41, 0x3fcc71c0
	v_fma_f64 v[78:79], v[74:75], v[78:79], s[40:41]
	s_mov_b32 s40, 0x9b27acf1
	s_mov_b32 s41, 0x3fd24924
	;; [unrolled: 3-line block ×3, first 2 shown]
	v_fma_f64 v[78:79], v[74:75], v[78:79], s[40:41]
	v_fma_f64 v[74:75], v[74:75], v[78:79], s[4:5]
	v_ldexp_f64 v[78:79], v[72:73], 1
	v_add_f64 v[72:73], v[72:73], -v[76:77]
	v_cmp_nge_f64_e64 s4, -1.0, v[63:64]
	v_cmp_neq_f64_e64 s5, 0x7ff00000, v[63:64]
	v_mul_f64 v[74:75], v[80:81], v[74:75]
	v_cvt_f64_i32_e32 v[80:81], v68
	v_add_f64 v[65:66], v[65:66], -v[72:73]
	s_and_b32 s4, s4, s5
	v_add_f64 v[76:77], v[78:79], v[74:75]
	v_mul_f64 v[82:83], v[80:81], s[34:35]
	v_ldexp_f64 v[65:66], v[65:66], 1
	v_add_f64 v[72:73], v[76:77], -v[78:79]
	v_fma_f64 v[78:79], v[80:81], s[34:35], -v[82:83]
	v_add_f64 v[72:73], v[74:75], -v[72:73]
	v_fma_f64 v[74:75], v[80:81], s[36:37], v[78:79]
	v_add_f64 v[65:66], v[65:66], v[72:73]
	v_add_f64 v[72:73], v[82:83], v[74:75]
	;; [unrolled: 1-line block ×3, first 2 shown]
	v_add_f64 v[82:83], v[72:73], -v[82:83]
	v_add_f64 v[80:81], v[72:73], v[78:79]
	v_add_f64 v[76:77], v[78:79], -v[76:77]
	v_add_f64 v[74:75], v[74:75], -v[82:83]
	;; [unrolled: 1-line block ×6, first 2 shown]
	v_add_f64 v[78:79], v[74:75], v[65:66]
	v_add_f64 v[72:73], v[72:73], -v[86:87]
	v_add_f64 v[72:73], v[76:77], v[72:73]
	v_add_f64 v[76:77], v[78:79], -v[74:75]
	;; [unrolled: 2-line block ×3, first 2 shown]
	v_add_f64 v[65:66], v[65:66], -v[76:77]
	v_add_f64 v[82:83], v[80:81], v[72:73]
	v_add_f64 v[74:75], v[74:75], -v[78:79]
	v_add_f64 v[76:77], v[82:83], -v[80:81]
	v_add_f64 v[65:66], v[65:66], v[74:75]
	v_add_f64 v[72:73], v[72:73], -v[76:77]
	v_add_f64 v[65:66], v[65:66], v[72:73]
	v_add_f64 v[65:66], v[82:83], v[65:66]
	v_cndmask_b32_e64 v65, 0, v65, s4
	v_cmp_neq_f64_e64 s4, -1.0, v[63:64]
	v_cndmask_b32_e64 v66, 0x7ff00000, v66, s5
	v_cndmask_b32_e64 v66, 0x7ff80000, v66, s29
	;; [unrolled: 1-line block ×3, first 2 shown]
	v_add_f64 v[63:64], v[61:62], v[65:66]
.LBB45_57:
	s_or_b32 exec_lo, exec_lo, s38
	v_mov_b32_e32 v61, v63
	v_mov_b32_e32 v65, v63
	;; [unrolled: 1-line block ×4, first 2 shown]
.LBB45_58:
	s_or_b32 exec_lo, exec_lo, s33
	v_mul_u32_u24_e32 v70, 0x68, v0
	v_mov_b32_dpp v63, v65 row_shr:2 row_mask:0xf bank_mask:0xf
	v_mov_b32_dpp v64, v66 row_shr:2 row_mask:0xf bank_mask:0xf
	s_mov_b32 s33, exec_lo
	v_cmpx_lt_u32_e32 1, v67
	s_cbranch_execz .LBB45_62
; %bb.59:
	v_max_f64 v[65:66], v[63:64], v[63:64]
	v_max_f64 v[72:73], v[61:62], v[61:62]
	v_cmp_u_f64_e64 s4, v[63:64], v[63:64]
	v_cmp_u_f64_e64 s5, v[61:62], v[61:62]
	v_min_f64 v[74:75], v[65:66], v[72:73]
	v_max_f64 v[65:66], v[65:66], v[72:73]
	v_cndmask_b32_e64 v68, v75, v64, s4
	v_cndmask_b32_e64 v72, v74, v63, s4
	;; [unrolled: 1-line block ×8, first 2 shown]
	v_cmp_class_f64_e64 s5, v[65:66], 0x1f8
	v_cmp_neq_f64_e64 s4, v[65:66], v[61:62]
	s_or_b32 s4, s4, s5
	s_and_saveexec_b32 s38, s4
	s_cbranch_execz .LBB45_61
; %bb.60:
	v_add_f64 v[63:64], v[65:66], -v[61:62]
	s_mov_b32 s4, 0x652b82fe
	s_mov_b32 s5, 0x3ff71547
	;; [unrolled: 1-line block ×10, first 2 shown]
	v_mul_f64 v[65:66], v[63:64], s[4:5]
	s_mov_b32 s4, 0xfca7ab0c
	s_mov_b32 s5, 0x3e928af3
	v_rndne_f64_e32 v[65:66], v[65:66]
	v_fma_f64 v[72:73], v[65:66], s[34:35], v[63:64]
	v_cvt_i32_f64_e32 v68, v[65:66]
	s_mov_b32 s35, 0x3fe62e42
	v_fma_f64 v[72:73], v[65:66], s[36:37], v[72:73]
	s_mov_b32 s37, 0x3c7abc9e
	v_fma_f64 v[74:75], v[72:73], s[40:41], s[4:5]
	s_mov_b32 s4, 0x623fde64
	s_mov_b32 s5, 0x3ec71dee
	;; [unrolled: 1-line block ×4, first 2 shown]
	v_fma_f64 v[74:75], v[72:73], v[74:75], s[4:5]
	s_mov_b32 s4, 0x7c89e6b0
	s_mov_b32 s5, 0x3efa0199
	v_fma_f64 v[74:75], v[72:73], v[74:75], s[4:5]
	s_mov_b32 s4, 0x14761f6e
	s_mov_b32 s5, 0x3f2a01a0
	;; [unrolled: 3-line block ×7, first 2 shown]
	v_fma_f64 v[74:75], v[72:73], v[74:75], s[4:5]
	v_cmp_nlt_f64_e64 s4, 0x40900000, v[63:64]
	v_cmp_ngt_f64_e64 s5, 0xc090cc00, v[63:64]
	v_fma_f64 v[74:75], v[72:73], v[74:75], 1.0
	v_fma_f64 v[65:66], v[72:73], v[74:75], 1.0
	v_ldexp_f64 v[65:66], v[65:66], v68
	v_cndmask_b32_e64 v66, 0x7ff00000, v66, s4
	s_and_b32 s4, s5, s4
	v_cndmask_b32_e64 v63, 0, v65, s4
	s_mov_b32 s4, 0x55555555
	v_cndmask_b32_e64 v64, 0, v66, s5
	s_mov_b32 s5, 0x3fe55555
	v_add_f64 v[65:66], v[63:64], 1.0
	v_cmp_ngt_f64_e64 s29, -1.0, v[63:64]
	v_frexp_mant_f64_e32 v[72:73], v[65:66]
	v_frexp_exp_i32_f64_e32 v68, v[65:66]
	v_add_f64 v[74:75], v[65:66], -1.0
	v_cmp_gt_f64_e64 s4, s[4:5], v[72:73]
	v_add_f64 v[72:73], v[74:75], -v[65:66]
	v_add_f64 v[74:75], v[63:64], -v[74:75]
	v_subrev_co_ci_u32_e64 v68, null, 0, v68, s4
	v_add_f64 v[72:73], v[72:73], 1.0
	s_mov_b32 s4, 0x55555780
	v_sub_nc_u32_e32 v78, 0, v68
	v_ldexp_f64 v[65:66], v[65:66], v78
	v_add_f64 v[72:73], v[74:75], v[72:73]
	v_add_f64 v[76:77], v[65:66], 1.0
	v_add_f64 v[82:83], v[65:66], -1.0
	v_ldexp_f64 v[72:73], v[72:73], v78
	v_add_f64 v[74:75], v[76:77], -1.0
	v_add_f64 v[84:85], v[82:83], 1.0
	v_add_f64 v[74:75], v[65:66], -v[74:75]
	v_add_f64 v[65:66], v[65:66], -v[84:85]
	v_add_f64 v[74:75], v[72:73], v[74:75]
	v_add_f64 v[65:66], v[72:73], v[65:66]
	;; [unrolled: 1-line block ×4, first 2 shown]
	v_rcp_f64_e32 v[80:81], v[78:79]
	v_add_f64 v[76:77], v[78:79], -v[76:77]
	v_add_f64 v[82:83], v[84:85], -v[82:83]
	v_add_f64 v[74:75], v[74:75], -v[76:77]
	v_fma_f64 v[86:87], -v[78:79], v[80:81], 1.0
	v_add_f64 v[65:66], v[65:66], -v[82:83]
	v_fma_f64 v[80:81], v[86:87], v[80:81], v[80:81]
	v_fma_f64 v[72:73], -v[78:79], v[80:81], 1.0
	v_fma_f64 v[72:73], v[72:73], v[80:81], v[80:81]
	v_mul_f64 v[80:81], v[84:85], v[72:73]
	v_mul_f64 v[86:87], v[78:79], v[80:81]
	v_fma_f64 v[76:77], v[80:81], v[78:79], -v[86:87]
	v_fma_f64 v[76:77], v[80:81], v[74:75], v[76:77]
	v_add_f64 v[88:89], v[86:87], v[76:77]
	v_add_f64 v[90:91], v[84:85], -v[88:89]
	v_add_f64 v[82:83], v[88:89], -v[86:87]
	;; [unrolled: 1-line block ×5, first 2 shown]
	v_add_f64 v[65:66], v[65:66], v[84:85]
	v_add_f64 v[65:66], v[76:77], v[65:66]
	;; [unrolled: 1-line block ×3, first 2 shown]
	v_mul_f64 v[82:83], v[72:73], v[76:77]
	v_add_f64 v[88:89], v[90:91], -v[76:77]
	v_mul_f64 v[84:85], v[78:79], v[82:83]
	v_add_f64 v[65:66], v[65:66], v[88:89]
	v_fma_f64 v[78:79], v[82:83], v[78:79], -v[84:85]
	v_fma_f64 v[74:75], v[82:83], v[74:75], v[78:79]
	v_add_f64 v[78:79], v[84:85], v[74:75]
	v_add_f64 v[86:87], v[76:77], -v[78:79]
	v_add_f64 v[84:85], v[78:79], -v[84:85]
	v_add_f64 v[76:77], v[76:77], -v[86:87]
	v_add_f64 v[74:75], v[84:85], -v[74:75]
	v_add_f64 v[76:77], v[76:77], -v[78:79]
	v_add_f64 v[65:66], v[65:66], v[76:77]
	v_add_f64 v[76:77], v[80:81], v[82:83]
	;; [unrolled: 1-line block ×3, first 2 shown]
	v_add_f64 v[74:75], v[76:77], -v[80:81]
	v_add_f64 v[65:66], v[86:87], v[65:66]
	v_add_f64 v[74:75], v[82:83], -v[74:75]
	v_mul_f64 v[65:66], v[72:73], v[65:66]
	v_add_f64 v[65:66], v[74:75], v[65:66]
	v_add_f64 v[72:73], v[76:77], v[65:66]
	v_mul_f64 v[74:75], v[72:73], v[72:73]
	v_fma_f64 v[78:79], v[74:75], s[42:43], s[40:41]
	s_mov_b32 s40, 0xd7f4df2e
	s_mov_b32 s41, 0x3fc7474d
	v_mul_f64 v[80:81], v[72:73], v[74:75]
	v_fma_f64 v[78:79], v[74:75], v[78:79], s[40:41]
	s_mov_b32 s40, 0x16291751
	s_mov_b32 s41, 0x3fcc71c0
	v_fma_f64 v[78:79], v[74:75], v[78:79], s[40:41]
	s_mov_b32 s40, 0x9b27acf1
	s_mov_b32 s41, 0x3fd24924
	v_fma_f64 v[78:79], v[74:75], v[78:79], s[40:41]
	s_mov_b32 s40, 0x998ef7b6
	s_mov_b32 s41, 0x3fd99999
	v_fma_f64 v[78:79], v[74:75], v[78:79], s[40:41]
	v_fma_f64 v[74:75], v[74:75], v[78:79], s[4:5]
	v_ldexp_f64 v[78:79], v[72:73], 1
	v_add_f64 v[72:73], v[72:73], -v[76:77]
	v_cmp_nge_f64_e64 s4, -1.0, v[63:64]
	v_cmp_neq_f64_e64 s5, 0x7ff00000, v[63:64]
	v_mul_f64 v[74:75], v[80:81], v[74:75]
	v_cvt_f64_i32_e32 v[80:81], v68
	v_add_f64 v[65:66], v[65:66], -v[72:73]
	s_and_b32 s4, s4, s5
	v_add_f64 v[76:77], v[78:79], v[74:75]
	v_mul_f64 v[82:83], v[80:81], s[34:35]
	v_ldexp_f64 v[65:66], v[65:66], 1
	v_add_f64 v[72:73], v[76:77], -v[78:79]
	v_fma_f64 v[78:79], v[80:81], s[34:35], -v[82:83]
	v_add_f64 v[72:73], v[74:75], -v[72:73]
	v_fma_f64 v[74:75], v[80:81], s[36:37], v[78:79]
	v_add_f64 v[65:66], v[65:66], v[72:73]
	v_add_f64 v[72:73], v[82:83], v[74:75]
	;; [unrolled: 1-line block ×3, first 2 shown]
	v_add_f64 v[82:83], v[72:73], -v[82:83]
	v_add_f64 v[80:81], v[72:73], v[78:79]
	v_add_f64 v[76:77], v[78:79], -v[76:77]
	v_add_f64 v[74:75], v[74:75], -v[82:83]
	;; [unrolled: 1-line block ×6, first 2 shown]
	v_add_f64 v[78:79], v[74:75], v[65:66]
	v_add_f64 v[72:73], v[72:73], -v[86:87]
	v_add_f64 v[72:73], v[76:77], v[72:73]
	v_add_f64 v[76:77], v[78:79], -v[74:75]
	;; [unrolled: 2-line block ×3, first 2 shown]
	v_add_f64 v[65:66], v[65:66], -v[76:77]
	v_add_f64 v[82:83], v[80:81], v[72:73]
	v_add_f64 v[74:75], v[74:75], -v[78:79]
	v_add_f64 v[76:77], v[82:83], -v[80:81]
	v_add_f64 v[65:66], v[65:66], v[74:75]
	v_add_f64 v[72:73], v[72:73], -v[76:77]
	v_add_f64 v[65:66], v[65:66], v[72:73]
	v_add_f64 v[65:66], v[82:83], v[65:66]
	v_cndmask_b32_e64 v65, 0, v65, s4
	v_cmp_neq_f64_e64 s4, -1.0, v[63:64]
	v_cndmask_b32_e64 v66, 0x7ff00000, v66, s5
	v_cndmask_b32_e64 v66, 0x7ff80000, v66, s29
	;; [unrolled: 1-line block ×3, first 2 shown]
	v_add_f64 v[63:64], v[61:62], v[65:66]
.LBB45_61:
	s_or_b32 exec_lo, exec_lo, s38
	v_mov_b32_e32 v61, v63
	v_mov_b32_e32 v62, v64
	;; [unrolled: 1-line block ×4, first 2 shown]
.LBB45_62:
	s_or_b32 exec_lo, exec_lo, s33
	v_mov_b32_dpp v63, v65 row_shr:4 row_mask:0xf bank_mask:0xf
	v_mov_b32_dpp v64, v66 row_shr:4 row_mask:0xf bank_mask:0xf
	s_mov_b32 s33, exec_lo
	v_cmpx_lt_u32_e32 3, v67
	s_cbranch_execz .LBB45_66
; %bb.63:
	v_max_f64 v[65:66], v[63:64], v[63:64]
	v_max_f64 v[72:73], v[61:62], v[61:62]
	v_cmp_u_f64_e64 s4, v[63:64], v[63:64]
	v_cmp_u_f64_e64 s5, v[61:62], v[61:62]
	v_min_f64 v[74:75], v[65:66], v[72:73]
	v_max_f64 v[65:66], v[65:66], v[72:73]
	v_cndmask_b32_e64 v68, v75, v64, s4
	v_cndmask_b32_e64 v72, v74, v63, s4
	;; [unrolled: 1-line block ×8, first 2 shown]
	v_cmp_class_f64_e64 s5, v[65:66], 0x1f8
	v_cmp_neq_f64_e64 s4, v[65:66], v[61:62]
	s_or_b32 s4, s4, s5
	s_and_saveexec_b32 s38, s4
	s_cbranch_execz .LBB45_65
; %bb.64:
	v_add_f64 v[63:64], v[65:66], -v[61:62]
	s_mov_b32 s4, 0x652b82fe
	s_mov_b32 s5, 0x3ff71547
	;; [unrolled: 1-line block ×10, first 2 shown]
	v_mul_f64 v[65:66], v[63:64], s[4:5]
	s_mov_b32 s4, 0xfca7ab0c
	s_mov_b32 s5, 0x3e928af3
	v_rndne_f64_e32 v[65:66], v[65:66]
	v_fma_f64 v[72:73], v[65:66], s[34:35], v[63:64]
	v_cvt_i32_f64_e32 v68, v[65:66]
	s_mov_b32 s35, 0x3fe62e42
	v_fma_f64 v[72:73], v[65:66], s[36:37], v[72:73]
	s_mov_b32 s37, 0x3c7abc9e
	v_fma_f64 v[74:75], v[72:73], s[40:41], s[4:5]
	s_mov_b32 s4, 0x623fde64
	s_mov_b32 s5, 0x3ec71dee
	;; [unrolled: 1-line block ×4, first 2 shown]
	v_fma_f64 v[74:75], v[72:73], v[74:75], s[4:5]
	s_mov_b32 s4, 0x7c89e6b0
	s_mov_b32 s5, 0x3efa0199
	v_fma_f64 v[74:75], v[72:73], v[74:75], s[4:5]
	s_mov_b32 s4, 0x14761f6e
	s_mov_b32 s5, 0x3f2a01a0
	;; [unrolled: 3-line block ×7, first 2 shown]
	v_fma_f64 v[74:75], v[72:73], v[74:75], s[4:5]
	v_cmp_nlt_f64_e64 s4, 0x40900000, v[63:64]
	v_cmp_ngt_f64_e64 s5, 0xc090cc00, v[63:64]
	v_fma_f64 v[74:75], v[72:73], v[74:75], 1.0
	v_fma_f64 v[65:66], v[72:73], v[74:75], 1.0
	v_ldexp_f64 v[65:66], v[65:66], v68
	v_cndmask_b32_e64 v66, 0x7ff00000, v66, s4
	s_and_b32 s4, s5, s4
	v_cndmask_b32_e64 v63, 0, v65, s4
	s_mov_b32 s4, 0x55555555
	v_cndmask_b32_e64 v64, 0, v66, s5
	s_mov_b32 s5, 0x3fe55555
	v_add_f64 v[65:66], v[63:64], 1.0
	v_cmp_ngt_f64_e64 s29, -1.0, v[63:64]
	v_frexp_mant_f64_e32 v[72:73], v[65:66]
	v_frexp_exp_i32_f64_e32 v68, v[65:66]
	v_add_f64 v[74:75], v[65:66], -1.0
	v_cmp_gt_f64_e64 s4, s[4:5], v[72:73]
	v_add_f64 v[72:73], v[74:75], -v[65:66]
	v_add_f64 v[74:75], v[63:64], -v[74:75]
	v_subrev_co_ci_u32_e64 v68, null, 0, v68, s4
	v_add_f64 v[72:73], v[72:73], 1.0
	s_mov_b32 s4, 0x55555780
	v_sub_nc_u32_e32 v78, 0, v68
	v_ldexp_f64 v[65:66], v[65:66], v78
	v_add_f64 v[72:73], v[74:75], v[72:73]
	v_add_f64 v[76:77], v[65:66], 1.0
	v_add_f64 v[82:83], v[65:66], -1.0
	v_ldexp_f64 v[72:73], v[72:73], v78
	v_add_f64 v[74:75], v[76:77], -1.0
	v_add_f64 v[84:85], v[82:83], 1.0
	v_add_f64 v[74:75], v[65:66], -v[74:75]
	v_add_f64 v[65:66], v[65:66], -v[84:85]
	v_add_f64 v[74:75], v[72:73], v[74:75]
	v_add_f64 v[65:66], v[72:73], v[65:66]
	;; [unrolled: 1-line block ×4, first 2 shown]
	v_rcp_f64_e32 v[80:81], v[78:79]
	v_add_f64 v[76:77], v[78:79], -v[76:77]
	v_add_f64 v[82:83], v[84:85], -v[82:83]
	;; [unrolled: 1-line block ×3, first 2 shown]
	v_fma_f64 v[86:87], -v[78:79], v[80:81], 1.0
	v_add_f64 v[65:66], v[65:66], -v[82:83]
	v_fma_f64 v[80:81], v[86:87], v[80:81], v[80:81]
	v_fma_f64 v[72:73], -v[78:79], v[80:81], 1.0
	v_fma_f64 v[72:73], v[72:73], v[80:81], v[80:81]
	v_mul_f64 v[80:81], v[84:85], v[72:73]
	v_mul_f64 v[86:87], v[78:79], v[80:81]
	v_fma_f64 v[76:77], v[80:81], v[78:79], -v[86:87]
	v_fma_f64 v[76:77], v[80:81], v[74:75], v[76:77]
	v_add_f64 v[88:89], v[86:87], v[76:77]
	v_add_f64 v[90:91], v[84:85], -v[88:89]
	v_add_f64 v[82:83], v[88:89], -v[86:87]
	;; [unrolled: 1-line block ×5, first 2 shown]
	v_add_f64 v[65:66], v[65:66], v[84:85]
	v_add_f64 v[65:66], v[76:77], v[65:66]
	;; [unrolled: 1-line block ×3, first 2 shown]
	v_mul_f64 v[82:83], v[72:73], v[76:77]
	v_add_f64 v[88:89], v[90:91], -v[76:77]
	v_mul_f64 v[84:85], v[78:79], v[82:83]
	v_add_f64 v[65:66], v[65:66], v[88:89]
	v_fma_f64 v[78:79], v[82:83], v[78:79], -v[84:85]
	v_fma_f64 v[74:75], v[82:83], v[74:75], v[78:79]
	v_add_f64 v[78:79], v[84:85], v[74:75]
	v_add_f64 v[86:87], v[76:77], -v[78:79]
	v_add_f64 v[84:85], v[78:79], -v[84:85]
	;; [unrolled: 1-line block ×5, first 2 shown]
	v_add_f64 v[65:66], v[65:66], v[76:77]
	v_add_f64 v[76:77], v[80:81], v[82:83]
	;; [unrolled: 1-line block ×3, first 2 shown]
	v_add_f64 v[74:75], v[76:77], -v[80:81]
	v_add_f64 v[65:66], v[86:87], v[65:66]
	v_add_f64 v[74:75], v[82:83], -v[74:75]
	v_mul_f64 v[65:66], v[72:73], v[65:66]
	v_add_f64 v[65:66], v[74:75], v[65:66]
	v_add_f64 v[72:73], v[76:77], v[65:66]
	v_mul_f64 v[74:75], v[72:73], v[72:73]
	v_fma_f64 v[78:79], v[74:75], s[42:43], s[40:41]
	s_mov_b32 s40, 0xd7f4df2e
	s_mov_b32 s41, 0x3fc7474d
	v_mul_f64 v[80:81], v[72:73], v[74:75]
	v_fma_f64 v[78:79], v[74:75], v[78:79], s[40:41]
	s_mov_b32 s40, 0x16291751
	s_mov_b32 s41, 0x3fcc71c0
	v_fma_f64 v[78:79], v[74:75], v[78:79], s[40:41]
	s_mov_b32 s40, 0x9b27acf1
	s_mov_b32 s41, 0x3fd24924
	;; [unrolled: 3-line block ×3, first 2 shown]
	v_fma_f64 v[78:79], v[74:75], v[78:79], s[40:41]
	v_fma_f64 v[74:75], v[74:75], v[78:79], s[4:5]
	v_ldexp_f64 v[78:79], v[72:73], 1
	v_add_f64 v[72:73], v[72:73], -v[76:77]
	v_cmp_nge_f64_e64 s4, -1.0, v[63:64]
	v_cmp_neq_f64_e64 s5, 0x7ff00000, v[63:64]
	v_mul_f64 v[74:75], v[80:81], v[74:75]
	v_cvt_f64_i32_e32 v[80:81], v68
	v_add_f64 v[65:66], v[65:66], -v[72:73]
	s_and_b32 s4, s4, s5
	v_add_f64 v[76:77], v[78:79], v[74:75]
	v_mul_f64 v[82:83], v[80:81], s[34:35]
	v_ldexp_f64 v[65:66], v[65:66], 1
	v_add_f64 v[72:73], v[76:77], -v[78:79]
	v_fma_f64 v[78:79], v[80:81], s[34:35], -v[82:83]
	v_add_f64 v[72:73], v[74:75], -v[72:73]
	v_fma_f64 v[74:75], v[80:81], s[36:37], v[78:79]
	v_add_f64 v[65:66], v[65:66], v[72:73]
	v_add_f64 v[72:73], v[82:83], v[74:75]
	;; [unrolled: 1-line block ×3, first 2 shown]
	v_add_f64 v[82:83], v[72:73], -v[82:83]
	v_add_f64 v[80:81], v[72:73], v[78:79]
	v_add_f64 v[76:77], v[78:79], -v[76:77]
	v_add_f64 v[74:75], v[74:75], -v[82:83]
	;; [unrolled: 1-line block ×6, first 2 shown]
	v_add_f64 v[78:79], v[74:75], v[65:66]
	v_add_f64 v[72:73], v[72:73], -v[86:87]
	v_add_f64 v[72:73], v[76:77], v[72:73]
	v_add_f64 v[76:77], v[78:79], -v[74:75]
	v_add_f64 v[72:73], v[78:79], v[72:73]
	v_add_f64 v[78:79], v[78:79], -v[76:77]
	v_add_f64 v[65:66], v[65:66], -v[76:77]
	v_add_f64 v[82:83], v[80:81], v[72:73]
	v_add_f64 v[74:75], v[74:75], -v[78:79]
	v_add_f64 v[76:77], v[82:83], -v[80:81]
	v_add_f64 v[65:66], v[65:66], v[74:75]
	v_add_f64 v[72:73], v[72:73], -v[76:77]
	v_add_f64 v[65:66], v[65:66], v[72:73]
	v_add_f64 v[65:66], v[82:83], v[65:66]
	v_cndmask_b32_e64 v65, 0, v65, s4
	v_cmp_neq_f64_e64 s4, -1.0, v[63:64]
	v_cndmask_b32_e64 v66, 0x7ff00000, v66, s5
	v_cndmask_b32_e64 v66, 0x7ff80000, v66, s29
	;; [unrolled: 1-line block ×3, first 2 shown]
	v_add_f64 v[63:64], v[61:62], v[65:66]
.LBB45_65:
	s_or_b32 exec_lo, exec_lo, s38
	v_mov_b32_e32 v61, v63
	v_mov_b32_e32 v62, v64
	v_mov_b32_e32 v65, v63
	v_mov_b32_e32 v66, v64
.LBB45_66:
	s_or_b32 exec_lo, exec_lo, s33
	v_mov_b32_dpp v63, v65 row_shr:8 row_mask:0xf bank_mask:0xf
	v_mov_b32_dpp v64, v66 row_shr:8 row_mask:0xf bank_mask:0xf
	s_mov_b32 s33, exec_lo
	v_cmpx_lt_u32_e32 7, v67
	s_cbranch_execz .LBB45_70
; %bb.67:
	v_max_f64 v[65:66], v[63:64], v[63:64]
	v_max_f64 v[67:68], v[61:62], v[61:62]
	v_cmp_u_f64_e64 s4, v[63:64], v[63:64]
	v_cmp_u_f64_e64 s5, v[61:62], v[61:62]
	v_min_f64 v[72:73], v[65:66], v[67:68]
	v_max_f64 v[65:66], v[65:66], v[67:68]
	v_cndmask_b32_e64 v67, v73, v64, s4
	v_cndmask_b32_e64 v68, v72, v63, s4
	;; [unrolled: 1-line block ×8, first 2 shown]
	v_cmp_class_f64_e64 s5, v[65:66], 0x1f8
	v_cmp_neq_f64_e64 s4, v[65:66], v[61:62]
	s_or_b32 s4, s4, s5
	s_and_saveexec_b32 s38, s4
	s_cbranch_execz .LBB45_69
; %bb.68:
	v_add_f64 v[63:64], v[65:66], -v[61:62]
	s_mov_b32 s4, 0x652b82fe
	s_mov_b32 s5, 0x3ff71547
	;; [unrolled: 1-line block ×10, first 2 shown]
	v_mul_f64 v[65:66], v[63:64], s[4:5]
	s_mov_b32 s4, 0xfca7ab0c
	s_mov_b32 s5, 0x3e928af3
	v_rndne_f64_e32 v[65:66], v[65:66]
	v_fma_f64 v[67:68], v[65:66], s[34:35], v[63:64]
	v_cvt_i32_f64_e32 v74, v[65:66]
	s_mov_b32 s35, 0x3fe62e42
	v_fma_f64 v[67:68], v[65:66], s[36:37], v[67:68]
	s_mov_b32 s37, 0x3c7abc9e
	v_fma_f64 v[72:73], v[67:68], s[40:41], s[4:5]
	s_mov_b32 s4, 0x623fde64
	s_mov_b32 s5, 0x3ec71dee
	;; [unrolled: 1-line block ×4, first 2 shown]
	v_fma_f64 v[72:73], v[67:68], v[72:73], s[4:5]
	s_mov_b32 s4, 0x7c89e6b0
	s_mov_b32 s5, 0x3efa0199
	v_fma_f64 v[72:73], v[67:68], v[72:73], s[4:5]
	s_mov_b32 s4, 0x14761f6e
	s_mov_b32 s5, 0x3f2a01a0
	;; [unrolled: 3-line block ×7, first 2 shown]
	v_fma_f64 v[72:73], v[67:68], v[72:73], s[4:5]
	v_cmp_nlt_f64_e64 s4, 0x40900000, v[63:64]
	v_cmp_ngt_f64_e64 s5, 0xc090cc00, v[63:64]
	v_fma_f64 v[72:73], v[67:68], v[72:73], 1.0
	v_fma_f64 v[65:66], v[67:68], v[72:73], 1.0
	v_ldexp_f64 v[65:66], v[65:66], v74
	v_cndmask_b32_e64 v66, 0x7ff00000, v66, s4
	s_and_b32 s4, s5, s4
	v_cndmask_b32_e64 v63, 0, v65, s4
	s_mov_b32 s4, 0x55555555
	v_cndmask_b32_e64 v64, 0, v66, s5
	s_mov_b32 s5, 0x3fe55555
	v_add_f64 v[65:66], v[63:64], 1.0
	v_cmp_ngt_f64_e64 s29, -1.0, v[63:64]
	v_frexp_mant_f64_e32 v[67:68], v[65:66]
	v_frexp_exp_i32_f64_e32 v74, v[65:66]
	v_add_f64 v[72:73], v[65:66], -1.0
	v_cmp_gt_f64_e64 s4, s[4:5], v[67:68]
	v_add_f64 v[67:68], v[72:73], -v[65:66]
	v_add_f64 v[72:73], v[63:64], -v[72:73]
	v_subrev_co_ci_u32_e64 v90, null, 0, v74, s4
	v_add_f64 v[67:68], v[67:68], 1.0
	s_mov_b32 s4, 0x55555780
	v_sub_nc_u32_e32 v76, 0, v90
	v_ldexp_f64 v[65:66], v[65:66], v76
	v_add_f64 v[67:68], v[72:73], v[67:68]
	v_add_f64 v[74:75], v[65:66], 1.0
	v_add_f64 v[80:81], v[65:66], -1.0
	v_ldexp_f64 v[67:68], v[67:68], v76
	v_add_f64 v[72:73], v[74:75], -1.0
	v_add_f64 v[82:83], v[80:81], 1.0
	v_add_f64 v[72:73], v[65:66], -v[72:73]
	v_add_f64 v[65:66], v[65:66], -v[82:83]
	v_add_f64 v[72:73], v[67:68], v[72:73]
	v_add_f64 v[65:66], v[67:68], v[65:66]
	;; [unrolled: 1-line block ×4, first 2 shown]
	v_rcp_f64_e32 v[78:79], v[76:77]
	v_add_f64 v[74:75], v[76:77], -v[74:75]
	v_add_f64 v[80:81], v[82:83], -v[80:81]
	;; [unrolled: 1-line block ×3, first 2 shown]
	v_fma_f64 v[84:85], -v[76:77], v[78:79], 1.0
	v_add_f64 v[65:66], v[65:66], -v[80:81]
	v_fma_f64 v[78:79], v[84:85], v[78:79], v[78:79]
	v_fma_f64 v[67:68], -v[76:77], v[78:79], 1.0
	v_fma_f64 v[67:68], v[67:68], v[78:79], v[78:79]
	v_mul_f64 v[78:79], v[82:83], v[67:68]
	v_mul_f64 v[84:85], v[76:77], v[78:79]
	v_fma_f64 v[74:75], v[78:79], v[76:77], -v[84:85]
	v_fma_f64 v[74:75], v[78:79], v[72:73], v[74:75]
	v_add_f64 v[86:87], v[84:85], v[74:75]
	v_add_f64 v[88:89], v[82:83], -v[86:87]
	v_add_f64 v[80:81], v[86:87], -v[84:85]
	;; [unrolled: 1-line block ×5, first 2 shown]
	v_add_f64 v[65:66], v[65:66], v[82:83]
	v_add_f64 v[65:66], v[74:75], v[65:66]
	;; [unrolled: 1-line block ×3, first 2 shown]
	v_mul_f64 v[80:81], v[67:68], v[74:75]
	v_add_f64 v[86:87], v[88:89], -v[74:75]
	v_mul_f64 v[82:83], v[76:77], v[80:81]
	v_add_f64 v[65:66], v[65:66], v[86:87]
	v_fma_f64 v[76:77], v[80:81], v[76:77], -v[82:83]
	v_fma_f64 v[72:73], v[80:81], v[72:73], v[76:77]
	v_add_f64 v[76:77], v[82:83], v[72:73]
	v_add_f64 v[84:85], v[74:75], -v[76:77]
	v_add_f64 v[82:83], v[76:77], -v[82:83]
	;; [unrolled: 1-line block ×5, first 2 shown]
	v_add_f64 v[65:66], v[65:66], v[74:75]
	v_add_f64 v[74:75], v[78:79], v[80:81]
	;; [unrolled: 1-line block ×3, first 2 shown]
	v_add_f64 v[72:73], v[74:75], -v[78:79]
	v_add_f64 v[65:66], v[84:85], v[65:66]
	v_add_f64 v[72:73], v[80:81], -v[72:73]
	v_mul_f64 v[65:66], v[67:68], v[65:66]
	v_add_f64 v[65:66], v[72:73], v[65:66]
	v_add_f64 v[67:68], v[74:75], v[65:66]
	v_mul_f64 v[72:73], v[67:68], v[67:68]
	v_fma_f64 v[76:77], v[72:73], s[42:43], s[40:41]
	s_mov_b32 s40, 0xd7f4df2e
	s_mov_b32 s41, 0x3fc7474d
	v_mul_f64 v[78:79], v[67:68], v[72:73]
	v_fma_f64 v[76:77], v[72:73], v[76:77], s[40:41]
	s_mov_b32 s40, 0x16291751
	s_mov_b32 s41, 0x3fcc71c0
	v_fma_f64 v[76:77], v[72:73], v[76:77], s[40:41]
	s_mov_b32 s40, 0x9b27acf1
	s_mov_b32 s41, 0x3fd24924
	;; [unrolled: 3-line block ×3, first 2 shown]
	v_fma_f64 v[76:77], v[72:73], v[76:77], s[40:41]
	v_fma_f64 v[72:73], v[72:73], v[76:77], s[4:5]
	v_ldexp_f64 v[76:77], v[67:68], 1
	v_add_f64 v[67:68], v[67:68], -v[74:75]
	v_cmp_nge_f64_e64 s4, -1.0, v[63:64]
	v_cmp_neq_f64_e64 s5, 0x7ff00000, v[63:64]
	v_mul_f64 v[72:73], v[78:79], v[72:73]
	v_cvt_f64_i32_e32 v[78:79], v90
	v_add_f64 v[65:66], v[65:66], -v[67:68]
	s_and_b32 s4, s4, s5
	v_add_f64 v[74:75], v[76:77], v[72:73]
	v_mul_f64 v[80:81], v[78:79], s[34:35]
	v_ldexp_f64 v[65:66], v[65:66], 1
	v_add_f64 v[67:68], v[74:75], -v[76:77]
	v_fma_f64 v[76:77], v[78:79], s[34:35], -v[80:81]
	v_add_f64 v[67:68], v[72:73], -v[67:68]
	v_fma_f64 v[72:73], v[78:79], s[36:37], v[76:77]
	v_add_f64 v[65:66], v[65:66], v[67:68]
	v_add_f64 v[67:68], v[80:81], v[72:73]
	;; [unrolled: 1-line block ×3, first 2 shown]
	v_add_f64 v[80:81], v[67:68], -v[80:81]
	v_add_f64 v[78:79], v[67:68], v[76:77]
	v_add_f64 v[74:75], v[76:77], -v[74:75]
	v_add_f64 v[72:73], v[72:73], -v[80:81]
	;; [unrolled: 1-line block ×6, first 2 shown]
	v_add_f64 v[76:77], v[72:73], v[65:66]
	v_add_f64 v[67:68], v[67:68], -v[84:85]
	v_add_f64 v[67:68], v[74:75], v[67:68]
	v_add_f64 v[74:75], v[76:77], -v[72:73]
	;; [unrolled: 2-line block ×3, first 2 shown]
	v_add_f64 v[65:66], v[65:66], -v[74:75]
	v_add_f64 v[80:81], v[78:79], v[67:68]
	v_add_f64 v[72:73], v[72:73], -v[76:77]
	v_add_f64 v[74:75], v[80:81], -v[78:79]
	v_add_f64 v[65:66], v[65:66], v[72:73]
	v_add_f64 v[67:68], v[67:68], -v[74:75]
	v_add_f64 v[65:66], v[65:66], v[67:68]
	v_add_f64 v[65:66], v[80:81], v[65:66]
	v_cndmask_b32_e64 v65, 0, v65, s4
	v_cmp_neq_f64_e64 s4, -1.0, v[63:64]
	v_cndmask_b32_e64 v66, 0x7ff00000, v66, s5
	v_cndmask_b32_e64 v66, 0x7ff80000, v66, s29
	;; [unrolled: 1-line block ×3, first 2 shown]
	v_add_f64 v[63:64], v[61:62], v[65:66]
.LBB45_69:
	s_or_b32 exec_lo, exec_lo, s38
	v_mov_b32_e32 v61, v63
	v_mov_b32_e32 v65, v63
	;; [unrolled: 1-line block ×4, first 2 shown]
.LBB45_70:
	s_or_b32 exec_lo, exec_lo, s33
	ds_swizzle_b32 v63, v65 offset:swizzle(BROADCAST,32,15)
	ds_swizzle_b32 v64, v66 offset:swizzle(BROADCAST,32,15)
	v_and_b32_e32 v65, 16, v71
	s_mov_b32 s33, exec_lo
	v_cmpx_ne_u32_e32 0, v65
	s_cbranch_execz .LBB45_74
; %bb.71:
	s_waitcnt lgkmcnt(0)
	v_max_f64 v[65:66], v[63:64], v[63:64]
	v_max_f64 v[67:68], v[61:62], v[61:62]
	v_cmp_u_f64_e64 s4, v[63:64], v[63:64]
	v_cmp_u_f64_e64 s5, v[61:62], v[61:62]
	v_min_f64 v[72:73], v[65:66], v[67:68]
	v_max_f64 v[65:66], v[65:66], v[67:68]
	v_cndmask_b32_e64 v67, v73, v64, s4
	v_cndmask_b32_e64 v68, v72, v63, s4
	;; [unrolled: 1-line block ×8, first 2 shown]
	v_cmp_class_f64_e64 s5, v[65:66], 0x1f8
	v_cmp_neq_f64_e64 s4, v[65:66], v[61:62]
	s_or_b32 s4, s4, s5
	s_and_saveexec_b32 s38, s4
	s_cbranch_execz .LBB45_73
; %bb.72:
	v_add_f64 v[63:64], v[65:66], -v[61:62]
	s_mov_b32 s4, 0x652b82fe
	s_mov_b32 s5, 0x3ff71547
	;; [unrolled: 1-line block ×10, first 2 shown]
	v_mul_f64 v[65:66], v[63:64], s[4:5]
	s_mov_b32 s4, 0xfca7ab0c
	s_mov_b32 s5, 0x3e928af3
	v_rndne_f64_e32 v[65:66], v[65:66]
	v_fma_f64 v[67:68], v[65:66], s[34:35], v[63:64]
	v_cvt_i32_f64_e32 v74, v[65:66]
	s_mov_b32 s35, 0x3fe62e42
	v_fma_f64 v[67:68], v[65:66], s[36:37], v[67:68]
	s_mov_b32 s37, 0x3c7abc9e
	v_fma_f64 v[72:73], v[67:68], s[40:41], s[4:5]
	s_mov_b32 s4, 0x623fde64
	s_mov_b32 s5, 0x3ec71dee
	;; [unrolled: 1-line block ×4, first 2 shown]
	v_fma_f64 v[72:73], v[67:68], v[72:73], s[4:5]
	s_mov_b32 s4, 0x7c89e6b0
	s_mov_b32 s5, 0x3efa0199
	v_fma_f64 v[72:73], v[67:68], v[72:73], s[4:5]
	s_mov_b32 s4, 0x14761f6e
	s_mov_b32 s5, 0x3f2a01a0
	;; [unrolled: 3-line block ×7, first 2 shown]
	v_fma_f64 v[72:73], v[67:68], v[72:73], s[4:5]
	v_cmp_nlt_f64_e64 s4, 0x40900000, v[63:64]
	v_cmp_ngt_f64_e64 s5, 0xc090cc00, v[63:64]
	v_fma_f64 v[72:73], v[67:68], v[72:73], 1.0
	v_fma_f64 v[65:66], v[67:68], v[72:73], 1.0
	v_ldexp_f64 v[65:66], v[65:66], v74
	v_cndmask_b32_e64 v66, 0x7ff00000, v66, s4
	s_and_b32 s4, s5, s4
	v_cndmask_b32_e64 v63, 0, v65, s4
	s_mov_b32 s4, 0x55555555
	v_cndmask_b32_e64 v64, 0, v66, s5
	s_mov_b32 s5, 0x3fe55555
	v_add_f64 v[65:66], v[63:64], 1.0
	v_cmp_ngt_f64_e64 s29, -1.0, v[63:64]
	v_frexp_mant_f64_e32 v[67:68], v[65:66]
	v_frexp_exp_i32_f64_e32 v74, v[65:66]
	v_add_f64 v[72:73], v[65:66], -1.0
	v_cmp_gt_f64_e64 s4, s[4:5], v[67:68]
	v_add_f64 v[67:68], v[72:73], -v[65:66]
	v_add_f64 v[72:73], v[63:64], -v[72:73]
	v_subrev_co_ci_u32_e64 v90, null, 0, v74, s4
	v_add_f64 v[67:68], v[67:68], 1.0
	s_mov_b32 s4, 0x55555780
	v_sub_nc_u32_e32 v76, 0, v90
	v_ldexp_f64 v[65:66], v[65:66], v76
	v_add_f64 v[67:68], v[72:73], v[67:68]
	v_add_f64 v[74:75], v[65:66], 1.0
	v_add_f64 v[80:81], v[65:66], -1.0
	v_ldexp_f64 v[67:68], v[67:68], v76
	v_add_f64 v[72:73], v[74:75], -1.0
	v_add_f64 v[82:83], v[80:81], 1.0
	v_add_f64 v[72:73], v[65:66], -v[72:73]
	v_add_f64 v[65:66], v[65:66], -v[82:83]
	v_add_f64 v[72:73], v[67:68], v[72:73]
	v_add_f64 v[65:66], v[67:68], v[65:66]
	;; [unrolled: 1-line block ×4, first 2 shown]
	v_rcp_f64_e32 v[78:79], v[76:77]
	v_add_f64 v[74:75], v[76:77], -v[74:75]
	v_add_f64 v[80:81], v[82:83], -v[80:81]
	;; [unrolled: 1-line block ×3, first 2 shown]
	v_fma_f64 v[84:85], -v[76:77], v[78:79], 1.0
	v_add_f64 v[65:66], v[65:66], -v[80:81]
	v_fma_f64 v[78:79], v[84:85], v[78:79], v[78:79]
	v_fma_f64 v[67:68], -v[76:77], v[78:79], 1.0
	v_fma_f64 v[67:68], v[67:68], v[78:79], v[78:79]
	v_mul_f64 v[78:79], v[82:83], v[67:68]
	v_mul_f64 v[84:85], v[76:77], v[78:79]
	v_fma_f64 v[74:75], v[78:79], v[76:77], -v[84:85]
	v_fma_f64 v[74:75], v[78:79], v[72:73], v[74:75]
	v_add_f64 v[86:87], v[84:85], v[74:75]
	v_add_f64 v[88:89], v[82:83], -v[86:87]
	v_add_f64 v[80:81], v[86:87], -v[84:85]
	;; [unrolled: 1-line block ×5, first 2 shown]
	v_add_f64 v[65:66], v[65:66], v[82:83]
	v_add_f64 v[65:66], v[74:75], v[65:66]
	;; [unrolled: 1-line block ×3, first 2 shown]
	v_mul_f64 v[80:81], v[67:68], v[74:75]
	v_add_f64 v[86:87], v[88:89], -v[74:75]
	v_mul_f64 v[82:83], v[76:77], v[80:81]
	v_add_f64 v[65:66], v[65:66], v[86:87]
	v_fma_f64 v[76:77], v[80:81], v[76:77], -v[82:83]
	v_fma_f64 v[72:73], v[80:81], v[72:73], v[76:77]
	v_add_f64 v[76:77], v[82:83], v[72:73]
	v_add_f64 v[84:85], v[74:75], -v[76:77]
	v_add_f64 v[82:83], v[76:77], -v[82:83]
	;; [unrolled: 1-line block ×5, first 2 shown]
	v_add_f64 v[65:66], v[65:66], v[74:75]
	v_add_f64 v[74:75], v[78:79], v[80:81]
	;; [unrolled: 1-line block ×3, first 2 shown]
	v_add_f64 v[72:73], v[74:75], -v[78:79]
	v_add_f64 v[65:66], v[84:85], v[65:66]
	v_add_f64 v[72:73], v[80:81], -v[72:73]
	v_mul_f64 v[65:66], v[67:68], v[65:66]
	v_add_f64 v[65:66], v[72:73], v[65:66]
	v_add_f64 v[67:68], v[74:75], v[65:66]
	v_mul_f64 v[72:73], v[67:68], v[67:68]
	v_fma_f64 v[76:77], v[72:73], s[42:43], s[40:41]
	s_mov_b32 s40, 0xd7f4df2e
	s_mov_b32 s41, 0x3fc7474d
	v_mul_f64 v[78:79], v[67:68], v[72:73]
	v_fma_f64 v[76:77], v[72:73], v[76:77], s[40:41]
	s_mov_b32 s40, 0x16291751
	s_mov_b32 s41, 0x3fcc71c0
	v_fma_f64 v[76:77], v[72:73], v[76:77], s[40:41]
	s_mov_b32 s40, 0x9b27acf1
	s_mov_b32 s41, 0x3fd24924
	;; [unrolled: 3-line block ×3, first 2 shown]
	v_fma_f64 v[76:77], v[72:73], v[76:77], s[40:41]
	v_fma_f64 v[72:73], v[72:73], v[76:77], s[4:5]
	v_ldexp_f64 v[76:77], v[67:68], 1
	v_add_f64 v[67:68], v[67:68], -v[74:75]
	v_cmp_nge_f64_e64 s4, -1.0, v[63:64]
	v_cmp_neq_f64_e64 s5, 0x7ff00000, v[63:64]
	v_mul_f64 v[72:73], v[78:79], v[72:73]
	v_cvt_f64_i32_e32 v[78:79], v90
	v_add_f64 v[65:66], v[65:66], -v[67:68]
	s_and_b32 s4, s4, s5
	v_add_f64 v[74:75], v[76:77], v[72:73]
	v_mul_f64 v[80:81], v[78:79], s[34:35]
	v_ldexp_f64 v[65:66], v[65:66], 1
	v_add_f64 v[67:68], v[74:75], -v[76:77]
	v_fma_f64 v[76:77], v[78:79], s[34:35], -v[80:81]
	v_add_f64 v[67:68], v[72:73], -v[67:68]
	v_fma_f64 v[72:73], v[78:79], s[36:37], v[76:77]
	v_add_f64 v[65:66], v[65:66], v[67:68]
	v_add_f64 v[67:68], v[80:81], v[72:73]
	;; [unrolled: 1-line block ×3, first 2 shown]
	v_add_f64 v[80:81], v[67:68], -v[80:81]
	v_add_f64 v[78:79], v[67:68], v[76:77]
	v_add_f64 v[74:75], v[76:77], -v[74:75]
	v_add_f64 v[72:73], v[72:73], -v[80:81]
	;; [unrolled: 1-line block ×6, first 2 shown]
	v_add_f64 v[76:77], v[72:73], v[65:66]
	v_add_f64 v[67:68], v[67:68], -v[84:85]
	v_add_f64 v[67:68], v[74:75], v[67:68]
	v_add_f64 v[74:75], v[76:77], -v[72:73]
	v_add_f64 v[67:68], v[76:77], v[67:68]
	v_add_f64 v[76:77], v[76:77], -v[74:75]
	v_add_f64 v[65:66], v[65:66], -v[74:75]
	v_add_f64 v[80:81], v[78:79], v[67:68]
	v_add_f64 v[72:73], v[72:73], -v[76:77]
	v_add_f64 v[74:75], v[80:81], -v[78:79]
	v_add_f64 v[65:66], v[65:66], v[72:73]
	v_add_f64 v[67:68], v[67:68], -v[74:75]
	v_add_f64 v[65:66], v[65:66], v[67:68]
	v_add_f64 v[65:66], v[80:81], v[65:66]
	v_cndmask_b32_e64 v65, 0, v65, s4
	v_cmp_neq_f64_e64 s4, -1.0, v[63:64]
	v_cndmask_b32_e64 v66, 0x7ff00000, v66, s5
	v_cndmask_b32_e64 v66, 0x7ff80000, v66, s29
	;; [unrolled: 1-line block ×3, first 2 shown]
	v_add_f64 v[63:64], v[61:62], v[65:66]
.LBB45_73:
	s_or_b32 exec_lo, exec_lo, s38
	v_mov_b32_e32 v61, v63
	v_mov_b32_e32 v62, v64
.LBB45_74:
	s_or_b32 exec_lo, exec_lo, s33
	s_waitcnt lgkmcnt(0)
	v_or_b32_e32 v63, 31, v0
	v_lshrrev_b32_e32 v72, 5, v0
	s_mov_b32 s5, exec_lo
	v_cmpx_eq_u32_e64 v0, v63
; %bb.75:
	v_lshlrev_b32_e32 v63, 3, v72
	ds_write_b64 v63, v[61:62]
; %bb.76:
	s_or_b32 exec_lo, exec_lo, s5
	s_mov_b32 s33, exec_lo
	s_waitcnt lgkmcnt(0)
	s_barrier
	buffer_gl0_inv
	v_cmpx_gt_u32_e32 4, v0
	s_cbranch_execz .LBB45_86
; %bb.77:
	ds_read_b64 v[63:64], v69
	v_and_b32_e32 v73, 3, v71
	s_mov_b32 s38, exec_lo
	s_waitcnt lgkmcnt(0)
	v_mov_b32_dpp v65, v63 row_shr:1 row_mask:0xf bank_mask:0xf
	v_mov_b32_dpp v66, v64 row_shr:1 row_mask:0xf bank_mask:0xf
	v_mov_b32_e32 v67, v63
	v_mov_b32_e32 v68, v64
	v_cmpx_ne_u32_e32 0, v73
	s_cbranch_execz .LBB45_81
; %bb.78:
	v_max_f64 v[67:68], v[65:66], v[65:66]
	v_max_f64 v[74:75], v[63:64], v[63:64]
	v_cmp_u_f64_e64 s4, v[65:66], v[65:66]
	v_cmp_u_f64_e64 s5, v[63:64], v[63:64]
	v_min_f64 v[76:77], v[67:68], v[74:75]
	v_max_f64 v[67:68], v[67:68], v[74:75]
	v_cndmask_b32_e64 v74, v77, v66, s4
	v_cndmask_b32_e64 v75, v76, v65, s4
	;; [unrolled: 1-line block ×8, first 2 shown]
	v_cmp_class_f64_e64 s5, v[67:68], 0x1f8
	v_cmp_neq_f64_e64 s4, v[67:68], v[63:64]
	s_or_b32 s4, s4, s5
	s_and_saveexec_b32 s39, s4
	s_cbranch_execz .LBB45_80
; %bb.79:
	v_add_f64 v[65:66], v[67:68], -v[63:64]
	s_mov_b32 s4, 0x652b82fe
	s_mov_b32 s5, 0x3ff71547
	;; [unrolled: 1-line block ×10, first 2 shown]
	v_mul_f64 v[67:68], v[65:66], s[4:5]
	s_mov_b32 s4, 0xfca7ab0c
	s_mov_b32 s5, 0x3e928af3
	v_rndne_f64_e32 v[67:68], v[67:68]
	v_fma_f64 v[74:75], v[67:68], s[34:35], v[65:66]
	v_cvt_i32_f64_e32 v78, v[67:68]
	s_mov_b32 s35, 0x3fe62e42
	v_fma_f64 v[74:75], v[67:68], s[36:37], v[74:75]
	s_mov_b32 s37, 0x3c7abc9e
	v_fma_f64 v[76:77], v[74:75], s[40:41], s[4:5]
	s_mov_b32 s4, 0x623fde64
	s_mov_b32 s5, 0x3ec71dee
	;; [unrolled: 1-line block ×4, first 2 shown]
	v_fma_f64 v[76:77], v[74:75], v[76:77], s[4:5]
	s_mov_b32 s4, 0x7c89e6b0
	s_mov_b32 s5, 0x3efa0199
	v_fma_f64 v[76:77], v[74:75], v[76:77], s[4:5]
	s_mov_b32 s4, 0x14761f6e
	s_mov_b32 s5, 0x3f2a01a0
	;; [unrolled: 3-line block ×7, first 2 shown]
	v_fma_f64 v[76:77], v[74:75], v[76:77], s[4:5]
	v_cmp_nlt_f64_e64 s4, 0x40900000, v[65:66]
	v_cmp_ngt_f64_e64 s5, 0xc090cc00, v[65:66]
	v_fma_f64 v[76:77], v[74:75], v[76:77], 1.0
	v_fma_f64 v[67:68], v[74:75], v[76:77], 1.0
	v_ldexp_f64 v[67:68], v[67:68], v78
	v_cndmask_b32_e64 v68, 0x7ff00000, v68, s4
	s_and_b32 s4, s5, s4
	v_cndmask_b32_e64 v65, 0, v67, s4
	s_mov_b32 s4, 0x55555555
	v_cndmask_b32_e64 v66, 0, v68, s5
	s_mov_b32 s5, 0x3fe55555
	v_add_f64 v[67:68], v[65:66], 1.0
	v_cmp_ngt_f64_e64 s29, -1.0, v[65:66]
	v_frexp_mant_f64_e32 v[74:75], v[67:68]
	v_frexp_exp_i32_f64_e32 v78, v[67:68]
	v_add_f64 v[76:77], v[67:68], -1.0
	v_cmp_gt_f64_e64 s4, s[4:5], v[74:75]
	v_add_f64 v[74:75], v[76:77], -v[67:68]
	v_add_f64 v[76:77], v[65:66], -v[76:77]
	v_subrev_co_ci_u32_e64 v94, null, 0, v78, s4
	v_add_f64 v[74:75], v[74:75], 1.0
	s_mov_b32 s4, 0x55555780
	v_sub_nc_u32_e32 v80, 0, v94
	v_ldexp_f64 v[67:68], v[67:68], v80
	v_add_f64 v[74:75], v[76:77], v[74:75]
	v_add_f64 v[78:79], v[67:68], 1.0
	v_add_f64 v[84:85], v[67:68], -1.0
	v_ldexp_f64 v[74:75], v[74:75], v80
	v_add_f64 v[76:77], v[78:79], -1.0
	v_add_f64 v[86:87], v[84:85], 1.0
	v_add_f64 v[76:77], v[67:68], -v[76:77]
	v_add_f64 v[67:68], v[67:68], -v[86:87]
	v_add_f64 v[76:77], v[74:75], v[76:77]
	v_add_f64 v[67:68], v[74:75], v[67:68]
	;; [unrolled: 1-line block ×4, first 2 shown]
	v_rcp_f64_e32 v[82:83], v[80:81]
	v_add_f64 v[78:79], v[80:81], -v[78:79]
	v_add_f64 v[84:85], v[86:87], -v[84:85]
	v_add_f64 v[76:77], v[76:77], -v[78:79]
	v_fma_f64 v[88:89], -v[80:81], v[82:83], 1.0
	v_add_f64 v[67:68], v[67:68], -v[84:85]
	v_fma_f64 v[82:83], v[88:89], v[82:83], v[82:83]
	v_fma_f64 v[74:75], -v[80:81], v[82:83], 1.0
	v_fma_f64 v[74:75], v[74:75], v[82:83], v[82:83]
	v_mul_f64 v[82:83], v[86:87], v[74:75]
	v_mul_f64 v[88:89], v[80:81], v[82:83]
	v_fma_f64 v[78:79], v[82:83], v[80:81], -v[88:89]
	v_fma_f64 v[78:79], v[82:83], v[76:77], v[78:79]
	v_add_f64 v[90:91], v[88:89], v[78:79]
	v_add_f64 v[92:93], v[86:87], -v[90:91]
	v_add_f64 v[84:85], v[90:91], -v[88:89]
	v_add_f64 v[86:87], v[86:87], -v[92:93]
	v_add_f64 v[78:79], v[84:85], -v[78:79]
	v_add_f64 v[86:87], v[86:87], -v[90:91]
	v_add_f64 v[67:68], v[67:68], v[86:87]
	v_add_f64 v[67:68], v[78:79], v[67:68]
	v_add_f64 v[78:79], v[92:93], v[67:68]
	v_mul_f64 v[84:85], v[74:75], v[78:79]
	v_add_f64 v[90:91], v[92:93], -v[78:79]
	v_mul_f64 v[86:87], v[80:81], v[84:85]
	v_add_f64 v[67:68], v[67:68], v[90:91]
	v_fma_f64 v[80:81], v[84:85], v[80:81], -v[86:87]
	v_fma_f64 v[76:77], v[84:85], v[76:77], v[80:81]
	v_add_f64 v[80:81], v[86:87], v[76:77]
	v_add_f64 v[88:89], v[78:79], -v[80:81]
	v_add_f64 v[86:87], v[80:81], -v[86:87]
	;; [unrolled: 1-line block ×5, first 2 shown]
	v_add_f64 v[67:68], v[67:68], v[78:79]
	v_add_f64 v[78:79], v[82:83], v[84:85]
	;; [unrolled: 1-line block ×3, first 2 shown]
	v_add_f64 v[76:77], v[78:79], -v[82:83]
	v_add_f64 v[67:68], v[88:89], v[67:68]
	v_add_f64 v[76:77], v[84:85], -v[76:77]
	v_mul_f64 v[67:68], v[74:75], v[67:68]
	v_add_f64 v[67:68], v[76:77], v[67:68]
	v_add_f64 v[74:75], v[78:79], v[67:68]
	v_mul_f64 v[76:77], v[74:75], v[74:75]
	v_fma_f64 v[80:81], v[76:77], s[42:43], s[40:41]
	s_mov_b32 s40, 0xd7f4df2e
	s_mov_b32 s41, 0x3fc7474d
	v_mul_f64 v[82:83], v[74:75], v[76:77]
	v_fma_f64 v[80:81], v[76:77], v[80:81], s[40:41]
	s_mov_b32 s40, 0x16291751
	s_mov_b32 s41, 0x3fcc71c0
	v_fma_f64 v[80:81], v[76:77], v[80:81], s[40:41]
	s_mov_b32 s40, 0x9b27acf1
	s_mov_b32 s41, 0x3fd24924
	;; [unrolled: 3-line block ×3, first 2 shown]
	v_fma_f64 v[80:81], v[76:77], v[80:81], s[40:41]
	v_fma_f64 v[76:77], v[76:77], v[80:81], s[4:5]
	v_ldexp_f64 v[80:81], v[74:75], 1
	v_add_f64 v[74:75], v[74:75], -v[78:79]
	v_cmp_nge_f64_e64 s4, -1.0, v[65:66]
	v_cmp_neq_f64_e64 s5, 0x7ff00000, v[65:66]
	v_mul_f64 v[76:77], v[82:83], v[76:77]
	v_cvt_f64_i32_e32 v[82:83], v94
	v_add_f64 v[67:68], v[67:68], -v[74:75]
	s_and_b32 s4, s4, s5
	v_add_f64 v[78:79], v[80:81], v[76:77]
	v_mul_f64 v[84:85], v[82:83], s[34:35]
	v_ldexp_f64 v[67:68], v[67:68], 1
	v_add_f64 v[74:75], v[78:79], -v[80:81]
	v_fma_f64 v[80:81], v[82:83], s[34:35], -v[84:85]
	v_add_f64 v[74:75], v[76:77], -v[74:75]
	v_fma_f64 v[76:77], v[82:83], s[36:37], v[80:81]
	v_add_f64 v[67:68], v[67:68], v[74:75]
	v_add_f64 v[74:75], v[84:85], v[76:77]
	;; [unrolled: 1-line block ×3, first 2 shown]
	v_add_f64 v[84:85], v[74:75], -v[84:85]
	v_add_f64 v[82:83], v[74:75], v[80:81]
	v_add_f64 v[78:79], v[80:81], -v[78:79]
	v_add_f64 v[76:77], v[76:77], -v[84:85]
	;; [unrolled: 1-line block ×6, first 2 shown]
	v_add_f64 v[80:81], v[76:77], v[67:68]
	v_add_f64 v[74:75], v[74:75], -v[88:89]
	v_add_f64 v[74:75], v[78:79], v[74:75]
	v_add_f64 v[78:79], v[80:81], -v[76:77]
	;; [unrolled: 2-line block ×3, first 2 shown]
	v_add_f64 v[67:68], v[67:68], -v[78:79]
	v_add_f64 v[84:85], v[82:83], v[74:75]
	v_add_f64 v[76:77], v[76:77], -v[80:81]
	v_add_f64 v[78:79], v[84:85], -v[82:83]
	v_add_f64 v[67:68], v[67:68], v[76:77]
	v_add_f64 v[74:75], v[74:75], -v[78:79]
	v_add_f64 v[67:68], v[67:68], v[74:75]
	v_add_f64 v[67:68], v[84:85], v[67:68]
	v_cndmask_b32_e64 v67, 0, v67, s4
	v_cmp_neq_f64_e64 s4, -1.0, v[65:66]
	v_cndmask_b32_e64 v68, 0x7ff00000, v68, s5
	v_cndmask_b32_e64 v68, 0x7ff80000, v68, s29
	;; [unrolled: 1-line block ×3, first 2 shown]
	v_add_f64 v[65:66], v[63:64], v[67:68]
.LBB45_80:
	s_or_b32 exec_lo, exec_lo, s39
	v_mov_b32_e32 v63, v65
	v_mov_b32_e32 v67, v65
	;; [unrolled: 1-line block ×4, first 2 shown]
.LBB45_81:
	s_or_b32 exec_lo, exec_lo, s38
	v_mov_b32_dpp v65, v67 row_shr:2 row_mask:0xf bank_mask:0xf
	v_mov_b32_dpp v66, v68 row_shr:2 row_mask:0xf bank_mask:0xf
	s_mov_b32 s38, exec_lo
	v_cmpx_lt_u32_e32 1, v73
	s_cbranch_execz .LBB45_85
; %bb.82:
	v_max_f64 v[67:68], v[65:66], v[65:66]
	v_max_f64 v[73:74], v[63:64], v[63:64]
	v_cmp_u_f64_e64 s4, v[65:66], v[65:66]
	v_cmp_u_f64_e64 s5, v[63:64], v[63:64]
	v_min_f64 v[75:76], v[67:68], v[73:74]
	v_max_f64 v[67:68], v[67:68], v[73:74]
	v_cndmask_b32_e64 v73, v76, v66, s4
	v_cndmask_b32_e64 v74, v75, v65, s4
	v_cndmask_b32_e64 v75, v68, v66, s4
	v_cndmask_b32_e64 v76, v67, v65, s4
	v_cndmask_b32_e64 v68, v73, v64, s5
	v_cndmask_b32_e64 v67, v74, v63, s5
	v_cndmask_b32_e64 v64, v75, v64, s5
	v_cndmask_b32_e64 v63, v76, v63, s5
	v_cmp_class_f64_e64 s5, v[67:68], 0x1f8
	v_cmp_neq_f64_e64 s4, v[67:68], v[63:64]
	s_or_b32 s4, s4, s5
	s_and_saveexec_b32 s39, s4
	s_cbranch_execz .LBB45_84
; %bb.83:
	v_add_f64 v[65:66], v[67:68], -v[63:64]
	s_mov_b32 s4, 0x652b82fe
	s_mov_b32 s5, 0x3ff71547
	;; [unrolled: 1-line block ×10, first 2 shown]
	v_mul_f64 v[67:68], v[65:66], s[4:5]
	s_mov_b32 s4, 0xfca7ab0c
	s_mov_b32 s5, 0x3e928af3
	v_rndne_f64_e32 v[67:68], v[67:68]
	v_fma_f64 v[73:74], v[67:68], s[34:35], v[65:66]
	v_cvt_i32_f64_e32 v77, v[67:68]
	s_mov_b32 s35, 0x3fe62e42
	v_fma_f64 v[73:74], v[67:68], s[36:37], v[73:74]
	s_mov_b32 s37, 0x3c7abc9e
	v_fma_f64 v[75:76], v[73:74], s[40:41], s[4:5]
	s_mov_b32 s4, 0x623fde64
	s_mov_b32 s5, 0x3ec71dee
	;; [unrolled: 1-line block ×4, first 2 shown]
	v_fma_f64 v[75:76], v[73:74], v[75:76], s[4:5]
	s_mov_b32 s4, 0x7c89e6b0
	s_mov_b32 s5, 0x3efa0199
	v_fma_f64 v[75:76], v[73:74], v[75:76], s[4:5]
	s_mov_b32 s4, 0x14761f6e
	s_mov_b32 s5, 0x3f2a01a0
	;; [unrolled: 3-line block ×7, first 2 shown]
	v_fma_f64 v[75:76], v[73:74], v[75:76], s[4:5]
	v_cmp_nlt_f64_e64 s4, 0x40900000, v[65:66]
	v_cmp_ngt_f64_e64 s5, 0xc090cc00, v[65:66]
	v_fma_f64 v[75:76], v[73:74], v[75:76], 1.0
	v_fma_f64 v[67:68], v[73:74], v[75:76], 1.0
	v_ldexp_f64 v[67:68], v[67:68], v77
	v_cndmask_b32_e64 v68, 0x7ff00000, v68, s4
	s_and_b32 s4, s5, s4
	v_cndmask_b32_e64 v65, 0, v67, s4
	s_mov_b32 s4, 0x55555555
	v_cndmask_b32_e64 v66, 0, v68, s5
	s_mov_b32 s5, 0x3fe55555
	v_add_f64 v[67:68], v[65:66], 1.0
	v_cmp_ngt_f64_e64 s29, -1.0, v[65:66]
	v_frexp_mant_f64_e32 v[73:74], v[67:68]
	v_frexp_exp_i32_f64_e32 v77, v[67:68]
	v_add_f64 v[75:76], v[67:68], -1.0
	v_cmp_gt_f64_e64 s4, s[4:5], v[73:74]
	v_add_f64 v[73:74], v[75:76], -v[67:68]
	v_add_f64 v[75:76], v[65:66], -v[75:76]
	v_subrev_co_ci_u32_e64 v93, null, 0, v77, s4
	v_add_f64 v[73:74], v[73:74], 1.0
	s_mov_b32 s4, 0x55555780
	v_sub_nc_u32_e32 v79, 0, v93
	v_ldexp_f64 v[67:68], v[67:68], v79
	v_add_f64 v[73:74], v[75:76], v[73:74]
	v_add_f64 v[77:78], v[67:68], 1.0
	v_add_f64 v[83:84], v[67:68], -1.0
	v_ldexp_f64 v[73:74], v[73:74], v79
	v_add_f64 v[75:76], v[77:78], -1.0
	v_add_f64 v[85:86], v[83:84], 1.0
	v_add_f64 v[75:76], v[67:68], -v[75:76]
	v_add_f64 v[67:68], v[67:68], -v[85:86]
	v_add_f64 v[75:76], v[73:74], v[75:76]
	v_add_f64 v[67:68], v[73:74], v[67:68]
	;; [unrolled: 1-line block ×4, first 2 shown]
	v_rcp_f64_e32 v[81:82], v[79:80]
	v_add_f64 v[77:78], v[79:80], -v[77:78]
	v_add_f64 v[83:84], v[85:86], -v[83:84]
	;; [unrolled: 1-line block ×3, first 2 shown]
	v_fma_f64 v[87:88], -v[79:80], v[81:82], 1.0
	v_add_f64 v[67:68], v[67:68], -v[83:84]
	v_fma_f64 v[81:82], v[87:88], v[81:82], v[81:82]
	v_fma_f64 v[73:74], -v[79:80], v[81:82], 1.0
	v_fma_f64 v[73:74], v[73:74], v[81:82], v[81:82]
	v_mul_f64 v[81:82], v[85:86], v[73:74]
	v_mul_f64 v[87:88], v[79:80], v[81:82]
	v_fma_f64 v[77:78], v[81:82], v[79:80], -v[87:88]
	v_fma_f64 v[77:78], v[81:82], v[75:76], v[77:78]
	v_add_f64 v[89:90], v[87:88], v[77:78]
	v_add_f64 v[91:92], v[85:86], -v[89:90]
	v_add_f64 v[83:84], v[89:90], -v[87:88]
	;; [unrolled: 1-line block ×5, first 2 shown]
	v_add_f64 v[67:68], v[67:68], v[85:86]
	v_add_f64 v[67:68], v[77:78], v[67:68]
	;; [unrolled: 1-line block ×3, first 2 shown]
	v_mul_f64 v[83:84], v[73:74], v[77:78]
	v_add_f64 v[89:90], v[91:92], -v[77:78]
	v_mul_f64 v[85:86], v[79:80], v[83:84]
	v_add_f64 v[67:68], v[67:68], v[89:90]
	v_fma_f64 v[79:80], v[83:84], v[79:80], -v[85:86]
	v_fma_f64 v[75:76], v[83:84], v[75:76], v[79:80]
	v_add_f64 v[79:80], v[85:86], v[75:76]
	v_add_f64 v[87:88], v[77:78], -v[79:80]
	v_add_f64 v[85:86], v[79:80], -v[85:86]
	;; [unrolled: 1-line block ×5, first 2 shown]
	v_add_f64 v[67:68], v[67:68], v[77:78]
	v_add_f64 v[77:78], v[81:82], v[83:84]
	v_add_f64 v[67:68], v[75:76], v[67:68]
	v_add_f64 v[75:76], v[77:78], -v[81:82]
	v_add_f64 v[67:68], v[87:88], v[67:68]
	v_add_f64 v[75:76], v[83:84], -v[75:76]
	v_mul_f64 v[67:68], v[73:74], v[67:68]
	v_add_f64 v[67:68], v[75:76], v[67:68]
	v_add_f64 v[73:74], v[77:78], v[67:68]
	v_mul_f64 v[75:76], v[73:74], v[73:74]
	v_fma_f64 v[79:80], v[75:76], s[42:43], s[40:41]
	s_mov_b32 s40, 0xd7f4df2e
	s_mov_b32 s41, 0x3fc7474d
	v_mul_f64 v[81:82], v[73:74], v[75:76]
	v_fma_f64 v[79:80], v[75:76], v[79:80], s[40:41]
	s_mov_b32 s40, 0x16291751
	s_mov_b32 s41, 0x3fcc71c0
	v_fma_f64 v[79:80], v[75:76], v[79:80], s[40:41]
	s_mov_b32 s40, 0x9b27acf1
	s_mov_b32 s41, 0x3fd24924
	;; [unrolled: 3-line block ×3, first 2 shown]
	v_fma_f64 v[79:80], v[75:76], v[79:80], s[40:41]
	v_fma_f64 v[75:76], v[75:76], v[79:80], s[4:5]
	v_ldexp_f64 v[79:80], v[73:74], 1
	v_add_f64 v[73:74], v[73:74], -v[77:78]
	v_cmp_nge_f64_e64 s4, -1.0, v[65:66]
	v_cmp_neq_f64_e64 s5, 0x7ff00000, v[65:66]
	v_mul_f64 v[75:76], v[81:82], v[75:76]
	v_cvt_f64_i32_e32 v[81:82], v93
	v_add_f64 v[67:68], v[67:68], -v[73:74]
	s_and_b32 s4, s4, s5
	v_add_f64 v[77:78], v[79:80], v[75:76]
	v_mul_f64 v[83:84], v[81:82], s[34:35]
	v_ldexp_f64 v[67:68], v[67:68], 1
	v_add_f64 v[73:74], v[77:78], -v[79:80]
	v_fma_f64 v[79:80], v[81:82], s[34:35], -v[83:84]
	v_add_f64 v[73:74], v[75:76], -v[73:74]
	v_fma_f64 v[75:76], v[81:82], s[36:37], v[79:80]
	v_add_f64 v[67:68], v[67:68], v[73:74]
	v_add_f64 v[73:74], v[83:84], v[75:76]
	;; [unrolled: 1-line block ×3, first 2 shown]
	v_add_f64 v[83:84], v[73:74], -v[83:84]
	v_add_f64 v[81:82], v[73:74], v[79:80]
	v_add_f64 v[77:78], v[79:80], -v[77:78]
	v_add_f64 v[75:76], v[75:76], -v[83:84]
	;; [unrolled: 1-line block ×6, first 2 shown]
	v_add_f64 v[79:80], v[75:76], v[67:68]
	v_add_f64 v[73:74], v[73:74], -v[87:88]
	v_add_f64 v[73:74], v[77:78], v[73:74]
	v_add_f64 v[77:78], v[79:80], -v[75:76]
	;; [unrolled: 2-line block ×3, first 2 shown]
	v_add_f64 v[67:68], v[67:68], -v[77:78]
	v_add_f64 v[83:84], v[81:82], v[73:74]
	v_add_f64 v[75:76], v[75:76], -v[79:80]
	v_add_f64 v[77:78], v[83:84], -v[81:82]
	v_add_f64 v[67:68], v[67:68], v[75:76]
	v_add_f64 v[73:74], v[73:74], -v[77:78]
	v_add_f64 v[67:68], v[67:68], v[73:74]
	v_add_f64 v[67:68], v[83:84], v[67:68]
	v_cndmask_b32_e64 v67, 0, v67, s4
	v_cmp_neq_f64_e64 s4, -1.0, v[65:66]
	v_cndmask_b32_e64 v68, 0x7ff00000, v68, s5
	v_cndmask_b32_e64 v68, 0x7ff80000, v68, s29
	;; [unrolled: 1-line block ×3, first 2 shown]
	v_add_f64 v[65:66], v[63:64], v[67:68]
.LBB45_84:
	s_or_b32 exec_lo, exec_lo, s39
	v_mov_b32_e32 v63, v65
	v_mov_b32_e32 v64, v66
.LBB45_85:
	s_or_b32 exec_lo, exec_lo, s38
	ds_write_b64 v69, v[63:64]
.LBB45_86:
	s_or_b32 exec_lo, exec_lo, s33
	s_mov_b32 s33, exec_lo
	s_waitcnt lgkmcnt(0)
	s_barrier
	buffer_gl0_inv
                                        ; implicit-def: $vgpr63_vgpr64
	v_cmpx_lt_u32_e32 31, v0
	s_cbranch_execz .LBB45_90
; %bb.87:
	v_lshl_add_u32 v63, v72, 3, -8
	v_max_f64 v[65:66], v[61:62], v[61:62]
	v_cmp_u_f64_e64 s5, v[61:62], v[61:62]
	ds_read_b64 v[63:64], v63
	s_waitcnt lgkmcnt(0)
	v_max_f64 v[67:68], v[63:64], v[63:64]
	v_cmp_u_f64_e64 s4, v[63:64], v[63:64]
	v_min_f64 v[72:73], v[67:68], v[65:66]
	v_max_f64 v[65:66], v[67:68], v[65:66]
	v_cndmask_b32_e64 v67, v72, v63, s4
	v_cndmask_b32_e64 v68, v73, v64, s4
	;; [unrolled: 1-line block ×8, first 2 shown]
	v_mov_b32_e32 v61, v63
	v_mov_b32_e32 v62, v64
	v_cmp_class_f64_e64 s5, v[67:68], 0x1f8
	v_cmp_neq_f64_e64 s4, v[67:68], v[65:66]
	s_or_b32 s4, s4, s5
	s_and_saveexec_b32 s38, s4
	s_cbranch_execz .LBB45_89
; %bb.88:
	v_add_f64 v[61:62], v[67:68], -v[65:66]
	s_mov_b32 s4, 0x652b82fe
	s_mov_b32 s5, 0x3ff71547
	;; [unrolled: 1-line block ×10, first 2 shown]
	v_mul_f64 v[67:68], v[61:62], s[4:5]
	s_mov_b32 s4, 0xfca7ab0c
	s_mov_b32 s5, 0x3e928af3
	v_rndne_f64_e32 v[67:68], v[67:68]
	v_fma_f64 v[72:73], v[67:68], s[34:35], v[61:62]
	v_cvt_i32_f64_e32 v76, v[67:68]
	s_mov_b32 s35, 0x3fe62e42
	v_fma_f64 v[72:73], v[67:68], s[36:37], v[72:73]
	s_mov_b32 s37, 0x3c7abc9e
	v_fma_f64 v[74:75], v[72:73], s[40:41], s[4:5]
	s_mov_b32 s4, 0x623fde64
	s_mov_b32 s5, 0x3ec71dee
	;; [unrolled: 1-line block ×4, first 2 shown]
	v_fma_f64 v[74:75], v[72:73], v[74:75], s[4:5]
	s_mov_b32 s4, 0x7c89e6b0
	s_mov_b32 s5, 0x3efa0199
	v_fma_f64 v[74:75], v[72:73], v[74:75], s[4:5]
	s_mov_b32 s4, 0x14761f6e
	s_mov_b32 s5, 0x3f2a01a0
	v_fma_f64 v[74:75], v[72:73], v[74:75], s[4:5]
	s_mov_b32 s4, 0x1852b7b0
	s_mov_b32 s5, 0x3f56c16c
	v_fma_f64 v[74:75], v[72:73], v[74:75], s[4:5]
	s_mov_b32 s4, 0x11122322
	s_mov_b32 s5, 0x3f811111
	v_fma_f64 v[74:75], v[72:73], v[74:75], s[4:5]
	s_mov_b32 s4, 0x555502a1
	s_mov_b32 s5, 0x3fa55555
	v_fma_f64 v[74:75], v[72:73], v[74:75], s[4:5]
	s_mov_b32 s4, 0x55555511
	s_mov_b32 s5, 0x3fc55555
	v_fma_f64 v[74:75], v[72:73], v[74:75], s[4:5]
	s_mov_b32 s4, 11
	s_mov_b32 s5, 0x3fe00000
	v_fma_f64 v[74:75], v[72:73], v[74:75], s[4:5]
	v_cmp_nlt_f64_e64 s4, 0x40900000, v[61:62]
	v_cmp_ngt_f64_e64 s5, 0xc090cc00, v[61:62]
	v_fma_f64 v[74:75], v[72:73], v[74:75], 1.0
	v_fma_f64 v[67:68], v[72:73], v[74:75], 1.0
	v_ldexp_f64 v[67:68], v[67:68], v76
	v_cndmask_b32_e64 v68, 0x7ff00000, v68, s4
	s_and_b32 s4, s5, s4
	v_cndmask_b32_e64 v61, 0, v67, s4
	s_mov_b32 s4, 0x55555555
	v_cndmask_b32_e64 v62, 0, v68, s5
	s_mov_b32 s5, 0x3fe55555
	v_add_f64 v[67:68], v[61:62], 1.0
	v_cmp_ngt_f64_e64 s29, -1.0, v[61:62]
	v_frexp_mant_f64_e32 v[72:73], v[67:68]
	v_frexp_exp_i32_f64_e32 v76, v[67:68]
	v_add_f64 v[74:75], v[67:68], -1.0
	v_cmp_gt_f64_e64 s4, s[4:5], v[72:73]
	v_add_f64 v[72:73], v[74:75], -v[67:68]
	v_add_f64 v[74:75], v[61:62], -v[74:75]
	v_subrev_co_ci_u32_e64 v92, null, 0, v76, s4
	v_add_f64 v[72:73], v[72:73], 1.0
	s_mov_b32 s4, 0x55555780
	v_sub_nc_u32_e32 v78, 0, v92
	v_ldexp_f64 v[67:68], v[67:68], v78
	v_add_f64 v[72:73], v[74:75], v[72:73]
	v_add_f64 v[76:77], v[67:68], 1.0
	v_add_f64 v[82:83], v[67:68], -1.0
	v_ldexp_f64 v[72:73], v[72:73], v78
	v_add_f64 v[74:75], v[76:77], -1.0
	v_add_f64 v[84:85], v[82:83], 1.0
	v_add_f64 v[74:75], v[67:68], -v[74:75]
	v_add_f64 v[67:68], v[67:68], -v[84:85]
	v_add_f64 v[74:75], v[72:73], v[74:75]
	v_add_f64 v[67:68], v[72:73], v[67:68]
	;; [unrolled: 1-line block ×4, first 2 shown]
	v_rcp_f64_e32 v[80:81], v[78:79]
	v_add_f64 v[76:77], v[78:79], -v[76:77]
	v_add_f64 v[82:83], v[84:85], -v[82:83]
	;; [unrolled: 1-line block ×3, first 2 shown]
	v_fma_f64 v[86:87], -v[78:79], v[80:81], 1.0
	v_add_f64 v[67:68], v[67:68], -v[82:83]
	v_fma_f64 v[80:81], v[86:87], v[80:81], v[80:81]
	v_fma_f64 v[72:73], -v[78:79], v[80:81], 1.0
	v_fma_f64 v[72:73], v[72:73], v[80:81], v[80:81]
	v_mul_f64 v[80:81], v[84:85], v[72:73]
	v_mul_f64 v[86:87], v[78:79], v[80:81]
	v_fma_f64 v[76:77], v[80:81], v[78:79], -v[86:87]
	v_fma_f64 v[76:77], v[80:81], v[74:75], v[76:77]
	v_add_f64 v[88:89], v[86:87], v[76:77]
	v_add_f64 v[90:91], v[84:85], -v[88:89]
	v_add_f64 v[82:83], v[88:89], -v[86:87]
	;; [unrolled: 1-line block ×5, first 2 shown]
	v_add_f64 v[67:68], v[67:68], v[84:85]
	v_add_f64 v[67:68], v[76:77], v[67:68]
	;; [unrolled: 1-line block ×3, first 2 shown]
	v_mul_f64 v[82:83], v[72:73], v[76:77]
	v_add_f64 v[88:89], v[90:91], -v[76:77]
	v_mul_f64 v[84:85], v[78:79], v[82:83]
	v_add_f64 v[67:68], v[67:68], v[88:89]
	v_fma_f64 v[78:79], v[82:83], v[78:79], -v[84:85]
	v_fma_f64 v[74:75], v[82:83], v[74:75], v[78:79]
	v_add_f64 v[78:79], v[84:85], v[74:75]
	v_add_f64 v[86:87], v[76:77], -v[78:79]
	v_add_f64 v[84:85], v[78:79], -v[84:85]
	;; [unrolled: 1-line block ×5, first 2 shown]
	v_add_f64 v[67:68], v[67:68], v[76:77]
	v_add_f64 v[76:77], v[80:81], v[82:83]
	;; [unrolled: 1-line block ×3, first 2 shown]
	v_add_f64 v[74:75], v[76:77], -v[80:81]
	v_add_f64 v[67:68], v[86:87], v[67:68]
	v_add_f64 v[74:75], v[82:83], -v[74:75]
	v_mul_f64 v[67:68], v[72:73], v[67:68]
	v_add_f64 v[67:68], v[74:75], v[67:68]
	v_add_f64 v[72:73], v[76:77], v[67:68]
	v_mul_f64 v[74:75], v[72:73], v[72:73]
	v_fma_f64 v[78:79], v[74:75], s[42:43], s[40:41]
	s_mov_b32 s40, 0xd7f4df2e
	s_mov_b32 s41, 0x3fc7474d
	v_mul_f64 v[80:81], v[72:73], v[74:75]
	v_fma_f64 v[78:79], v[74:75], v[78:79], s[40:41]
	s_mov_b32 s40, 0x16291751
	s_mov_b32 s41, 0x3fcc71c0
	v_fma_f64 v[78:79], v[74:75], v[78:79], s[40:41]
	s_mov_b32 s40, 0x9b27acf1
	s_mov_b32 s41, 0x3fd24924
	;; [unrolled: 3-line block ×3, first 2 shown]
	v_fma_f64 v[78:79], v[74:75], v[78:79], s[40:41]
	v_fma_f64 v[74:75], v[74:75], v[78:79], s[4:5]
	v_ldexp_f64 v[78:79], v[72:73], 1
	v_add_f64 v[72:73], v[72:73], -v[76:77]
	v_cmp_nge_f64_e64 s4, -1.0, v[61:62]
	v_cmp_neq_f64_e64 s5, 0x7ff00000, v[61:62]
	v_mul_f64 v[74:75], v[80:81], v[74:75]
	v_cvt_f64_i32_e32 v[80:81], v92
	v_add_f64 v[67:68], v[67:68], -v[72:73]
	s_and_b32 s4, s4, s5
	v_add_f64 v[76:77], v[78:79], v[74:75]
	v_mul_f64 v[82:83], v[80:81], s[34:35]
	v_ldexp_f64 v[67:68], v[67:68], 1
	v_add_f64 v[72:73], v[76:77], -v[78:79]
	v_fma_f64 v[78:79], v[80:81], s[34:35], -v[82:83]
	v_add_f64 v[72:73], v[74:75], -v[72:73]
	v_fma_f64 v[74:75], v[80:81], s[36:37], v[78:79]
	v_add_f64 v[67:68], v[67:68], v[72:73]
	v_add_f64 v[72:73], v[82:83], v[74:75]
	;; [unrolled: 1-line block ×3, first 2 shown]
	v_add_f64 v[82:83], v[72:73], -v[82:83]
	v_add_f64 v[80:81], v[72:73], v[78:79]
	v_add_f64 v[76:77], v[78:79], -v[76:77]
	v_add_f64 v[74:75], v[74:75], -v[82:83]
	;; [unrolled: 1-line block ×6, first 2 shown]
	v_add_f64 v[78:79], v[74:75], v[67:68]
	v_add_f64 v[72:73], v[72:73], -v[86:87]
	v_add_f64 v[72:73], v[76:77], v[72:73]
	v_add_f64 v[76:77], v[78:79], -v[74:75]
	;; [unrolled: 2-line block ×3, first 2 shown]
	v_add_f64 v[67:68], v[67:68], -v[76:77]
	v_add_f64 v[82:83], v[80:81], v[72:73]
	v_add_f64 v[74:75], v[74:75], -v[78:79]
	v_add_f64 v[76:77], v[82:83], -v[80:81]
	v_add_f64 v[67:68], v[67:68], v[74:75]
	v_add_f64 v[72:73], v[72:73], -v[76:77]
	v_add_f64 v[67:68], v[67:68], v[72:73]
	v_add_f64 v[67:68], v[82:83], v[67:68]
	v_cndmask_b32_e64 v67, 0, v67, s4
	v_cmp_neq_f64_e64 s4, -1.0, v[61:62]
	v_cndmask_b32_e64 v68, 0x7ff00000, v68, s5
	v_cndmask_b32_e64 v68, 0x7ff80000, v68, s29
	v_cndmask_b32_e64 v68, 0xfff00000, v68, s4
	v_add_f64 v[61:62], v[65:66], v[67:68]
.LBB45_89:
	s_or_b32 exec_lo, exec_lo, s38
.LBB45_90:
	s_or_b32 exec_lo, exec_lo, s33
	v_add_nc_u32_e32 v65, -1, v71
	s_mov_b32 s33, exec_lo
	v_cmp_gt_i32_e64 s4, 0, v65
	v_cndmask_b32_e64 v65, v65, v71, s4
	v_lshlrev_b32_e32 v65, 2, v65
	ds_bpermute_b32 v61, v65, v61
	ds_bpermute_b32 v62, v65, v62
	v_cmpx_ne_u32_e32 0, v0
	s_cbranch_execz .LBB45_94
; %bb.91:
	v_cmp_eq_u32_e64 s4, 0, v71
	s_waitcnt lgkmcnt(0)
	v_cndmask_b32_e64 v62, v62, v64, s4
	v_cndmask_b32_e64 v61, v61, v63, s4
	v_max_f64 v[57:58], v[61:62], v[61:62]
	v_cmp_u_f64_e64 s4, v[61:62], v[61:62]
	v_min_f64 v[59:60], v[57:58], v[55:56]
	v_max_f64 v[55:56], v[57:58], v[55:56]
	v_cndmask_b32_e64 v0, v60, v62, s4
	v_cndmask_b32_e64 v57, v59, v61, s4
	;; [unrolled: 1-line block ×8, first 2 shown]
	v_cmp_class_f64_e64 s5, v[55:56], 0x1f8
	v_cmp_neq_f64_e64 s4, v[55:56], v[1:2]
	s_or_b32 s4, s4, s5
	s_and_saveexec_b32 s36, s4
	s_cbranch_execz .LBB45_93
; %bb.92:
	v_add_f64 v[55:56], v[55:56], -v[1:2]
	s_mov_b32 s4, 0x652b82fe
	s_mov_b32 s5, 0x3ff71547
	;; [unrolled: 1-line block ×10, first 2 shown]
	v_mul_f64 v[57:58], v[55:56], s[4:5]
	s_mov_b32 s4, 0xfca7ab0c
	s_mov_b32 s5, 0x3e928af3
	v_rndne_f64_e32 v[57:58], v[57:58]
	v_fma_f64 v[59:60], v[57:58], s[28:29], v[55:56]
	v_cvt_i32_f64_e32 v0, v[57:58]
	s_mov_b32 s29, 0x3fe62e42
	v_fma_f64 v[59:60], v[57:58], s[34:35], v[59:60]
	s_mov_b32 s35, 0x3c7abc9e
	v_fma_f64 v[61:62], v[59:60], s[38:39], s[4:5]
	s_mov_b32 s4, 0x623fde64
	s_mov_b32 s5, 0x3ec71dee
	;; [unrolled: 1-line block ×4, first 2 shown]
	v_fma_f64 v[61:62], v[59:60], v[61:62], s[4:5]
	s_mov_b32 s4, 0x7c89e6b0
	s_mov_b32 s5, 0x3efa0199
	v_fma_f64 v[61:62], v[59:60], v[61:62], s[4:5]
	s_mov_b32 s4, 0x14761f6e
	s_mov_b32 s5, 0x3f2a01a0
	;; [unrolled: 3-line block ×7, first 2 shown]
	v_fma_f64 v[61:62], v[59:60], v[61:62], s[4:5]
	v_cmp_nlt_f64_e64 s4, 0x40900000, v[55:56]
	v_cmp_ngt_f64_e64 s5, 0xc090cc00, v[55:56]
	v_fma_f64 v[61:62], v[59:60], v[61:62], 1.0
	v_fma_f64 v[57:58], v[59:60], v[61:62], 1.0
	v_ldexp_f64 v[57:58], v[57:58], v0
	v_cndmask_b32_e64 v0, 0x7ff00000, v58, s4
	s_and_b32 s4, s5, s4
	v_cndmask_b32_e64 v55, 0, v57, s4
	s_mov_b32 s4, 0x55555555
	v_cndmask_b32_e64 v56, 0, v0, s5
	s_mov_b32 s5, 0x3fe55555
	v_add_f64 v[57:58], v[55:56], 1.0
	v_frexp_mant_f64_e32 v[59:60], v[57:58]
	v_frexp_exp_i32_f64_e32 v0, v[57:58]
	v_add_f64 v[61:62], v[57:58], -1.0
	v_cmp_gt_f64_e64 s4, s[4:5], v[59:60]
	v_add_f64 v[59:60], v[61:62], -v[57:58]
	v_add_f64 v[61:62], v[55:56], -v[61:62]
	v_subrev_co_ci_u32_e64 v0, null, 0, v0, s4
	v_add_f64 v[59:60], v[59:60], 1.0
	s_mov_b32 s4, 0x55555780
	v_sub_nc_u32_e32 v65, 0, v0
	v_ldexp_f64 v[57:58], v[57:58], v65
	v_add_f64 v[59:60], v[61:62], v[59:60]
	v_add_f64 v[63:64], v[57:58], 1.0
	v_add_f64 v[71:72], v[57:58], -1.0
	v_ldexp_f64 v[59:60], v[59:60], v65
	v_add_f64 v[61:62], v[63:64], -1.0
	v_add_f64 v[73:74], v[71:72], 1.0
	v_add_f64 v[61:62], v[57:58], -v[61:62]
	v_add_f64 v[57:58], v[57:58], -v[73:74]
	v_add_f64 v[61:62], v[59:60], v[61:62]
	v_add_f64 v[57:58], v[59:60], v[57:58]
	;; [unrolled: 1-line block ×4, first 2 shown]
	v_rcp_f64_e32 v[67:68], v[65:66]
	v_add_f64 v[63:64], v[65:66], -v[63:64]
	v_add_f64 v[71:72], v[73:74], -v[71:72]
	;; [unrolled: 1-line block ×3, first 2 shown]
	v_fma_f64 v[75:76], -v[65:66], v[67:68], 1.0
	v_add_f64 v[57:58], v[57:58], -v[71:72]
	v_fma_f64 v[67:68], v[75:76], v[67:68], v[67:68]
	v_fma_f64 v[59:60], -v[65:66], v[67:68], 1.0
	v_fma_f64 v[59:60], v[59:60], v[67:68], v[67:68]
	v_mul_f64 v[67:68], v[73:74], v[59:60]
	v_mul_f64 v[75:76], v[65:66], v[67:68]
	v_fma_f64 v[63:64], v[67:68], v[65:66], -v[75:76]
	v_fma_f64 v[63:64], v[67:68], v[61:62], v[63:64]
	v_add_f64 v[77:78], v[75:76], v[63:64]
	v_add_f64 v[79:80], v[73:74], -v[77:78]
	v_add_f64 v[71:72], v[77:78], -v[75:76]
	;; [unrolled: 1-line block ×5, first 2 shown]
	v_add_f64 v[57:58], v[57:58], v[73:74]
	v_add_f64 v[57:58], v[63:64], v[57:58]
	;; [unrolled: 1-line block ×3, first 2 shown]
	v_mul_f64 v[71:72], v[59:60], v[63:64]
	v_add_f64 v[77:78], v[79:80], -v[63:64]
	v_mul_f64 v[73:74], v[65:66], v[71:72]
	v_add_f64 v[57:58], v[57:58], v[77:78]
	v_fma_f64 v[65:66], v[71:72], v[65:66], -v[73:74]
	v_fma_f64 v[61:62], v[71:72], v[61:62], v[65:66]
	v_add_f64 v[65:66], v[73:74], v[61:62]
	v_add_f64 v[75:76], v[63:64], -v[65:66]
	v_add_f64 v[73:74], v[65:66], -v[73:74]
	v_add_f64 v[63:64], v[63:64], -v[75:76]
	v_add_f64 v[61:62], v[73:74], -v[61:62]
	v_add_f64 v[63:64], v[63:64], -v[65:66]
	v_add_f64 v[57:58], v[57:58], v[63:64]
	v_add_f64 v[63:64], v[67:68], v[71:72]
	;; [unrolled: 1-line block ×3, first 2 shown]
	v_add_f64 v[61:62], v[63:64], -v[67:68]
	v_add_f64 v[57:58], v[75:76], v[57:58]
	v_add_f64 v[61:62], v[71:72], -v[61:62]
	v_mul_f64 v[57:58], v[59:60], v[57:58]
	v_add_f64 v[57:58], v[61:62], v[57:58]
	v_add_f64 v[59:60], v[63:64], v[57:58]
	v_mul_f64 v[61:62], v[59:60], v[59:60]
	v_fma_f64 v[65:66], v[61:62], s[40:41], s[38:39]
	s_mov_b32 s38, 0xd7f4df2e
	s_mov_b32 s39, 0x3fc7474d
	v_mul_f64 v[67:68], v[59:60], v[61:62]
	v_fma_f64 v[65:66], v[61:62], v[65:66], s[38:39]
	s_mov_b32 s38, 0x16291751
	s_mov_b32 s39, 0x3fcc71c0
	v_fma_f64 v[65:66], v[61:62], v[65:66], s[38:39]
	s_mov_b32 s38, 0x9b27acf1
	s_mov_b32 s39, 0x3fd24924
	v_fma_f64 v[65:66], v[61:62], v[65:66], s[38:39]
	s_mov_b32 s38, 0x998ef7b6
	s_mov_b32 s39, 0x3fd99999
	v_fma_f64 v[65:66], v[61:62], v[65:66], s[38:39]
	v_fma_f64 v[61:62], v[61:62], v[65:66], s[4:5]
	v_ldexp_f64 v[65:66], v[59:60], 1
	v_add_f64 v[59:60], v[59:60], -v[63:64]
	v_cmp_nge_f64_e64 s4, -1.0, v[55:56]
	v_cmp_neq_f64_e64 s5, 0x7ff00000, v[55:56]
	v_mul_f64 v[61:62], v[67:68], v[61:62]
	v_cvt_f64_i32_e32 v[67:68], v0
	v_add_f64 v[57:58], v[57:58], -v[59:60]
	s_and_b32 s4, s4, s5
	v_add_f64 v[63:64], v[65:66], v[61:62]
	v_mul_f64 v[71:72], v[67:68], s[28:29]
	v_ldexp_f64 v[57:58], v[57:58], 1
	v_add_f64 v[59:60], v[63:64], -v[65:66]
	v_fma_f64 v[65:66], v[67:68], s[28:29], -v[71:72]
	v_cmp_ngt_f64_e64 s28, -1.0, v[55:56]
	v_add_f64 v[59:60], v[61:62], -v[59:60]
	v_fma_f64 v[61:62], v[67:68], s[34:35], v[65:66]
	v_add_f64 v[57:58], v[57:58], v[59:60]
	v_add_f64 v[59:60], v[71:72], v[61:62]
	;; [unrolled: 1-line block ×3, first 2 shown]
	v_add_f64 v[71:72], v[59:60], -v[71:72]
	v_add_f64 v[67:68], v[59:60], v[65:66]
	v_add_f64 v[63:64], v[65:66], -v[63:64]
	v_add_f64 v[61:62], v[61:62], -v[71:72]
	;; [unrolled: 1-line block ×6, first 2 shown]
	v_add_f64 v[65:66], v[61:62], v[57:58]
	v_add_f64 v[59:60], v[59:60], -v[75:76]
	v_add_f64 v[59:60], v[63:64], v[59:60]
	v_add_f64 v[63:64], v[65:66], -v[61:62]
	;; [unrolled: 2-line block ×3, first 2 shown]
	v_add_f64 v[57:58], v[57:58], -v[63:64]
	v_add_f64 v[71:72], v[67:68], v[59:60]
	v_add_f64 v[61:62], v[61:62], -v[65:66]
	v_add_f64 v[63:64], v[71:72], -v[67:68]
	v_add_f64 v[57:58], v[57:58], v[61:62]
	v_add_f64 v[59:60], v[59:60], -v[63:64]
	v_add_f64 v[57:58], v[57:58], v[59:60]
	v_add_f64 v[57:58], v[71:72], v[57:58]
	v_cndmask_b32_e64 v57, 0, v57, s4
	v_cmp_neq_f64_e64 s4, -1.0, v[55:56]
	v_cndmask_b32_e64 v0, 0x7ff00000, v58, s5
	v_cndmask_b32_e64 v0, 0x7ff80000, v0, s28
	;; [unrolled: 1-line block ×3, first 2 shown]
	v_add_f64 v[61:62], v[1:2], v[57:58]
.LBB45_93:
	s_or_b32 exec_lo, exec_lo, s36
	v_max_f64 v[0:1], v[61:62], v[61:62]
	;;#ASMSTART
	;;#ASMEND
	v_min_f64 v[57:58], v[0:1], v[33:34]
	v_max_f64 v[59:60], v[0:1], v[33:34]
	v_mov_b32_e32 v1, v61
	v_mov_b32_e32 v2, v62
.LBB45_94:
	s_or_b32 exec_lo, exec_lo, s33
	v_cmp_u_f64_e64 s4, v[1:2], v[1:2]
	v_cndmask_b32_e64 v0, v57, v1, s4
	v_cndmask_b32_e64 v33, v58, v2, s4
	;; [unrolled: 1-line block ×8, first 2 shown]
	v_mov_b32_e32 v4, v2
	v_mov_b32_e32 v3, v1
	v_cmp_class_f64_e64 s5, v[55:56], 0x1f8
	v_cmp_neq_f64_e64 s4, v[55:56], v[33:34]
	s_or_b32 s4, s4, s5
	s_and_saveexec_b32 s33, s4
	s_cbranch_execz .LBB45_96
; %bb.95:
	v_add_f64 v[3:4], v[55:56], -v[33:34]
	s_mov_b32 s4, 0x652b82fe
	s_mov_b32 s5, 0x3ff71547
	;; [unrolled: 1-line block ×10, first 2 shown]
	v_mul_f64 v[55:56], v[3:4], s[4:5]
	s_mov_b32 s4, 0xfca7ab0c
	s_mov_b32 s5, 0x3e928af3
	v_rndne_f64_e32 v[55:56], v[55:56]
	v_fma_f64 v[57:58], v[55:56], s[28:29], v[3:4]
	v_cvt_i32_f64_e32 v0, v[55:56]
	s_mov_b32 s29, 0x3fe62e42
	v_fma_f64 v[57:58], v[55:56], s[34:35], v[57:58]
	s_mov_b32 s35, 0x3c7abc9e
	v_fma_f64 v[59:60], v[57:58], s[36:37], s[4:5]
	s_mov_b32 s4, 0x623fde64
	s_mov_b32 s5, 0x3ec71dee
	;; [unrolled: 1-line block ×4, first 2 shown]
	v_fma_f64 v[59:60], v[57:58], v[59:60], s[4:5]
	s_mov_b32 s4, 0x7c89e6b0
	s_mov_b32 s5, 0x3efa0199
	v_fma_f64 v[59:60], v[57:58], v[59:60], s[4:5]
	s_mov_b32 s4, 0x14761f6e
	s_mov_b32 s5, 0x3f2a01a0
	;; [unrolled: 3-line block ×7, first 2 shown]
	v_fma_f64 v[59:60], v[57:58], v[59:60], s[4:5]
	v_cmp_nlt_f64_e64 s4, 0x40900000, v[3:4]
	v_cmp_ngt_f64_e64 s5, 0xc090cc00, v[3:4]
	v_fma_f64 v[59:60], v[57:58], v[59:60], 1.0
	v_fma_f64 v[55:56], v[57:58], v[59:60], 1.0
	v_ldexp_f64 v[55:56], v[55:56], v0
	v_cndmask_b32_e64 v0, 0x7ff00000, v56, s4
	s_and_b32 s4, s5, s4
	v_cndmask_b32_e64 v3, 0, v55, s4
	s_mov_b32 s4, 0x55555555
	v_cndmask_b32_e64 v4, 0, v0, s5
	s_mov_b32 s5, 0x3fe55555
	v_add_f64 v[55:56], v[3:4], 1.0
	v_cmp_ngt_f64_e64 s15, -1.0, v[3:4]
	v_frexp_mant_f64_e32 v[57:58], v[55:56]
	v_frexp_exp_i32_f64_e32 v0, v[55:56]
	v_add_f64 v[59:60], v[55:56], -1.0
	v_cmp_gt_f64_e64 s4, s[4:5], v[57:58]
	v_add_f64 v[57:58], v[59:60], -v[55:56]
	v_add_f64 v[59:60], v[3:4], -v[59:60]
	v_subrev_co_ci_u32_e64 v0, null, 0, v0, s4
	v_add_f64 v[57:58], v[57:58], 1.0
	s_mov_b32 s4, 0x55555780
	v_sub_nc_u32_e32 v63, 0, v0
	v_ldexp_f64 v[55:56], v[55:56], v63
	v_add_f64 v[57:58], v[59:60], v[57:58]
	s_waitcnt lgkmcnt(0)
	v_add_f64 v[61:62], v[55:56], 1.0
	v_add_f64 v[67:68], v[55:56], -1.0
	v_ldexp_f64 v[57:58], v[57:58], v63
	v_add_f64 v[59:60], v[61:62], -1.0
	v_add_f64 v[71:72], v[67:68], 1.0
	v_add_f64 v[59:60], v[55:56], -v[59:60]
	v_add_f64 v[55:56], v[55:56], -v[71:72]
	v_add_f64 v[59:60], v[57:58], v[59:60]
	v_add_f64 v[55:56], v[57:58], v[55:56]
	;; [unrolled: 1-line block ×4, first 2 shown]
	v_rcp_f64_e32 v[65:66], v[63:64]
	v_add_f64 v[61:62], v[63:64], -v[61:62]
	v_add_f64 v[67:68], v[71:72], -v[67:68]
	;; [unrolled: 1-line block ×3, first 2 shown]
	v_fma_f64 v[73:74], -v[63:64], v[65:66], 1.0
	v_add_f64 v[55:56], v[55:56], -v[67:68]
	v_fma_f64 v[65:66], v[73:74], v[65:66], v[65:66]
	v_fma_f64 v[57:58], -v[63:64], v[65:66], 1.0
	v_fma_f64 v[57:58], v[57:58], v[65:66], v[65:66]
	v_mul_f64 v[65:66], v[71:72], v[57:58]
	v_mul_f64 v[73:74], v[63:64], v[65:66]
	v_fma_f64 v[61:62], v[65:66], v[63:64], -v[73:74]
	v_fma_f64 v[61:62], v[65:66], v[59:60], v[61:62]
	v_add_f64 v[75:76], v[73:74], v[61:62]
	v_add_f64 v[77:78], v[71:72], -v[75:76]
	v_add_f64 v[67:68], v[75:76], -v[73:74]
	;; [unrolled: 1-line block ×5, first 2 shown]
	v_add_f64 v[55:56], v[55:56], v[71:72]
	v_add_f64 v[55:56], v[61:62], v[55:56]
	;; [unrolled: 1-line block ×3, first 2 shown]
	v_mul_f64 v[67:68], v[57:58], v[61:62]
	v_add_f64 v[75:76], v[77:78], -v[61:62]
	v_mul_f64 v[71:72], v[63:64], v[67:68]
	v_add_f64 v[55:56], v[55:56], v[75:76]
	v_fma_f64 v[63:64], v[67:68], v[63:64], -v[71:72]
	v_fma_f64 v[59:60], v[67:68], v[59:60], v[63:64]
	v_add_f64 v[63:64], v[71:72], v[59:60]
	v_add_f64 v[73:74], v[61:62], -v[63:64]
	v_add_f64 v[71:72], v[63:64], -v[71:72]
	;; [unrolled: 1-line block ×5, first 2 shown]
	v_add_f64 v[55:56], v[55:56], v[61:62]
	v_add_f64 v[61:62], v[65:66], v[67:68]
	;; [unrolled: 1-line block ×3, first 2 shown]
	v_add_f64 v[59:60], v[61:62], -v[65:66]
	v_add_f64 v[55:56], v[73:74], v[55:56]
	v_add_f64 v[59:60], v[67:68], -v[59:60]
	v_mul_f64 v[55:56], v[57:58], v[55:56]
	v_add_f64 v[55:56], v[59:60], v[55:56]
	v_add_f64 v[57:58], v[61:62], v[55:56]
	v_mul_f64 v[59:60], v[57:58], v[57:58]
	v_fma_f64 v[63:64], v[59:60], s[38:39], s[36:37]
	s_mov_b32 s36, 0xd7f4df2e
	s_mov_b32 s37, 0x3fc7474d
	v_mul_f64 v[65:66], v[57:58], v[59:60]
	v_fma_f64 v[63:64], v[59:60], v[63:64], s[36:37]
	s_mov_b32 s36, 0x16291751
	s_mov_b32 s37, 0x3fcc71c0
	v_fma_f64 v[63:64], v[59:60], v[63:64], s[36:37]
	s_mov_b32 s36, 0x9b27acf1
	s_mov_b32 s37, 0x3fd24924
	v_fma_f64 v[63:64], v[59:60], v[63:64], s[36:37]
	s_mov_b32 s36, 0x998ef7b6
	s_mov_b32 s37, 0x3fd99999
	v_fma_f64 v[63:64], v[59:60], v[63:64], s[36:37]
	v_fma_f64 v[59:60], v[59:60], v[63:64], s[4:5]
	v_ldexp_f64 v[63:64], v[57:58], 1
	v_add_f64 v[57:58], v[57:58], -v[61:62]
	v_cmp_nge_f64_e64 s4, -1.0, v[3:4]
	v_cmp_neq_f64_e64 s5, 0x7ff00000, v[3:4]
	v_mul_f64 v[59:60], v[65:66], v[59:60]
	v_cvt_f64_i32_e32 v[65:66], v0
	v_add_f64 v[55:56], v[55:56], -v[57:58]
	s_and_b32 s4, s4, s5
	v_add_f64 v[61:62], v[63:64], v[59:60]
	v_mul_f64 v[67:68], v[65:66], s[28:29]
	v_ldexp_f64 v[55:56], v[55:56], 1
	v_add_f64 v[57:58], v[61:62], -v[63:64]
	v_fma_f64 v[63:64], v[65:66], s[28:29], -v[67:68]
	v_add_f64 v[57:58], v[59:60], -v[57:58]
	v_fma_f64 v[59:60], v[65:66], s[34:35], v[63:64]
	v_add_f64 v[55:56], v[55:56], v[57:58]
	v_add_f64 v[57:58], v[67:68], v[59:60]
	;; [unrolled: 1-line block ×3, first 2 shown]
	v_add_f64 v[67:68], v[57:58], -v[67:68]
	v_add_f64 v[65:66], v[57:58], v[63:64]
	v_add_f64 v[61:62], v[63:64], -v[61:62]
	v_add_f64 v[59:60], v[59:60], -v[67:68]
	;; [unrolled: 1-line block ×6, first 2 shown]
	v_add_f64 v[63:64], v[59:60], v[55:56]
	v_add_f64 v[57:58], v[57:58], -v[73:74]
	v_add_f64 v[57:58], v[61:62], v[57:58]
	v_add_f64 v[61:62], v[63:64], -v[59:60]
	;; [unrolled: 2-line block ×3, first 2 shown]
	v_add_f64 v[55:56], v[55:56], -v[61:62]
	v_add_f64 v[67:68], v[65:66], v[57:58]
	v_add_f64 v[59:60], v[59:60], -v[63:64]
	v_add_f64 v[61:62], v[67:68], -v[65:66]
	v_add_f64 v[55:56], v[55:56], v[59:60]
	v_add_f64 v[57:58], v[57:58], -v[61:62]
	v_add_f64 v[55:56], v[55:56], v[57:58]
	v_add_f64 v[55:56], v[67:68], v[55:56]
	v_cndmask_b32_e64 v55, 0, v55, s4
	v_cmp_neq_f64_e64 s4, -1.0, v[3:4]
	v_cndmask_b32_e64 v0, 0x7ff00000, v56, s5
	v_cndmask_b32_e64 v0, 0x7ff80000, v0, s15
	;; [unrolled: 1-line block ×3, first 2 shown]
	v_add_f64 v[3:4], v[33:34], v[55:56]
.LBB45_96:
	s_or_b32 exec_lo, exec_lo, s33
	v_max_f64 v[33:34], v[3:4], v[3:4]
	v_cmp_u_f64_e64 s4, v[3:4], v[3:4]
	v_min_f64 v[55:56], v[33:34], v[29:30]
	v_max_f64 v[29:30], v[33:34], v[29:30]
	v_cndmask_b32_e64 v0, v55, v3, s4
	v_cndmask_b32_e64 v33, v56, v4, s4
	;; [unrolled: 1-line block ×8, first 2 shown]
	v_mov_b32_e32 v26, v4
	v_mov_b32_e32 v25, v3
	v_cmp_class_f64_e64 s5, v[33:34], 0x1f8
	v_cmp_neq_f64_e64 s4, v[33:34], v[29:30]
	s_or_b32 s4, s4, s5
	s_and_saveexec_b32 s16, s4
	s_cbranch_execz .LBB45_98
; %bb.97:
	v_add_f64 v[25:26], v[33:34], -v[29:30]
	s_mov_b32 s4, 0x652b82fe
	s_mov_b32 s5, 0x3ff71547
	;; [unrolled: 1-line block ×10, first 2 shown]
	v_mul_f64 v[33:34], v[25:26], s[4:5]
	s_mov_b32 s4, 0xfca7ab0c
	s_mov_b32 s5, 0x3e928af3
	v_rndne_f64_e32 v[33:34], v[33:34]
	v_fma_f64 v[55:56], v[33:34], s[28:29], v[25:26]
	v_cvt_i32_f64_e32 v0, v[33:34]
	s_mov_b32 s29, 0x3fe62e42
	v_fma_f64 v[55:56], v[33:34], s[34:35], v[55:56]
	s_mov_b32 s35, 0x3c7abc9e
	v_fma_f64 v[57:58], v[55:56], s[36:37], s[4:5]
	s_mov_b32 s4, 0x623fde64
	s_mov_b32 s5, 0x3ec71dee
	;; [unrolled: 1-line block ×4, first 2 shown]
	v_fma_f64 v[57:58], v[55:56], v[57:58], s[4:5]
	s_mov_b32 s4, 0x7c89e6b0
	s_mov_b32 s5, 0x3efa0199
	v_fma_f64 v[57:58], v[55:56], v[57:58], s[4:5]
	s_mov_b32 s4, 0x14761f6e
	s_mov_b32 s5, 0x3f2a01a0
	;; [unrolled: 3-line block ×7, first 2 shown]
	v_fma_f64 v[57:58], v[55:56], v[57:58], s[4:5]
	v_cmp_nlt_f64_e64 s4, 0x40900000, v[25:26]
	v_cmp_ngt_f64_e64 s5, 0xc090cc00, v[25:26]
	v_fma_f64 v[57:58], v[55:56], v[57:58], 1.0
	v_fma_f64 v[33:34], v[55:56], v[57:58], 1.0
	v_ldexp_f64 v[33:34], v[33:34], v0
	v_cndmask_b32_e64 v0, 0x7ff00000, v34, s4
	s_and_b32 s4, s5, s4
	v_cndmask_b32_e64 v25, 0, v33, s4
	s_mov_b32 s4, 0x55555555
	v_cndmask_b32_e64 v26, 0, v0, s5
	s_mov_b32 s5, 0x3fe55555
	v_add_f64 v[33:34], v[25:26], 1.0
	v_cmp_ngt_f64_e64 s15, -1.0, v[25:26]
	v_frexp_mant_f64_e32 v[55:56], v[33:34]
	v_frexp_exp_i32_f64_e32 v0, v[33:34]
	v_add_f64 v[57:58], v[33:34], -1.0
	v_cmp_gt_f64_e64 s4, s[4:5], v[55:56]
	v_add_f64 v[55:56], v[57:58], -v[33:34]
	v_add_f64 v[57:58], v[25:26], -v[57:58]
	v_subrev_co_ci_u32_e64 v0, null, 0, v0, s4
	v_add_f64 v[55:56], v[55:56], 1.0
	s_mov_b32 s4, 0x55555780
	s_waitcnt lgkmcnt(1)
	v_sub_nc_u32_e32 v61, 0, v0
	v_ldexp_f64 v[33:34], v[33:34], v61
	v_add_f64 v[55:56], v[57:58], v[55:56]
	v_add_f64 v[59:60], v[33:34], 1.0
	v_add_f64 v[65:66], v[33:34], -1.0
	v_ldexp_f64 v[55:56], v[55:56], v61
	v_add_f64 v[57:58], v[59:60], -1.0
	v_add_f64 v[67:68], v[65:66], 1.0
	v_add_f64 v[57:58], v[33:34], -v[57:58]
	v_add_f64 v[33:34], v[33:34], -v[67:68]
	v_add_f64 v[57:58], v[55:56], v[57:58]
	v_add_f64 v[33:34], v[55:56], v[33:34]
	s_waitcnt lgkmcnt(0)
	v_add_f64 v[61:62], v[59:60], v[57:58]
	v_add_f64 v[67:68], v[65:66], v[33:34]
	v_rcp_f64_e32 v[63:64], v[61:62]
	v_add_f64 v[59:60], v[61:62], -v[59:60]
	v_add_f64 v[65:66], v[67:68], -v[65:66]
	;; [unrolled: 1-line block ×3, first 2 shown]
	v_fma_f64 v[71:72], -v[61:62], v[63:64], 1.0
	v_add_f64 v[33:34], v[33:34], -v[65:66]
	v_fma_f64 v[63:64], v[71:72], v[63:64], v[63:64]
	v_fma_f64 v[55:56], -v[61:62], v[63:64], 1.0
	v_fma_f64 v[55:56], v[55:56], v[63:64], v[63:64]
	v_mul_f64 v[63:64], v[67:68], v[55:56]
	v_mul_f64 v[71:72], v[61:62], v[63:64]
	v_fma_f64 v[59:60], v[63:64], v[61:62], -v[71:72]
	v_fma_f64 v[59:60], v[63:64], v[57:58], v[59:60]
	v_add_f64 v[73:74], v[71:72], v[59:60]
	v_add_f64 v[75:76], v[67:68], -v[73:74]
	v_add_f64 v[65:66], v[73:74], -v[71:72]
	;; [unrolled: 1-line block ×5, first 2 shown]
	v_add_f64 v[33:34], v[33:34], v[67:68]
	v_add_f64 v[33:34], v[59:60], v[33:34]
	;; [unrolled: 1-line block ×3, first 2 shown]
	v_mul_f64 v[65:66], v[55:56], v[59:60]
	v_add_f64 v[73:74], v[75:76], -v[59:60]
	v_mul_f64 v[67:68], v[61:62], v[65:66]
	v_add_f64 v[33:34], v[33:34], v[73:74]
	v_fma_f64 v[61:62], v[65:66], v[61:62], -v[67:68]
	v_fma_f64 v[57:58], v[65:66], v[57:58], v[61:62]
	v_add_f64 v[61:62], v[67:68], v[57:58]
	v_add_f64 v[71:72], v[59:60], -v[61:62]
	v_add_f64 v[67:68], v[61:62], -v[67:68]
	;; [unrolled: 1-line block ×5, first 2 shown]
	v_add_f64 v[33:34], v[33:34], v[59:60]
	v_add_f64 v[59:60], v[63:64], v[65:66]
	;; [unrolled: 1-line block ×3, first 2 shown]
	v_add_f64 v[57:58], v[59:60], -v[63:64]
	v_add_f64 v[33:34], v[71:72], v[33:34]
	v_add_f64 v[57:58], v[65:66], -v[57:58]
	v_mul_f64 v[33:34], v[55:56], v[33:34]
	v_add_f64 v[33:34], v[57:58], v[33:34]
	v_add_f64 v[55:56], v[59:60], v[33:34]
	v_mul_f64 v[57:58], v[55:56], v[55:56]
	v_fma_f64 v[61:62], v[57:58], s[38:39], s[36:37]
	s_mov_b32 s36, 0xd7f4df2e
	s_mov_b32 s37, 0x3fc7474d
	v_mul_f64 v[63:64], v[55:56], v[57:58]
	v_fma_f64 v[61:62], v[57:58], v[61:62], s[36:37]
	s_mov_b32 s36, 0x16291751
	s_mov_b32 s37, 0x3fcc71c0
	v_fma_f64 v[61:62], v[57:58], v[61:62], s[36:37]
	s_mov_b32 s36, 0x9b27acf1
	s_mov_b32 s37, 0x3fd24924
	v_fma_f64 v[61:62], v[57:58], v[61:62], s[36:37]
	s_mov_b32 s36, 0x998ef7b6
	s_mov_b32 s37, 0x3fd99999
	v_fma_f64 v[61:62], v[57:58], v[61:62], s[36:37]
	v_fma_f64 v[57:58], v[57:58], v[61:62], s[4:5]
	v_ldexp_f64 v[61:62], v[55:56], 1
	v_add_f64 v[55:56], v[55:56], -v[59:60]
	v_cmp_nge_f64_e64 s4, -1.0, v[25:26]
	v_cmp_neq_f64_e64 s5, 0x7ff00000, v[25:26]
	v_mul_f64 v[57:58], v[63:64], v[57:58]
	v_cvt_f64_i32_e32 v[63:64], v0
	v_add_f64 v[33:34], v[33:34], -v[55:56]
	s_and_b32 s4, s4, s5
	v_add_f64 v[59:60], v[61:62], v[57:58]
	v_mul_f64 v[65:66], v[63:64], s[28:29]
	v_ldexp_f64 v[33:34], v[33:34], 1
	v_add_f64 v[55:56], v[59:60], -v[61:62]
	v_fma_f64 v[61:62], v[63:64], s[28:29], -v[65:66]
	v_add_f64 v[55:56], v[57:58], -v[55:56]
	v_fma_f64 v[57:58], v[63:64], s[34:35], v[61:62]
	v_add_f64 v[33:34], v[33:34], v[55:56]
	v_add_f64 v[55:56], v[65:66], v[57:58]
	v_add_f64 v[61:62], v[59:60], v[33:34]
	v_add_f64 v[65:66], v[55:56], -v[65:66]
	v_add_f64 v[63:64], v[55:56], v[61:62]
	v_add_f64 v[59:60], v[61:62], -v[59:60]
	v_add_f64 v[57:58], v[57:58], -v[65:66]
	;; [unrolled: 1-line block ×6, first 2 shown]
	v_add_f64 v[61:62], v[57:58], v[33:34]
	v_add_f64 v[55:56], v[55:56], -v[71:72]
	v_add_f64 v[55:56], v[59:60], v[55:56]
	v_add_f64 v[59:60], v[61:62], -v[57:58]
	v_add_f64 v[55:56], v[61:62], v[55:56]
	v_add_f64 v[61:62], v[61:62], -v[59:60]
	v_add_f64 v[33:34], v[33:34], -v[59:60]
	v_add_f64 v[65:66], v[63:64], v[55:56]
	v_add_f64 v[57:58], v[57:58], -v[61:62]
	v_add_f64 v[59:60], v[65:66], -v[63:64]
	v_add_f64 v[33:34], v[33:34], v[57:58]
	v_add_f64 v[55:56], v[55:56], -v[59:60]
	v_add_f64 v[33:34], v[33:34], v[55:56]
	v_add_f64 v[33:34], v[65:66], v[33:34]
	v_cndmask_b32_e64 v33, 0, v33, s4
	v_cmp_neq_f64_e64 s4, -1.0, v[25:26]
	v_cndmask_b32_e64 v0, 0x7ff00000, v34, s5
	v_cndmask_b32_e64 v0, 0x7ff80000, v0, s15
	;; [unrolled: 1-line block ×3, first 2 shown]
	v_add_f64 v[25:26], v[29:30], v[33:34]
.LBB45_98:
	s_or_b32 exec_lo, exec_lo, s16
	v_max_f64 v[29:30], v[25:26], v[25:26]
	v_cmp_u_f64_e64 s4, v[25:26], v[25:26]
	v_min_f64 v[33:34], v[29:30], v[31:32]
	v_max_f64 v[29:30], v[29:30], v[31:32]
	v_cndmask_b32_e64 v0, v33, v25, s4
	v_cndmask_b32_e64 v31, v34, v26, s4
	v_cndmask_b32_e64 v30, v30, v26, s4
	v_cndmask_b32_e64 v29, v29, v25, s4
	v_cndmask_b32_e64 v32, v31, v28, s17
	v_cndmask_b32_e64 v31, v0, v27, s17
	v_cndmask_b32_e64 v30, v30, v28, s17
	v_cndmask_b32_e64 v29, v29, v27, s17
	v_mov_b32_e32 v28, v26
	v_mov_b32_e32 v27, v25
	v_cmp_class_f64_e64 s5, v[31:32], 0x1f8
	v_cmp_neq_f64_e64 s4, v[31:32], v[29:30]
	s_or_b32 s4, s4, s5
	s_and_saveexec_b32 s33, s4
	s_cbranch_execz .LBB45_100
; %bb.99:
	v_add_f64 v[27:28], v[31:32], -v[29:30]
	s_mov_b32 s4, 0x652b82fe
	s_mov_b32 s5, 0x3ff71547
	;; [unrolled: 1-line block ×10, first 2 shown]
	v_mul_f64 v[31:32], v[27:28], s[4:5]
	s_mov_b32 s4, 0xfca7ab0c
	s_mov_b32 s5, 0x3e928af3
	v_rndne_f64_e32 v[31:32], v[31:32]
	v_fma_f64 v[33:34], v[31:32], s[16:17], v[27:28]
	v_cvt_i32_f64_e32 v0, v[31:32]
	s_mov_b32 s17, 0x3fe62e42
	v_fma_f64 v[33:34], v[31:32], s[28:29], v[33:34]
	s_mov_b32 s29, 0x3c7abc9e
	v_fma_f64 v[55:56], v[33:34], s[34:35], s[4:5]
	s_mov_b32 s4, 0x623fde64
	s_mov_b32 s5, 0x3ec71dee
	;; [unrolled: 1-line block ×4, first 2 shown]
	v_fma_f64 v[55:56], v[33:34], v[55:56], s[4:5]
	s_mov_b32 s4, 0x7c89e6b0
	s_mov_b32 s5, 0x3efa0199
	v_fma_f64 v[55:56], v[33:34], v[55:56], s[4:5]
	s_mov_b32 s4, 0x14761f6e
	s_mov_b32 s5, 0x3f2a01a0
	;; [unrolled: 3-line block ×7, first 2 shown]
	v_fma_f64 v[55:56], v[33:34], v[55:56], s[4:5]
	v_cmp_nlt_f64_e64 s4, 0x40900000, v[27:28]
	v_cmp_ngt_f64_e64 s5, 0xc090cc00, v[27:28]
	v_fma_f64 v[55:56], v[33:34], v[55:56], 1.0
	v_fma_f64 v[31:32], v[33:34], v[55:56], 1.0
	v_ldexp_f64 v[31:32], v[31:32], v0
	v_cndmask_b32_e64 v0, 0x7ff00000, v32, s4
	s_and_b32 s4, s5, s4
	v_cndmask_b32_e64 v27, 0, v31, s4
	s_mov_b32 s4, 0x55555555
	v_cndmask_b32_e64 v28, 0, v0, s5
	s_mov_b32 s5, 0x3fe55555
	v_add_f64 v[31:32], v[27:28], 1.0
	v_cmp_ngt_f64_e64 s15, -1.0, v[27:28]
	v_frexp_mant_f64_e32 v[33:34], v[31:32]
	v_frexp_exp_i32_f64_e32 v0, v[31:32]
	v_add_f64 v[55:56], v[31:32], -1.0
	v_cmp_gt_f64_e64 s4, s[4:5], v[33:34]
	v_add_f64 v[33:34], v[55:56], -v[31:32]
	v_add_f64 v[55:56], v[27:28], -v[55:56]
	v_subrev_co_ci_u32_e64 v0, null, 0, v0, s4
	v_add_f64 v[33:34], v[33:34], 1.0
	s_mov_b32 s4, 0x55555780
	v_sub_nc_u32_e32 v59, 0, v0
	v_ldexp_f64 v[31:32], v[31:32], v59
	v_add_f64 v[33:34], v[55:56], v[33:34]
	v_add_f64 v[57:58], v[31:32], 1.0
	v_add_f64 v[63:64], v[31:32], -1.0
	v_ldexp_f64 v[33:34], v[33:34], v59
	v_add_f64 v[55:56], v[57:58], -1.0
	v_add_f64 v[65:66], v[63:64], 1.0
	v_add_f64 v[55:56], v[31:32], -v[55:56]
	v_add_f64 v[31:32], v[31:32], -v[65:66]
	v_add_f64 v[55:56], v[33:34], v[55:56]
	v_add_f64 v[31:32], v[33:34], v[31:32]
	;; [unrolled: 1-line block ×4, first 2 shown]
	s_waitcnt lgkmcnt(0)
	v_rcp_f64_e32 v[61:62], v[59:60]
	v_add_f64 v[57:58], v[59:60], -v[57:58]
	v_add_f64 v[63:64], v[65:66], -v[63:64]
	;; [unrolled: 1-line block ×3, first 2 shown]
	v_fma_f64 v[67:68], -v[59:60], v[61:62], 1.0
	v_add_f64 v[31:32], v[31:32], -v[63:64]
	v_fma_f64 v[61:62], v[67:68], v[61:62], v[61:62]
	v_fma_f64 v[33:34], -v[59:60], v[61:62], 1.0
	v_fma_f64 v[33:34], v[33:34], v[61:62], v[61:62]
	v_mul_f64 v[61:62], v[65:66], v[33:34]
	v_mul_f64 v[67:68], v[59:60], v[61:62]
	v_fma_f64 v[57:58], v[61:62], v[59:60], -v[67:68]
	v_fma_f64 v[57:58], v[61:62], v[55:56], v[57:58]
	v_add_f64 v[71:72], v[67:68], v[57:58]
	v_add_f64 v[73:74], v[65:66], -v[71:72]
	v_add_f64 v[63:64], v[71:72], -v[67:68]
	;; [unrolled: 1-line block ×5, first 2 shown]
	v_add_f64 v[31:32], v[31:32], v[65:66]
	v_add_f64 v[31:32], v[57:58], v[31:32]
	;; [unrolled: 1-line block ×3, first 2 shown]
	v_mul_f64 v[63:64], v[33:34], v[57:58]
	v_add_f64 v[71:72], v[73:74], -v[57:58]
	v_mul_f64 v[65:66], v[59:60], v[63:64]
	v_add_f64 v[31:32], v[31:32], v[71:72]
	v_fma_f64 v[59:60], v[63:64], v[59:60], -v[65:66]
	v_fma_f64 v[55:56], v[63:64], v[55:56], v[59:60]
	v_add_f64 v[59:60], v[65:66], v[55:56]
	v_add_f64 v[67:68], v[57:58], -v[59:60]
	v_add_f64 v[65:66], v[59:60], -v[65:66]
	;; [unrolled: 1-line block ×5, first 2 shown]
	v_add_f64 v[31:32], v[31:32], v[57:58]
	v_add_f64 v[57:58], v[61:62], v[63:64]
	;; [unrolled: 1-line block ×3, first 2 shown]
	v_add_f64 v[55:56], v[57:58], -v[61:62]
	v_add_f64 v[31:32], v[67:68], v[31:32]
	v_add_f64 v[55:56], v[63:64], -v[55:56]
	v_mul_f64 v[31:32], v[33:34], v[31:32]
	v_add_f64 v[31:32], v[55:56], v[31:32]
	v_add_f64 v[33:34], v[57:58], v[31:32]
	v_mul_f64 v[55:56], v[33:34], v[33:34]
	v_fma_f64 v[59:60], v[55:56], s[36:37], s[34:35]
	s_mov_b32 s34, 0xd7f4df2e
	s_mov_b32 s35, 0x3fc7474d
	v_mul_f64 v[61:62], v[33:34], v[55:56]
	v_fma_f64 v[59:60], v[55:56], v[59:60], s[34:35]
	s_mov_b32 s34, 0x16291751
	s_mov_b32 s35, 0x3fcc71c0
	v_fma_f64 v[59:60], v[55:56], v[59:60], s[34:35]
	s_mov_b32 s34, 0x9b27acf1
	s_mov_b32 s35, 0x3fd24924
	;; [unrolled: 3-line block ×3, first 2 shown]
	v_fma_f64 v[59:60], v[55:56], v[59:60], s[34:35]
	v_fma_f64 v[55:56], v[55:56], v[59:60], s[4:5]
	v_ldexp_f64 v[59:60], v[33:34], 1
	v_add_f64 v[33:34], v[33:34], -v[57:58]
	v_cmp_nge_f64_e64 s4, -1.0, v[27:28]
	v_cmp_neq_f64_e64 s5, 0x7ff00000, v[27:28]
	v_mul_f64 v[55:56], v[61:62], v[55:56]
	v_cvt_f64_i32_e32 v[61:62], v0
	v_add_f64 v[31:32], v[31:32], -v[33:34]
	s_and_b32 s4, s4, s5
	v_add_f64 v[57:58], v[59:60], v[55:56]
	v_mul_f64 v[63:64], v[61:62], s[16:17]
	v_ldexp_f64 v[31:32], v[31:32], 1
	v_add_f64 v[33:34], v[57:58], -v[59:60]
	v_fma_f64 v[59:60], v[61:62], s[16:17], -v[63:64]
	v_add_f64 v[33:34], v[55:56], -v[33:34]
	v_fma_f64 v[55:56], v[61:62], s[28:29], v[59:60]
	v_add_f64 v[31:32], v[31:32], v[33:34]
	v_add_f64 v[33:34], v[63:64], v[55:56]
	;; [unrolled: 1-line block ×3, first 2 shown]
	v_add_f64 v[63:64], v[33:34], -v[63:64]
	v_add_f64 v[61:62], v[33:34], v[59:60]
	v_add_f64 v[57:58], v[59:60], -v[57:58]
	v_add_f64 v[55:56], v[55:56], -v[63:64]
	;; [unrolled: 1-line block ×6, first 2 shown]
	v_add_f64 v[59:60], v[55:56], v[31:32]
	v_add_f64 v[33:34], v[33:34], -v[67:68]
	v_add_f64 v[33:34], v[57:58], v[33:34]
	v_add_f64 v[57:58], v[59:60], -v[55:56]
	v_add_f64 v[33:34], v[59:60], v[33:34]
	v_add_f64 v[59:60], v[59:60], -v[57:58]
	v_add_f64 v[31:32], v[31:32], -v[57:58]
	v_add_f64 v[63:64], v[61:62], v[33:34]
	v_add_f64 v[55:56], v[55:56], -v[59:60]
	v_add_f64 v[57:58], v[63:64], -v[61:62]
	v_add_f64 v[31:32], v[31:32], v[55:56]
	v_add_f64 v[33:34], v[33:34], -v[57:58]
	v_add_f64 v[31:32], v[31:32], v[33:34]
	v_add_f64 v[31:32], v[63:64], v[31:32]
	v_cndmask_b32_e64 v31, 0, v31, s4
	v_cmp_neq_f64_e64 s4, -1.0, v[27:28]
	v_cndmask_b32_e64 v0, 0x7ff00000, v32, s5
	v_cndmask_b32_e64 v0, 0x7ff80000, v0, s15
	;; [unrolled: 1-line block ×3, first 2 shown]
	v_add_f64 v[27:28], v[29:30], v[31:32]
.LBB45_100:
	s_or_b32 exec_lo, exec_lo, s33
	v_max_f64 v[29:30], v[27:28], v[27:28]
	v_cmp_u_f64_e64 s4, v[27:28], v[27:28]
	v_min_f64 v[31:32], v[29:30], v[35:36]
	v_max_f64 v[29:30], v[29:30], v[35:36]
	v_cndmask_b32_e64 v0, v31, v27, s4
	v_cndmask_b32_e64 v31, v32, v28, s4
	;; [unrolled: 1-line block ×8, first 2 shown]
	v_mov_b32_e32 v21, v27
	v_mov_b32_e32 v22, v28
	v_cmp_class_f64_e64 s5, v[31:32], 0x1f8
	v_cmp_neq_f64_e64 s4, v[31:32], v[29:30]
	s_or_b32 s4, s4, s5
	s_and_saveexec_b32 s18, s4
	s_cbranch_execz .LBB45_102
; %bb.101:
	v_add_f64 v[21:22], v[31:32], -v[29:30]
	s_mov_b32 s4, 0x652b82fe
	s_mov_b32 s5, 0x3ff71547
	;; [unrolled: 1-line block ×10, first 2 shown]
	v_mul_f64 v[31:32], v[21:22], s[4:5]
	s_mov_b32 s4, 0xfca7ab0c
	s_mov_b32 s5, 0x3e928af3
	v_rndne_f64_e32 v[31:32], v[31:32]
	v_fma_f64 v[33:34], v[31:32], s[16:17], v[21:22]
	v_cvt_i32_f64_e32 v0, v[31:32]
	s_mov_b32 s17, 0x3fe62e42
	v_fma_f64 v[33:34], v[31:32], s[28:29], v[33:34]
	s_mov_b32 s29, 0x3c7abc9e
	v_fma_f64 v[35:36], v[33:34], s[34:35], s[4:5]
	s_mov_b32 s4, 0x623fde64
	s_mov_b32 s5, 0x3ec71dee
	;; [unrolled: 1-line block ×4, first 2 shown]
	v_fma_f64 v[35:36], v[33:34], v[35:36], s[4:5]
	s_mov_b32 s4, 0x7c89e6b0
	s_mov_b32 s5, 0x3efa0199
	v_fma_f64 v[35:36], v[33:34], v[35:36], s[4:5]
	s_mov_b32 s4, 0x14761f6e
	s_mov_b32 s5, 0x3f2a01a0
	v_fma_f64 v[35:36], v[33:34], v[35:36], s[4:5]
	s_mov_b32 s4, 0x1852b7b0
	s_mov_b32 s5, 0x3f56c16c
	v_fma_f64 v[35:36], v[33:34], v[35:36], s[4:5]
	s_mov_b32 s4, 0x11122322
	s_mov_b32 s5, 0x3f811111
	v_fma_f64 v[35:36], v[33:34], v[35:36], s[4:5]
	s_mov_b32 s4, 0x555502a1
	s_mov_b32 s5, 0x3fa55555
	v_fma_f64 v[35:36], v[33:34], v[35:36], s[4:5]
	s_mov_b32 s4, 0x55555511
	s_mov_b32 s5, 0x3fc55555
	v_fma_f64 v[35:36], v[33:34], v[35:36], s[4:5]
	s_mov_b32 s4, 11
	s_mov_b32 s5, 0x3fe00000
	v_fma_f64 v[35:36], v[33:34], v[35:36], s[4:5]
	v_cmp_nlt_f64_e64 s4, 0x40900000, v[21:22]
	v_cmp_ngt_f64_e64 s5, 0xc090cc00, v[21:22]
	v_fma_f64 v[35:36], v[33:34], v[35:36], 1.0
	v_fma_f64 v[31:32], v[33:34], v[35:36], 1.0
	v_ldexp_f64 v[31:32], v[31:32], v0
	v_cndmask_b32_e64 v0, 0x7ff00000, v32, s4
	s_and_b32 s4, s5, s4
	v_cndmask_b32_e64 v21, 0, v31, s4
	s_mov_b32 s4, 0x55555555
	v_cndmask_b32_e64 v22, 0, v0, s5
	s_mov_b32 s5, 0x3fe55555
	v_add_f64 v[31:32], v[21:22], 1.0
	v_cmp_ngt_f64_e64 s15, -1.0, v[21:22]
	v_frexp_mant_f64_e32 v[33:34], v[31:32]
	v_frexp_exp_i32_f64_e32 v0, v[31:32]
	v_add_f64 v[35:36], v[31:32], -1.0
	v_cmp_gt_f64_e64 s4, s[4:5], v[33:34]
	v_add_f64 v[33:34], v[35:36], -v[31:32]
	v_add_f64 v[35:36], v[21:22], -v[35:36]
	v_subrev_co_ci_u32_e64 v0, null, 0, v0, s4
	v_add_f64 v[33:34], v[33:34], 1.0
	s_mov_b32 s4, 0x55555780
	v_sub_nc_u32_e32 v57, 0, v0
	v_ldexp_f64 v[31:32], v[31:32], v57
	v_add_f64 v[33:34], v[35:36], v[33:34]
	v_add_f64 v[55:56], v[31:32], 1.0
	s_waitcnt lgkmcnt(0)
	v_add_f64 v[61:62], v[31:32], -1.0
	v_ldexp_f64 v[33:34], v[33:34], v57
	v_add_f64 v[35:36], v[55:56], -1.0
	v_add_f64 v[63:64], v[61:62], 1.0
	v_add_f64 v[35:36], v[31:32], -v[35:36]
	v_add_f64 v[31:32], v[31:32], -v[63:64]
	v_add_f64 v[35:36], v[33:34], v[35:36]
	v_add_f64 v[31:32], v[33:34], v[31:32]
	;; [unrolled: 1-line block ×4, first 2 shown]
	v_rcp_f64_e32 v[59:60], v[57:58]
	v_add_f64 v[55:56], v[57:58], -v[55:56]
	v_add_f64 v[61:62], v[63:64], -v[61:62]
	;; [unrolled: 1-line block ×3, first 2 shown]
	v_fma_f64 v[65:66], -v[57:58], v[59:60], 1.0
	v_add_f64 v[31:32], v[31:32], -v[61:62]
	v_fma_f64 v[59:60], v[65:66], v[59:60], v[59:60]
	v_fma_f64 v[33:34], -v[57:58], v[59:60], 1.0
	v_fma_f64 v[33:34], v[33:34], v[59:60], v[59:60]
	v_mul_f64 v[59:60], v[63:64], v[33:34]
	v_mul_f64 v[65:66], v[57:58], v[59:60]
	v_fma_f64 v[55:56], v[59:60], v[57:58], -v[65:66]
	v_fma_f64 v[55:56], v[59:60], v[35:36], v[55:56]
	v_add_f64 v[67:68], v[65:66], v[55:56]
	v_add_f64 v[71:72], v[63:64], -v[67:68]
	v_add_f64 v[61:62], v[67:68], -v[65:66]
	;; [unrolled: 1-line block ×5, first 2 shown]
	v_add_f64 v[31:32], v[31:32], v[63:64]
	v_add_f64 v[31:32], v[55:56], v[31:32]
	;; [unrolled: 1-line block ×3, first 2 shown]
	v_mul_f64 v[61:62], v[33:34], v[55:56]
	v_add_f64 v[67:68], v[71:72], -v[55:56]
	v_mul_f64 v[63:64], v[57:58], v[61:62]
	v_add_f64 v[31:32], v[31:32], v[67:68]
	v_fma_f64 v[57:58], v[61:62], v[57:58], -v[63:64]
	v_fma_f64 v[35:36], v[61:62], v[35:36], v[57:58]
	v_add_f64 v[57:58], v[63:64], v[35:36]
	v_add_f64 v[65:66], v[55:56], -v[57:58]
	v_add_f64 v[63:64], v[57:58], -v[63:64]
	;; [unrolled: 1-line block ×5, first 2 shown]
	v_add_f64 v[31:32], v[31:32], v[55:56]
	v_add_f64 v[55:56], v[59:60], v[61:62]
	;; [unrolled: 1-line block ×3, first 2 shown]
	v_add_f64 v[35:36], v[55:56], -v[59:60]
	v_add_f64 v[31:32], v[65:66], v[31:32]
	v_add_f64 v[35:36], v[61:62], -v[35:36]
	v_mul_f64 v[31:32], v[33:34], v[31:32]
	v_add_f64 v[31:32], v[35:36], v[31:32]
	v_add_f64 v[33:34], v[55:56], v[31:32]
	v_mul_f64 v[35:36], v[33:34], v[33:34]
	v_fma_f64 v[57:58], v[35:36], s[36:37], s[34:35]
	s_mov_b32 s34, 0xd7f4df2e
	s_mov_b32 s35, 0x3fc7474d
	v_mul_f64 v[59:60], v[33:34], v[35:36]
	v_fma_f64 v[57:58], v[35:36], v[57:58], s[34:35]
	s_mov_b32 s34, 0x16291751
	s_mov_b32 s35, 0x3fcc71c0
	v_fma_f64 v[57:58], v[35:36], v[57:58], s[34:35]
	s_mov_b32 s34, 0x9b27acf1
	s_mov_b32 s35, 0x3fd24924
	;; [unrolled: 3-line block ×3, first 2 shown]
	v_fma_f64 v[57:58], v[35:36], v[57:58], s[34:35]
	v_fma_f64 v[35:36], v[35:36], v[57:58], s[4:5]
	v_ldexp_f64 v[57:58], v[33:34], 1
	v_add_f64 v[33:34], v[33:34], -v[55:56]
	v_cmp_nge_f64_e64 s4, -1.0, v[21:22]
	v_cmp_neq_f64_e64 s5, 0x7ff00000, v[21:22]
	v_mul_f64 v[35:36], v[59:60], v[35:36]
	v_cvt_f64_i32_e32 v[59:60], v0
	v_add_f64 v[31:32], v[31:32], -v[33:34]
	s_and_b32 s4, s4, s5
	v_add_f64 v[55:56], v[57:58], v[35:36]
	v_mul_f64 v[61:62], v[59:60], s[16:17]
	v_ldexp_f64 v[31:32], v[31:32], 1
	v_add_f64 v[33:34], v[55:56], -v[57:58]
	v_fma_f64 v[57:58], v[59:60], s[16:17], -v[61:62]
	v_add_f64 v[33:34], v[35:36], -v[33:34]
	v_fma_f64 v[35:36], v[59:60], s[28:29], v[57:58]
	v_add_f64 v[31:32], v[31:32], v[33:34]
	v_add_f64 v[33:34], v[61:62], v[35:36]
	v_add_f64 v[57:58], v[55:56], v[31:32]
	v_add_f64 v[61:62], v[33:34], -v[61:62]
	v_add_f64 v[59:60], v[33:34], v[57:58]
	v_add_f64 v[55:56], v[57:58], -v[55:56]
	v_add_f64 v[35:36], v[35:36], -v[61:62]
	;; [unrolled: 1-line block ×6, first 2 shown]
	v_add_f64 v[57:58], v[35:36], v[31:32]
	v_add_f64 v[33:34], v[33:34], -v[65:66]
	v_add_f64 v[33:34], v[55:56], v[33:34]
	v_add_f64 v[55:56], v[57:58], -v[35:36]
	v_add_f64 v[33:34], v[57:58], v[33:34]
	v_add_f64 v[57:58], v[57:58], -v[55:56]
	v_add_f64 v[31:32], v[31:32], -v[55:56]
	v_add_f64 v[61:62], v[59:60], v[33:34]
	v_add_f64 v[35:36], v[35:36], -v[57:58]
	v_add_f64 v[55:56], v[61:62], -v[59:60]
	v_add_f64 v[31:32], v[31:32], v[35:36]
	v_add_f64 v[33:34], v[33:34], -v[55:56]
	v_add_f64 v[31:32], v[31:32], v[33:34]
	v_add_f64 v[31:32], v[61:62], v[31:32]
	v_cndmask_b32_e64 v31, 0, v31, s4
	v_cmp_neq_f64_e64 s4, -1.0, v[21:22]
	v_cndmask_b32_e64 v0, 0x7ff00000, v32, s5
	v_cndmask_b32_e64 v0, 0x7ff80000, v0, s15
	;; [unrolled: 1-line block ×3, first 2 shown]
	v_add_f64 v[21:22], v[29:30], v[31:32]
.LBB45_102:
	s_or_b32 exec_lo, exec_lo, s18
	v_max_f64 v[29:30], v[21:22], v[21:22]
	v_cmp_u_f64_e64 s4, v[21:22], v[21:22]
	v_min_f64 v[31:32], v[29:30], v[37:38]
	v_max_f64 v[29:30], v[29:30], v[37:38]
	v_cndmask_b32_e64 v0, v31, v21, s4
	v_cndmask_b32_e64 v31, v32, v22, s4
	;; [unrolled: 1-line block ×8, first 2 shown]
	v_mov_b32_e32 v24, v22
	v_mov_b32_e32 v23, v21
	v_cmp_class_f64_e64 s5, v[31:32], 0x1f8
	v_cmp_neq_f64_e64 s4, v[31:32], v[29:30]
	s_or_b32 s4, s4, s5
	s_and_saveexec_b32 s28, s4
	s_cbranch_execz .LBB45_104
; %bb.103:
	v_add_f64 v[23:24], v[31:32], -v[29:30]
	s_mov_b32 s4, 0x652b82fe
	s_mov_b32 s5, 0x3ff71547
	;; [unrolled: 1-line block ×10, first 2 shown]
	v_mul_f64 v[31:32], v[23:24], s[4:5]
	s_mov_b32 s4, 0xfca7ab0c
	s_mov_b32 s5, 0x3e928af3
	v_rndne_f64_e32 v[31:32], v[31:32]
	v_fma_f64 v[33:34], v[31:32], s[16:17], v[23:24]
	v_cvt_i32_f64_e32 v0, v[31:32]
	s_mov_b32 s17, 0x3fe62e42
	v_fma_f64 v[33:34], v[31:32], s[18:19], v[33:34]
	s_mov_b32 s19, 0x3c7abc9e
	v_fma_f64 v[35:36], v[33:34], s[34:35], s[4:5]
	s_mov_b32 s4, 0x623fde64
	s_mov_b32 s5, 0x3ec71dee
	;; [unrolled: 1-line block ×4, first 2 shown]
	v_fma_f64 v[35:36], v[33:34], v[35:36], s[4:5]
	s_mov_b32 s4, 0x7c89e6b0
	s_mov_b32 s5, 0x3efa0199
	v_fma_f64 v[35:36], v[33:34], v[35:36], s[4:5]
	s_mov_b32 s4, 0x14761f6e
	s_mov_b32 s5, 0x3f2a01a0
	;; [unrolled: 3-line block ×7, first 2 shown]
	v_fma_f64 v[35:36], v[33:34], v[35:36], s[4:5]
	v_cmp_nlt_f64_e64 s4, 0x40900000, v[23:24]
	v_cmp_ngt_f64_e64 s5, 0xc090cc00, v[23:24]
	v_fma_f64 v[35:36], v[33:34], v[35:36], 1.0
	v_fma_f64 v[31:32], v[33:34], v[35:36], 1.0
	v_ldexp_f64 v[31:32], v[31:32], v0
	v_cndmask_b32_e64 v0, 0x7ff00000, v32, s4
	s_and_b32 s4, s5, s4
	v_cndmask_b32_e64 v23, 0, v31, s4
	s_mov_b32 s4, 0x55555555
	v_cndmask_b32_e64 v24, 0, v0, s5
	s_mov_b32 s5, 0x3fe55555
	v_add_f64 v[31:32], v[23:24], 1.0
	v_cmp_ngt_f64_e64 s15, -1.0, v[23:24]
	v_frexp_mant_f64_e32 v[33:34], v[31:32]
	v_frexp_exp_i32_f64_e32 v0, v[31:32]
	v_add_f64 v[35:36], v[31:32], -1.0
	v_cmp_gt_f64_e64 s4, s[4:5], v[33:34]
	v_add_f64 v[33:34], v[35:36], -v[31:32]
	v_add_f64 v[35:36], v[23:24], -v[35:36]
	v_subrev_co_ci_u32_e64 v0, null, 0, v0, s4
	v_add_f64 v[33:34], v[33:34], 1.0
	s_mov_b32 s4, 0x55555780
	v_sub_nc_u32_e32 v55, 0, v0
	v_ldexp_f64 v[31:32], v[31:32], v55
	v_add_f64 v[33:34], v[35:36], v[33:34]
	v_add_f64 v[37:38], v[31:32], 1.0
	v_add_f64 v[59:60], v[31:32], -1.0
	v_ldexp_f64 v[33:34], v[33:34], v55
	v_add_f64 v[35:36], v[37:38], -1.0
	s_waitcnt lgkmcnt(0)
	v_add_f64 v[61:62], v[59:60], 1.0
	v_add_f64 v[35:36], v[31:32], -v[35:36]
	v_add_f64 v[31:32], v[31:32], -v[61:62]
	v_add_f64 v[35:36], v[33:34], v[35:36]
	v_add_f64 v[31:32], v[33:34], v[31:32]
	;; [unrolled: 1-line block ×4, first 2 shown]
	v_rcp_f64_e32 v[57:58], v[55:56]
	v_add_f64 v[37:38], v[55:56], -v[37:38]
	v_add_f64 v[59:60], v[61:62], -v[59:60]
	;; [unrolled: 1-line block ×3, first 2 shown]
	v_fma_f64 v[63:64], -v[55:56], v[57:58], 1.0
	v_add_f64 v[31:32], v[31:32], -v[59:60]
	v_fma_f64 v[57:58], v[63:64], v[57:58], v[57:58]
	v_fma_f64 v[33:34], -v[55:56], v[57:58], 1.0
	v_fma_f64 v[33:34], v[33:34], v[57:58], v[57:58]
	v_mul_f64 v[57:58], v[61:62], v[33:34]
	v_mul_f64 v[63:64], v[55:56], v[57:58]
	v_fma_f64 v[37:38], v[57:58], v[55:56], -v[63:64]
	v_fma_f64 v[37:38], v[57:58], v[35:36], v[37:38]
	v_add_f64 v[65:66], v[63:64], v[37:38]
	v_add_f64 v[67:68], v[61:62], -v[65:66]
	v_add_f64 v[59:60], v[65:66], -v[63:64]
	;; [unrolled: 1-line block ×5, first 2 shown]
	v_add_f64 v[31:32], v[31:32], v[61:62]
	v_add_f64 v[31:32], v[37:38], v[31:32]
	;; [unrolled: 1-line block ×3, first 2 shown]
	v_mul_f64 v[59:60], v[33:34], v[37:38]
	v_add_f64 v[65:66], v[67:68], -v[37:38]
	v_mul_f64 v[61:62], v[55:56], v[59:60]
	v_add_f64 v[31:32], v[31:32], v[65:66]
	v_fma_f64 v[55:56], v[59:60], v[55:56], -v[61:62]
	v_fma_f64 v[35:36], v[59:60], v[35:36], v[55:56]
	v_add_f64 v[55:56], v[61:62], v[35:36]
	v_add_f64 v[63:64], v[37:38], -v[55:56]
	v_add_f64 v[61:62], v[55:56], -v[61:62]
	;; [unrolled: 1-line block ×5, first 2 shown]
	v_add_f64 v[31:32], v[31:32], v[37:38]
	v_add_f64 v[37:38], v[57:58], v[59:60]
	;; [unrolled: 1-line block ×3, first 2 shown]
	v_add_f64 v[35:36], v[37:38], -v[57:58]
	v_add_f64 v[31:32], v[63:64], v[31:32]
	v_add_f64 v[35:36], v[59:60], -v[35:36]
	v_mul_f64 v[31:32], v[33:34], v[31:32]
	v_add_f64 v[31:32], v[35:36], v[31:32]
	v_add_f64 v[33:34], v[37:38], v[31:32]
	v_mul_f64 v[35:36], v[33:34], v[33:34]
	v_fma_f64 v[55:56], v[35:36], s[36:37], s[34:35]
	s_mov_b32 s34, 0xd7f4df2e
	s_mov_b32 s35, 0x3fc7474d
	v_mul_f64 v[57:58], v[33:34], v[35:36]
	v_fma_f64 v[55:56], v[35:36], v[55:56], s[34:35]
	s_mov_b32 s34, 0x16291751
	s_mov_b32 s35, 0x3fcc71c0
	v_fma_f64 v[55:56], v[35:36], v[55:56], s[34:35]
	s_mov_b32 s34, 0x9b27acf1
	s_mov_b32 s35, 0x3fd24924
	;; [unrolled: 3-line block ×3, first 2 shown]
	v_fma_f64 v[55:56], v[35:36], v[55:56], s[34:35]
	v_fma_f64 v[35:36], v[35:36], v[55:56], s[4:5]
	v_ldexp_f64 v[55:56], v[33:34], 1
	v_add_f64 v[33:34], v[33:34], -v[37:38]
	v_cmp_nge_f64_e64 s4, -1.0, v[23:24]
	v_cmp_neq_f64_e64 s5, 0x7ff00000, v[23:24]
	v_mul_f64 v[35:36], v[57:58], v[35:36]
	v_cvt_f64_i32_e32 v[57:58], v0
	v_add_f64 v[31:32], v[31:32], -v[33:34]
	s_and_b32 s4, s4, s5
	v_add_f64 v[37:38], v[55:56], v[35:36]
	v_mul_f64 v[59:60], v[57:58], s[16:17]
	v_ldexp_f64 v[31:32], v[31:32], 1
	v_add_f64 v[33:34], v[37:38], -v[55:56]
	v_fma_f64 v[55:56], v[57:58], s[16:17], -v[59:60]
	v_add_f64 v[33:34], v[35:36], -v[33:34]
	v_fma_f64 v[35:36], v[57:58], s[18:19], v[55:56]
	v_add_f64 v[31:32], v[31:32], v[33:34]
	v_add_f64 v[33:34], v[59:60], v[35:36]
	;; [unrolled: 1-line block ×3, first 2 shown]
	v_add_f64 v[59:60], v[33:34], -v[59:60]
	v_add_f64 v[57:58], v[33:34], v[55:56]
	v_add_f64 v[37:38], v[55:56], -v[37:38]
	v_add_f64 v[35:36], v[35:36], -v[59:60]
	;; [unrolled: 1-line block ×6, first 2 shown]
	v_add_f64 v[55:56], v[35:36], v[31:32]
	v_add_f64 v[33:34], v[33:34], -v[63:64]
	v_add_f64 v[33:34], v[37:38], v[33:34]
	v_add_f64 v[37:38], v[55:56], -v[35:36]
	;; [unrolled: 2-line block ×3, first 2 shown]
	v_add_f64 v[31:32], v[31:32], -v[37:38]
	v_add_f64 v[59:60], v[57:58], v[33:34]
	v_add_f64 v[35:36], v[35:36], -v[55:56]
	v_add_f64 v[37:38], v[59:60], -v[57:58]
	v_add_f64 v[31:32], v[31:32], v[35:36]
	v_add_f64 v[33:34], v[33:34], -v[37:38]
	v_add_f64 v[31:32], v[31:32], v[33:34]
	v_add_f64 v[31:32], v[59:60], v[31:32]
	v_cndmask_b32_e64 v31, 0, v31, s4
	v_cmp_neq_f64_e64 s4, -1.0, v[23:24]
	v_cndmask_b32_e64 v0, 0x7ff00000, v32, s5
	v_cndmask_b32_e64 v0, 0x7ff80000, v0, s15
	;; [unrolled: 1-line block ×3, first 2 shown]
	v_add_f64 v[23:24], v[29:30], v[31:32]
.LBB45_104:
	s_or_b32 exec_lo, exec_lo, s28
	v_max_f64 v[29:30], v[23:24], v[23:24]
	v_cmp_u_f64_e64 s4, v[23:24], v[23:24]
	v_min_f64 v[31:32], v[29:30], v[39:40]
	v_max_f64 v[29:30], v[29:30], v[39:40]
	v_cndmask_b32_e64 v0, v31, v23, s4
	v_cndmask_b32_e64 v31, v32, v24, s4
	;; [unrolled: 1-line block ×8, first 2 shown]
	v_mov_b32_e32 v17, v23
	v_mov_b32_e32 v18, v24
	v_cmp_class_f64_e64 s5, v[31:32], 0x1f8
	v_cmp_neq_f64_e64 s4, v[31:32], v[29:30]
	s_or_b32 s4, s4, s5
	s_and_saveexec_b32 s20, s4
	s_cbranch_execz .LBB45_106
; %bb.105:
	v_add_f64 v[17:18], v[31:32], -v[29:30]
	s_mov_b32 s4, 0x652b82fe
	s_mov_b32 s5, 0x3ff71547
	;; [unrolled: 1-line block ×10, first 2 shown]
	v_mul_f64 v[31:32], v[17:18], s[4:5]
	s_mov_b32 s4, 0xfca7ab0c
	s_mov_b32 s5, 0x3e928af3
	v_rndne_f64_e32 v[31:32], v[31:32]
	v_fma_f64 v[33:34], v[31:32], s[16:17], v[17:18]
	v_cvt_i32_f64_e32 v0, v[31:32]
	s_mov_b32 s17, 0x3fe62e42
	v_fma_f64 v[33:34], v[31:32], s[18:19], v[33:34]
	s_mov_b32 s19, 0x3c7abc9e
	v_fma_f64 v[35:36], v[33:34], s[28:29], s[4:5]
	s_mov_b32 s4, 0x623fde64
	s_mov_b32 s5, 0x3ec71dee
	;; [unrolled: 1-line block ×4, first 2 shown]
	v_fma_f64 v[35:36], v[33:34], v[35:36], s[4:5]
	s_mov_b32 s4, 0x7c89e6b0
	s_mov_b32 s5, 0x3efa0199
	v_fma_f64 v[35:36], v[33:34], v[35:36], s[4:5]
	s_mov_b32 s4, 0x14761f6e
	s_mov_b32 s5, 0x3f2a01a0
	;; [unrolled: 3-line block ×7, first 2 shown]
	v_fma_f64 v[35:36], v[33:34], v[35:36], s[4:5]
	v_cmp_nlt_f64_e64 s4, 0x40900000, v[17:18]
	v_cmp_ngt_f64_e64 s5, 0xc090cc00, v[17:18]
	v_fma_f64 v[35:36], v[33:34], v[35:36], 1.0
	v_fma_f64 v[31:32], v[33:34], v[35:36], 1.0
	v_ldexp_f64 v[31:32], v[31:32], v0
	v_cndmask_b32_e64 v0, 0x7ff00000, v32, s4
	s_and_b32 s4, s5, s4
	v_cndmask_b32_e64 v17, 0, v31, s4
	s_mov_b32 s4, 0x55555555
	v_cndmask_b32_e64 v18, 0, v0, s5
	s_mov_b32 s5, 0x3fe55555
	v_add_f64 v[31:32], v[17:18], 1.0
	v_cmp_ngt_f64_e64 s15, -1.0, v[17:18]
	v_frexp_mant_f64_e32 v[33:34], v[31:32]
	v_frexp_exp_i32_f64_e32 v0, v[31:32]
	v_add_f64 v[35:36], v[31:32], -1.0
	v_cmp_gt_f64_e64 s4, s[4:5], v[33:34]
	v_add_f64 v[33:34], v[35:36], -v[31:32]
	v_add_f64 v[35:36], v[17:18], -v[35:36]
	v_subrev_co_ci_u32_e64 v0, null, 0, v0, s4
	v_add_f64 v[33:34], v[33:34], 1.0
	s_mov_b32 s4, 0x55555780
	v_sub_nc_u32_e32 v39, 0, v0
	v_ldexp_f64 v[31:32], v[31:32], v39
	v_add_f64 v[33:34], v[35:36], v[33:34]
	v_add_f64 v[37:38], v[31:32], 1.0
	v_add_f64 v[57:58], v[31:32], -1.0
	v_ldexp_f64 v[33:34], v[33:34], v39
	v_add_f64 v[35:36], v[37:38], -1.0
	v_add_f64 v[59:60], v[57:58], 1.0
	v_add_f64 v[35:36], v[31:32], -v[35:36]
	v_add_f64 v[31:32], v[31:32], -v[59:60]
	v_add_f64 v[35:36], v[33:34], v[35:36]
	v_add_f64 v[31:32], v[33:34], v[31:32]
	;; [unrolled: 1-line block ×4, first 2 shown]
	v_rcp_f64_e32 v[55:56], v[39:40]
	v_add_f64 v[37:38], v[39:40], -v[37:38]
	v_add_f64 v[57:58], v[59:60], -v[57:58]
	;; [unrolled: 1-line block ×3, first 2 shown]
	s_waitcnt lgkmcnt(0)
	v_fma_f64 v[61:62], -v[39:40], v[55:56], 1.0
	v_add_f64 v[31:32], v[31:32], -v[57:58]
	v_fma_f64 v[55:56], v[61:62], v[55:56], v[55:56]
	v_fma_f64 v[33:34], -v[39:40], v[55:56], 1.0
	v_fma_f64 v[33:34], v[33:34], v[55:56], v[55:56]
	v_mul_f64 v[55:56], v[59:60], v[33:34]
	v_mul_f64 v[61:62], v[39:40], v[55:56]
	v_fma_f64 v[37:38], v[55:56], v[39:40], -v[61:62]
	v_fma_f64 v[37:38], v[55:56], v[35:36], v[37:38]
	v_add_f64 v[63:64], v[61:62], v[37:38]
	v_add_f64 v[65:66], v[59:60], -v[63:64]
	v_add_f64 v[57:58], v[63:64], -v[61:62]
	;; [unrolled: 1-line block ×5, first 2 shown]
	v_add_f64 v[31:32], v[31:32], v[59:60]
	v_add_f64 v[31:32], v[37:38], v[31:32]
	;; [unrolled: 1-line block ×3, first 2 shown]
	v_mul_f64 v[57:58], v[33:34], v[37:38]
	v_add_f64 v[63:64], v[65:66], -v[37:38]
	v_mul_f64 v[59:60], v[39:40], v[57:58]
	v_add_f64 v[31:32], v[31:32], v[63:64]
	v_fma_f64 v[39:40], v[57:58], v[39:40], -v[59:60]
	v_fma_f64 v[35:36], v[57:58], v[35:36], v[39:40]
	v_add_f64 v[39:40], v[59:60], v[35:36]
	v_add_f64 v[61:62], v[37:38], -v[39:40]
	v_add_f64 v[59:60], v[39:40], -v[59:60]
	;; [unrolled: 1-line block ×5, first 2 shown]
	v_add_f64 v[31:32], v[31:32], v[37:38]
	v_add_f64 v[37:38], v[55:56], v[57:58]
	v_add_f64 v[31:32], v[35:36], v[31:32]
	v_add_f64 v[35:36], v[37:38], -v[55:56]
	v_add_f64 v[31:32], v[61:62], v[31:32]
	v_add_f64 v[35:36], v[57:58], -v[35:36]
	v_mul_f64 v[31:32], v[33:34], v[31:32]
	v_add_f64 v[31:32], v[35:36], v[31:32]
	v_add_f64 v[33:34], v[37:38], v[31:32]
	v_mul_f64 v[35:36], v[33:34], v[33:34]
	v_fma_f64 v[39:40], v[35:36], s[34:35], s[28:29]
	s_mov_b32 s28, 0xd7f4df2e
	s_mov_b32 s29, 0x3fc7474d
	v_mul_f64 v[55:56], v[33:34], v[35:36]
	v_fma_f64 v[39:40], v[35:36], v[39:40], s[28:29]
	s_mov_b32 s28, 0x16291751
	s_mov_b32 s29, 0x3fcc71c0
	v_fma_f64 v[39:40], v[35:36], v[39:40], s[28:29]
	s_mov_b32 s28, 0x9b27acf1
	s_mov_b32 s29, 0x3fd24924
	v_fma_f64 v[39:40], v[35:36], v[39:40], s[28:29]
	s_mov_b32 s28, 0x998ef7b6
	s_mov_b32 s29, 0x3fd99999
	v_fma_f64 v[39:40], v[35:36], v[39:40], s[28:29]
	v_fma_f64 v[35:36], v[35:36], v[39:40], s[4:5]
	v_ldexp_f64 v[39:40], v[33:34], 1
	v_add_f64 v[33:34], v[33:34], -v[37:38]
	v_cmp_nge_f64_e64 s4, -1.0, v[17:18]
	v_cmp_neq_f64_e64 s5, 0x7ff00000, v[17:18]
	v_mul_f64 v[35:36], v[55:56], v[35:36]
	v_cvt_f64_i32_e32 v[55:56], v0
	v_add_f64 v[31:32], v[31:32], -v[33:34]
	s_and_b32 s4, s4, s5
	v_add_f64 v[37:38], v[39:40], v[35:36]
	v_mul_f64 v[57:58], v[55:56], s[16:17]
	v_ldexp_f64 v[31:32], v[31:32], 1
	v_add_f64 v[33:34], v[37:38], -v[39:40]
	v_fma_f64 v[39:40], v[55:56], s[16:17], -v[57:58]
	v_add_f64 v[33:34], v[35:36], -v[33:34]
	v_fma_f64 v[35:36], v[55:56], s[18:19], v[39:40]
	v_add_f64 v[31:32], v[31:32], v[33:34]
	v_add_f64 v[33:34], v[57:58], v[35:36]
	;; [unrolled: 1-line block ×3, first 2 shown]
	v_add_f64 v[57:58], v[33:34], -v[57:58]
	v_add_f64 v[55:56], v[33:34], v[39:40]
	v_add_f64 v[37:38], v[39:40], -v[37:38]
	v_add_f64 v[35:36], v[35:36], -v[57:58]
	;; [unrolled: 1-line block ×6, first 2 shown]
	v_add_f64 v[39:40], v[35:36], v[31:32]
	v_add_f64 v[33:34], v[33:34], -v[61:62]
	v_add_f64 v[33:34], v[37:38], v[33:34]
	v_add_f64 v[37:38], v[39:40], -v[35:36]
	;; [unrolled: 2-line block ×3, first 2 shown]
	v_add_f64 v[31:32], v[31:32], -v[37:38]
	v_add_f64 v[57:58], v[55:56], v[33:34]
	v_add_f64 v[35:36], v[35:36], -v[39:40]
	v_add_f64 v[37:38], v[57:58], -v[55:56]
	v_add_f64 v[31:32], v[31:32], v[35:36]
	v_add_f64 v[33:34], v[33:34], -v[37:38]
	v_add_f64 v[31:32], v[31:32], v[33:34]
	v_add_f64 v[31:32], v[57:58], v[31:32]
	v_cndmask_b32_e64 v31, 0, v31, s4
	v_cmp_neq_f64_e64 s4, -1.0, v[17:18]
	v_cndmask_b32_e64 v0, 0x7ff00000, v32, s5
	v_cndmask_b32_e64 v0, 0x7ff80000, v0, s15
	;; [unrolled: 1-line block ×3, first 2 shown]
	v_add_f64 v[17:18], v[29:30], v[31:32]
.LBB45_106:
	s_or_b32 exec_lo, exec_lo, s20
	v_max_f64 v[29:30], v[17:18], v[17:18]
	v_cmp_u_f64_e64 s4, v[17:18], v[17:18]
	v_min_f64 v[31:32], v[29:30], v[41:42]
	v_max_f64 v[29:30], v[29:30], v[41:42]
	v_cndmask_b32_e64 v0, v31, v17, s4
	v_cndmask_b32_e64 v31, v32, v18, s4
	;; [unrolled: 1-line block ×8, first 2 shown]
	v_mov_b32_e32 v20, v18
	v_mov_b32_e32 v19, v17
	v_cmp_class_f64_e64 s5, v[31:32], 0x1f8
	v_cmp_neq_f64_e64 s4, v[31:32], v[29:30]
	s_or_b32 s4, s4, s5
	s_and_saveexec_b32 s20, s4
	s_cbranch_execz .LBB45_108
; %bb.107:
	v_add_f64 v[19:20], v[31:32], -v[29:30]
	s_mov_b32 s4, 0x652b82fe
	s_mov_b32 s5, 0x3ff71547
	;; [unrolled: 1-line block ×10, first 2 shown]
	v_mul_f64 v[31:32], v[19:20], s[4:5]
	s_mov_b32 s4, 0xfca7ab0c
	s_mov_b32 s5, 0x3e928af3
	v_rndne_f64_e32 v[31:32], v[31:32]
	v_fma_f64 v[33:34], v[31:32], s[16:17], v[19:20]
	v_cvt_i32_f64_e32 v0, v[31:32]
	s_mov_b32 s17, 0x3fe62e42
	v_fma_f64 v[33:34], v[31:32], s[18:19], v[33:34]
	s_mov_b32 s19, 0x3c7abc9e
	v_fma_f64 v[35:36], v[33:34], s[28:29], s[4:5]
	s_mov_b32 s4, 0x623fde64
	s_mov_b32 s5, 0x3ec71dee
	;; [unrolled: 1-line block ×4, first 2 shown]
	v_fma_f64 v[35:36], v[33:34], v[35:36], s[4:5]
	s_mov_b32 s4, 0x7c89e6b0
	s_mov_b32 s5, 0x3efa0199
	v_fma_f64 v[35:36], v[33:34], v[35:36], s[4:5]
	s_mov_b32 s4, 0x14761f6e
	s_mov_b32 s5, 0x3f2a01a0
	;; [unrolled: 3-line block ×7, first 2 shown]
	v_fma_f64 v[35:36], v[33:34], v[35:36], s[4:5]
	v_cmp_nlt_f64_e64 s4, 0x40900000, v[19:20]
	v_cmp_ngt_f64_e64 s5, 0xc090cc00, v[19:20]
	v_fma_f64 v[35:36], v[33:34], v[35:36], 1.0
	v_fma_f64 v[31:32], v[33:34], v[35:36], 1.0
	v_ldexp_f64 v[31:32], v[31:32], v0
	v_cndmask_b32_e64 v0, 0x7ff00000, v32, s4
	s_and_b32 s4, s5, s4
	v_cndmask_b32_e64 v19, 0, v31, s4
	s_mov_b32 s4, 0x55555555
	v_cndmask_b32_e64 v20, 0, v0, s5
	s_mov_b32 s5, 0x3fe55555
	v_add_f64 v[31:32], v[19:20], 1.0
	v_cmp_ngt_f64_e64 s15, -1.0, v[19:20]
	v_frexp_mant_f64_e32 v[33:34], v[31:32]
	v_frexp_exp_i32_f64_e32 v0, v[31:32]
	v_add_f64 v[35:36], v[31:32], -1.0
	v_cmp_gt_f64_e64 s4, s[4:5], v[33:34]
	v_add_f64 v[33:34], v[35:36], -v[31:32]
	v_add_f64 v[35:36], v[19:20], -v[35:36]
	v_subrev_co_ci_u32_e64 v0, null, 0, v0, s4
	v_add_f64 v[33:34], v[33:34], 1.0
	s_mov_b32 s4, 0x55555780
	v_sub_nc_u32_e32 v39, 0, v0
	v_ldexp_f64 v[31:32], v[31:32], v39
	v_add_f64 v[33:34], v[35:36], v[33:34]
	v_add_f64 v[37:38], v[31:32], 1.0
	v_add_f64 v[55:56], v[31:32], -1.0
	v_ldexp_f64 v[33:34], v[33:34], v39
	v_add_f64 v[35:36], v[37:38], -1.0
	v_add_f64 v[57:58], v[55:56], 1.0
	v_add_f64 v[35:36], v[31:32], -v[35:36]
	v_add_f64 v[31:32], v[31:32], -v[57:58]
	v_add_f64 v[35:36], v[33:34], v[35:36]
	v_add_f64 v[31:32], v[33:34], v[31:32]
	;; [unrolled: 1-line block ×4, first 2 shown]
	v_rcp_f64_e32 v[41:42], v[39:40]
	v_add_f64 v[37:38], v[39:40], -v[37:38]
	v_add_f64 v[55:56], v[57:58], -v[55:56]
	;; [unrolled: 1-line block ×3, first 2 shown]
	v_fma_f64 v[59:60], -v[39:40], v[41:42], 1.0
	v_add_f64 v[31:32], v[31:32], -v[55:56]
	v_fma_f64 v[41:42], v[59:60], v[41:42], v[41:42]
	v_fma_f64 v[33:34], -v[39:40], v[41:42], 1.0
	v_fma_f64 v[33:34], v[33:34], v[41:42], v[41:42]
	v_mul_f64 v[41:42], v[57:58], v[33:34]
	v_mul_f64 v[59:60], v[39:40], v[41:42]
	v_fma_f64 v[37:38], v[41:42], v[39:40], -v[59:60]
	v_fma_f64 v[37:38], v[41:42], v[35:36], v[37:38]
	s_waitcnt lgkmcnt(0)
	v_add_f64 v[61:62], v[59:60], v[37:38]
	v_add_f64 v[63:64], v[57:58], -v[61:62]
	v_add_f64 v[55:56], v[61:62], -v[59:60]
	;; [unrolled: 1-line block ×5, first 2 shown]
	v_add_f64 v[31:32], v[31:32], v[57:58]
	v_add_f64 v[31:32], v[37:38], v[31:32]
	;; [unrolled: 1-line block ×3, first 2 shown]
	v_mul_f64 v[55:56], v[33:34], v[37:38]
	v_add_f64 v[61:62], v[63:64], -v[37:38]
	v_mul_f64 v[57:58], v[39:40], v[55:56]
	v_add_f64 v[31:32], v[31:32], v[61:62]
	v_fma_f64 v[39:40], v[55:56], v[39:40], -v[57:58]
	v_fma_f64 v[35:36], v[55:56], v[35:36], v[39:40]
	v_add_f64 v[39:40], v[57:58], v[35:36]
	v_add_f64 v[59:60], v[37:38], -v[39:40]
	v_add_f64 v[57:58], v[39:40], -v[57:58]
	;; [unrolled: 1-line block ×5, first 2 shown]
	v_add_f64 v[31:32], v[31:32], v[37:38]
	v_add_f64 v[37:38], v[41:42], v[55:56]
	;; [unrolled: 1-line block ×3, first 2 shown]
	v_add_f64 v[35:36], v[37:38], -v[41:42]
	v_add_f64 v[31:32], v[59:60], v[31:32]
	v_add_f64 v[35:36], v[55:56], -v[35:36]
	v_mul_f64 v[31:32], v[33:34], v[31:32]
	v_add_f64 v[31:32], v[35:36], v[31:32]
	v_add_f64 v[33:34], v[37:38], v[31:32]
	v_mul_f64 v[35:36], v[33:34], v[33:34]
	v_fma_f64 v[39:40], v[35:36], s[34:35], s[28:29]
	s_mov_b32 s28, 0xd7f4df2e
	s_mov_b32 s29, 0x3fc7474d
	v_mul_f64 v[41:42], v[33:34], v[35:36]
	v_fma_f64 v[39:40], v[35:36], v[39:40], s[28:29]
	s_mov_b32 s28, 0x16291751
	s_mov_b32 s29, 0x3fcc71c0
	v_fma_f64 v[39:40], v[35:36], v[39:40], s[28:29]
	s_mov_b32 s28, 0x9b27acf1
	s_mov_b32 s29, 0x3fd24924
	;; [unrolled: 3-line block ×3, first 2 shown]
	v_fma_f64 v[39:40], v[35:36], v[39:40], s[28:29]
	v_fma_f64 v[35:36], v[35:36], v[39:40], s[4:5]
	v_ldexp_f64 v[39:40], v[33:34], 1
	v_add_f64 v[33:34], v[33:34], -v[37:38]
	v_cmp_nge_f64_e64 s4, -1.0, v[19:20]
	v_cmp_neq_f64_e64 s5, 0x7ff00000, v[19:20]
	v_mul_f64 v[35:36], v[41:42], v[35:36]
	v_cvt_f64_i32_e32 v[41:42], v0
	v_add_f64 v[31:32], v[31:32], -v[33:34]
	s_and_b32 s4, s4, s5
	v_add_f64 v[37:38], v[39:40], v[35:36]
	v_mul_f64 v[55:56], v[41:42], s[16:17]
	v_ldexp_f64 v[31:32], v[31:32], 1
	v_add_f64 v[33:34], v[37:38], -v[39:40]
	v_fma_f64 v[39:40], v[41:42], s[16:17], -v[55:56]
	v_add_f64 v[33:34], v[35:36], -v[33:34]
	v_fma_f64 v[35:36], v[41:42], s[18:19], v[39:40]
	v_add_f64 v[31:32], v[31:32], v[33:34]
	v_add_f64 v[33:34], v[55:56], v[35:36]
	;; [unrolled: 1-line block ×3, first 2 shown]
	v_add_f64 v[55:56], v[33:34], -v[55:56]
	v_add_f64 v[41:42], v[33:34], v[39:40]
	v_add_f64 v[37:38], v[39:40], -v[37:38]
	v_add_f64 v[35:36], v[35:36], -v[55:56]
	;; [unrolled: 1-line block ×6, first 2 shown]
	v_add_f64 v[39:40], v[35:36], v[31:32]
	v_add_f64 v[33:34], v[33:34], -v[59:60]
	v_add_f64 v[33:34], v[37:38], v[33:34]
	v_add_f64 v[37:38], v[39:40], -v[35:36]
	;; [unrolled: 2-line block ×3, first 2 shown]
	v_add_f64 v[31:32], v[31:32], -v[37:38]
	v_add_f64 v[55:56], v[41:42], v[33:34]
	v_add_f64 v[35:36], v[35:36], -v[39:40]
	v_add_f64 v[37:38], v[55:56], -v[41:42]
	v_add_f64 v[31:32], v[31:32], v[35:36]
	v_add_f64 v[33:34], v[33:34], -v[37:38]
	v_add_f64 v[31:32], v[31:32], v[33:34]
	v_add_f64 v[31:32], v[55:56], v[31:32]
	v_cndmask_b32_e64 v31, 0, v31, s4
	v_cmp_neq_f64_e64 s4, -1.0, v[19:20]
	v_cndmask_b32_e64 v0, 0x7ff00000, v32, s5
	v_cndmask_b32_e64 v0, 0x7ff80000, v0, s15
	;; [unrolled: 1-line block ×3, first 2 shown]
	v_add_f64 v[19:20], v[29:30], v[31:32]
.LBB45_108:
	s_or_b32 exec_lo, exec_lo, s20
	v_max_f64 v[29:30], v[19:20], v[19:20]
	v_cmp_u_f64_e64 s4, v[19:20], v[19:20]
	v_min_f64 v[31:32], v[29:30], v[43:44]
	v_max_f64 v[29:30], v[29:30], v[43:44]
	v_cndmask_b32_e64 v0, v31, v19, s4
	v_cndmask_b32_e64 v31, v32, v20, s4
	v_cndmask_b32_e64 v30, v30, v20, s4
	v_cndmask_b32_e64 v29, v29, v19, s4
	v_cndmask_b32_e64 v32, v31, v14, s22
	v_cndmask_b32_e64 v31, v0, v13, s22
	v_cndmask_b32_e64 v30, v30, v14, s22
	v_cndmask_b32_e64 v29, v29, v13, s22
	v_mov_b32_e32 v13, v19
	v_mov_b32_e32 v14, v20
	v_cmp_class_f64_e64 s5, v[31:32], 0x1f8
	v_cmp_neq_f64_e64 s4, v[31:32], v[29:30]
	s_or_b32 s4, s4, s5
	s_and_saveexec_b32 s20, s4
	s_cbranch_execz .LBB45_110
; %bb.109:
	v_add_f64 v[13:14], v[31:32], -v[29:30]
	s_mov_b32 s4, 0x652b82fe
	s_mov_b32 s5, 0x3ff71547
	;; [unrolled: 1-line block ×10, first 2 shown]
	v_mul_f64 v[31:32], v[13:14], s[4:5]
	s_mov_b32 s4, 0xfca7ab0c
	s_mov_b32 s5, 0x3e928af3
	v_rndne_f64_e32 v[31:32], v[31:32]
	v_fma_f64 v[33:34], v[31:32], s[16:17], v[13:14]
	v_cvt_i32_f64_e32 v0, v[31:32]
	s_mov_b32 s17, 0x3fe62e42
	v_fma_f64 v[33:34], v[31:32], s[18:19], v[33:34]
	s_mov_b32 s19, 0x3c7abc9e
	v_fma_f64 v[35:36], v[33:34], s[28:29], s[4:5]
	s_mov_b32 s4, 0x623fde64
	s_mov_b32 s5, 0x3ec71dee
	;; [unrolled: 1-line block ×4, first 2 shown]
	v_fma_f64 v[35:36], v[33:34], v[35:36], s[4:5]
	s_mov_b32 s4, 0x7c89e6b0
	s_mov_b32 s5, 0x3efa0199
	v_fma_f64 v[35:36], v[33:34], v[35:36], s[4:5]
	s_mov_b32 s4, 0x14761f6e
	s_mov_b32 s5, 0x3f2a01a0
	;; [unrolled: 3-line block ×7, first 2 shown]
	v_fma_f64 v[35:36], v[33:34], v[35:36], s[4:5]
	v_cmp_nlt_f64_e64 s4, 0x40900000, v[13:14]
	v_cmp_ngt_f64_e64 s5, 0xc090cc00, v[13:14]
	v_fma_f64 v[35:36], v[33:34], v[35:36], 1.0
	v_fma_f64 v[31:32], v[33:34], v[35:36], 1.0
	v_ldexp_f64 v[31:32], v[31:32], v0
	v_cndmask_b32_e64 v0, 0x7ff00000, v32, s4
	s_and_b32 s4, s5, s4
	v_cndmask_b32_e64 v13, 0, v31, s4
	s_mov_b32 s4, 0x55555555
	v_cndmask_b32_e64 v14, 0, v0, s5
	s_mov_b32 s5, 0x3fe55555
	v_add_f64 v[31:32], v[13:14], 1.0
	v_cmp_ngt_f64_e64 s15, -1.0, v[13:14]
	v_frexp_mant_f64_e32 v[33:34], v[31:32]
	v_frexp_exp_i32_f64_e32 v0, v[31:32]
	v_add_f64 v[35:36], v[31:32], -1.0
	v_cmp_gt_f64_e64 s4, s[4:5], v[33:34]
	v_add_f64 v[33:34], v[35:36], -v[31:32]
	v_add_f64 v[35:36], v[13:14], -v[35:36]
	v_subrev_co_ci_u32_e64 v0, null, 0, v0, s4
	v_add_f64 v[33:34], v[33:34], 1.0
	s_mov_b32 s4, 0x55555780
	v_sub_nc_u32_e32 v39, 0, v0
	v_ldexp_f64 v[31:32], v[31:32], v39
	v_add_f64 v[33:34], v[35:36], v[33:34]
	v_add_f64 v[37:38], v[31:32], 1.0
	v_add_f64 v[43:44], v[31:32], -1.0
	v_ldexp_f64 v[33:34], v[33:34], v39
	v_add_f64 v[35:36], v[37:38], -1.0
	v_add_f64 v[55:56], v[43:44], 1.0
	v_add_f64 v[35:36], v[31:32], -v[35:36]
	v_add_f64 v[31:32], v[31:32], -v[55:56]
	v_add_f64 v[35:36], v[33:34], v[35:36]
	v_add_f64 v[31:32], v[33:34], v[31:32]
	;; [unrolled: 1-line block ×4, first 2 shown]
	v_rcp_f64_e32 v[41:42], v[39:40]
	v_add_f64 v[37:38], v[39:40], -v[37:38]
	v_add_f64 v[43:44], v[55:56], -v[43:44]
	;; [unrolled: 1-line block ×3, first 2 shown]
	v_fma_f64 v[57:58], -v[39:40], v[41:42], 1.0
	v_add_f64 v[31:32], v[31:32], -v[43:44]
	v_fma_f64 v[41:42], v[57:58], v[41:42], v[41:42]
	v_fma_f64 v[33:34], -v[39:40], v[41:42], 1.0
	v_fma_f64 v[33:34], v[33:34], v[41:42], v[41:42]
	v_mul_f64 v[41:42], v[55:56], v[33:34]
	v_mul_f64 v[57:58], v[39:40], v[41:42]
	v_fma_f64 v[37:38], v[41:42], v[39:40], -v[57:58]
	v_fma_f64 v[37:38], v[41:42], v[35:36], v[37:38]
	v_add_f64 v[59:60], v[57:58], v[37:38]
	s_waitcnt lgkmcnt(0)
	v_add_f64 v[61:62], v[55:56], -v[59:60]
	v_add_f64 v[43:44], v[59:60], -v[57:58]
	v_add_f64 v[55:56], v[55:56], -v[61:62]
	v_add_f64 v[37:38], v[43:44], -v[37:38]
	v_add_f64 v[55:56], v[55:56], -v[59:60]
	v_add_f64 v[31:32], v[31:32], v[55:56]
	v_add_f64 v[31:32], v[37:38], v[31:32]
	;; [unrolled: 1-line block ×3, first 2 shown]
	v_mul_f64 v[43:44], v[33:34], v[37:38]
	v_add_f64 v[59:60], v[61:62], -v[37:38]
	v_mul_f64 v[55:56], v[39:40], v[43:44]
	v_add_f64 v[31:32], v[31:32], v[59:60]
	v_fma_f64 v[39:40], v[43:44], v[39:40], -v[55:56]
	v_fma_f64 v[35:36], v[43:44], v[35:36], v[39:40]
	v_add_f64 v[39:40], v[55:56], v[35:36]
	v_add_f64 v[57:58], v[37:38], -v[39:40]
	v_add_f64 v[55:56], v[39:40], -v[55:56]
	v_add_f64 v[37:38], v[37:38], -v[57:58]
	v_add_f64 v[35:36], v[55:56], -v[35:36]
	v_add_f64 v[37:38], v[37:38], -v[39:40]
	v_add_f64 v[31:32], v[31:32], v[37:38]
	v_add_f64 v[37:38], v[41:42], v[43:44]
	;; [unrolled: 1-line block ×3, first 2 shown]
	v_add_f64 v[35:36], v[37:38], -v[41:42]
	v_add_f64 v[31:32], v[57:58], v[31:32]
	v_add_f64 v[35:36], v[43:44], -v[35:36]
	v_mul_f64 v[31:32], v[33:34], v[31:32]
	v_add_f64 v[31:32], v[35:36], v[31:32]
	v_add_f64 v[33:34], v[37:38], v[31:32]
	v_mul_f64 v[35:36], v[33:34], v[33:34]
	v_fma_f64 v[39:40], v[35:36], s[34:35], s[28:29]
	s_mov_b32 s28, 0xd7f4df2e
	s_mov_b32 s29, 0x3fc7474d
	v_mul_f64 v[41:42], v[33:34], v[35:36]
	v_fma_f64 v[39:40], v[35:36], v[39:40], s[28:29]
	s_mov_b32 s28, 0x16291751
	s_mov_b32 s29, 0x3fcc71c0
	v_fma_f64 v[39:40], v[35:36], v[39:40], s[28:29]
	s_mov_b32 s28, 0x9b27acf1
	s_mov_b32 s29, 0x3fd24924
	;; [unrolled: 3-line block ×3, first 2 shown]
	v_fma_f64 v[39:40], v[35:36], v[39:40], s[28:29]
	v_fma_f64 v[35:36], v[35:36], v[39:40], s[4:5]
	v_ldexp_f64 v[39:40], v[33:34], 1
	v_add_f64 v[33:34], v[33:34], -v[37:38]
	v_cmp_nge_f64_e64 s4, -1.0, v[13:14]
	v_cmp_neq_f64_e64 s5, 0x7ff00000, v[13:14]
	v_mul_f64 v[35:36], v[41:42], v[35:36]
	v_cvt_f64_i32_e32 v[41:42], v0
	v_add_f64 v[31:32], v[31:32], -v[33:34]
	s_and_b32 s4, s4, s5
	v_add_f64 v[37:38], v[39:40], v[35:36]
	v_mul_f64 v[43:44], v[41:42], s[16:17]
	v_ldexp_f64 v[31:32], v[31:32], 1
	v_add_f64 v[33:34], v[37:38], -v[39:40]
	v_fma_f64 v[39:40], v[41:42], s[16:17], -v[43:44]
	v_add_f64 v[33:34], v[35:36], -v[33:34]
	v_fma_f64 v[35:36], v[41:42], s[18:19], v[39:40]
	v_add_f64 v[31:32], v[31:32], v[33:34]
	v_add_f64 v[33:34], v[43:44], v[35:36]
	;; [unrolled: 1-line block ×3, first 2 shown]
	v_add_f64 v[43:44], v[33:34], -v[43:44]
	v_add_f64 v[41:42], v[33:34], v[39:40]
	v_add_f64 v[37:38], v[39:40], -v[37:38]
	v_add_f64 v[35:36], v[35:36], -v[43:44]
	;; [unrolled: 1-line block ×6, first 2 shown]
	v_add_f64 v[39:40], v[35:36], v[31:32]
	v_add_f64 v[33:34], v[33:34], -v[57:58]
	v_add_f64 v[33:34], v[37:38], v[33:34]
	v_add_f64 v[37:38], v[39:40], -v[35:36]
	;; [unrolled: 2-line block ×3, first 2 shown]
	v_add_f64 v[31:32], v[31:32], -v[37:38]
	v_add_f64 v[43:44], v[41:42], v[33:34]
	v_add_f64 v[35:36], v[35:36], -v[39:40]
	v_add_f64 v[37:38], v[43:44], -v[41:42]
	v_add_f64 v[31:32], v[31:32], v[35:36]
	v_add_f64 v[33:34], v[33:34], -v[37:38]
	v_add_f64 v[31:32], v[31:32], v[33:34]
	v_add_f64 v[31:32], v[43:44], v[31:32]
	v_cndmask_b32_e64 v31, 0, v31, s4
	v_cmp_neq_f64_e64 s4, -1.0, v[13:14]
	v_cndmask_b32_e64 v0, 0x7ff00000, v32, s5
	v_cndmask_b32_e64 v0, 0x7ff80000, v0, s15
	;; [unrolled: 1-line block ×3, first 2 shown]
	v_add_f64 v[13:14], v[29:30], v[31:32]
.LBB45_110:
	s_or_b32 exec_lo, exec_lo, s20
	v_max_f64 v[29:30], v[13:14], v[13:14]
	v_cmp_u_f64_e64 s4, v[13:14], v[13:14]
	v_min_f64 v[31:32], v[29:30], v[45:46]
	v_max_f64 v[29:30], v[29:30], v[45:46]
	v_cndmask_b32_e64 v0, v31, v13, s4
	v_cndmask_b32_e64 v31, v32, v14, s4
	;; [unrolled: 1-line block ×8, first 2 shown]
	v_mov_b32_e32 v16, v14
	v_mov_b32_e32 v15, v13
	v_cmp_class_f64_e64 s5, v[31:32], 0x1f8
	v_cmp_neq_f64_e64 s4, v[31:32], v[29:30]
	s_or_b32 s4, s4, s5
	s_and_saveexec_b32 s20, s4
	s_cbranch_execz .LBB45_112
; %bb.111:
	v_add_f64 v[15:16], v[31:32], -v[29:30]
	s_mov_b32 s4, 0x652b82fe
	s_mov_b32 s5, 0x3ff71547
	;; [unrolled: 1-line block ×10, first 2 shown]
	v_mul_f64 v[31:32], v[15:16], s[4:5]
	s_mov_b32 s4, 0xfca7ab0c
	s_mov_b32 s5, 0x3e928af3
	v_rndne_f64_e32 v[31:32], v[31:32]
	v_fma_f64 v[33:34], v[31:32], s[16:17], v[15:16]
	v_cvt_i32_f64_e32 v0, v[31:32]
	s_mov_b32 s17, 0x3fe62e42
	v_fma_f64 v[33:34], v[31:32], s[18:19], v[33:34]
	s_mov_b32 s19, 0x3c7abc9e
	v_fma_f64 v[35:36], v[33:34], s[22:23], s[4:5]
	s_mov_b32 s4, 0x623fde64
	s_mov_b32 s5, 0x3ec71dee
	;; [unrolled: 1-line block ×4, first 2 shown]
	v_fma_f64 v[35:36], v[33:34], v[35:36], s[4:5]
	s_mov_b32 s4, 0x7c89e6b0
	s_mov_b32 s5, 0x3efa0199
	v_fma_f64 v[35:36], v[33:34], v[35:36], s[4:5]
	s_mov_b32 s4, 0x14761f6e
	s_mov_b32 s5, 0x3f2a01a0
	v_fma_f64 v[35:36], v[33:34], v[35:36], s[4:5]
	s_mov_b32 s4, 0x1852b7b0
	s_mov_b32 s5, 0x3f56c16c
	v_fma_f64 v[35:36], v[33:34], v[35:36], s[4:5]
	s_mov_b32 s4, 0x11122322
	s_mov_b32 s5, 0x3f811111
	v_fma_f64 v[35:36], v[33:34], v[35:36], s[4:5]
	s_mov_b32 s4, 0x555502a1
	s_mov_b32 s5, 0x3fa55555
	v_fma_f64 v[35:36], v[33:34], v[35:36], s[4:5]
	s_mov_b32 s4, 0x55555511
	s_mov_b32 s5, 0x3fc55555
	v_fma_f64 v[35:36], v[33:34], v[35:36], s[4:5]
	s_mov_b32 s4, 11
	s_mov_b32 s5, 0x3fe00000
	v_fma_f64 v[35:36], v[33:34], v[35:36], s[4:5]
	v_cmp_nlt_f64_e64 s4, 0x40900000, v[15:16]
	v_cmp_ngt_f64_e64 s5, 0xc090cc00, v[15:16]
	v_fma_f64 v[35:36], v[33:34], v[35:36], 1.0
	v_fma_f64 v[31:32], v[33:34], v[35:36], 1.0
	v_ldexp_f64 v[31:32], v[31:32], v0
	v_cndmask_b32_e64 v0, 0x7ff00000, v32, s4
	s_and_b32 s4, s5, s4
	v_cndmask_b32_e64 v15, 0, v31, s4
	s_mov_b32 s4, 0x55555555
	v_cndmask_b32_e64 v16, 0, v0, s5
	s_mov_b32 s5, 0x3fe55555
	v_add_f64 v[31:32], v[15:16], 1.0
	v_cmp_ngt_f64_e64 s15, -1.0, v[15:16]
	v_frexp_mant_f64_e32 v[33:34], v[31:32]
	v_frexp_exp_i32_f64_e32 v0, v[31:32]
	v_add_f64 v[35:36], v[31:32], -1.0
	v_cmp_gt_f64_e64 s4, s[4:5], v[33:34]
	v_add_f64 v[33:34], v[35:36], -v[31:32]
	v_add_f64 v[35:36], v[15:16], -v[35:36]
	v_subrev_co_ci_u32_e64 v0, null, 0, v0, s4
	v_add_f64 v[33:34], v[33:34], 1.0
	s_mov_b32 s4, 0x55555780
	v_sub_nc_u32_e32 v39, 0, v0
	v_ldexp_f64 v[31:32], v[31:32], v39
	v_add_f64 v[33:34], v[35:36], v[33:34]
	v_add_f64 v[37:38], v[31:32], 1.0
	v_add_f64 v[43:44], v[31:32], -1.0
	v_ldexp_f64 v[33:34], v[33:34], v39
	v_add_f64 v[35:36], v[37:38], -1.0
	v_add_f64 v[45:46], v[43:44], 1.0
	v_add_f64 v[35:36], v[31:32], -v[35:36]
	v_add_f64 v[31:32], v[31:32], -v[45:46]
	v_add_f64 v[35:36], v[33:34], v[35:36]
	v_add_f64 v[31:32], v[33:34], v[31:32]
	;; [unrolled: 1-line block ×4, first 2 shown]
	v_rcp_f64_e32 v[41:42], v[39:40]
	v_add_f64 v[37:38], v[39:40], -v[37:38]
	v_add_f64 v[43:44], v[45:46], -v[43:44]
	;; [unrolled: 1-line block ×3, first 2 shown]
	v_fma_f64 v[55:56], -v[39:40], v[41:42], 1.0
	v_add_f64 v[31:32], v[31:32], -v[43:44]
	v_fma_f64 v[41:42], v[55:56], v[41:42], v[41:42]
	v_fma_f64 v[33:34], -v[39:40], v[41:42], 1.0
	v_fma_f64 v[33:34], v[33:34], v[41:42], v[41:42]
	v_mul_f64 v[41:42], v[45:46], v[33:34]
	v_mul_f64 v[55:56], v[39:40], v[41:42]
	v_fma_f64 v[37:38], v[41:42], v[39:40], -v[55:56]
	v_fma_f64 v[37:38], v[41:42], v[35:36], v[37:38]
	v_add_f64 v[57:58], v[55:56], v[37:38]
	v_add_f64 v[59:60], v[45:46], -v[57:58]
	v_add_f64 v[43:44], v[57:58], -v[55:56]
	;; [unrolled: 1-line block ×5, first 2 shown]
	v_add_f64 v[31:32], v[31:32], v[45:46]
	v_add_f64 v[31:32], v[37:38], v[31:32]
	;; [unrolled: 1-line block ×3, first 2 shown]
	v_mul_f64 v[43:44], v[33:34], v[37:38]
	v_add_f64 v[57:58], v[59:60], -v[37:38]
	v_mul_f64 v[45:46], v[39:40], v[43:44]
	v_add_f64 v[31:32], v[31:32], v[57:58]
	v_fma_f64 v[39:40], v[43:44], v[39:40], -v[45:46]
	v_fma_f64 v[35:36], v[43:44], v[35:36], v[39:40]
	v_add_f64 v[39:40], v[45:46], v[35:36]
	v_add_f64 v[55:56], v[37:38], -v[39:40]
	v_add_f64 v[45:46], v[39:40], -v[45:46]
	v_add_f64 v[37:38], v[37:38], -v[55:56]
	v_add_f64 v[35:36], v[45:46], -v[35:36]
	v_add_f64 v[37:38], v[37:38], -v[39:40]
	v_add_f64 v[31:32], v[31:32], v[37:38]
	v_add_f64 v[37:38], v[41:42], v[43:44]
	;; [unrolled: 1-line block ×3, first 2 shown]
	v_add_f64 v[35:36], v[37:38], -v[41:42]
	v_add_f64 v[31:32], v[55:56], v[31:32]
	v_add_f64 v[35:36], v[43:44], -v[35:36]
	v_mul_f64 v[31:32], v[33:34], v[31:32]
	v_add_f64 v[31:32], v[35:36], v[31:32]
	v_add_f64 v[33:34], v[37:38], v[31:32]
	v_mul_f64 v[35:36], v[33:34], v[33:34]
	v_fma_f64 v[39:40], v[35:36], s[28:29], s[22:23]
	s_mov_b32 s22, 0xd7f4df2e
	s_mov_b32 s23, 0x3fc7474d
	v_mul_f64 v[41:42], v[33:34], v[35:36]
	v_fma_f64 v[39:40], v[35:36], v[39:40], s[22:23]
	s_mov_b32 s22, 0x16291751
	s_mov_b32 s23, 0x3fcc71c0
	v_fma_f64 v[39:40], v[35:36], v[39:40], s[22:23]
	s_mov_b32 s22, 0x9b27acf1
	s_mov_b32 s23, 0x3fd24924
	;; [unrolled: 3-line block ×3, first 2 shown]
	v_fma_f64 v[39:40], v[35:36], v[39:40], s[22:23]
	v_fma_f64 v[35:36], v[35:36], v[39:40], s[4:5]
	v_ldexp_f64 v[39:40], v[33:34], 1
	v_add_f64 v[33:34], v[33:34], -v[37:38]
	v_cmp_nge_f64_e64 s4, -1.0, v[15:16]
	v_cmp_neq_f64_e64 s5, 0x7ff00000, v[15:16]
	v_mul_f64 v[35:36], v[41:42], v[35:36]
	v_cvt_f64_i32_e32 v[41:42], v0
	v_add_f64 v[31:32], v[31:32], -v[33:34]
	s_and_b32 s4, s4, s5
	v_add_f64 v[37:38], v[39:40], v[35:36]
	v_mul_f64 v[43:44], v[41:42], s[16:17]
	v_ldexp_f64 v[31:32], v[31:32], 1
	v_add_f64 v[33:34], v[37:38], -v[39:40]
	v_fma_f64 v[39:40], v[41:42], s[16:17], -v[43:44]
	v_add_f64 v[33:34], v[35:36], -v[33:34]
	v_fma_f64 v[35:36], v[41:42], s[18:19], v[39:40]
	v_add_f64 v[31:32], v[31:32], v[33:34]
	v_add_f64 v[33:34], v[43:44], v[35:36]
	v_add_f64 v[39:40], v[37:38], v[31:32]
	v_add_f64 v[43:44], v[33:34], -v[43:44]
	v_add_f64 v[41:42], v[33:34], v[39:40]
	v_add_f64 v[37:38], v[39:40], -v[37:38]
	v_add_f64 v[35:36], v[35:36], -v[43:44]
	;; [unrolled: 1-line block ×6, first 2 shown]
	v_add_f64 v[39:40], v[35:36], v[31:32]
	v_add_f64 v[33:34], v[33:34], -v[55:56]
	v_add_f64 v[33:34], v[37:38], v[33:34]
	v_add_f64 v[37:38], v[39:40], -v[35:36]
	;; [unrolled: 2-line block ×3, first 2 shown]
	v_add_f64 v[31:32], v[31:32], -v[37:38]
	v_add_f64 v[43:44], v[41:42], v[33:34]
	v_add_f64 v[35:36], v[35:36], -v[39:40]
	v_add_f64 v[37:38], v[43:44], -v[41:42]
	v_add_f64 v[31:32], v[31:32], v[35:36]
	v_add_f64 v[33:34], v[33:34], -v[37:38]
	v_add_f64 v[31:32], v[31:32], v[33:34]
	v_add_f64 v[31:32], v[43:44], v[31:32]
	v_cndmask_b32_e64 v31, 0, v31, s4
	v_cmp_neq_f64_e64 s4, -1.0, v[15:16]
	v_cndmask_b32_e64 v0, 0x7ff00000, v32, s5
	v_cndmask_b32_e64 v0, 0x7ff80000, v0, s15
	;; [unrolled: 1-line block ×3, first 2 shown]
	v_add_f64 v[15:16], v[29:30], v[31:32]
.LBB45_112:
	s_or_b32 exec_lo, exec_lo, s20
	v_max_f64 v[29:30], v[15:16], v[15:16]
	v_cmp_u_f64_e64 s4, v[15:16], v[15:16]
	v_min_f64 v[31:32], v[29:30], v[47:48]
	v_max_f64 v[29:30], v[29:30], v[47:48]
	v_cndmask_b32_e64 v0, v31, v15, s4
	v_cndmask_b32_e64 v31, v32, v16, s4
	;; [unrolled: 1-line block ×8, first 2 shown]
	v_mov_b32_e32 v9, v15
	v_mov_b32_e32 v10, v16
	v_cmp_class_f64_e64 s5, v[31:32], 0x1f8
	v_cmp_neq_f64_e64 s4, v[31:32], v[29:30]
	s_or_b32 s4, s4, s5
	s_and_saveexec_b32 s20, s4
	s_cbranch_execz .LBB45_114
; %bb.113:
	v_add_f64 v[9:10], v[31:32], -v[29:30]
	s_mov_b32 s4, 0x652b82fe
	s_mov_b32 s5, 0x3ff71547
	;; [unrolled: 1-line block ×10, first 2 shown]
	v_mul_f64 v[31:32], v[9:10], s[4:5]
	s_mov_b32 s4, 0xfca7ab0c
	s_mov_b32 s5, 0x3e928af3
	v_rndne_f64_e32 v[31:32], v[31:32]
	v_fma_f64 v[33:34], v[31:32], s[16:17], v[9:10]
	v_cvt_i32_f64_e32 v0, v[31:32]
	s_mov_b32 s17, 0x3fe62e42
	v_fma_f64 v[33:34], v[31:32], s[18:19], v[33:34]
	s_mov_b32 s19, 0x3c7abc9e
	v_fma_f64 v[35:36], v[33:34], s[22:23], s[4:5]
	s_mov_b32 s4, 0x623fde64
	s_mov_b32 s5, 0x3ec71dee
	;; [unrolled: 1-line block ×4, first 2 shown]
	v_fma_f64 v[35:36], v[33:34], v[35:36], s[4:5]
	s_mov_b32 s4, 0x7c89e6b0
	s_mov_b32 s5, 0x3efa0199
	v_fma_f64 v[35:36], v[33:34], v[35:36], s[4:5]
	s_mov_b32 s4, 0x14761f6e
	s_mov_b32 s5, 0x3f2a01a0
	;; [unrolled: 3-line block ×7, first 2 shown]
	v_fma_f64 v[35:36], v[33:34], v[35:36], s[4:5]
	v_cmp_nlt_f64_e64 s4, 0x40900000, v[9:10]
	v_cmp_ngt_f64_e64 s5, 0xc090cc00, v[9:10]
	v_fma_f64 v[35:36], v[33:34], v[35:36], 1.0
	v_fma_f64 v[31:32], v[33:34], v[35:36], 1.0
	v_ldexp_f64 v[31:32], v[31:32], v0
	v_cndmask_b32_e64 v0, 0x7ff00000, v32, s4
	s_and_b32 s4, s5, s4
	v_cndmask_b32_e64 v9, 0, v31, s4
	s_mov_b32 s4, 0x55555555
	v_cndmask_b32_e64 v10, 0, v0, s5
	s_mov_b32 s5, 0x3fe55555
	v_add_f64 v[31:32], v[9:10], 1.0
	v_cmp_ngt_f64_e64 s15, -1.0, v[9:10]
	v_frexp_mant_f64_e32 v[33:34], v[31:32]
	v_frexp_exp_i32_f64_e32 v0, v[31:32]
	v_add_f64 v[35:36], v[31:32], -1.0
	v_cmp_gt_f64_e64 s4, s[4:5], v[33:34]
	v_add_f64 v[33:34], v[35:36], -v[31:32]
	v_add_f64 v[35:36], v[9:10], -v[35:36]
	v_subrev_co_ci_u32_e64 v0, null, 0, v0, s4
	v_add_f64 v[33:34], v[33:34], 1.0
	s_mov_b32 s4, 0x55555780
	v_sub_nc_u32_e32 v39, 0, v0
	v_ldexp_f64 v[31:32], v[31:32], v39
	v_add_f64 v[33:34], v[35:36], v[33:34]
	v_add_f64 v[37:38], v[31:32], 1.0
	v_add_f64 v[43:44], v[31:32], -1.0
	v_ldexp_f64 v[33:34], v[33:34], v39
	v_add_f64 v[35:36], v[37:38], -1.0
	v_add_f64 v[45:46], v[43:44], 1.0
	v_add_f64 v[35:36], v[31:32], -v[35:36]
	v_add_f64 v[31:32], v[31:32], -v[45:46]
	v_add_f64 v[35:36], v[33:34], v[35:36]
	v_add_f64 v[31:32], v[33:34], v[31:32]
	;; [unrolled: 1-line block ×4, first 2 shown]
	v_rcp_f64_e32 v[41:42], v[39:40]
	v_add_f64 v[37:38], v[39:40], -v[37:38]
	v_add_f64 v[43:44], v[45:46], -v[43:44]
	v_add_f64 v[35:36], v[35:36], -v[37:38]
	v_fma_f64 v[47:48], -v[39:40], v[41:42], 1.0
	v_add_f64 v[31:32], v[31:32], -v[43:44]
	v_fma_f64 v[41:42], v[47:48], v[41:42], v[41:42]
	v_fma_f64 v[33:34], -v[39:40], v[41:42], 1.0
	v_fma_f64 v[33:34], v[33:34], v[41:42], v[41:42]
	v_mul_f64 v[41:42], v[45:46], v[33:34]
	v_mul_f64 v[47:48], v[39:40], v[41:42]
	v_fma_f64 v[37:38], v[41:42], v[39:40], -v[47:48]
	v_fma_f64 v[37:38], v[41:42], v[35:36], v[37:38]
	v_add_f64 v[55:56], v[47:48], v[37:38]
	v_add_f64 v[57:58], v[45:46], -v[55:56]
	v_add_f64 v[43:44], v[55:56], -v[47:48]
	v_add_f64 v[45:46], v[45:46], -v[57:58]
	v_add_f64 v[37:38], v[43:44], -v[37:38]
	v_add_f64 v[45:46], v[45:46], -v[55:56]
	v_add_f64 v[31:32], v[31:32], v[45:46]
	v_add_f64 v[31:32], v[37:38], v[31:32]
	;; [unrolled: 1-line block ×3, first 2 shown]
	v_mul_f64 v[43:44], v[33:34], v[37:38]
	v_add_f64 v[55:56], v[57:58], -v[37:38]
	v_mul_f64 v[45:46], v[39:40], v[43:44]
	v_add_f64 v[31:32], v[31:32], v[55:56]
	v_fma_f64 v[39:40], v[43:44], v[39:40], -v[45:46]
	v_fma_f64 v[35:36], v[43:44], v[35:36], v[39:40]
	v_add_f64 v[39:40], v[45:46], v[35:36]
	v_add_f64 v[47:48], v[37:38], -v[39:40]
	v_add_f64 v[45:46], v[39:40], -v[45:46]
	;; [unrolled: 1-line block ×5, first 2 shown]
	v_add_f64 v[31:32], v[31:32], v[37:38]
	v_add_f64 v[37:38], v[41:42], v[43:44]
	;; [unrolled: 1-line block ×3, first 2 shown]
	v_add_f64 v[35:36], v[37:38], -v[41:42]
	v_add_f64 v[31:32], v[47:48], v[31:32]
	v_add_f64 v[35:36], v[43:44], -v[35:36]
	v_mul_f64 v[31:32], v[33:34], v[31:32]
	v_add_f64 v[31:32], v[35:36], v[31:32]
	v_add_f64 v[33:34], v[37:38], v[31:32]
	v_mul_f64 v[35:36], v[33:34], v[33:34]
	v_fma_f64 v[39:40], v[35:36], s[28:29], s[22:23]
	s_mov_b32 s22, 0xd7f4df2e
	s_mov_b32 s23, 0x3fc7474d
	v_mul_f64 v[41:42], v[33:34], v[35:36]
	v_fma_f64 v[39:40], v[35:36], v[39:40], s[22:23]
	s_mov_b32 s22, 0x16291751
	s_mov_b32 s23, 0x3fcc71c0
	v_fma_f64 v[39:40], v[35:36], v[39:40], s[22:23]
	s_mov_b32 s22, 0x9b27acf1
	s_mov_b32 s23, 0x3fd24924
	;; [unrolled: 3-line block ×3, first 2 shown]
	v_fma_f64 v[39:40], v[35:36], v[39:40], s[22:23]
	v_fma_f64 v[35:36], v[35:36], v[39:40], s[4:5]
	v_ldexp_f64 v[39:40], v[33:34], 1
	v_add_f64 v[33:34], v[33:34], -v[37:38]
	v_cmp_nge_f64_e64 s4, -1.0, v[9:10]
	v_cmp_neq_f64_e64 s5, 0x7ff00000, v[9:10]
	v_mul_f64 v[35:36], v[41:42], v[35:36]
	v_cvt_f64_i32_e32 v[41:42], v0
	v_add_f64 v[31:32], v[31:32], -v[33:34]
	s_and_b32 s4, s4, s5
	v_add_f64 v[37:38], v[39:40], v[35:36]
	v_mul_f64 v[43:44], v[41:42], s[16:17]
	v_ldexp_f64 v[31:32], v[31:32], 1
	v_add_f64 v[33:34], v[37:38], -v[39:40]
	v_fma_f64 v[39:40], v[41:42], s[16:17], -v[43:44]
	v_add_f64 v[33:34], v[35:36], -v[33:34]
	v_fma_f64 v[35:36], v[41:42], s[18:19], v[39:40]
	v_add_f64 v[31:32], v[31:32], v[33:34]
	v_add_f64 v[33:34], v[43:44], v[35:36]
	;; [unrolled: 1-line block ×3, first 2 shown]
	v_add_f64 v[43:44], v[33:34], -v[43:44]
	v_add_f64 v[41:42], v[33:34], v[39:40]
	v_add_f64 v[37:38], v[39:40], -v[37:38]
	v_add_f64 v[35:36], v[35:36], -v[43:44]
	;; [unrolled: 1-line block ×6, first 2 shown]
	v_add_f64 v[39:40], v[35:36], v[31:32]
	v_add_f64 v[33:34], v[33:34], -v[47:48]
	v_add_f64 v[33:34], v[37:38], v[33:34]
	v_add_f64 v[37:38], v[39:40], -v[35:36]
	;; [unrolled: 2-line block ×3, first 2 shown]
	v_add_f64 v[31:32], v[31:32], -v[37:38]
	v_add_f64 v[43:44], v[41:42], v[33:34]
	v_add_f64 v[35:36], v[35:36], -v[39:40]
	v_add_f64 v[37:38], v[43:44], -v[41:42]
	v_add_f64 v[31:32], v[31:32], v[35:36]
	v_add_f64 v[33:34], v[33:34], -v[37:38]
	v_add_f64 v[31:32], v[31:32], v[33:34]
	v_add_f64 v[31:32], v[43:44], v[31:32]
	v_cndmask_b32_e64 v31, 0, v31, s4
	v_cmp_neq_f64_e64 s4, -1.0, v[9:10]
	v_cndmask_b32_e64 v0, 0x7ff00000, v32, s5
	v_cndmask_b32_e64 v0, 0x7ff80000, v0, s15
	;; [unrolled: 1-line block ×3, first 2 shown]
	v_add_f64 v[9:10], v[29:30], v[31:32]
.LBB45_114:
	s_or_b32 exec_lo, exec_lo, s20
	v_max_f64 v[29:30], v[9:10], v[9:10]
	v_cmp_u_f64_e64 s4, v[9:10], v[9:10]
	v_min_f64 v[31:32], v[29:30], v[49:50]
	v_max_f64 v[29:30], v[29:30], v[49:50]
	v_cndmask_b32_e64 v0, v31, v9, s4
	v_cndmask_b32_e64 v31, v32, v10, s4
	;; [unrolled: 1-line block ×8, first 2 shown]
	v_mov_b32_e32 v12, v10
	v_mov_b32_e32 v11, v9
	v_cmp_class_f64_e64 s5, v[31:32], 0x1f8
	v_cmp_neq_f64_e64 s4, v[31:32], v[29:30]
	s_or_b32 s4, s4, s5
	s_and_saveexec_b32 s20, s4
	s_cbranch_execz .LBB45_116
; %bb.115:
	v_add_f64 v[11:12], v[31:32], -v[29:30]
	s_mov_b32 s4, 0x652b82fe
	s_mov_b32 s5, 0x3ff71547
	;; [unrolled: 1-line block ×10, first 2 shown]
	v_mul_f64 v[31:32], v[11:12], s[4:5]
	s_mov_b32 s4, 0xfca7ab0c
	s_mov_b32 s5, 0x3e928af3
	v_rndne_f64_e32 v[31:32], v[31:32]
	v_fma_f64 v[33:34], v[31:32], s[16:17], v[11:12]
	v_cvt_i32_f64_e32 v0, v[31:32]
	s_mov_b32 s17, 0x3fe62e42
	v_fma_f64 v[33:34], v[31:32], s[18:19], v[33:34]
	s_mov_b32 s19, 0x3c7abc9e
	v_fma_f64 v[35:36], v[33:34], s[22:23], s[4:5]
	s_mov_b32 s4, 0x623fde64
	s_mov_b32 s5, 0x3ec71dee
	;; [unrolled: 1-line block ×4, first 2 shown]
	v_fma_f64 v[35:36], v[33:34], v[35:36], s[4:5]
	s_mov_b32 s4, 0x7c89e6b0
	s_mov_b32 s5, 0x3efa0199
	v_fma_f64 v[35:36], v[33:34], v[35:36], s[4:5]
	s_mov_b32 s4, 0x14761f6e
	s_mov_b32 s5, 0x3f2a01a0
	;; [unrolled: 3-line block ×7, first 2 shown]
	v_fma_f64 v[35:36], v[33:34], v[35:36], s[4:5]
	v_cmp_nlt_f64_e64 s4, 0x40900000, v[11:12]
	v_cmp_ngt_f64_e64 s5, 0xc090cc00, v[11:12]
	v_fma_f64 v[35:36], v[33:34], v[35:36], 1.0
	v_fma_f64 v[31:32], v[33:34], v[35:36], 1.0
	v_ldexp_f64 v[31:32], v[31:32], v0
	v_cndmask_b32_e64 v0, 0x7ff00000, v32, s4
	s_and_b32 s4, s5, s4
	v_cndmask_b32_e64 v11, 0, v31, s4
	s_mov_b32 s4, 0x55555555
	v_cndmask_b32_e64 v12, 0, v0, s5
	s_mov_b32 s5, 0x3fe55555
	v_add_f64 v[31:32], v[11:12], 1.0
	v_cmp_ngt_f64_e64 s15, -1.0, v[11:12]
	v_frexp_mant_f64_e32 v[33:34], v[31:32]
	v_frexp_exp_i32_f64_e32 v0, v[31:32]
	v_add_f64 v[35:36], v[31:32], -1.0
	v_cmp_gt_f64_e64 s4, s[4:5], v[33:34]
	v_add_f64 v[33:34], v[35:36], -v[31:32]
	v_add_f64 v[35:36], v[11:12], -v[35:36]
	v_subrev_co_ci_u32_e64 v0, null, 0, v0, s4
	v_add_f64 v[33:34], v[33:34], 1.0
	s_mov_b32 s4, 0x55555780
	v_sub_nc_u32_e32 v39, 0, v0
	v_ldexp_f64 v[31:32], v[31:32], v39
	v_add_f64 v[33:34], v[35:36], v[33:34]
	v_add_f64 v[37:38], v[31:32], 1.0
	v_add_f64 v[43:44], v[31:32], -1.0
	v_ldexp_f64 v[33:34], v[33:34], v39
	v_add_f64 v[35:36], v[37:38], -1.0
	v_add_f64 v[45:46], v[43:44], 1.0
	v_add_f64 v[35:36], v[31:32], -v[35:36]
	v_add_f64 v[31:32], v[31:32], -v[45:46]
	v_add_f64 v[35:36], v[33:34], v[35:36]
	v_add_f64 v[31:32], v[33:34], v[31:32]
	;; [unrolled: 1-line block ×4, first 2 shown]
	v_rcp_f64_e32 v[41:42], v[39:40]
	v_add_f64 v[37:38], v[39:40], -v[37:38]
	v_add_f64 v[43:44], v[45:46], -v[43:44]
	v_add_f64 v[35:36], v[35:36], -v[37:38]
	v_fma_f64 v[47:48], -v[39:40], v[41:42], 1.0
	v_add_f64 v[31:32], v[31:32], -v[43:44]
	v_fma_f64 v[41:42], v[47:48], v[41:42], v[41:42]
	v_fma_f64 v[33:34], -v[39:40], v[41:42], 1.0
	v_fma_f64 v[33:34], v[33:34], v[41:42], v[41:42]
	v_mul_f64 v[41:42], v[45:46], v[33:34]
	v_mul_f64 v[47:48], v[39:40], v[41:42]
	v_fma_f64 v[37:38], v[41:42], v[39:40], -v[47:48]
	v_fma_f64 v[37:38], v[41:42], v[35:36], v[37:38]
	v_add_f64 v[49:50], v[47:48], v[37:38]
	v_add_f64 v[55:56], v[45:46], -v[49:50]
	v_add_f64 v[43:44], v[49:50], -v[47:48]
	;; [unrolled: 1-line block ×5, first 2 shown]
	v_add_f64 v[31:32], v[31:32], v[45:46]
	v_add_f64 v[31:32], v[37:38], v[31:32]
	;; [unrolled: 1-line block ×3, first 2 shown]
	v_mul_f64 v[43:44], v[33:34], v[37:38]
	v_add_f64 v[49:50], v[55:56], -v[37:38]
	v_mul_f64 v[45:46], v[39:40], v[43:44]
	v_add_f64 v[31:32], v[31:32], v[49:50]
	v_fma_f64 v[39:40], v[43:44], v[39:40], -v[45:46]
	v_fma_f64 v[35:36], v[43:44], v[35:36], v[39:40]
	v_add_f64 v[39:40], v[45:46], v[35:36]
	v_add_f64 v[47:48], v[37:38], -v[39:40]
	v_add_f64 v[45:46], v[39:40], -v[45:46]
	;; [unrolled: 1-line block ×5, first 2 shown]
	v_add_f64 v[31:32], v[31:32], v[37:38]
	v_add_f64 v[37:38], v[41:42], v[43:44]
	;; [unrolled: 1-line block ×3, first 2 shown]
	v_add_f64 v[35:36], v[37:38], -v[41:42]
	v_add_f64 v[31:32], v[47:48], v[31:32]
	v_add_f64 v[35:36], v[43:44], -v[35:36]
	v_mul_f64 v[31:32], v[33:34], v[31:32]
	v_add_f64 v[31:32], v[35:36], v[31:32]
	v_add_f64 v[33:34], v[37:38], v[31:32]
	v_mul_f64 v[35:36], v[33:34], v[33:34]
	v_fma_f64 v[39:40], v[35:36], s[24:25], s[22:23]
	s_mov_b32 s22, 0xd7f4df2e
	s_mov_b32 s23, 0x3fc7474d
	v_mul_f64 v[41:42], v[33:34], v[35:36]
	v_fma_f64 v[39:40], v[35:36], v[39:40], s[22:23]
	s_mov_b32 s22, 0x16291751
	s_mov_b32 s23, 0x3fcc71c0
	v_fma_f64 v[39:40], v[35:36], v[39:40], s[22:23]
	s_mov_b32 s22, 0x9b27acf1
	s_mov_b32 s23, 0x3fd24924
	;; [unrolled: 3-line block ×3, first 2 shown]
	v_fma_f64 v[39:40], v[35:36], v[39:40], s[22:23]
	v_fma_f64 v[35:36], v[35:36], v[39:40], s[4:5]
	v_ldexp_f64 v[39:40], v[33:34], 1
	v_add_f64 v[33:34], v[33:34], -v[37:38]
	v_cmp_nge_f64_e64 s4, -1.0, v[11:12]
	v_cmp_neq_f64_e64 s5, 0x7ff00000, v[11:12]
	v_mul_f64 v[35:36], v[41:42], v[35:36]
	v_cvt_f64_i32_e32 v[41:42], v0
	v_add_f64 v[31:32], v[31:32], -v[33:34]
	s_and_b32 s4, s4, s5
	v_add_f64 v[37:38], v[39:40], v[35:36]
	v_mul_f64 v[43:44], v[41:42], s[16:17]
	v_ldexp_f64 v[31:32], v[31:32], 1
	v_add_f64 v[33:34], v[37:38], -v[39:40]
	v_fma_f64 v[39:40], v[41:42], s[16:17], -v[43:44]
	v_add_f64 v[33:34], v[35:36], -v[33:34]
	v_fma_f64 v[35:36], v[41:42], s[18:19], v[39:40]
	v_add_f64 v[31:32], v[31:32], v[33:34]
	v_add_f64 v[33:34], v[43:44], v[35:36]
	;; [unrolled: 1-line block ×3, first 2 shown]
	v_add_f64 v[43:44], v[33:34], -v[43:44]
	v_add_f64 v[41:42], v[33:34], v[39:40]
	v_add_f64 v[37:38], v[39:40], -v[37:38]
	v_add_f64 v[35:36], v[35:36], -v[43:44]
	;; [unrolled: 1-line block ×6, first 2 shown]
	v_add_f64 v[39:40], v[35:36], v[31:32]
	v_add_f64 v[33:34], v[33:34], -v[47:48]
	v_add_f64 v[33:34], v[37:38], v[33:34]
	v_add_f64 v[37:38], v[39:40], -v[35:36]
	;; [unrolled: 2-line block ×3, first 2 shown]
	v_add_f64 v[31:32], v[31:32], -v[37:38]
	v_add_f64 v[43:44], v[41:42], v[33:34]
	v_add_f64 v[35:36], v[35:36], -v[39:40]
	v_add_f64 v[37:38], v[43:44], -v[41:42]
	v_add_f64 v[31:32], v[31:32], v[35:36]
	v_add_f64 v[33:34], v[33:34], -v[37:38]
	v_add_f64 v[31:32], v[31:32], v[33:34]
	v_add_f64 v[31:32], v[43:44], v[31:32]
	v_cndmask_b32_e64 v31, 0, v31, s4
	v_cmp_neq_f64_e64 s4, -1.0, v[11:12]
	v_cndmask_b32_e64 v0, 0x7ff00000, v32, s5
	v_cndmask_b32_e64 v0, 0x7ff80000, v0, s15
	v_cndmask_b32_e64 v32, 0xfff00000, v0, s4
	v_add_f64 v[11:12], v[29:30], v[31:32]
.LBB45_116:
	s_or_b32 exec_lo, exec_lo, s20
	v_max_f64 v[29:30], v[11:12], v[11:12]
	v_cmp_u_f64_e64 s4, v[11:12], v[11:12]
	v_min_f64 v[31:32], v[29:30], v[51:52]
	v_max_f64 v[29:30], v[29:30], v[51:52]
	v_cndmask_b32_e64 v0, v31, v11, s4
	v_cndmask_b32_e64 v31, v32, v12, s4
	;; [unrolled: 1-line block ×8, first 2 shown]
	v_mov_b32_e32 v5, v11
	v_mov_b32_e32 v6, v12
	v_cmp_class_f64_e64 s5, v[31:32], 0x1f8
	v_cmp_neq_f64_e64 s4, v[31:32], v[29:30]
	s_or_b32 s4, s4, s5
	s_and_saveexec_b32 s20, s4
	s_cbranch_execz .LBB45_118
; %bb.117:
	v_add_f64 v[5:6], v[31:32], -v[29:30]
	s_mov_b32 s4, 0x652b82fe
	s_mov_b32 s5, 0x3ff71547
	;; [unrolled: 1-line block ×10, first 2 shown]
	v_mul_f64 v[31:32], v[5:6], s[4:5]
	s_mov_b32 s4, 0xfca7ab0c
	s_mov_b32 s5, 0x3e928af3
	v_rndne_f64_e32 v[31:32], v[31:32]
	v_fma_f64 v[33:34], v[31:32], s[16:17], v[5:6]
	v_cvt_i32_f64_e32 v0, v[31:32]
	s_mov_b32 s17, 0x3fe62e42
	v_fma_f64 v[33:34], v[31:32], s[18:19], v[33:34]
	s_mov_b32 s19, 0x3c7abc9e
	v_fma_f64 v[35:36], v[33:34], s[22:23], s[4:5]
	s_mov_b32 s4, 0x623fde64
	s_mov_b32 s5, 0x3ec71dee
	;; [unrolled: 1-line block ×4, first 2 shown]
	v_fma_f64 v[35:36], v[33:34], v[35:36], s[4:5]
	s_mov_b32 s4, 0x7c89e6b0
	s_mov_b32 s5, 0x3efa0199
	v_fma_f64 v[35:36], v[33:34], v[35:36], s[4:5]
	s_mov_b32 s4, 0x14761f6e
	s_mov_b32 s5, 0x3f2a01a0
	;; [unrolled: 3-line block ×7, first 2 shown]
	v_fma_f64 v[35:36], v[33:34], v[35:36], s[4:5]
	v_cmp_nlt_f64_e64 s4, 0x40900000, v[5:6]
	v_cmp_ngt_f64_e64 s5, 0xc090cc00, v[5:6]
	v_fma_f64 v[35:36], v[33:34], v[35:36], 1.0
	v_fma_f64 v[31:32], v[33:34], v[35:36], 1.0
	v_ldexp_f64 v[31:32], v[31:32], v0
	v_cndmask_b32_e64 v0, 0x7ff00000, v32, s4
	s_and_b32 s4, s5, s4
	v_cndmask_b32_e64 v5, 0, v31, s4
	s_mov_b32 s4, 0x55555555
	v_cndmask_b32_e64 v6, 0, v0, s5
	s_mov_b32 s5, 0x3fe55555
	v_add_f64 v[31:32], v[5:6], 1.0
	v_cmp_ngt_f64_e64 s15, -1.0, v[5:6]
	v_frexp_mant_f64_e32 v[33:34], v[31:32]
	v_frexp_exp_i32_f64_e32 v0, v[31:32]
	v_add_f64 v[35:36], v[31:32], -1.0
	v_cmp_gt_f64_e64 s4, s[4:5], v[33:34]
	v_add_f64 v[33:34], v[35:36], -v[31:32]
	v_add_f64 v[35:36], v[5:6], -v[35:36]
	v_subrev_co_ci_u32_e64 v0, null, 0, v0, s4
	v_add_f64 v[33:34], v[33:34], 1.0
	s_mov_b32 s4, 0x55555780
	v_sub_nc_u32_e32 v39, 0, v0
	v_ldexp_f64 v[31:32], v[31:32], v39
	v_add_f64 v[33:34], v[35:36], v[33:34]
	v_add_f64 v[37:38], v[31:32], 1.0
	v_add_f64 v[43:44], v[31:32], -1.0
	v_ldexp_f64 v[33:34], v[33:34], v39
	v_add_f64 v[35:36], v[37:38], -1.0
	v_add_f64 v[45:46], v[43:44], 1.0
	v_add_f64 v[35:36], v[31:32], -v[35:36]
	v_add_f64 v[31:32], v[31:32], -v[45:46]
	v_add_f64 v[35:36], v[33:34], v[35:36]
	v_add_f64 v[31:32], v[33:34], v[31:32]
	;; [unrolled: 1-line block ×4, first 2 shown]
	v_rcp_f64_e32 v[41:42], v[39:40]
	v_add_f64 v[37:38], v[39:40], -v[37:38]
	v_add_f64 v[43:44], v[45:46], -v[43:44]
	;; [unrolled: 1-line block ×3, first 2 shown]
	v_fma_f64 v[47:48], -v[39:40], v[41:42], 1.0
	v_add_f64 v[31:32], v[31:32], -v[43:44]
	v_fma_f64 v[41:42], v[47:48], v[41:42], v[41:42]
	v_fma_f64 v[33:34], -v[39:40], v[41:42], 1.0
	v_fma_f64 v[33:34], v[33:34], v[41:42], v[41:42]
	v_mul_f64 v[41:42], v[45:46], v[33:34]
	v_mul_f64 v[47:48], v[39:40], v[41:42]
	v_fma_f64 v[37:38], v[41:42], v[39:40], -v[47:48]
	v_fma_f64 v[37:38], v[41:42], v[35:36], v[37:38]
	v_add_f64 v[49:50], v[47:48], v[37:38]
	v_add_f64 v[51:52], v[45:46], -v[49:50]
	v_add_f64 v[43:44], v[49:50], -v[47:48]
	v_add_f64 v[45:46], v[45:46], -v[51:52]
	v_add_f64 v[37:38], v[43:44], -v[37:38]
	v_add_f64 v[45:46], v[45:46], -v[49:50]
	v_add_f64 v[31:32], v[31:32], v[45:46]
	v_add_f64 v[31:32], v[37:38], v[31:32]
	;; [unrolled: 1-line block ×3, first 2 shown]
	v_mul_f64 v[43:44], v[33:34], v[37:38]
	v_add_f64 v[49:50], v[51:52], -v[37:38]
	v_mul_f64 v[45:46], v[39:40], v[43:44]
	v_add_f64 v[31:32], v[31:32], v[49:50]
	v_fma_f64 v[39:40], v[43:44], v[39:40], -v[45:46]
	v_fma_f64 v[35:36], v[43:44], v[35:36], v[39:40]
	v_add_f64 v[39:40], v[45:46], v[35:36]
	v_add_f64 v[47:48], v[37:38], -v[39:40]
	v_add_f64 v[45:46], v[39:40], -v[45:46]
	;; [unrolled: 1-line block ×5, first 2 shown]
	v_add_f64 v[31:32], v[31:32], v[37:38]
	v_add_f64 v[37:38], v[41:42], v[43:44]
	;; [unrolled: 1-line block ×3, first 2 shown]
	v_add_f64 v[35:36], v[37:38], -v[41:42]
	v_add_f64 v[31:32], v[47:48], v[31:32]
	v_add_f64 v[35:36], v[43:44], -v[35:36]
	v_mul_f64 v[31:32], v[33:34], v[31:32]
	v_add_f64 v[31:32], v[35:36], v[31:32]
	v_add_f64 v[33:34], v[37:38], v[31:32]
	v_mul_f64 v[35:36], v[33:34], v[33:34]
	v_fma_f64 v[39:40], v[35:36], s[24:25], s[22:23]
	s_mov_b32 s22, 0xd7f4df2e
	s_mov_b32 s23, 0x3fc7474d
	v_mul_f64 v[41:42], v[33:34], v[35:36]
	v_fma_f64 v[39:40], v[35:36], v[39:40], s[22:23]
	s_mov_b32 s22, 0x16291751
	s_mov_b32 s23, 0x3fcc71c0
	v_fma_f64 v[39:40], v[35:36], v[39:40], s[22:23]
	s_mov_b32 s22, 0x9b27acf1
	s_mov_b32 s23, 0x3fd24924
	;; [unrolled: 3-line block ×3, first 2 shown]
	v_fma_f64 v[39:40], v[35:36], v[39:40], s[22:23]
	v_fma_f64 v[35:36], v[35:36], v[39:40], s[4:5]
	v_ldexp_f64 v[39:40], v[33:34], 1
	v_add_f64 v[33:34], v[33:34], -v[37:38]
	v_cmp_nge_f64_e64 s4, -1.0, v[5:6]
	v_cmp_neq_f64_e64 s5, 0x7ff00000, v[5:6]
	v_mul_f64 v[35:36], v[41:42], v[35:36]
	v_cvt_f64_i32_e32 v[41:42], v0
	v_add_f64 v[31:32], v[31:32], -v[33:34]
	s_and_b32 s4, s4, s5
	v_add_f64 v[37:38], v[39:40], v[35:36]
	v_mul_f64 v[43:44], v[41:42], s[16:17]
	v_ldexp_f64 v[31:32], v[31:32], 1
	v_add_f64 v[33:34], v[37:38], -v[39:40]
	v_fma_f64 v[39:40], v[41:42], s[16:17], -v[43:44]
	v_add_f64 v[33:34], v[35:36], -v[33:34]
	v_fma_f64 v[35:36], v[41:42], s[18:19], v[39:40]
	v_add_f64 v[31:32], v[31:32], v[33:34]
	v_add_f64 v[33:34], v[43:44], v[35:36]
	;; [unrolled: 1-line block ×3, first 2 shown]
	v_add_f64 v[43:44], v[33:34], -v[43:44]
	v_add_f64 v[41:42], v[33:34], v[39:40]
	v_add_f64 v[37:38], v[39:40], -v[37:38]
	v_add_f64 v[35:36], v[35:36], -v[43:44]
	;; [unrolled: 1-line block ×6, first 2 shown]
	v_add_f64 v[39:40], v[35:36], v[31:32]
	v_add_f64 v[33:34], v[33:34], -v[47:48]
	v_add_f64 v[33:34], v[37:38], v[33:34]
	v_add_f64 v[37:38], v[39:40], -v[35:36]
	;; [unrolled: 2-line block ×3, first 2 shown]
	v_add_f64 v[31:32], v[31:32], -v[37:38]
	v_add_f64 v[43:44], v[41:42], v[33:34]
	v_add_f64 v[35:36], v[35:36], -v[39:40]
	v_add_f64 v[37:38], v[43:44], -v[41:42]
	v_add_f64 v[31:32], v[31:32], v[35:36]
	v_add_f64 v[33:34], v[33:34], -v[37:38]
	v_add_f64 v[31:32], v[31:32], v[33:34]
	v_add_f64 v[31:32], v[43:44], v[31:32]
	v_cndmask_b32_e64 v31, 0, v31, s4
	v_cmp_neq_f64_e64 s4, -1.0, v[5:6]
	v_cndmask_b32_e64 v0, 0x7ff00000, v32, s5
	v_cndmask_b32_e64 v0, 0x7ff80000, v0, s15
	;; [unrolled: 1-line block ×3, first 2 shown]
	v_add_f64 v[5:6], v[29:30], v[31:32]
.LBB45_118:
	s_or_b32 exec_lo, exec_lo, s20
	v_max_f64 v[29:30], v[5:6], v[5:6]
	v_cmp_u_f64_e64 s4, v[5:6], v[5:6]
	v_min_f64 v[31:32], v[29:30], v[53:54]
	v_max_f64 v[29:30], v[29:30], v[53:54]
	v_cndmask_b32_e64 v0, v31, v5, s4
	v_cndmask_b32_e64 v31, v32, v6, s4
	;; [unrolled: 1-line block ×8, first 2 shown]
	v_mov_b32_e32 v8, v6
	v_mov_b32_e32 v7, v5
	v_cmp_class_f64_e64 s5, v[31:32], 0x1f8
	v_cmp_neq_f64_e64 s4, v[31:32], v[29:30]
	s_or_b32 s4, s4, s5
	s_and_saveexec_b32 s20, s4
	s_cbranch_execz .LBB45_120
; %bb.119:
	v_add_f64 v[7:8], v[31:32], -v[29:30]
	s_mov_b32 s4, 0x652b82fe
	s_mov_b32 s5, 0x3ff71547
	;; [unrolled: 1-line block ×10, first 2 shown]
	v_mul_f64 v[31:32], v[7:8], s[4:5]
	s_mov_b32 s4, 0xfca7ab0c
	s_mov_b32 s5, 0x3e928af3
	v_rndne_f64_e32 v[31:32], v[31:32]
	v_fma_f64 v[33:34], v[31:32], s[16:17], v[7:8]
	v_cvt_i32_f64_e32 v0, v[31:32]
	s_mov_b32 s17, 0x3fe62e42
	v_fma_f64 v[33:34], v[31:32], s[18:19], v[33:34]
	s_mov_b32 s19, 0x3c7abc9e
	v_fma_f64 v[35:36], v[33:34], s[22:23], s[4:5]
	s_mov_b32 s4, 0x623fde64
	s_mov_b32 s5, 0x3ec71dee
	;; [unrolled: 1-line block ×4, first 2 shown]
	v_fma_f64 v[35:36], v[33:34], v[35:36], s[4:5]
	s_mov_b32 s4, 0x7c89e6b0
	s_mov_b32 s5, 0x3efa0199
	v_fma_f64 v[35:36], v[33:34], v[35:36], s[4:5]
	s_mov_b32 s4, 0x14761f6e
	s_mov_b32 s5, 0x3f2a01a0
	;; [unrolled: 3-line block ×7, first 2 shown]
	v_fma_f64 v[35:36], v[33:34], v[35:36], s[4:5]
	v_cmp_nlt_f64_e64 s4, 0x40900000, v[7:8]
	v_cmp_ngt_f64_e64 s5, 0xc090cc00, v[7:8]
	v_fma_f64 v[35:36], v[33:34], v[35:36], 1.0
	v_fma_f64 v[31:32], v[33:34], v[35:36], 1.0
	v_ldexp_f64 v[31:32], v[31:32], v0
	v_cndmask_b32_e64 v0, 0x7ff00000, v32, s4
	s_and_b32 s4, s5, s4
	v_cndmask_b32_e64 v7, 0, v31, s4
	s_mov_b32 s4, 0x55555555
	v_cndmask_b32_e64 v8, 0, v0, s5
	s_mov_b32 s5, 0x3fe55555
	v_add_f64 v[31:32], v[7:8], 1.0
	v_cmp_ngt_f64_e64 s15, -1.0, v[7:8]
	v_frexp_mant_f64_e32 v[33:34], v[31:32]
	v_frexp_exp_i32_f64_e32 v0, v[31:32]
	v_add_f64 v[35:36], v[31:32], -1.0
	v_cmp_gt_f64_e64 s4, s[4:5], v[33:34]
	v_add_f64 v[33:34], v[35:36], -v[31:32]
	v_add_f64 v[35:36], v[7:8], -v[35:36]
	v_subrev_co_ci_u32_e64 v0, null, 0, v0, s4
	v_add_f64 v[33:34], v[33:34], 1.0
	s_mov_b32 s4, 0x55555780
	v_sub_nc_u32_e32 v39, 0, v0
	v_ldexp_f64 v[31:32], v[31:32], v39
	v_add_f64 v[33:34], v[35:36], v[33:34]
	v_add_f64 v[37:38], v[31:32], 1.0
	v_add_f64 v[43:44], v[31:32], -1.0
	v_ldexp_f64 v[33:34], v[33:34], v39
	v_add_f64 v[35:36], v[37:38], -1.0
	v_add_f64 v[45:46], v[43:44], 1.0
	v_add_f64 v[35:36], v[31:32], -v[35:36]
	v_add_f64 v[31:32], v[31:32], -v[45:46]
	v_add_f64 v[35:36], v[33:34], v[35:36]
	v_add_f64 v[31:32], v[33:34], v[31:32]
	;; [unrolled: 1-line block ×4, first 2 shown]
	v_rcp_f64_e32 v[41:42], v[39:40]
	v_add_f64 v[37:38], v[39:40], -v[37:38]
	v_add_f64 v[43:44], v[45:46], -v[43:44]
	;; [unrolled: 1-line block ×3, first 2 shown]
	v_fma_f64 v[47:48], -v[39:40], v[41:42], 1.0
	v_add_f64 v[31:32], v[31:32], -v[43:44]
	v_fma_f64 v[41:42], v[47:48], v[41:42], v[41:42]
	v_fma_f64 v[33:34], -v[39:40], v[41:42], 1.0
	v_fma_f64 v[33:34], v[33:34], v[41:42], v[41:42]
	v_mul_f64 v[41:42], v[45:46], v[33:34]
	v_mul_f64 v[47:48], v[39:40], v[41:42]
	v_fma_f64 v[37:38], v[41:42], v[39:40], -v[47:48]
	v_fma_f64 v[37:38], v[41:42], v[35:36], v[37:38]
	v_add_f64 v[49:50], v[47:48], v[37:38]
	v_add_f64 v[51:52], v[45:46], -v[49:50]
	v_add_f64 v[43:44], v[49:50], -v[47:48]
	;; [unrolled: 1-line block ×5, first 2 shown]
	v_add_f64 v[31:32], v[31:32], v[45:46]
	v_add_f64 v[31:32], v[37:38], v[31:32]
	;; [unrolled: 1-line block ×3, first 2 shown]
	v_mul_f64 v[43:44], v[33:34], v[37:38]
	v_add_f64 v[49:50], v[51:52], -v[37:38]
	v_mul_f64 v[45:46], v[39:40], v[43:44]
	v_add_f64 v[31:32], v[31:32], v[49:50]
	v_fma_f64 v[39:40], v[43:44], v[39:40], -v[45:46]
	v_fma_f64 v[35:36], v[43:44], v[35:36], v[39:40]
	v_add_f64 v[39:40], v[45:46], v[35:36]
	v_add_f64 v[47:48], v[37:38], -v[39:40]
	v_add_f64 v[45:46], v[39:40], -v[45:46]
	v_add_f64 v[37:38], v[37:38], -v[47:48]
	v_add_f64 v[35:36], v[45:46], -v[35:36]
	v_add_f64 v[37:38], v[37:38], -v[39:40]
	v_add_f64 v[31:32], v[31:32], v[37:38]
	v_add_f64 v[37:38], v[41:42], v[43:44]
	;; [unrolled: 1-line block ×3, first 2 shown]
	v_add_f64 v[35:36], v[37:38], -v[41:42]
	v_add_f64 v[31:32], v[47:48], v[31:32]
	v_add_f64 v[35:36], v[43:44], -v[35:36]
	v_mul_f64 v[31:32], v[33:34], v[31:32]
	v_add_f64 v[31:32], v[35:36], v[31:32]
	v_add_f64 v[33:34], v[37:38], v[31:32]
	v_mul_f64 v[35:36], v[33:34], v[33:34]
	v_fma_f64 v[39:40], v[35:36], s[24:25], s[22:23]
	s_mov_b32 s22, 0xd7f4df2e
	s_mov_b32 s23, 0x3fc7474d
	v_mul_f64 v[41:42], v[33:34], v[35:36]
	v_fma_f64 v[39:40], v[35:36], v[39:40], s[22:23]
	s_mov_b32 s22, 0x16291751
	s_mov_b32 s23, 0x3fcc71c0
	v_fma_f64 v[39:40], v[35:36], v[39:40], s[22:23]
	s_mov_b32 s22, 0x9b27acf1
	s_mov_b32 s23, 0x3fd24924
	;; [unrolled: 3-line block ×3, first 2 shown]
	v_fma_f64 v[39:40], v[35:36], v[39:40], s[22:23]
	v_fma_f64 v[35:36], v[35:36], v[39:40], s[4:5]
	v_ldexp_f64 v[39:40], v[33:34], 1
	v_add_f64 v[33:34], v[33:34], -v[37:38]
	v_cmp_nge_f64_e64 s4, -1.0, v[7:8]
	v_cmp_neq_f64_e64 s5, 0x7ff00000, v[7:8]
	v_mul_f64 v[35:36], v[41:42], v[35:36]
	v_cvt_f64_i32_e32 v[41:42], v0
	v_add_f64 v[31:32], v[31:32], -v[33:34]
	s_and_b32 s4, s4, s5
	v_add_f64 v[37:38], v[39:40], v[35:36]
	v_mul_f64 v[43:44], v[41:42], s[16:17]
	v_ldexp_f64 v[31:32], v[31:32], 1
	v_add_f64 v[33:34], v[37:38], -v[39:40]
	v_fma_f64 v[39:40], v[41:42], s[16:17], -v[43:44]
	v_add_f64 v[33:34], v[35:36], -v[33:34]
	v_fma_f64 v[35:36], v[41:42], s[18:19], v[39:40]
	v_add_f64 v[31:32], v[31:32], v[33:34]
	v_add_f64 v[33:34], v[43:44], v[35:36]
	;; [unrolled: 1-line block ×3, first 2 shown]
	v_add_f64 v[43:44], v[33:34], -v[43:44]
	v_add_f64 v[41:42], v[33:34], v[39:40]
	v_add_f64 v[37:38], v[39:40], -v[37:38]
	v_add_f64 v[35:36], v[35:36], -v[43:44]
	;; [unrolled: 1-line block ×6, first 2 shown]
	v_add_f64 v[39:40], v[35:36], v[31:32]
	v_add_f64 v[33:34], v[33:34], -v[47:48]
	v_add_f64 v[33:34], v[37:38], v[33:34]
	v_add_f64 v[37:38], v[39:40], -v[35:36]
	;; [unrolled: 2-line block ×3, first 2 shown]
	v_add_f64 v[31:32], v[31:32], -v[37:38]
	v_add_f64 v[43:44], v[41:42], v[33:34]
	v_add_f64 v[35:36], v[35:36], -v[39:40]
	v_add_f64 v[37:38], v[43:44], -v[41:42]
	v_add_f64 v[31:32], v[31:32], v[35:36]
	v_add_f64 v[33:34], v[33:34], -v[37:38]
	v_add_f64 v[31:32], v[31:32], v[33:34]
	v_add_f64 v[31:32], v[43:44], v[31:32]
	v_cndmask_b32_e64 v31, 0, v31, s4
	v_cmp_neq_f64_e64 s4, -1.0, v[7:8]
	v_cndmask_b32_e64 v0, 0x7ff00000, v32, s5
	v_cndmask_b32_e64 v0, 0x7ff80000, v0, s15
	;; [unrolled: 1-line block ×3, first 2 shown]
	v_add_f64 v[7:8], v[29:30], v[31:32]
.LBB45_120:
	s_or_b32 exec_lo, exec_lo, s20
	v_add_nc_u32_e32 v0, v69, v70
	s_waitcnt lgkmcnt(0)
	s_barrier
	buffer_gl0_inv
	ds_write_b128 v0, v[1:4]
	ds_write_b128 v0, v[25:28] offset:16
	ds_write_b128 v0, v[21:24] offset:32
	ds_write_b128 v0, v[17:20] offset:48
	ds_write_b128 v0, v[13:16] offset:64
	ds_write_b128 v0, v[9:12] offset:80
	ds_write_b128 v0, v[5:8] offset:96
	s_waitcnt lgkmcnt(0)
	s_barrier
	buffer_gl0_inv
	ds_read2st64_b64 v[20:23], v69 offset0:2 offset1:4
	ds_read2st64_b64 v[16:19], v69 offset0:6 offset1:8
	;; [unrolled: 1-line block ×6, first 2 shown]
	ds_read_b64 v[24:25], v69 offset:13312
	v_add_co_u32 v26, s4, s30, v69
	v_add_co_ci_u32_e64 v27, null, s31, 0, s4
	s_and_saveexec_b32 s4, vcc_lo
	s_cbranch_execnz .LBB45_135
; %bb.121:
	s_or_b32 exec_lo, exec_lo, s4
	s_and_saveexec_b32 s4, s0
	s_cbranch_execnz .LBB45_136
.LBB45_122:
	s_or_b32 exec_lo, exec_lo, s4
	s_and_saveexec_b32 s0, s1
	s_cbranch_execnz .LBB45_137
.LBB45_123:
	s_or_b32 exec_lo, exec_lo, s0
	s_and_saveexec_b32 s0, s2
	s_cbranch_execnz .LBB45_138
.LBB45_124:
	s_or_b32 exec_lo, exec_lo, s0
	s_and_saveexec_b32 s0, s3
	s_cbranch_execnz .LBB45_139
.LBB45_125:
	s_or_b32 exec_lo, exec_lo, s0
	s_and_saveexec_b32 s0, s6
	s_cbranch_execnz .LBB45_140
.LBB45_126:
	s_or_b32 exec_lo, exec_lo, s0
	s_and_saveexec_b32 s0, s7
	s_cbranch_execnz .LBB45_141
.LBB45_127:
	s_or_b32 exec_lo, exec_lo, s0
	s_and_saveexec_b32 s0, s8
	s_cbranch_execnz .LBB45_142
.LBB45_128:
	s_or_b32 exec_lo, exec_lo, s0
	s_and_saveexec_b32 s0, s9
	s_cbranch_execnz .LBB45_143
.LBB45_129:
	s_or_b32 exec_lo, exec_lo, s0
	s_and_saveexec_b32 s0, s10
	s_cbranch_execnz .LBB45_144
.LBB45_130:
	s_or_b32 exec_lo, exec_lo, s0
	s_and_saveexec_b32 s0, s11
	s_cbranch_execnz .LBB45_145
.LBB45_131:
	s_or_b32 exec_lo, exec_lo, s0
	s_and_saveexec_b32 s0, s12
	s_cbranch_execnz .LBB45_146
.LBB45_132:
	s_or_b32 exec_lo, exec_lo, s0
	s_and_saveexec_b32 s0, s13
	s_cbranch_execnz .LBB45_147
.LBB45_133:
	s_or_b32 exec_lo, exec_lo, s0
	s_and_saveexec_b32 s0, s14
	s_cbranch_execnz .LBB45_148
.LBB45_134:
	s_endpgm
.LBB45_135:
	ds_read_b64 v[28:29], v69
	s_waitcnt lgkmcnt(0)
	global_store_dwordx2 v[26:27], v[28:29], off
	s_or_b32 exec_lo, exec_lo, s4
	s_and_saveexec_b32 s4, s0
	s_cbranch_execz .LBB45_122
.LBB45_136:
	s_waitcnt lgkmcnt(6)
	global_store_dwordx2 v[26:27], v[20:21], off offset:1024
	s_or_b32 exec_lo, exec_lo, s4
	s_and_saveexec_b32 s0, s1
	s_cbranch_execz .LBB45_123
.LBB45_137:
	s_waitcnt lgkmcnt(6)
	v_add_co_u32 v20, vcc_lo, 0x800, v26
	v_add_co_ci_u32_e64 v21, null, 0, v27, vcc_lo
	global_store_dwordx2 v[20:21], v[22:23], off
	s_or_b32 exec_lo, exec_lo, s0
	s_and_saveexec_b32 s0, s2
	s_cbranch_execz .LBB45_124
.LBB45_138:
	s_waitcnt lgkmcnt(6)
	v_add_co_u32 v20, vcc_lo, 0x800, v26
	v_add_co_ci_u32_e64 v21, null, 0, v27, vcc_lo
	s_waitcnt lgkmcnt(5)
	global_store_dwordx2 v[20:21], v[16:17], off offset:1024
	s_or_b32 exec_lo, exec_lo, s0
	s_and_saveexec_b32 s0, s3
	s_cbranch_execz .LBB45_125
.LBB45_139:
	s_waitcnt lgkmcnt(5)
	v_add_co_u32 v16, vcc_lo, 0x1000, v26
	v_add_co_ci_u32_e64 v17, null, 0, v27, vcc_lo
	global_store_dwordx2 v[16:17], v[18:19], off
	s_or_b32 exec_lo, exec_lo, s0
	s_and_saveexec_b32 s0, s6
	s_cbranch_execz .LBB45_126
.LBB45_140:
	s_waitcnt lgkmcnt(5)
	v_add_co_u32 v16, vcc_lo, 0x1000, v26
	v_add_co_ci_u32_e64 v17, null, 0, v27, vcc_lo
	s_waitcnt lgkmcnt(4)
	global_store_dwordx2 v[16:17], v[12:13], off offset:1024
	s_or_b32 exec_lo, exec_lo, s0
	s_and_saveexec_b32 s0, s7
	s_cbranch_execz .LBB45_127
.LBB45_141:
	s_waitcnt lgkmcnt(4)
	v_add_co_u32 v12, vcc_lo, 0x1800, v26
	v_add_co_ci_u32_e64 v13, null, 0, v27, vcc_lo
	global_store_dwordx2 v[12:13], v[14:15], off
	s_or_b32 exec_lo, exec_lo, s0
	s_and_saveexec_b32 s0, s8
	s_cbranch_execz .LBB45_128
.LBB45_142:
	s_waitcnt lgkmcnt(4)
	v_add_co_u32 v12, vcc_lo, 0x1800, v26
	v_add_co_ci_u32_e64 v13, null, 0, v27, vcc_lo
	s_waitcnt lgkmcnt(3)
	global_store_dwordx2 v[12:13], v[8:9], off offset:1024
	s_or_b32 exec_lo, exec_lo, s0
	s_and_saveexec_b32 s0, s9
	s_cbranch_execz .LBB45_129
.LBB45_143:
	s_waitcnt lgkmcnt(3)
	v_add_co_u32 v8, vcc_lo, 0x2000, v26
	v_add_co_ci_u32_e64 v9, null, 0, v27, vcc_lo
	global_store_dwordx2 v[8:9], v[10:11], off
	s_or_b32 exec_lo, exec_lo, s0
	s_and_saveexec_b32 s0, s10
	s_cbranch_execz .LBB45_130
.LBB45_144:
	s_waitcnt lgkmcnt(3)
	v_add_co_u32 v8, vcc_lo, 0x2000, v26
	v_add_co_ci_u32_e64 v9, null, 0, v27, vcc_lo
	s_waitcnt lgkmcnt(2)
	global_store_dwordx2 v[8:9], v[4:5], off offset:1024
	s_or_b32 exec_lo, exec_lo, s0
	s_and_saveexec_b32 s0, s11
	s_cbranch_execz .LBB45_131
.LBB45_145:
	s_waitcnt lgkmcnt(2)
	v_add_co_u32 v4, vcc_lo, 0x2800, v26
	v_add_co_ci_u32_e64 v5, null, 0, v27, vcc_lo
	global_store_dwordx2 v[4:5], v[6:7], off
	s_or_b32 exec_lo, exec_lo, s0
	s_and_saveexec_b32 s0, s12
	s_cbranch_execz .LBB45_132
.LBB45_146:
	s_waitcnt lgkmcnt(2)
	v_add_co_u32 v4, vcc_lo, 0x2800, v26
	v_add_co_ci_u32_e64 v5, null, 0, v27, vcc_lo
	s_waitcnt lgkmcnt(1)
	global_store_dwordx2 v[4:5], v[0:1], off offset:1024
	s_or_b32 exec_lo, exec_lo, s0
	s_and_saveexec_b32 s0, s13
	s_cbranch_execz .LBB45_133
.LBB45_147:
	s_waitcnt lgkmcnt(1)
	v_add_co_u32 v0, vcc_lo, 0x3000, v26
	v_add_co_ci_u32_e64 v1, null, 0, v27, vcc_lo
	global_store_dwordx2 v[0:1], v[2:3], off
	s_or_b32 exec_lo, exec_lo, s0
	s_and_saveexec_b32 s0, s14
	s_cbranch_execz .LBB45_134
.LBB45_148:
	s_waitcnt lgkmcnt(1)
	v_add_co_u32 v0, vcc_lo, 0x3000, v26
	v_add_co_ci_u32_e64 v1, null, 0, v27, vcc_lo
	s_waitcnt lgkmcnt(0)
	global_store_dwordx2 v[0:1], v[24:25], off offset:1024
	s_endpgm
	.section	.rodata,"a",@progbits
	.p2align	6, 0x0
	.amdhsa_kernel _ZN7rocprim17ROCPRIM_400000_NS6detail17trampoline_kernelINS0_14default_configENS1_20scan_config_selectorIdEEZZNS1_9scan_implILNS1_25lookback_scan_determinismE0ELb0ELb0ES3_PKdPddZZZN2at6native31launch_logcumsumexp_cuda_kernelERKNSB_10TensorBaseESF_lENKUlvE_clEvENKUlvE_clEvEUlddE_dEEDaPvRmT3_T4_T5_mT6_P12ihipStream_tbENKUlT_T0_E_clISt17integral_constantIbLb1EESW_EEDaSR_SS_EUlSR_E0_NS1_11comp_targetILNS1_3genE8ELNS1_11target_archE1030ELNS1_3gpuE2ELNS1_3repE0EEENS1_30default_config_static_selectorELNS0_4arch9wavefront6targetE0EEEvT1_
		.amdhsa_group_segment_fixed_size 14336
		.amdhsa_private_segment_fixed_size 0
		.amdhsa_kernarg_size 40
		.amdhsa_user_sgpr_count 6
		.amdhsa_user_sgpr_private_segment_buffer 1
		.amdhsa_user_sgpr_dispatch_ptr 0
		.amdhsa_user_sgpr_queue_ptr 0
		.amdhsa_user_sgpr_kernarg_segment_ptr 1
		.amdhsa_user_sgpr_dispatch_id 0
		.amdhsa_user_sgpr_flat_scratch_init 0
		.amdhsa_user_sgpr_private_segment_size 0
		.amdhsa_wavefront_size32 1
		.amdhsa_uses_dynamic_stack 0
		.amdhsa_system_sgpr_private_segment_wavefront_offset 0
		.amdhsa_system_sgpr_workgroup_id_x 1
		.amdhsa_system_sgpr_workgroup_id_y 0
		.amdhsa_system_sgpr_workgroup_id_z 0
		.amdhsa_system_sgpr_workgroup_info 0
		.amdhsa_system_vgpr_workitem_id 0
		.amdhsa_next_free_vgpr 97
		.amdhsa_next_free_sgpr 44
		.amdhsa_reserve_vcc 1
		.amdhsa_reserve_flat_scratch 0
		.amdhsa_float_round_mode_32 0
		.amdhsa_float_round_mode_16_64 0
		.amdhsa_float_denorm_mode_32 3
		.amdhsa_float_denorm_mode_16_64 3
		.amdhsa_dx10_clamp 1
		.amdhsa_ieee_mode 1
		.amdhsa_fp16_overflow 0
		.amdhsa_workgroup_processor_mode 1
		.amdhsa_memory_ordered 1
		.amdhsa_forward_progress 1
		.amdhsa_shared_vgpr_count 0
		.amdhsa_exception_fp_ieee_invalid_op 0
		.amdhsa_exception_fp_denorm_src 0
		.amdhsa_exception_fp_ieee_div_zero 0
		.amdhsa_exception_fp_ieee_overflow 0
		.amdhsa_exception_fp_ieee_underflow 0
		.amdhsa_exception_fp_ieee_inexact 0
		.amdhsa_exception_int_div_zero 0
	.end_amdhsa_kernel
	.section	.text._ZN7rocprim17ROCPRIM_400000_NS6detail17trampoline_kernelINS0_14default_configENS1_20scan_config_selectorIdEEZZNS1_9scan_implILNS1_25lookback_scan_determinismE0ELb0ELb0ES3_PKdPddZZZN2at6native31launch_logcumsumexp_cuda_kernelERKNSB_10TensorBaseESF_lENKUlvE_clEvENKUlvE_clEvEUlddE_dEEDaPvRmT3_T4_T5_mT6_P12ihipStream_tbENKUlT_T0_E_clISt17integral_constantIbLb1EESW_EEDaSR_SS_EUlSR_E0_NS1_11comp_targetILNS1_3genE8ELNS1_11target_archE1030ELNS1_3gpuE2ELNS1_3repE0EEENS1_30default_config_static_selectorELNS0_4arch9wavefront6targetE0EEEvT1_,"axG",@progbits,_ZN7rocprim17ROCPRIM_400000_NS6detail17trampoline_kernelINS0_14default_configENS1_20scan_config_selectorIdEEZZNS1_9scan_implILNS1_25lookback_scan_determinismE0ELb0ELb0ES3_PKdPddZZZN2at6native31launch_logcumsumexp_cuda_kernelERKNSB_10TensorBaseESF_lENKUlvE_clEvENKUlvE_clEvEUlddE_dEEDaPvRmT3_T4_T5_mT6_P12ihipStream_tbENKUlT_T0_E_clISt17integral_constantIbLb1EESW_EEDaSR_SS_EUlSR_E0_NS1_11comp_targetILNS1_3genE8ELNS1_11target_archE1030ELNS1_3gpuE2ELNS1_3repE0EEENS1_30default_config_static_selectorELNS0_4arch9wavefront6targetE0EEEvT1_,comdat
.Lfunc_end45:
	.size	_ZN7rocprim17ROCPRIM_400000_NS6detail17trampoline_kernelINS0_14default_configENS1_20scan_config_selectorIdEEZZNS1_9scan_implILNS1_25lookback_scan_determinismE0ELb0ELb0ES3_PKdPddZZZN2at6native31launch_logcumsumexp_cuda_kernelERKNSB_10TensorBaseESF_lENKUlvE_clEvENKUlvE_clEvEUlddE_dEEDaPvRmT3_T4_T5_mT6_P12ihipStream_tbENKUlT_T0_E_clISt17integral_constantIbLb1EESW_EEDaSR_SS_EUlSR_E0_NS1_11comp_targetILNS1_3genE8ELNS1_11target_archE1030ELNS1_3gpuE2ELNS1_3repE0EEENS1_30default_config_static_selectorELNS0_4arch9wavefront6targetE0EEEvT1_, .Lfunc_end45-_ZN7rocprim17ROCPRIM_400000_NS6detail17trampoline_kernelINS0_14default_configENS1_20scan_config_selectorIdEEZZNS1_9scan_implILNS1_25lookback_scan_determinismE0ELb0ELb0ES3_PKdPddZZZN2at6native31launch_logcumsumexp_cuda_kernelERKNSB_10TensorBaseESF_lENKUlvE_clEvENKUlvE_clEvEUlddE_dEEDaPvRmT3_T4_T5_mT6_P12ihipStream_tbENKUlT_T0_E_clISt17integral_constantIbLb1EESW_EEDaSR_SS_EUlSR_E0_NS1_11comp_targetILNS1_3genE8ELNS1_11target_archE1030ELNS1_3gpuE2ELNS1_3repE0EEENS1_30default_config_static_selectorELNS0_4arch9wavefront6targetE0EEEvT1_
                                        ; -- End function
	.set _ZN7rocprim17ROCPRIM_400000_NS6detail17trampoline_kernelINS0_14default_configENS1_20scan_config_selectorIdEEZZNS1_9scan_implILNS1_25lookback_scan_determinismE0ELb0ELb0ES3_PKdPddZZZN2at6native31launch_logcumsumexp_cuda_kernelERKNSB_10TensorBaseESF_lENKUlvE_clEvENKUlvE_clEvEUlddE_dEEDaPvRmT3_T4_T5_mT6_P12ihipStream_tbENKUlT_T0_E_clISt17integral_constantIbLb1EESW_EEDaSR_SS_EUlSR_E0_NS1_11comp_targetILNS1_3genE8ELNS1_11target_archE1030ELNS1_3gpuE2ELNS1_3repE0EEENS1_30default_config_static_selectorELNS0_4arch9wavefront6targetE0EEEvT1_.num_vgpr, 95
	.set _ZN7rocprim17ROCPRIM_400000_NS6detail17trampoline_kernelINS0_14default_configENS1_20scan_config_selectorIdEEZZNS1_9scan_implILNS1_25lookback_scan_determinismE0ELb0ELb0ES3_PKdPddZZZN2at6native31launch_logcumsumexp_cuda_kernelERKNSB_10TensorBaseESF_lENKUlvE_clEvENKUlvE_clEvEUlddE_dEEDaPvRmT3_T4_T5_mT6_P12ihipStream_tbENKUlT_T0_E_clISt17integral_constantIbLb1EESW_EEDaSR_SS_EUlSR_E0_NS1_11comp_targetILNS1_3genE8ELNS1_11target_archE1030ELNS1_3gpuE2ELNS1_3repE0EEENS1_30default_config_static_selectorELNS0_4arch9wavefront6targetE0EEEvT1_.num_agpr, 0
	.set _ZN7rocprim17ROCPRIM_400000_NS6detail17trampoline_kernelINS0_14default_configENS1_20scan_config_selectorIdEEZZNS1_9scan_implILNS1_25lookback_scan_determinismE0ELb0ELb0ES3_PKdPddZZZN2at6native31launch_logcumsumexp_cuda_kernelERKNSB_10TensorBaseESF_lENKUlvE_clEvENKUlvE_clEvEUlddE_dEEDaPvRmT3_T4_T5_mT6_P12ihipStream_tbENKUlT_T0_E_clISt17integral_constantIbLb1EESW_EEDaSR_SS_EUlSR_E0_NS1_11comp_targetILNS1_3genE8ELNS1_11target_archE1030ELNS1_3gpuE2ELNS1_3repE0EEENS1_30default_config_static_selectorELNS0_4arch9wavefront6targetE0EEEvT1_.numbered_sgpr, 44
	.set _ZN7rocprim17ROCPRIM_400000_NS6detail17trampoline_kernelINS0_14default_configENS1_20scan_config_selectorIdEEZZNS1_9scan_implILNS1_25lookback_scan_determinismE0ELb0ELb0ES3_PKdPddZZZN2at6native31launch_logcumsumexp_cuda_kernelERKNSB_10TensorBaseESF_lENKUlvE_clEvENKUlvE_clEvEUlddE_dEEDaPvRmT3_T4_T5_mT6_P12ihipStream_tbENKUlT_T0_E_clISt17integral_constantIbLb1EESW_EEDaSR_SS_EUlSR_E0_NS1_11comp_targetILNS1_3genE8ELNS1_11target_archE1030ELNS1_3gpuE2ELNS1_3repE0EEENS1_30default_config_static_selectorELNS0_4arch9wavefront6targetE0EEEvT1_.num_named_barrier, 0
	.set _ZN7rocprim17ROCPRIM_400000_NS6detail17trampoline_kernelINS0_14default_configENS1_20scan_config_selectorIdEEZZNS1_9scan_implILNS1_25lookback_scan_determinismE0ELb0ELb0ES3_PKdPddZZZN2at6native31launch_logcumsumexp_cuda_kernelERKNSB_10TensorBaseESF_lENKUlvE_clEvENKUlvE_clEvEUlddE_dEEDaPvRmT3_T4_T5_mT6_P12ihipStream_tbENKUlT_T0_E_clISt17integral_constantIbLb1EESW_EEDaSR_SS_EUlSR_E0_NS1_11comp_targetILNS1_3genE8ELNS1_11target_archE1030ELNS1_3gpuE2ELNS1_3repE0EEENS1_30default_config_static_selectorELNS0_4arch9wavefront6targetE0EEEvT1_.private_seg_size, 0
	.set _ZN7rocprim17ROCPRIM_400000_NS6detail17trampoline_kernelINS0_14default_configENS1_20scan_config_selectorIdEEZZNS1_9scan_implILNS1_25lookback_scan_determinismE0ELb0ELb0ES3_PKdPddZZZN2at6native31launch_logcumsumexp_cuda_kernelERKNSB_10TensorBaseESF_lENKUlvE_clEvENKUlvE_clEvEUlddE_dEEDaPvRmT3_T4_T5_mT6_P12ihipStream_tbENKUlT_T0_E_clISt17integral_constantIbLb1EESW_EEDaSR_SS_EUlSR_E0_NS1_11comp_targetILNS1_3genE8ELNS1_11target_archE1030ELNS1_3gpuE2ELNS1_3repE0EEENS1_30default_config_static_selectorELNS0_4arch9wavefront6targetE0EEEvT1_.uses_vcc, 1
	.set _ZN7rocprim17ROCPRIM_400000_NS6detail17trampoline_kernelINS0_14default_configENS1_20scan_config_selectorIdEEZZNS1_9scan_implILNS1_25lookback_scan_determinismE0ELb0ELb0ES3_PKdPddZZZN2at6native31launch_logcumsumexp_cuda_kernelERKNSB_10TensorBaseESF_lENKUlvE_clEvENKUlvE_clEvEUlddE_dEEDaPvRmT3_T4_T5_mT6_P12ihipStream_tbENKUlT_T0_E_clISt17integral_constantIbLb1EESW_EEDaSR_SS_EUlSR_E0_NS1_11comp_targetILNS1_3genE8ELNS1_11target_archE1030ELNS1_3gpuE2ELNS1_3repE0EEENS1_30default_config_static_selectorELNS0_4arch9wavefront6targetE0EEEvT1_.uses_flat_scratch, 0
	.set _ZN7rocprim17ROCPRIM_400000_NS6detail17trampoline_kernelINS0_14default_configENS1_20scan_config_selectorIdEEZZNS1_9scan_implILNS1_25lookback_scan_determinismE0ELb0ELb0ES3_PKdPddZZZN2at6native31launch_logcumsumexp_cuda_kernelERKNSB_10TensorBaseESF_lENKUlvE_clEvENKUlvE_clEvEUlddE_dEEDaPvRmT3_T4_T5_mT6_P12ihipStream_tbENKUlT_T0_E_clISt17integral_constantIbLb1EESW_EEDaSR_SS_EUlSR_E0_NS1_11comp_targetILNS1_3genE8ELNS1_11target_archE1030ELNS1_3gpuE2ELNS1_3repE0EEENS1_30default_config_static_selectorELNS0_4arch9wavefront6targetE0EEEvT1_.has_dyn_sized_stack, 0
	.set _ZN7rocprim17ROCPRIM_400000_NS6detail17trampoline_kernelINS0_14default_configENS1_20scan_config_selectorIdEEZZNS1_9scan_implILNS1_25lookback_scan_determinismE0ELb0ELb0ES3_PKdPddZZZN2at6native31launch_logcumsumexp_cuda_kernelERKNSB_10TensorBaseESF_lENKUlvE_clEvENKUlvE_clEvEUlddE_dEEDaPvRmT3_T4_T5_mT6_P12ihipStream_tbENKUlT_T0_E_clISt17integral_constantIbLb1EESW_EEDaSR_SS_EUlSR_E0_NS1_11comp_targetILNS1_3genE8ELNS1_11target_archE1030ELNS1_3gpuE2ELNS1_3repE0EEENS1_30default_config_static_selectorELNS0_4arch9wavefront6targetE0EEEvT1_.has_recursion, 0
	.set _ZN7rocprim17ROCPRIM_400000_NS6detail17trampoline_kernelINS0_14default_configENS1_20scan_config_selectorIdEEZZNS1_9scan_implILNS1_25lookback_scan_determinismE0ELb0ELb0ES3_PKdPddZZZN2at6native31launch_logcumsumexp_cuda_kernelERKNSB_10TensorBaseESF_lENKUlvE_clEvENKUlvE_clEvEUlddE_dEEDaPvRmT3_T4_T5_mT6_P12ihipStream_tbENKUlT_T0_E_clISt17integral_constantIbLb1EESW_EEDaSR_SS_EUlSR_E0_NS1_11comp_targetILNS1_3genE8ELNS1_11target_archE1030ELNS1_3gpuE2ELNS1_3repE0EEENS1_30default_config_static_selectorELNS0_4arch9wavefront6targetE0EEEvT1_.has_indirect_call, 0
	.section	.AMDGPU.csdata,"",@progbits
; Kernel info:
; codeLenInByte = 59720
; TotalNumSgprs: 46
; NumVgprs: 95
; ScratchSize: 0
; MemoryBound: 0
; FloatMode: 240
; IeeeMode: 1
; LDSByteSize: 14336 bytes/workgroup (compile time only)
; SGPRBlocks: 0
; VGPRBlocks: 12
; NumSGPRsForWavesPerEU: 46
; NumVGPRsForWavesPerEU: 97
; Occupancy: 9
; WaveLimiterHint : 0
; COMPUTE_PGM_RSRC2:SCRATCH_EN: 0
; COMPUTE_PGM_RSRC2:USER_SGPR: 6
; COMPUTE_PGM_RSRC2:TRAP_HANDLER: 0
; COMPUTE_PGM_RSRC2:TGID_X_EN: 1
; COMPUTE_PGM_RSRC2:TGID_Y_EN: 0
; COMPUTE_PGM_RSRC2:TGID_Z_EN: 0
; COMPUTE_PGM_RSRC2:TIDIG_COMP_CNT: 0
	.section	.text._ZN7rocprim17ROCPRIM_400000_NS6detail31init_lookback_scan_state_kernelINS1_19lookback_scan_stateIdLb1ELb1EEENS1_16block_id_wrapperIjLb0EEEEEvT_jT0_jPNS7_10value_typeE,"axG",@progbits,_ZN7rocprim17ROCPRIM_400000_NS6detail31init_lookback_scan_state_kernelINS1_19lookback_scan_stateIdLb1ELb1EEENS1_16block_id_wrapperIjLb0EEEEEvT_jT0_jPNS7_10value_typeE,comdat
	.protected	_ZN7rocprim17ROCPRIM_400000_NS6detail31init_lookback_scan_state_kernelINS1_19lookback_scan_stateIdLb1ELb1EEENS1_16block_id_wrapperIjLb0EEEEEvT_jT0_jPNS7_10value_typeE ; -- Begin function _ZN7rocprim17ROCPRIM_400000_NS6detail31init_lookback_scan_state_kernelINS1_19lookback_scan_stateIdLb1ELb1EEENS1_16block_id_wrapperIjLb0EEEEEvT_jT0_jPNS7_10value_typeE
	.globl	_ZN7rocprim17ROCPRIM_400000_NS6detail31init_lookback_scan_state_kernelINS1_19lookback_scan_stateIdLb1ELb1EEENS1_16block_id_wrapperIjLb0EEEEEvT_jT0_jPNS7_10value_typeE
	.p2align	8
	.type	_ZN7rocprim17ROCPRIM_400000_NS6detail31init_lookback_scan_state_kernelINS1_19lookback_scan_stateIdLb1ELb1EEENS1_16block_id_wrapperIjLb0EEEEEvT_jT0_jPNS7_10value_typeE,@function
_ZN7rocprim17ROCPRIM_400000_NS6detail31init_lookback_scan_state_kernelINS1_19lookback_scan_stateIdLb1ELb1EEENS1_16block_id_wrapperIjLb0EEEEEvT_jT0_jPNS7_10value_typeE: ; @_ZN7rocprim17ROCPRIM_400000_NS6detail31init_lookback_scan_state_kernelINS1_19lookback_scan_stateIdLb1ELb1EEENS1_16block_id_wrapperIjLb0EEEEEvT_jT0_jPNS7_10value_typeE
; %bb.0:
	s_clause 0x3
	s_load_dword s8, s[4:5], 0x2c
	s_load_dwordx2 s[2:3], s[4:5], 0x18
	s_load_dwordx2 s[0:1], s[4:5], 0x0
	s_load_dword s7, s[4:5], 0x8
	s_waitcnt lgkmcnt(0)
	s_and_b32 s8, s8, 0xffff
	s_cmp_eq_u64 s[2:3], 0
	v_mad_u64_u32 v[0:1], null, s6, s8, v[0:1]
	s_cbranch_scc1 .LBB46_10
; %bb.1:
	s_load_dword s4, s[4:5], 0x10
	s_waitcnt lgkmcnt(0)
	s_cmp_lt_u32 s4, s7
	s_cselect_b32 s5, s4, 0
	v_cmp_eq_u32_e32 vcc_lo, s5, v0
	s_mov_b32 s5, 0
	s_and_saveexec_b32 s6, vcc_lo
	s_cbranch_execz .LBB46_9
; %bb.2:
	s_add_i32 s4, s4, 32
	v_mov_b32_e32 v5, 0
	s_lshl_b64 s[4:5], s[4:5], 4
	s_mov_b32 s8, exec_lo
	s_add_u32 s4, s0, s4
	s_addc_u32 s5, s1, s5
	v_mov_b32_e32 v1, s4
	v_mov_b32_e32 v2, s5
	;;#ASMSTART
	global_load_dwordx4 v[1:4], v[1:2] off glc dlc	
s_waitcnt vmcnt(0)
	;;#ASMEND
	v_and_b32_e32 v4, 0xff, v3
	v_cmpx_eq_u64_e32 0, v[4:5]
	s_cbranch_execz .LBB46_8
; %bb.3:
	v_mov_b32_e32 v7, s5
	v_mov_b32_e32 v6, s4
	s_mov_b32 s5, 1
	s_mov_b32 s4, 0
	.p2align	6
.LBB46_4:                               ; =>This Loop Header: Depth=1
                                        ;     Child Loop BB46_5 Depth 2
	s_mov_b32 s9, s5
.LBB46_5:                               ;   Parent Loop BB46_4 Depth=1
                                        ; =>  This Inner Loop Header: Depth=2
	s_add_i32 s9, s9, -1
	s_sleep 1
	s_cmp_eq_u32 s9, 0
	s_cbranch_scc0 .LBB46_5
; %bb.6:                                ;   in Loop: Header=BB46_4 Depth=1
	;;#ASMSTART
	global_load_dwordx4 v[1:4], v[6:7] off glc dlc	
s_waitcnt vmcnt(0)
	;;#ASMEND
	v_and_b32_e32 v4, 0xff, v3
	s_cmp_lt_u32 s5, 32
	s_cselect_b32 s9, -1, 0
	s_cmp_lg_u32 s9, 0
	v_cmp_ne_u64_e32 vcc_lo, 0, v[4:5]
	s_addc_u32 s5, s5, 0
	s_or_b32 s4, vcc_lo, s4
	s_andn2_b32 exec_lo, exec_lo, s4
	s_cbranch_execnz .LBB46_4
; %bb.7:
	s_or_b32 exec_lo, exec_lo, s4
.LBB46_8:
	s_or_b32 exec_lo, exec_lo, s8
	v_mov_b32_e32 v3, 0
	global_store_dwordx2 v3, v[1:2], s[2:3]
.LBB46_9:
	s_or_b32 exec_lo, exec_lo, s6
.LBB46_10:
	s_mov_b32 s2, exec_lo
	v_cmpx_gt_u32_e64 s7, v0
	s_cbranch_execz .LBB46_12
; %bb.11:
	v_add_nc_u32_e32 v1, 32, v0
	v_mov_b32_e32 v2, 0
	v_lshlrev_b64 v[4:5], 4, v[1:2]
	v_mov_b32_e32 v1, v2
	v_mov_b32_e32 v3, v2
	v_add_co_u32 v6, vcc_lo, s0, v4
	v_add_co_ci_u32_e64 v7, null, s1, v5, vcc_lo
	v_mov_b32_e32 v4, v2
	global_store_dwordx4 v[6:7], v[1:4], off
.LBB46_12:
	s_or_b32 exec_lo, exec_lo, s2
	s_mov_b32 s2, exec_lo
	v_cmpx_gt_u32_e32 32, v0
	s_cbranch_execz .LBB46_14
; %bb.13:
	v_mov_b32_e32 v1, 0
	v_mov_b32_e32 v2, 0xff
	v_lshlrev_b64 v[3:4], 4, v[0:1]
	v_mov_b32_e32 v0, v1
	v_add_co_u32 v5, vcc_lo, s0, v3
	v_add_co_ci_u32_e64 v6, null, s1, v4, vcc_lo
	v_mov_b32_e32 v3, v1
	global_store_dwordx4 v[5:6], v[0:3], off
.LBB46_14:
	s_endpgm
	.section	.rodata,"a",@progbits
	.p2align	6, 0x0
	.amdhsa_kernel _ZN7rocprim17ROCPRIM_400000_NS6detail31init_lookback_scan_state_kernelINS1_19lookback_scan_stateIdLb1ELb1EEENS1_16block_id_wrapperIjLb0EEEEEvT_jT0_jPNS7_10value_typeE
		.amdhsa_group_segment_fixed_size 0
		.amdhsa_private_segment_fixed_size 0
		.amdhsa_kernarg_size 288
		.amdhsa_user_sgpr_count 6
		.amdhsa_user_sgpr_private_segment_buffer 1
		.amdhsa_user_sgpr_dispatch_ptr 0
		.amdhsa_user_sgpr_queue_ptr 0
		.amdhsa_user_sgpr_kernarg_segment_ptr 1
		.amdhsa_user_sgpr_dispatch_id 0
		.amdhsa_user_sgpr_flat_scratch_init 0
		.amdhsa_user_sgpr_private_segment_size 0
		.amdhsa_wavefront_size32 1
		.amdhsa_uses_dynamic_stack 0
		.amdhsa_system_sgpr_private_segment_wavefront_offset 0
		.amdhsa_system_sgpr_workgroup_id_x 1
		.amdhsa_system_sgpr_workgroup_id_y 0
		.amdhsa_system_sgpr_workgroup_id_z 0
		.amdhsa_system_sgpr_workgroup_info 0
		.amdhsa_system_vgpr_workitem_id 0
		.amdhsa_next_free_vgpr 8
		.amdhsa_next_free_sgpr 10
		.amdhsa_reserve_vcc 1
		.amdhsa_reserve_flat_scratch 0
		.amdhsa_float_round_mode_32 0
		.amdhsa_float_round_mode_16_64 0
		.amdhsa_float_denorm_mode_32 3
		.amdhsa_float_denorm_mode_16_64 3
		.amdhsa_dx10_clamp 1
		.amdhsa_ieee_mode 1
		.amdhsa_fp16_overflow 0
		.amdhsa_workgroup_processor_mode 1
		.amdhsa_memory_ordered 1
		.amdhsa_forward_progress 1
		.amdhsa_shared_vgpr_count 0
		.amdhsa_exception_fp_ieee_invalid_op 0
		.amdhsa_exception_fp_denorm_src 0
		.amdhsa_exception_fp_ieee_div_zero 0
		.amdhsa_exception_fp_ieee_overflow 0
		.amdhsa_exception_fp_ieee_underflow 0
		.amdhsa_exception_fp_ieee_inexact 0
		.amdhsa_exception_int_div_zero 0
	.end_amdhsa_kernel
	.section	.text._ZN7rocprim17ROCPRIM_400000_NS6detail31init_lookback_scan_state_kernelINS1_19lookback_scan_stateIdLb1ELb1EEENS1_16block_id_wrapperIjLb0EEEEEvT_jT0_jPNS7_10value_typeE,"axG",@progbits,_ZN7rocprim17ROCPRIM_400000_NS6detail31init_lookback_scan_state_kernelINS1_19lookback_scan_stateIdLb1ELb1EEENS1_16block_id_wrapperIjLb0EEEEEvT_jT0_jPNS7_10value_typeE,comdat
.Lfunc_end46:
	.size	_ZN7rocprim17ROCPRIM_400000_NS6detail31init_lookback_scan_state_kernelINS1_19lookback_scan_stateIdLb1ELb1EEENS1_16block_id_wrapperIjLb0EEEEEvT_jT0_jPNS7_10value_typeE, .Lfunc_end46-_ZN7rocprim17ROCPRIM_400000_NS6detail31init_lookback_scan_state_kernelINS1_19lookback_scan_stateIdLb1ELb1EEENS1_16block_id_wrapperIjLb0EEEEEvT_jT0_jPNS7_10value_typeE
                                        ; -- End function
	.set _ZN7rocprim17ROCPRIM_400000_NS6detail31init_lookback_scan_state_kernelINS1_19lookback_scan_stateIdLb1ELb1EEENS1_16block_id_wrapperIjLb0EEEEEvT_jT0_jPNS7_10value_typeE.num_vgpr, 8
	.set _ZN7rocprim17ROCPRIM_400000_NS6detail31init_lookback_scan_state_kernelINS1_19lookback_scan_stateIdLb1ELb1EEENS1_16block_id_wrapperIjLb0EEEEEvT_jT0_jPNS7_10value_typeE.num_agpr, 0
	.set _ZN7rocprim17ROCPRIM_400000_NS6detail31init_lookback_scan_state_kernelINS1_19lookback_scan_stateIdLb1ELb1EEENS1_16block_id_wrapperIjLb0EEEEEvT_jT0_jPNS7_10value_typeE.numbered_sgpr, 10
	.set _ZN7rocprim17ROCPRIM_400000_NS6detail31init_lookback_scan_state_kernelINS1_19lookback_scan_stateIdLb1ELb1EEENS1_16block_id_wrapperIjLb0EEEEEvT_jT0_jPNS7_10value_typeE.num_named_barrier, 0
	.set _ZN7rocprim17ROCPRIM_400000_NS6detail31init_lookback_scan_state_kernelINS1_19lookback_scan_stateIdLb1ELb1EEENS1_16block_id_wrapperIjLb0EEEEEvT_jT0_jPNS7_10value_typeE.private_seg_size, 0
	.set _ZN7rocprim17ROCPRIM_400000_NS6detail31init_lookback_scan_state_kernelINS1_19lookback_scan_stateIdLb1ELb1EEENS1_16block_id_wrapperIjLb0EEEEEvT_jT0_jPNS7_10value_typeE.uses_vcc, 1
	.set _ZN7rocprim17ROCPRIM_400000_NS6detail31init_lookback_scan_state_kernelINS1_19lookback_scan_stateIdLb1ELb1EEENS1_16block_id_wrapperIjLb0EEEEEvT_jT0_jPNS7_10value_typeE.uses_flat_scratch, 0
	.set _ZN7rocprim17ROCPRIM_400000_NS6detail31init_lookback_scan_state_kernelINS1_19lookback_scan_stateIdLb1ELb1EEENS1_16block_id_wrapperIjLb0EEEEEvT_jT0_jPNS7_10value_typeE.has_dyn_sized_stack, 0
	.set _ZN7rocprim17ROCPRIM_400000_NS6detail31init_lookback_scan_state_kernelINS1_19lookback_scan_stateIdLb1ELb1EEENS1_16block_id_wrapperIjLb0EEEEEvT_jT0_jPNS7_10value_typeE.has_recursion, 0
	.set _ZN7rocprim17ROCPRIM_400000_NS6detail31init_lookback_scan_state_kernelINS1_19lookback_scan_stateIdLb1ELb1EEENS1_16block_id_wrapperIjLb0EEEEEvT_jT0_jPNS7_10value_typeE.has_indirect_call, 0
	.section	.AMDGPU.csdata,"",@progbits
; Kernel info:
; codeLenInByte = 520
; TotalNumSgprs: 12
; NumVgprs: 8
; ScratchSize: 0
; MemoryBound: 0
; FloatMode: 240
; IeeeMode: 1
; LDSByteSize: 0 bytes/workgroup (compile time only)
; SGPRBlocks: 0
; VGPRBlocks: 0
; NumSGPRsForWavesPerEU: 12
; NumVGPRsForWavesPerEU: 8
; Occupancy: 16
; WaveLimiterHint : 0
; COMPUTE_PGM_RSRC2:SCRATCH_EN: 0
; COMPUTE_PGM_RSRC2:USER_SGPR: 6
; COMPUTE_PGM_RSRC2:TRAP_HANDLER: 0
; COMPUTE_PGM_RSRC2:TGID_X_EN: 1
; COMPUTE_PGM_RSRC2:TGID_Y_EN: 0
; COMPUTE_PGM_RSRC2:TGID_Z_EN: 0
; COMPUTE_PGM_RSRC2:TIDIG_COMP_CNT: 0
	.section	.text._ZN7rocprim17ROCPRIM_400000_NS6detail17trampoline_kernelINS0_14default_configENS1_20scan_config_selectorIdEEZZNS1_9scan_implILNS1_25lookback_scan_determinismE0ELb0ELb0ES3_PKdPddZZZN2at6native31launch_logcumsumexp_cuda_kernelERKNSB_10TensorBaseESF_lENKUlvE_clEvENKUlvE_clEvEUlddE_dEEDaPvRmT3_T4_T5_mT6_P12ihipStream_tbENKUlT_T0_E_clISt17integral_constantIbLb1EESV_IbLb0EEEEDaSR_SS_EUlSR_E_NS1_11comp_targetILNS1_3genE0ELNS1_11target_archE4294967295ELNS1_3gpuE0ELNS1_3repE0EEENS1_30default_config_static_selectorELNS0_4arch9wavefront6targetE0EEEvT1_,"axG",@progbits,_ZN7rocprim17ROCPRIM_400000_NS6detail17trampoline_kernelINS0_14default_configENS1_20scan_config_selectorIdEEZZNS1_9scan_implILNS1_25lookback_scan_determinismE0ELb0ELb0ES3_PKdPddZZZN2at6native31launch_logcumsumexp_cuda_kernelERKNSB_10TensorBaseESF_lENKUlvE_clEvENKUlvE_clEvEUlddE_dEEDaPvRmT3_T4_T5_mT6_P12ihipStream_tbENKUlT_T0_E_clISt17integral_constantIbLb1EESV_IbLb0EEEEDaSR_SS_EUlSR_E_NS1_11comp_targetILNS1_3genE0ELNS1_11target_archE4294967295ELNS1_3gpuE0ELNS1_3repE0EEENS1_30default_config_static_selectorELNS0_4arch9wavefront6targetE0EEEvT1_,comdat
	.globl	_ZN7rocprim17ROCPRIM_400000_NS6detail17trampoline_kernelINS0_14default_configENS1_20scan_config_selectorIdEEZZNS1_9scan_implILNS1_25lookback_scan_determinismE0ELb0ELb0ES3_PKdPddZZZN2at6native31launch_logcumsumexp_cuda_kernelERKNSB_10TensorBaseESF_lENKUlvE_clEvENKUlvE_clEvEUlddE_dEEDaPvRmT3_T4_T5_mT6_P12ihipStream_tbENKUlT_T0_E_clISt17integral_constantIbLb1EESV_IbLb0EEEEDaSR_SS_EUlSR_E_NS1_11comp_targetILNS1_3genE0ELNS1_11target_archE4294967295ELNS1_3gpuE0ELNS1_3repE0EEENS1_30default_config_static_selectorELNS0_4arch9wavefront6targetE0EEEvT1_ ; -- Begin function _ZN7rocprim17ROCPRIM_400000_NS6detail17trampoline_kernelINS0_14default_configENS1_20scan_config_selectorIdEEZZNS1_9scan_implILNS1_25lookback_scan_determinismE0ELb0ELb0ES3_PKdPddZZZN2at6native31launch_logcumsumexp_cuda_kernelERKNSB_10TensorBaseESF_lENKUlvE_clEvENKUlvE_clEvEUlddE_dEEDaPvRmT3_T4_T5_mT6_P12ihipStream_tbENKUlT_T0_E_clISt17integral_constantIbLb1EESV_IbLb0EEEEDaSR_SS_EUlSR_E_NS1_11comp_targetILNS1_3genE0ELNS1_11target_archE4294967295ELNS1_3gpuE0ELNS1_3repE0EEENS1_30default_config_static_selectorELNS0_4arch9wavefront6targetE0EEEvT1_
	.p2align	8
	.type	_ZN7rocprim17ROCPRIM_400000_NS6detail17trampoline_kernelINS0_14default_configENS1_20scan_config_selectorIdEEZZNS1_9scan_implILNS1_25lookback_scan_determinismE0ELb0ELb0ES3_PKdPddZZZN2at6native31launch_logcumsumexp_cuda_kernelERKNSB_10TensorBaseESF_lENKUlvE_clEvENKUlvE_clEvEUlddE_dEEDaPvRmT3_T4_T5_mT6_P12ihipStream_tbENKUlT_T0_E_clISt17integral_constantIbLb1EESV_IbLb0EEEEDaSR_SS_EUlSR_E_NS1_11comp_targetILNS1_3genE0ELNS1_11target_archE4294967295ELNS1_3gpuE0ELNS1_3repE0EEENS1_30default_config_static_selectorELNS0_4arch9wavefront6targetE0EEEvT1_,@function
_ZN7rocprim17ROCPRIM_400000_NS6detail17trampoline_kernelINS0_14default_configENS1_20scan_config_selectorIdEEZZNS1_9scan_implILNS1_25lookback_scan_determinismE0ELb0ELb0ES3_PKdPddZZZN2at6native31launch_logcumsumexp_cuda_kernelERKNSB_10TensorBaseESF_lENKUlvE_clEvENKUlvE_clEvEUlddE_dEEDaPvRmT3_T4_T5_mT6_P12ihipStream_tbENKUlT_T0_E_clISt17integral_constantIbLb1EESV_IbLb0EEEEDaSR_SS_EUlSR_E_NS1_11comp_targetILNS1_3genE0ELNS1_11target_archE4294967295ELNS1_3gpuE0ELNS1_3repE0EEENS1_30default_config_static_selectorELNS0_4arch9wavefront6targetE0EEEvT1_: ; @_ZN7rocprim17ROCPRIM_400000_NS6detail17trampoline_kernelINS0_14default_configENS1_20scan_config_selectorIdEEZZNS1_9scan_implILNS1_25lookback_scan_determinismE0ELb0ELb0ES3_PKdPddZZZN2at6native31launch_logcumsumexp_cuda_kernelERKNSB_10TensorBaseESF_lENKUlvE_clEvENKUlvE_clEvEUlddE_dEEDaPvRmT3_T4_T5_mT6_P12ihipStream_tbENKUlT_T0_E_clISt17integral_constantIbLb1EESV_IbLb0EEEEDaSR_SS_EUlSR_E_NS1_11comp_targetILNS1_3genE0ELNS1_11target_archE4294967295ELNS1_3gpuE0ELNS1_3repE0EEENS1_30default_config_static_selectorELNS0_4arch9wavefront6targetE0EEEvT1_
; %bb.0:
	.section	.rodata,"a",@progbits
	.p2align	6, 0x0
	.amdhsa_kernel _ZN7rocprim17ROCPRIM_400000_NS6detail17trampoline_kernelINS0_14default_configENS1_20scan_config_selectorIdEEZZNS1_9scan_implILNS1_25lookback_scan_determinismE0ELb0ELb0ES3_PKdPddZZZN2at6native31launch_logcumsumexp_cuda_kernelERKNSB_10TensorBaseESF_lENKUlvE_clEvENKUlvE_clEvEUlddE_dEEDaPvRmT3_T4_T5_mT6_P12ihipStream_tbENKUlT_T0_E_clISt17integral_constantIbLb1EESV_IbLb0EEEEDaSR_SS_EUlSR_E_NS1_11comp_targetILNS1_3genE0ELNS1_11target_archE4294967295ELNS1_3gpuE0ELNS1_3repE0EEENS1_30default_config_static_selectorELNS0_4arch9wavefront6targetE0EEEvT1_
		.amdhsa_group_segment_fixed_size 0
		.amdhsa_private_segment_fixed_size 0
		.amdhsa_kernarg_size 104
		.amdhsa_user_sgpr_count 6
		.amdhsa_user_sgpr_private_segment_buffer 1
		.amdhsa_user_sgpr_dispatch_ptr 0
		.amdhsa_user_sgpr_queue_ptr 0
		.amdhsa_user_sgpr_kernarg_segment_ptr 1
		.amdhsa_user_sgpr_dispatch_id 0
		.amdhsa_user_sgpr_flat_scratch_init 0
		.amdhsa_user_sgpr_private_segment_size 0
		.amdhsa_wavefront_size32 1
		.amdhsa_uses_dynamic_stack 0
		.amdhsa_system_sgpr_private_segment_wavefront_offset 0
		.amdhsa_system_sgpr_workgroup_id_x 1
		.amdhsa_system_sgpr_workgroup_id_y 0
		.amdhsa_system_sgpr_workgroup_id_z 0
		.amdhsa_system_sgpr_workgroup_info 0
		.amdhsa_system_vgpr_workitem_id 0
		.amdhsa_next_free_vgpr 1
		.amdhsa_next_free_sgpr 1
		.amdhsa_reserve_vcc 0
		.amdhsa_reserve_flat_scratch 0
		.amdhsa_float_round_mode_32 0
		.amdhsa_float_round_mode_16_64 0
		.amdhsa_float_denorm_mode_32 3
		.amdhsa_float_denorm_mode_16_64 3
		.amdhsa_dx10_clamp 1
		.amdhsa_ieee_mode 1
		.amdhsa_fp16_overflow 0
		.amdhsa_workgroup_processor_mode 1
		.amdhsa_memory_ordered 1
		.amdhsa_forward_progress 1
		.amdhsa_shared_vgpr_count 0
		.amdhsa_exception_fp_ieee_invalid_op 0
		.amdhsa_exception_fp_denorm_src 0
		.amdhsa_exception_fp_ieee_div_zero 0
		.amdhsa_exception_fp_ieee_overflow 0
		.amdhsa_exception_fp_ieee_underflow 0
		.amdhsa_exception_fp_ieee_inexact 0
		.amdhsa_exception_int_div_zero 0
	.end_amdhsa_kernel
	.section	.text._ZN7rocprim17ROCPRIM_400000_NS6detail17trampoline_kernelINS0_14default_configENS1_20scan_config_selectorIdEEZZNS1_9scan_implILNS1_25lookback_scan_determinismE0ELb0ELb0ES3_PKdPddZZZN2at6native31launch_logcumsumexp_cuda_kernelERKNSB_10TensorBaseESF_lENKUlvE_clEvENKUlvE_clEvEUlddE_dEEDaPvRmT3_T4_T5_mT6_P12ihipStream_tbENKUlT_T0_E_clISt17integral_constantIbLb1EESV_IbLb0EEEEDaSR_SS_EUlSR_E_NS1_11comp_targetILNS1_3genE0ELNS1_11target_archE4294967295ELNS1_3gpuE0ELNS1_3repE0EEENS1_30default_config_static_selectorELNS0_4arch9wavefront6targetE0EEEvT1_,"axG",@progbits,_ZN7rocprim17ROCPRIM_400000_NS6detail17trampoline_kernelINS0_14default_configENS1_20scan_config_selectorIdEEZZNS1_9scan_implILNS1_25lookback_scan_determinismE0ELb0ELb0ES3_PKdPddZZZN2at6native31launch_logcumsumexp_cuda_kernelERKNSB_10TensorBaseESF_lENKUlvE_clEvENKUlvE_clEvEUlddE_dEEDaPvRmT3_T4_T5_mT6_P12ihipStream_tbENKUlT_T0_E_clISt17integral_constantIbLb1EESV_IbLb0EEEEDaSR_SS_EUlSR_E_NS1_11comp_targetILNS1_3genE0ELNS1_11target_archE4294967295ELNS1_3gpuE0ELNS1_3repE0EEENS1_30default_config_static_selectorELNS0_4arch9wavefront6targetE0EEEvT1_,comdat
.Lfunc_end47:
	.size	_ZN7rocprim17ROCPRIM_400000_NS6detail17trampoline_kernelINS0_14default_configENS1_20scan_config_selectorIdEEZZNS1_9scan_implILNS1_25lookback_scan_determinismE0ELb0ELb0ES3_PKdPddZZZN2at6native31launch_logcumsumexp_cuda_kernelERKNSB_10TensorBaseESF_lENKUlvE_clEvENKUlvE_clEvEUlddE_dEEDaPvRmT3_T4_T5_mT6_P12ihipStream_tbENKUlT_T0_E_clISt17integral_constantIbLb1EESV_IbLb0EEEEDaSR_SS_EUlSR_E_NS1_11comp_targetILNS1_3genE0ELNS1_11target_archE4294967295ELNS1_3gpuE0ELNS1_3repE0EEENS1_30default_config_static_selectorELNS0_4arch9wavefront6targetE0EEEvT1_, .Lfunc_end47-_ZN7rocprim17ROCPRIM_400000_NS6detail17trampoline_kernelINS0_14default_configENS1_20scan_config_selectorIdEEZZNS1_9scan_implILNS1_25lookback_scan_determinismE0ELb0ELb0ES3_PKdPddZZZN2at6native31launch_logcumsumexp_cuda_kernelERKNSB_10TensorBaseESF_lENKUlvE_clEvENKUlvE_clEvEUlddE_dEEDaPvRmT3_T4_T5_mT6_P12ihipStream_tbENKUlT_T0_E_clISt17integral_constantIbLb1EESV_IbLb0EEEEDaSR_SS_EUlSR_E_NS1_11comp_targetILNS1_3genE0ELNS1_11target_archE4294967295ELNS1_3gpuE0ELNS1_3repE0EEENS1_30default_config_static_selectorELNS0_4arch9wavefront6targetE0EEEvT1_
                                        ; -- End function
	.set _ZN7rocprim17ROCPRIM_400000_NS6detail17trampoline_kernelINS0_14default_configENS1_20scan_config_selectorIdEEZZNS1_9scan_implILNS1_25lookback_scan_determinismE0ELb0ELb0ES3_PKdPddZZZN2at6native31launch_logcumsumexp_cuda_kernelERKNSB_10TensorBaseESF_lENKUlvE_clEvENKUlvE_clEvEUlddE_dEEDaPvRmT3_T4_T5_mT6_P12ihipStream_tbENKUlT_T0_E_clISt17integral_constantIbLb1EESV_IbLb0EEEEDaSR_SS_EUlSR_E_NS1_11comp_targetILNS1_3genE0ELNS1_11target_archE4294967295ELNS1_3gpuE0ELNS1_3repE0EEENS1_30default_config_static_selectorELNS0_4arch9wavefront6targetE0EEEvT1_.num_vgpr, 0
	.set _ZN7rocprim17ROCPRIM_400000_NS6detail17trampoline_kernelINS0_14default_configENS1_20scan_config_selectorIdEEZZNS1_9scan_implILNS1_25lookback_scan_determinismE0ELb0ELb0ES3_PKdPddZZZN2at6native31launch_logcumsumexp_cuda_kernelERKNSB_10TensorBaseESF_lENKUlvE_clEvENKUlvE_clEvEUlddE_dEEDaPvRmT3_T4_T5_mT6_P12ihipStream_tbENKUlT_T0_E_clISt17integral_constantIbLb1EESV_IbLb0EEEEDaSR_SS_EUlSR_E_NS1_11comp_targetILNS1_3genE0ELNS1_11target_archE4294967295ELNS1_3gpuE0ELNS1_3repE0EEENS1_30default_config_static_selectorELNS0_4arch9wavefront6targetE0EEEvT1_.num_agpr, 0
	.set _ZN7rocprim17ROCPRIM_400000_NS6detail17trampoline_kernelINS0_14default_configENS1_20scan_config_selectorIdEEZZNS1_9scan_implILNS1_25lookback_scan_determinismE0ELb0ELb0ES3_PKdPddZZZN2at6native31launch_logcumsumexp_cuda_kernelERKNSB_10TensorBaseESF_lENKUlvE_clEvENKUlvE_clEvEUlddE_dEEDaPvRmT3_T4_T5_mT6_P12ihipStream_tbENKUlT_T0_E_clISt17integral_constantIbLb1EESV_IbLb0EEEEDaSR_SS_EUlSR_E_NS1_11comp_targetILNS1_3genE0ELNS1_11target_archE4294967295ELNS1_3gpuE0ELNS1_3repE0EEENS1_30default_config_static_selectorELNS0_4arch9wavefront6targetE0EEEvT1_.numbered_sgpr, 0
	.set _ZN7rocprim17ROCPRIM_400000_NS6detail17trampoline_kernelINS0_14default_configENS1_20scan_config_selectorIdEEZZNS1_9scan_implILNS1_25lookback_scan_determinismE0ELb0ELb0ES3_PKdPddZZZN2at6native31launch_logcumsumexp_cuda_kernelERKNSB_10TensorBaseESF_lENKUlvE_clEvENKUlvE_clEvEUlddE_dEEDaPvRmT3_T4_T5_mT6_P12ihipStream_tbENKUlT_T0_E_clISt17integral_constantIbLb1EESV_IbLb0EEEEDaSR_SS_EUlSR_E_NS1_11comp_targetILNS1_3genE0ELNS1_11target_archE4294967295ELNS1_3gpuE0ELNS1_3repE0EEENS1_30default_config_static_selectorELNS0_4arch9wavefront6targetE0EEEvT1_.num_named_barrier, 0
	.set _ZN7rocprim17ROCPRIM_400000_NS6detail17trampoline_kernelINS0_14default_configENS1_20scan_config_selectorIdEEZZNS1_9scan_implILNS1_25lookback_scan_determinismE0ELb0ELb0ES3_PKdPddZZZN2at6native31launch_logcumsumexp_cuda_kernelERKNSB_10TensorBaseESF_lENKUlvE_clEvENKUlvE_clEvEUlddE_dEEDaPvRmT3_T4_T5_mT6_P12ihipStream_tbENKUlT_T0_E_clISt17integral_constantIbLb1EESV_IbLb0EEEEDaSR_SS_EUlSR_E_NS1_11comp_targetILNS1_3genE0ELNS1_11target_archE4294967295ELNS1_3gpuE0ELNS1_3repE0EEENS1_30default_config_static_selectorELNS0_4arch9wavefront6targetE0EEEvT1_.private_seg_size, 0
	.set _ZN7rocprim17ROCPRIM_400000_NS6detail17trampoline_kernelINS0_14default_configENS1_20scan_config_selectorIdEEZZNS1_9scan_implILNS1_25lookback_scan_determinismE0ELb0ELb0ES3_PKdPddZZZN2at6native31launch_logcumsumexp_cuda_kernelERKNSB_10TensorBaseESF_lENKUlvE_clEvENKUlvE_clEvEUlddE_dEEDaPvRmT3_T4_T5_mT6_P12ihipStream_tbENKUlT_T0_E_clISt17integral_constantIbLb1EESV_IbLb0EEEEDaSR_SS_EUlSR_E_NS1_11comp_targetILNS1_3genE0ELNS1_11target_archE4294967295ELNS1_3gpuE0ELNS1_3repE0EEENS1_30default_config_static_selectorELNS0_4arch9wavefront6targetE0EEEvT1_.uses_vcc, 0
	.set _ZN7rocprim17ROCPRIM_400000_NS6detail17trampoline_kernelINS0_14default_configENS1_20scan_config_selectorIdEEZZNS1_9scan_implILNS1_25lookback_scan_determinismE0ELb0ELb0ES3_PKdPddZZZN2at6native31launch_logcumsumexp_cuda_kernelERKNSB_10TensorBaseESF_lENKUlvE_clEvENKUlvE_clEvEUlddE_dEEDaPvRmT3_T4_T5_mT6_P12ihipStream_tbENKUlT_T0_E_clISt17integral_constantIbLb1EESV_IbLb0EEEEDaSR_SS_EUlSR_E_NS1_11comp_targetILNS1_3genE0ELNS1_11target_archE4294967295ELNS1_3gpuE0ELNS1_3repE0EEENS1_30default_config_static_selectorELNS0_4arch9wavefront6targetE0EEEvT1_.uses_flat_scratch, 0
	.set _ZN7rocprim17ROCPRIM_400000_NS6detail17trampoline_kernelINS0_14default_configENS1_20scan_config_selectorIdEEZZNS1_9scan_implILNS1_25lookback_scan_determinismE0ELb0ELb0ES3_PKdPddZZZN2at6native31launch_logcumsumexp_cuda_kernelERKNSB_10TensorBaseESF_lENKUlvE_clEvENKUlvE_clEvEUlddE_dEEDaPvRmT3_T4_T5_mT6_P12ihipStream_tbENKUlT_T0_E_clISt17integral_constantIbLb1EESV_IbLb0EEEEDaSR_SS_EUlSR_E_NS1_11comp_targetILNS1_3genE0ELNS1_11target_archE4294967295ELNS1_3gpuE0ELNS1_3repE0EEENS1_30default_config_static_selectorELNS0_4arch9wavefront6targetE0EEEvT1_.has_dyn_sized_stack, 0
	.set _ZN7rocprim17ROCPRIM_400000_NS6detail17trampoline_kernelINS0_14default_configENS1_20scan_config_selectorIdEEZZNS1_9scan_implILNS1_25lookback_scan_determinismE0ELb0ELb0ES3_PKdPddZZZN2at6native31launch_logcumsumexp_cuda_kernelERKNSB_10TensorBaseESF_lENKUlvE_clEvENKUlvE_clEvEUlddE_dEEDaPvRmT3_T4_T5_mT6_P12ihipStream_tbENKUlT_T0_E_clISt17integral_constantIbLb1EESV_IbLb0EEEEDaSR_SS_EUlSR_E_NS1_11comp_targetILNS1_3genE0ELNS1_11target_archE4294967295ELNS1_3gpuE0ELNS1_3repE0EEENS1_30default_config_static_selectorELNS0_4arch9wavefront6targetE0EEEvT1_.has_recursion, 0
	.set _ZN7rocprim17ROCPRIM_400000_NS6detail17trampoline_kernelINS0_14default_configENS1_20scan_config_selectorIdEEZZNS1_9scan_implILNS1_25lookback_scan_determinismE0ELb0ELb0ES3_PKdPddZZZN2at6native31launch_logcumsumexp_cuda_kernelERKNSB_10TensorBaseESF_lENKUlvE_clEvENKUlvE_clEvEUlddE_dEEDaPvRmT3_T4_T5_mT6_P12ihipStream_tbENKUlT_T0_E_clISt17integral_constantIbLb1EESV_IbLb0EEEEDaSR_SS_EUlSR_E_NS1_11comp_targetILNS1_3genE0ELNS1_11target_archE4294967295ELNS1_3gpuE0ELNS1_3repE0EEENS1_30default_config_static_selectorELNS0_4arch9wavefront6targetE0EEEvT1_.has_indirect_call, 0
	.section	.AMDGPU.csdata,"",@progbits
; Kernel info:
; codeLenInByte = 0
; TotalNumSgprs: 0
; NumVgprs: 0
; ScratchSize: 0
; MemoryBound: 0
; FloatMode: 240
; IeeeMode: 1
; LDSByteSize: 0 bytes/workgroup (compile time only)
; SGPRBlocks: 0
; VGPRBlocks: 0
; NumSGPRsForWavesPerEU: 1
; NumVGPRsForWavesPerEU: 1
; Occupancy: 16
; WaveLimiterHint : 0
; COMPUTE_PGM_RSRC2:SCRATCH_EN: 0
; COMPUTE_PGM_RSRC2:USER_SGPR: 6
; COMPUTE_PGM_RSRC2:TRAP_HANDLER: 0
; COMPUTE_PGM_RSRC2:TGID_X_EN: 1
; COMPUTE_PGM_RSRC2:TGID_Y_EN: 0
; COMPUTE_PGM_RSRC2:TGID_Z_EN: 0
; COMPUTE_PGM_RSRC2:TIDIG_COMP_CNT: 0
	.section	.text._ZN7rocprim17ROCPRIM_400000_NS6detail17trampoline_kernelINS0_14default_configENS1_20scan_config_selectorIdEEZZNS1_9scan_implILNS1_25lookback_scan_determinismE0ELb0ELb0ES3_PKdPddZZZN2at6native31launch_logcumsumexp_cuda_kernelERKNSB_10TensorBaseESF_lENKUlvE_clEvENKUlvE_clEvEUlddE_dEEDaPvRmT3_T4_T5_mT6_P12ihipStream_tbENKUlT_T0_E_clISt17integral_constantIbLb1EESV_IbLb0EEEEDaSR_SS_EUlSR_E_NS1_11comp_targetILNS1_3genE5ELNS1_11target_archE942ELNS1_3gpuE9ELNS1_3repE0EEENS1_30default_config_static_selectorELNS0_4arch9wavefront6targetE0EEEvT1_,"axG",@progbits,_ZN7rocprim17ROCPRIM_400000_NS6detail17trampoline_kernelINS0_14default_configENS1_20scan_config_selectorIdEEZZNS1_9scan_implILNS1_25lookback_scan_determinismE0ELb0ELb0ES3_PKdPddZZZN2at6native31launch_logcumsumexp_cuda_kernelERKNSB_10TensorBaseESF_lENKUlvE_clEvENKUlvE_clEvEUlddE_dEEDaPvRmT3_T4_T5_mT6_P12ihipStream_tbENKUlT_T0_E_clISt17integral_constantIbLb1EESV_IbLb0EEEEDaSR_SS_EUlSR_E_NS1_11comp_targetILNS1_3genE5ELNS1_11target_archE942ELNS1_3gpuE9ELNS1_3repE0EEENS1_30default_config_static_selectorELNS0_4arch9wavefront6targetE0EEEvT1_,comdat
	.globl	_ZN7rocprim17ROCPRIM_400000_NS6detail17trampoline_kernelINS0_14default_configENS1_20scan_config_selectorIdEEZZNS1_9scan_implILNS1_25lookback_scan_determinismE0ELb0ELb0ES3_PKdPddZZZN2at6native31launch_logcumsumexp_cuda_kernelERKNSB_10TensorBaseESF_lENKUlvE_clEvENKUlvE_clEvEUlddE_dEEDaPvRmT3_T4_T5_mT6_P12ihipStream_tbENKUlT_T0_E_clISt17integral_constantIbLb1EESV_IbLb0EEEEDaSR_SS_EUlSR_E_NS1_11comp_targetILNS1_3genE5ELNS1_11target_archE942ELNS1_3gpuE9ELNS1_3repE0EEENS1_30default_config_static_selectorELNS0_4arch9wavefront6targetE0EEEvT1_ ; -- Begin function _ZN7rocprim17ROCPRIM_400000_NS6detail17trampoline_kernelINS0_14default_configENS1_20scan_config_selectorIdEEZZNS1_9scan_implILNS1_25lookback_scan_determinismE0ELb0ELb0ES3_PKdPddZZZN2at6native31launch_logcumsumexp_cuda_kernelERKNSB_10TensorBaseESF_lENKUlvE_clEvENKUlvE_clEvEUlddE_dEEDaPvRmT3_T4_T5_mT6_P12ihipStream_tbENKUlT_T0_E_clISt17integral_constantIbLb1EESV_IbLb0EEEEDaSR_SS_EUlSR_E_NS1_11comp_targetILNS1_3genE5ELNS1_11target_archE942ELNS1_3gpuE9ELNS1_3repE0EEENS1_30default_config_static_selectorELNS0_4arch9wavefront6targetE0EEEvT1_
	.p2align	8
	.type	_ZN7rocprim17ROCPRIM_400000_NS6detail17trampoline_kernelINS0_14default_configENS1_20scan_config_selectorIdEEZZNS1_9scan_implILNS1_25lookback_scan_determinismE0ELb0ELb0ES3_PKdPddZZZN2at6native31launch_logcumsumexp_cuda_kernelERKNSB_10TensorBaseESF_lENKUlvE_clEvENKUlvE_clEvEUlddE_dEEDaPvRmT3_T4_T5_mT6_P12ihipStream_tbENKUlT_T0_E_clISt17integral_constantIbLb1EESV_IbLb0EEEEDaSR_SS_EUlSR_E_NS1_11comp_targetILNS1_3genE5ELNS1_11target_archE942ELNS1_3gpuE9ELNS1_3repE0EEENS1_30default_config_static_selectorELNS0_4arch9wavefront6targetE0EEEvT1_,@function
_ZN7rocprim17ROCPRIM_400000_NS6detail17trampoline_kernelINS0_14default_configENS1_20scan_config_selectorIdEEZZNS1_9scan_implILNS1_25lookback_scan_determinismE0ELb0ELb0ES3_PKdPddZZZN2at6native31launch_logcumsumexp_cuda_kernelERKNSB_10TensorBaseESF_lENKUlvE_clEvENKUlvE_clEvEUlddE_dEEDaPvRmT3_T4_T5_mT6_P12ihipStream_tbENKUlT_T0_E_clISt17integral_constantIbLb1EESV_IbLb0EEEEDaSR_SS_EUlSR_E_NS1_11comp_targetILNS1_3genE5ELNS1_11target_archE942ELNS1_3gpuE9ELNS1_3repE0EEENS1_30default_config_static_selectorELNS0_4arch9wavefront6targetE0EEEvT1_: ; @_ZN7rocprim17ROCPRIM_400000_NS6detail17trampoline_kernelINS0_14default_configENS1_20scan_config_selectorIdEEZZNS1_9scan_implILNS1_25lookback_scan_determinismE0ELb0ELb0ES3_PKdPddZZZN2at6native31launch_logcumsumexp_cuda_kernelERKNSB_10TensorBaseESF_lENKUlvE_clEvENKUlvE_clEvEUlddE_dEEDaPvRmT3_T4_T5_mT6_P12ihipStream_tbENKUlT_T0_E_clISt17integral_constantIbLb1EESV_IbLb0EEEEDaSR_SS_EUlSR_E_NS1_11comp_targetILNS1_3genE5ELNS1_11target_archE942ELNS1_3gpuE9ELNS1_3repE0EEENS1_30default_config_static_selectorELNS0_4arch9wavefront6targetE0EEEvT1_
; %bb.0:
	.section	.rodata,"a",@progbits
	.p2align	6, 0x0
	.amdhsa_kernel _ZN7rocprim17ROCPRIM_400000_NS6detail17trampoline_kernelINS0_14default_configENS1_20scan_config_selectorIdEEZZNS1_9scan_implILNS1_25lookback_scan_determinismE0ELb0ELb0ES3_PKdPddZZZN2at6native31launch_logcumsumexp_cuda_kernelERKNSB_10TensorBaseESF_lENKUlvE_clEvENKUlvE_clEvEUlddE_dEEDaPvRmT3_T4_T5_mT6_P12ihipStream_tbENKUlT_T0_E_clISt17integral_constantIbLb1EESV_IbLb0EEEEDaSR_SS_EUlSR_E_NS1_11comp_targetILNS1_3genE5ELNS1_11target_archE942ELNS1_3gpuE9ELNS1_3repE0EEENS1_30default_config_static_selectorELNS0_4arch9wavefront6targetE0EEEvT1_
		.amdhsa_group_segment_fixed_size 0
		.amdhsa_private_segment_fixed_size 0
		.amdhsa_kernarg_size 104
		.amdhsa_user_sgpr_count 6
		.amdhsa_user_sgpr_private_segment_buffer 1
		.amdhsa_user_sgpr_dispatch_ptr 0
		.amdhsa_user_sgpr_queue_ptr 0
		.amdhsa_user_sgpr_kernarg_segment_ptr 1
		.amdhsa_user_sgpr_dispatch_id 0
		.amdhsa_user_sgpr_flat_scratch_init 0
		.amdhsa_user_sgpr_private_segment_size 0
		.amdhsa_wavefront_size32 1
		.amdhsa_uses_dynamic_stack 0
		.amdhsa_system_sgpr_private_segment_wavefront_offset 0
		.amdhsa_system_sgpr_workgroup_id_x 1
		.amdhsa_system_sgpr_workgroup_id_y 0
		.amdhsa_system_sgpr_workgroup_id_z 0
		.amdhsa_system_sgpr_workgroup_info 0
		.amdhsa_system_vgpr_workitem_id 0
		.amdhsa_next_free_vgpr 1
		.amdhsa_next_free_sgpr 1
		.amdhsa_reserve_vcc 0
		.amdhsa_reserve_flat_scratch 0
		.amdhsa_float_round_mode_32 0
		.amdhsa_float_round_mode_16_64 0
		.amdhsa_float_denorm_mode_32 3
		.amdhsa_float_denorm_mode_16_64 3
		.amdhsa_dx10_clamp 1
		.amdhsa_ieee_mode 1
		.amdhsa_fp16_overflow 0
		.amdhsa_workgroup_processor_mode 1
		.amdhsa_memory_ordered 1
		.amdhsa_forward_progress 1
		.amdhsa_shared_vgpr_count 0
		.amdhsa_exception_fp_ieee_invalid_op 0
		.amdhsa_exception_fp_denorm_src 0
		.amdhsa_exception_fp_ieee_div_zero 0
		.amdhsa_exception_fp_ieee_overflow 0
		.amdhsa_exception_fp_ieee_underflow 0
		.amdhsa_exception_fp_ieee_inexact 0
		.amdhsa_exception_int_div_zero 0
	.end_amdhsa_kernel
	.section	.text._ZN7rocprim17ROCPRIM_400000_NS6detail17trampoline_kernelINS0_14default_configENS1_20scan_config_selectorIdEEZZNS1_9scan_implILNS1_25lookback_scan_determinismE0ELb0ELb0ES3_PKdPddZZZN2at6native31launch_logcumsumexp_cuda_kernelERKNSB_10TensorBaseESF_lENKUlvE_clEvENKUlvE_clEvEUlddE_dEEDaPvRmT3_T4_T5_mT6_P12ihipStream_tbENKUlT_T0_E_clISt17integral_constantIbLb1EESV_IbLb0EEEEDaSR_SS_EUlSR_E_NS1_11comp_targetILNS1_3genE5ELNS1_11target_archE942ELNS1_3gpuE9ELNS1_3repE0EEENS1_30default_config_static_selectorELNS0_4arch9wavefront6targetE0EEEvT1_,"axG",@progbits,_ZN7rocprim17ROCPRIM_400000_NS6detail17trampoline_kernelINS0_14default_configENS1_20scan_config_selectorIdEEZZNS1_9scan_implILNS1_25lookback_scan_determinismE0ELb0ELb0ES3_PKdPddZZZN2at6native31launch_logcumsumexp_cuda_kernelERKNSB_10TensorBaseESF_lENKUlvE_clEvENKUlvE_clEvEUlddE_dEEDaPvRmT3_T4_T5_mT6_P12ihipStream_tbENKUlT_T0_E_clISt17integral_constantIbLb1EESV_IbLb0EEEEDaSR_SS_EUlSR_E_NS1_11comp_targetILNS1_3genE5ELNS1_11target_archE942ELNS1_3gpuE9ELNS1_3repE0EEENS1_30default_config_static_selectorELNS0_4arch9wavefront6targetE0EEEvT1_,comdat
.Lfunc_end48:
	.size	_ZN7rocprim17ROCPRIM_400000_NS6detail17trampoline_kernelINS0_14default_configENS1_20scan_config_selectorIdEEZZNS1_9scan_implILNS1_25lookback_scan_determinismE0ELb0ELb0ES3_PKdPddZZZN2at6native31launch_logcumsumexp_cuda_kernelERKNSB_10TensorBaseESF_lENKUlvE_clEvENKUlvE_clEvEUlddE_dEEDaPvRmT3_T4_T5_mT6_P12ihipStream_tbENKUlT_T0_E_clISt17integral_constantIbLb1EESV_IbLb0EEEEDaSR_SS_EUlSR_E_NS1_11comp_targetILNS1_3genE5ELNS1_11target_archE942ELNS1_3gpuE9ELNS1_3repE0EEENS1_30default_config_static_selectorELNS0_4arch9wavefront6targetE0EEEvT1_, .Lfunc_end48-_ZN7rocprim17ROCPRIM_400000_NS6detail17trampoline_kernelINS0_14default_configENS1_20scan_config_selectorIdEEZZNS1_9scan_implILNS1_25lookback_scan_determinismE0ELb0ELb0ES3_PKdPddZZZN2at6native31launch_logcumsumexp_cuda_kernelERKNSB_10TensorBaseESF_lENKUlvE_clEvENKUlvE_clEvEUlddE_dEEDaPvRmT3_T4_T5_mT6_P12ihipStream_tbENKUlT_T0_E_clISt17integral_constantIbLb1EESV_IbLb0EEEEDaSR_SS_EUlSR_E_NS1_11comp_targetILNS1_3genE5ELNS1_11target_archE942ELNS1_3gpuE9ELNS1_3repE0EEENS1_30default_config_static_selectorELNS0_4arch9wavefront6targetE0EEEvT1_
                                        ; -- End function
	.set _ZN7rocprim17ROCPRIM_400000_NS6detail17trampoline_kernelINS0_14default_configENS1_20scan_config_selectorIdEEZZNS1_9scan_implILNS1_25lookback_scan_determinismE0ELb0ELb0ES3_PKdPddZZZN2at6native31launch_logcumsumexp_cuda_kernelERKNSB_10TensorBaseESF_lENKUlvE_clEvENKUlvE_clEvEUlddE_dEEDaPvRmT3_T4_T5_mT6_P12ihipStream_tbENKUlT_T0_E_clISt17integral_constantIbLb1EESV_IbLb0EEEEDaSR_SS_EUlSR_E_NS1_11comp_targetILNS1_3genE5ELNS1_11target_archE942ELNS1_3gpuE9ELNS1_3repE0EEENS1_30default_config_static_selectorELNS0_4arch9wavefront6targetE0EEEvT1_.num_vgpr, 0
	.set _ZN7rocprim17ROCPRIM_400000_NS6detail17trampoline_kernelINS0_14default_configENS1_20scan_config_selectorIdEEZZNS1_9scan_implILNS1_25lookback_scan_determinismE0ELb0ELb0ES3_PKdPddZZZN2at6native31launch_logcumsumexp_cuda_kernelERKNSB_10TensorBaseESF_lENKUlvE_clEvENKUlvE_clEvEUlddE_dEEDaPvRmT3_T4_T5_mT6_P12ihipStream_tbENKUlT_T0_E_clISt17integral_constantIbLb1EESV_IbLb0EEEEDaSR_SS_EUlSR_E_NS1_11comp_targetILNS1_3genE5ELNS1_11target_archE942ELNS1_3gpuE9ELNS1_3repE0EEENS1_30default_config_static_selectorELNS0_4arch9wavefront6targetE0EEEvT1_.num_agpr, 0
	.set _ZN7rocprim17ROCPRIM_400000_NS6detail17trampoline_kernelINS0_14default_configENS1_20scan_config_selectorIdEEZZNS1_9scan_implILNS1_25lookback_scan_determinismE0ELb0ELb0ES3_PKdPddZZZN2at6native31launch_logcumsumexp_cuda_kernelERKNSB_10TensorBaseESF_lENKUlvE_clEvENKUlvE_clEvEUlddE_dEEDaPvRmT3_T4_T5_mT6_P12ihipStream_tbENKUlT_T0_E_clISt17integral_constantIbLb1EESV_IbLb0EEEEDaSR_SS_EUlSR_E_NS1_11comp_targetILNS1_3genE5ELNS1_11target_archE942ELNS1_3gpuE9ELNS1_3repE0EEENS1_30default_config_static_selectorELNS0_4arch9wavefront6targetE0EEEvT1_.numbered_sgpr, 0
	.set _ZN7rocprim17ROCPRIM_400000_NS6detail17trampoline_kernelINS0_14default_configENS1_20scan_config_selectorIdEEZZNS1_9scan_implILNS1_25lookback_scan_determinismE0ELb0ELb0ES3_PKdPddZZZN2at6native31launch_logcumsumexp_cuda_kernelERKNSB_10TensorBaseESF_lENKUlvE_clEvENKUlvE_clEvEUlddE_dEEDaPvRmT3_T4_T5_mT6_P12ihipStream_tbENKUlT_T0_E_clISt17integral_constantIbLb1EESV_IbLb0EEEEDaSR_SS_EUlSR_E_NS1_11comp_targetILNS1_3genE5ELNS1_11target_archE942ELNS1_3gpuE9ELNS1_3repE0EEENS1_30default_config_static_selectorELNS0_4arch9wavefront6targetE0EEEvT1_.num_named_barrier, 0
	.set _ZN7rocprim17ROCPRIM_400000_NS6detail17trampoline_kernelINS0_14default_configENS1_20scan_config_selectorIdEEZZNS1_9scan_implILNS1_25lookback_scan_determinismE0ELb0ELb0ES3_PKdPddZZZN2at6native31launch_logcumsumexp_cuda_kernelERKNSB_10TensorBaseESF_lENKUlvE_clEvENKUlvE_clEvEUlddE_dEEDaPvRmT3_T4_T5_mT6_P12ihipStream_tbENKUlT_T0_E_clISt17integral_constantIbLb1EESV_IbLb0EEEEDaSR_SS_EUlSR_E_NS1_11comp_targetILNS1_3genE5ELNS1_11target_archE942ELNS1_3gpuE9ELNS1_3repE0EEENS1_30default_config_static_selectorELNS0_4arch9wavefront6targetE0EEEvT1_.private_seg_size, 0
	.set _ZN7rocprim17ROCPRIM_400000_NS6detail17trampoline_kernelINS0_14default_configENS1_20scan_config_selectorIdEEZZNS1_9scan_implILNS1_25lookback_scan_determinismE0ELb0ELb0ES3_PKdPddZZZN2at6native31launch_logcumsumexp_cuda_kernelERKNSB_10TensorBaseESF_lENKUlvE_clEvENKUlvE_clEvEUlddE_dEEDaPvRmT3_T4_T5_mT6_P12ihipStream_tbENKUlT_T0_E_clISt17integral_constantIbLb1EESV_IbLb0EEEEDaSR_SS_EUlSR_E_NS1_11comp_targetILNS1_3genE5ELNS1_11target_archE942ELNS1_3gpuE9ELNS1_3repE0EEENS1_30default_config_static_selectorELNS0_4arch9wavefront6targetE0EEEvT1_.uses_vcc, 0
	.set _ZN7rocprim17ROCPRIM_400000_NS6detail17trampoline_kernelINS0_14default_configENS1_20scan_config_selectorIdEEZZNS1_9scan_implILNS1_25lookback_scan_determinismE0ELb0ELb0ES3_PKdPddZZZN2at6native31launch_logcumsumexp_cuda_kernelERKNSB_10TensorBaseESF_lENKUlvE_clEvENKUlvE_clEvEUlddE_dEEDaPvRmT3_T4_T5_mT6_P12ihipStream_tbENKUlT_T0_E_clISt17integral_constantIbLb1EESV_IbLb0EEEEDaSR_SS_EUlSR_E_NS1_11comp_targetILNS1_3genE5ELNS1_11target_archE942ELNS1_3gpuE9ELNS1_3repE0EEENS1_30default_config_static_selectorELNS0_4arch9wavefront6targetE0EEEvT1_.uses_flat_scratch, 0
	.set _ZN7rocprim17ROCPRIM_400000_NS6detail17trampoline_kernelINS0_14default_configENS1_20scan_config_selectorIdEEZZNS1_9scan_implILNS1_25lookback_scan_determinismE0ELb0ELb0ES3_PKdPddZZZN2at6native31launch_logcumsumexp_cuda_kernelERKNSB_10TensorBaseESF_lENKUlvE_clEvENKUlvE_clEvEUlddE_dEEDaPvRmT3_T4_T5_mT6_P12ihipStream_tbENKUlT_T0_E_clISt17integral_constantIbLb1EESV_IbLb0EEEEDaSR_SS_EUlSR_E_NS1_11comp_targetILNS1_3genE5ELNS1_11target_archE942ELNS1_3gpuE9ELNS1_3repE0EEENS1_30default_config_static_selectorELNS0_4arch9wavefront6targetE0EEEvT1_.has_dyn_sized_stack, 0
	.set _ZN7rocprim17ROCPRIM_400000_NS6detail17trampoline_kernelINS0_14default_configENS1_20scan_config_selectorIdEEZZNS1_9scan_implILNS1_25lookback_scan_determinismE0ELb0ELb0ES3_PKdPddZZZN2at6native31launch_logcumsumexp_cuda_kernelERKNSB_10TensorBaseESF_lENKUlvE_clEvENKUlvE_clEvEUlddE_dEEDaPvRmT3_T4_T5_mT6_P12ihipStream_tbENKUlT_T0_E_clISt17integral_constantIbLb1EESV_IbLb0EEEEDaSR_SS_EUlSR_E_NS1_11comp_targetILNS1_3genE5ELNS1_11target_archE942ELNS1_3gpuE9ELNS1_3repE0EEENS1_30default_config_static_selectorELNS0_4arch9wavefront6targetE0EEEvT1_.has_recursion, 0
	.set _ZN7rocprim17ROCPRIM_400000_NS6detail17trampoline_kernelINS0_14default_configENS1_20scan_config_selectorIdEEZZNS1_9scan_implILNS1_25lookback_scan_determinismE0ELb0ELb0ES3_PKdPddZZZN2at6native31launch_logcumsumexp_cuda_kernelERKNSB_10TensorBaseESF_lENKUlvE_clEvENKUlvE_clEvEUlddE_dEEDaPvRmT3_T4_T5_mT6_P12ihipStream_tbENKUlT_T0_E_clISt17integral_constantIbLb1EESV_IbLb0EEEEDaSR_SS_EUlSR_E_NS1_11comp_targetILNS1_3genE5ELNS1_11target_archE942ELNS1_3gpuE9ELNS1_3repE0EEENS1_30default_config_static_selectorELNS0_4arch9wavefront6targetE0EEEvT1_.has_indirect_call, 0
	.section	.AMDGPU.csdata,"",@progbits
; Kernel info:
; codeLenInByte = 0
; TotalNumSgprs: 0
; NumVgprs: 0
; ScratchSize: 0
; MemoryBound: 0
; FloatMode: 240
; IeeeMode: 1
; LDSByteSize: 0 bytes/workgroup (compile time only)
; SGPRBlocks: 0
; VGPRBlocks: 0
; NumSGPRsForWavesPerEU: 1
; NumVGPRsForWavesPerEU: 1
; Occupancy: 16
; WaveLimiterHint : 0
; COMPUTE_PGM_RSRC2:SCRATCH_EN: 0
; COMPUTE_PGM_RSRC2:USER_SGPR: 6
; COMPUTE_PGM_RSRC2:TRAP_HANDLER: 0
; COMPUTE_PGM_RSRC2:TGID_X_EN: 1
; COMPUTE_PGM_RSRC2:TGID_Y_EN: 0
; COMPUTE_PGM_RSRC2:TGID_Z_EN: 0
; COMPUTE_PGM_RSRC2:TIDIG_COMP_CNT: 0
	.section	.text._ZN7rocprim17ROCPRIM_400000_NS6detail17trampoline_kernelINS0_14default_configENS1_20scan_config_selectorIdEEZZNS1_9scan_implILNS1_25lookback_scan_determinismE0ELb0ELb0ES3_PKdPddZZZN2at6native31launch_logcumsumexp_cuda_kernelERKNSB_10TensorBaseESF_lENKUlvE_clEvENKUlvE_clEvEUlddE_dEEDaPvRmT3_T4_T5_mT6_P12ihipStream_tbENKUlT_T0_E_clISt17integral_constantIbLb1EESV_IbLb0EEEEDaSR_SS_EUlSR_E_NS1_11comp_targetILNS1_3genE4ELNS1_11target_archE910ELNS1_3gpuE8ELNS1_3repE0EEENS1_30default_config_static_selectorELNS0_4arch9wavefront6targetE0EEEvT1_,"axG",@progbits,_ZN7rocprim17ROCPRIM_400000_NS6detail17trampoline_kernelINS0_14default_configENS1_20scan_config_selectorIdEEZZNS1_9scan_implILNS1_25lookback_scan_determinismE0ELb0ELb0ES3_PKdPddZZZN2at6native31launch_logcumsumexp_cuda_kernelERKNSB_10TensorBaseESF_lENKUlvE_clEvENKUlvE_clEvEUlddE_dEEDaPvRmT3_T4_T5_mT6_P12ihipStream_tbENKUlT_T0_E_clISt17integral_constantIbLb1EESV_IbLb0EEEEDaSR_SS_EUlSR_E_NS1_11comp_targetILNS1_3genE4ELNS1_11target_archE910ELNS1_3gpuE8ELNS1_3repE0EEENS1_30default_config_static_selectorELNS0_4arch9wavefront6targetE0EEEvT1_,comdat
	.globl	_ZN7rocprim17ROCPRIM_400000_NS6detail17trampoline_kernelINS0_14default_configENS1_20scan_config_selectorIdEEZZNS1_9scan_implILNS1_25lookback_scan_determinismE0ELb0ELb0ES3_PKdPddZZZN2at6native31launch_logcumsumexp_cuda_kernelERKNSB_10TensorBaseESF_lENKUlvE_clEvENKUlvE_clEvEUlddE_dEEDaPvRmT3_T4_T5_mT6_P12ihipStream_tbENKUlT_T0_E_clISt17integral_constantIbLb1EESV_IbLb0EEEEDaSR_SS_EUlSR_E_NS1_11comp_targetILNS1_3genE4ELNS1_11target_archE910ELNS1_3gpuE8ELNS1_3repE0EEENS1_30default_config_static_selectorELNS0_4arch9wavefront6targetE0EEEvT1_ ; -- Begin function _ZN7rocprim17ROCPRIM_400000_NS6detail17trampoline_kernelINS0_14default_configENS1_20scan_config_selectorIdEEZZNS1_9scan_implILNS1_25lookback_scan_determinismE0ELb0ELb0ES3_PKdPddZZZN2at6native31launch_logcumsumexp_cuda_kernelERKNSB_10TensorBaseESF_lENKUlvE_clEvENKUlvE_clEvEUlddE_dEEDaPvRmT3_T4_T5_mT6_P12ihipStream_tbENKUlT_T0_E_clISt17integral_constantIbLb1EESV_IbLb0EEEEDaSR_SS_EUlSR_E_NS1_11comp_targetILNS1_3genE4ELNS1_11target_archE910ELNS1_3gpuE8ELNS1_3repE0EEENS1_30default_config_static_selectorELNS0_4arch9wavefront6targetE0EEEvT1_
	.p2align	8
	.type	_ZN7rocprim17ROCPRIM_400000_NS6detail17trampoline_kernelINS0_14default_configENS1_20scan_config_selectorIdEEZZNS1_9scan_implILNS1_25lookback_scan_determinismE0ELb0ELb0ES3_PKdPddZZZN2at6native31launch_logcumsumexp_cuda_kernelERKNSB_10TensorBaseESF_lENKUlvE_clEvENKUlvE_clEvEUlddE_dEEDaPvRmT3_T4_T5_mT6_P12ihipStream_tbENKUlT_T0_E_clISt17integral_constantIbLb1EESV_IbLb0EEEEDaSR_SS_EUlSR_E_NS1_11comp_targetILNS1_3genE4ELNS1_11target_archE910ELNS1_3gpuE8ELNS1_3repE0EEENS1_30default_config_static_selectorELNS0_4arch9wavefront6targetE0EEEvT1_,@function
_ZN7rocprim17ROCPRIM_400000_NS6detail17trampoline_kernelINS0_14default_configENS1_20scan_config_selectorIdEEZZNS1_9scan_implILNS1_25lookback_scan_determinismE0ELb0ELb0ES3_PKdPddZZZN2at6native31launch_logcumsumexp_cuda_kernelERKNSB_10TensorBaseESF_lENKUlvE_clEvENKUlvE_clEvEUlddE_dEEDaPvRmT3_T4_T5_mT6_P12ihipStream_tbENKUlT_T0_E_clISt17integral_constantIbLb1EESV_IbLb0EEEEDaSR_SS_EUlSR_E_NS1_11comp_targetILNS1_3genE4ELNS1_11target_archE910ELNS1_3gpuE8ELNS1_3repE0EEENS1_30default_config_static_selectorELNS0_4arch9wavefront6targetE0EEEvT1_: ; @_ZN7rocprim17ROCPRIM_400000_NS6detail17trampoline_kernelINS0_14default_configENS1_20scan_config_selectorIdEEZZNS1_9scan_implILNS1_25lookback_scan_determinismE0ELb0ELb0ES3_PKdPddZZZN2at6native31launch_logcumsumexp_cuda_kernelERKNSB_10TensorBaseESF_lENKUlvE_clEvENKUlvE_clEvEUlddE_dEEDaPvRmT3_T4_T5_mT6_P12ihipStream_tbENKUlT_T0_E_clISt17integral_constantIbLb1EESV_IbLb0EEEEDaSR_SS_EUlSR_E_NS1_11comp_targetILNS1_3genE4ELNS1_11target_archE910ELNS1_3gpuE8ELNS1_3repE0EEENS1_30default_config_static_selectorELNS0_4arch9wavefront6targetE0EEEvT1_
; %bb.0:
	.section	.rodata,"a",@progbits
	.p2align	6, 0x0
	.amdhsa_kernel _ZN7rocprim17ROCPRIM_400000_NS6detail17trampoline_kernelINS0_14default_configENS1_20scan_config_selectorIdEEZZNS1_9scan_implILNS1_25lookback_scan_determinismE0ELb0ELb0ES3_PKdPddZZZN2at6native31launch_logcumsumexp_cuda_kernelERKNSB_10TensorBaseESF_lENKUlvE_clEvENKUlvE_clEvEUlddE_dEEDaPvRmT3_T4_T5_mT6_P12ihipStream_tbENKUlT_T0_E_clISt17integral_constantIbLb1EESV_IbLb0EEEEDaSR_SS_EUlSR_E_NS1_11comp_targetILNS1_3genE4ELNS1_11target_archE910ELNS1_3gpuE8ELNS1_3repE0EEENS1_30default_config_static_selectorELNS0_4arch9wavefront6targetE0EEEvT1_
		.amdhsa_group_segment_fixed_size 0
		.amdhsa_private_segment_fixed_size 0
		.amdhsa_kernarg_size 104
		.amdhsa_user_sgpr_count 6
		.amdhsa_user_sgpr_private_segment_buffer 1
		.amdhsa_user_sgpr_dispatch_ptr 0
		.amdhsa_user_sgpr_queue_ptr 0
		.amdhsa_user_sgpr_kernarg_segment_ptr 1
		.amdhsa_user_sgpr_dispatch_id 0
		.amdhsa_user_sgpr_flat_scratch_init 0
		.amdhsa_user_sgpr_private_segment_size 0
		.amdhsa_wavefront_size32 1
		.amdhsa_uses_dynamic_stack 0
		.amdhsa_system_sgpr_private_segment_wavefront_offset 0
		.amdhsa_system_sgpr_workgroup_id_x 1
		.amdhsa_system_sgpr_workgroup_id_y 0
		.amdhsa_system_sgpr_workgroup_id_z 0
		.amdhsa_system_sgpr_workgroup_info 0
		.amdhsa_system_vgpr_workitem_id 0
		.amdhsa_next_free_vgpr 1
		.amdhsa_next_free_sgpr 1
		.amdhsa_reserve_vcc 0
		.amdhsa_reserve_flat_scratch 0
		.amdhsa_float_round_mode_32 0
		.amdhsa_float_round_mode_16_64 0
		.amdhsa_float_denorm_mode_32 3
		.amdhsa_float_denorm_mode_16_64 3
		.amdhsa_dx10_clamp 1
		.amdhsa_ieee_mode 1
		.amdhsa_fp16_overflow 0
		.amdhsa_workgroup_processor_mode 1
		.amdhsa_memory_ordered 1
		.amdhsa_forward_progress 1
		.amdhsa_shared_vgpr_count 0
		.amdhsa_exception_fp_ieee_invalid_op 0
		.amdhsa_exception_fp_denorm_src 0
		.amdhsa_exception_fp_ieee_div_zero 0
		.amdhsa_exception_fp_ieee_overflow 0
		.amdhsa_exception_fp_ieee_underflow 0
		.amdhsa_exception_fp_ieee_inexact 0
		.amdhsa_exception_int_div_zero 0
	.end_amdhsa_kernel
	.section	.text._ZN7rocprim17ROCPRIM_400000_NS6detail17trampoline_kernelINS0_14default_configENS1_20scan_config_selectorIdEEZZNS1_9scan_implILNS1_25lookback_scan_determinismE0ELb0ELb0ES3_PKdPddZZZN2at6native31launch_logcumsumexp_cuda_kernelERKNSB_10TensorBaseESF_lENKUlvE_clEvENKUlvE_clEvEUlddE_dEEDaPvRmT3_T4_T5_mT6_P12ihipStream_tbENKUlT_T0_E_clISt17integral_constantIbLb1EESV_IbLb0EEEEDaSR_SS_EUlSR_E_NS1_11comp_targetILNS1_3genE4ELNS1_11target_archE910ELNS1_3gpuE8ELNS1_3repE0EEENS1_30default_config_static_selectorELNS0_4arch9wavefront6targetE0EEEvT1_,"axG",@progbits,_ZN7rocprim17ROCPRIM_400000_NS6detail17trampoline_kernelINS0_14default_configENS1_20scan_config_selectorIdEEZZNS1_9scan_implILNS1_25lookback_scan_determinismE0ELb0ELb0ES3_PKdPddZZZN2at6native31launch_logcumsumexp_cuda_kernelERKNSB_10TensorBaseESF_lENKUlvE_clEvENKUlvE_clEvEUlddE_dEEDaPvRmT3_T4_T5_mT6_P12ihipStream_tbENKUlT_T0_E_clISt17integral_constantIbLb1EESV_IbLb0EEEEDaSR_SS_EUlSR_E_NS1_11comp_targetILNS1_3genE4ELNS1_11target_archE910ELNS1_3gpuE8ELNS1_3repE0EEENS1_30default_config_static_selectorELNS0_4arch9wavefront6targetE0EEEvT1_,comdat
.Lfunc_end49:
	.size	_ZN7rocprim17ROCPRIM_400000_NS6detail17trampoline_kernelINS0_14default_configENS1_20scan_config_selectorIdEEZZNS1_9scan_implILNS1_25lookback_scan_determinismE0ELb0ELb0ES3_PKdPddZZZN2at6native31launch_logcumsumexp_cuda_kernelERKNSB_10TensorBaseESF_lENKUlvE_clEvENKUlvE_clEvEUlddE_dEEDaPvRmT3_T4_T5_mT6_P12ihipStream_tbENKUlT_T0_E_clISt17integral_constantIbLb1EESV_IbLb0EEEEDaSR_SS_EUlSR_E_NS1_11comp_targetILNS1_3genE4ELNS1_11target_archE910ELNS1_3gpuE8ELNS1_3repE0EEENS1_30default_config_static_selectorELNS0_4arch9wavefront6targetE0EEEvT1_, .Lfunc_end49-_ZN7rocprim17ROCPRIM_400000_NS6detail17trampoline_kernelINS0_14default_configENS1_20scan_config_selectorIdEEZZNS1_9scan_implILNS1_25lookback_scan_determinismE0ELb0ELb0ES3_PKdPddZZZN2at6native31launch_logcumsumexp_cuda_kernelERKNSB_10TensorBaseESF_lENKUlvE_clEvENKUlvE_clEvEUlddE_dEEDaPvRmT3_T4_T5_mT6_P12ihipStream_tbENKUlT_T0_E_clISt17integral_constantIbLb1EESV_IbLb0EEEEDaSR_SS_EUlSR_E_NS1_11comp_targetILNS1_3genE4ELNS1_11target_archE910ELNS1_3gpuE8ELNS1_3repE0EEENS1_30default_config_static_selectorELNS0_4arch9wavefront6targetE0EEEvT1_
                                        ; -- End function
	.set _ZN7rocprim17ROCPRIM_400000_NS6detail17trampoline_kernelINS0_14default_configENS1_20scan_config_selectorIdEEZZNS1_9scan_implILNS1_25lookback_scan_determinismE0ELb0ELb0ES3_PKdPddZZZN2at6native31launch_logcumsumexp_cuda_kernelERKNSB_10TensorBaseESF_lENKUlvE_clEvENKUlvE_clEvEUlddE_dEEDaPvRmT3_T4_T5_mT6_P12ihipStream_tbENKUlT_T0_E_clISt17integral_constantIbLb1EESV_IbLb0EEEEDaSR_SS_EUlSR_E_NS1_11comp_targetILNS1_3genE4ELNS1_11target_archE910ELNS1_3gpuE8ELNS1_3repE0EEENS1_30default_config_static_selectorELNS0_4arch9wavefront6targetE0EEEvT1_.num_vgpr, 0
	.set _ZN7rocprim17ROCPRIM_400000_NS6detail17trampoline_kernelINS0_14default_configENS1_20scan_config_selectorIdEEZZNS1_9scan_implILNS1_25lookback_scan_determinismE0ELb0ELb0ES3_PKdPddZZZN2at6native31launch_logcumsumexp_cuda_kernelERKNSB_10TensorBaseESF_lENKUlvE_clEvENKUlvE_clEvEUlddE_dEEDaPvRmT3_T4_T5_mT6_P12ihipStream_tbENKUlT_T0_E_clISt17integral_constantIbLb1EESV_IbLb0EEEEDaSR_SS_EUlSR_E_NS1_11comp_targetILNS1_3genE4ELNS1_11target_archE910ELNS1_3gpuE8ELNS1_3repE0EEENS1_30default_config_static_selectorELNS0_4arch9wavefront6targetE0EEEvT1_.num_agpr, 0
	.set _ZN7rocprim17ROCPRIM_400000_NS6detail17trampoline_kernelINS0_14default_configENS1_20scan_config_selectorIdEEZZNS1_9scan_implILNS1_25lookback_scan_determinismE0ELb0ELb0ES3_PKdPddZZZN2at6native31launch_logcumsumexp_cuda_kernelERKNSB_10TensorBaseESF_lENKUlvE_clEvENKUlvE_clEvEUlddE_dEEDaPvRmT3_T4_T5_mT6_P12ihipStream_tbENKUlT_T0_E_clISt17integral_constantIbLb1EESV_IbLb0EEEEDaSR_SS_EUlSR_E_NS1_11comp_targetILNS1_3genE4ELNS1_11target_archE910ELNS1_3gpuE8ELNS1_3repE0EEENS1_30default_config_static_selectorELNS0_4arch9wavefront6targetE0EEEvT1_.numbered_sgpr, 0
	.set _ZN7rocprim17ROCPRIM_400000_NS6detail17trampoline_kernelINS0_14default_configENS1_20scan_config_selectorIdEEZZNS1_9scan_implILNS1_25lookback_scan_determinismE0ELb0ELb0ES3_PKdPddZZZN2at6native31launch_logcumsumexp_cuda_kernelERKNSB_10TensorBaseESF_lENKUlvE_clEvENKUlvE_clEvEUlddE_dEEDaPvRmT3_T4_T5_mT6_P12ihipStream_tbENKUlT_T0_E_clISt17integral_constantIbLb1EESV_IbLb0EEEEDaSR_SS_EUlSR_E_NS1_11comp_targetILNS1_3genE4ELNS1_11target_archE910ELNS1_3gpuE8ELNS1_3repE0EEENS1_30default_config_static_selectorELNS0_4arch9wavefront6targetE0EEEvT1_.num_named_barrier, 0
	.set _ZN7rocprim17ROCPRIM_400000_NS6detail17trampoline_kernelINS0_14default_configENS1_20scan_config_selectorIdEEZZNS1_9scan_implILNS1_25lookback_scan_determinismE0ELb0ELb0ES3_PKdPddZZZN2at6native31launch_logcumsumexp_cuda_kernelERKNSB_10TensorBaseESF_lENKUlvE_clEvENKUlvE_clEvEUlddE_dEEDaPvRmT3_T4_T5_mT6_P12ihipStream_tbENKUlT_T0_E_clISt17integral_constantIbLb1EESV_IbLb0EEEEDaSR_SS_EUlSR_E_NS1_11comp_targetILNS1_3genE4ELNS1_11target_archE910ELNS1_3gpuE8ELNS1_3repE0EEENS1_30default_config_static_selectorELNS0_4arch9wavefront6targetE0EEEvT1_.private_seg_size, 0
	.set _ZN7rocprim17ROCPRIM_400000_NS6detail17trampoline_kernelINS0_14default_configENS1_20scan_config_selectorIdEEZZNS1_9scan_implILNS1_25lookback_scan_determinismE0ELb0ELb0ES3_PKdPddZZZN2at6native31launch_logcumsumexp_cuda_kernelERKNSB_10TensorBaseESF_lENKUlvE_clEvENKUlvE_clEvEUlddE_dEEDaPvRmT3_T4_T5_mT6_P12ihipStream_tbENKUlT_T0_E_clISt17integral_constantIbLb1EESV_IbLb0EEEEDaSR_SS_EUlSR_E_NS1_11comp_targetILNS1_3genE4ELNS1_11target_archE910ELNS1_3gpuE8ELNS1_3repE0EEENS1_30default_config_static_selectorELNS0_4arch9wavefront6targetE0EEEvT1_.uses_vcc, 0
	.set _ZN7rocprim17ROCPRIM_400000_NS6detail17trampoline_kernelINS0_14default_configENS1_20scan_config_selectorIdEEZZNS1_9scan_implILNS1_25lookback_scan_determinismE0ELb0ELb0ES3_PKdPddZZZN2at6native31launch_logcumsumexp_cuda_kernelERKNSB_10TensorBaseESF_lENKUlvE_clEvENKUlvE_clEvEUlddE_dEEDaPvRmT3_T4_T5_mT6_P12ihipStream_tbENKUlT_T0_E_clISt17integral_constantIbLb1EESV_IbLb0EEEEDaSR_SS_EUlSR_E_NS1_11comp_targetILNS1_3genE4ELNS1_11target_archE910ELNS1_3gpuE8ELNS1_3repE0EEENS1_30default_config_static_selectorELNS0_4arch9wavefront6targetE0EEEvT1_.uses_flat_scratch, 0
	.set _ZN7rocprim17ROCPRIM_400000_NS6detail17trampoline_kernelINS0_14default_configENS1_20scan_config_selectorIdEEZZNS1_9scan_implILNS1_25lookback_scan_determinismE0ELb0ELb0ES3_PKdPddZZZN2at6native31launch_logcumsumexp_cuda_kernelERKNSB_10TensorBaseESF_lENKUlvE_clEvENKUlvE_clEvEUlddE_dEEDaPvRmT3_T4_T5_mT6_P12ihipStream_tbENKUlT_T0_E_clISt17integral_constantIbLb1EESV_IbLb0EEEEDaSR_SS_EUlSR_E_NS1_11comp_targetILNS1_3genE4ELNS1_11target_archE910ELNS1_3gpuE8ELNS1_3repE0EEENS1_30default_config_static_selectorELNS0_4arch9wavefront6targetE0EEEvT1_.has_dyn_sized_stack, 0
	.set _ZN7rocprim17ROCPRIM_400000_NS6detail17trampoline_kernelINS0_14default_configENS1_20scan_config_selectorIdEEZZNS1_9scan_implILNS1_25lookback_scan_determinismE0ELb0ELb0ES3_PKdPddZZZN2at6native31launch_logcumsumexp_cuda_kernelERKNSB_10TensorBaseESF_lENKUlvE_clEvENKUlvE_clEvEUlddE_dEEDaPvRmT3_T4_T5_mT6_P12ihipStream_tbENKUlT_T0_E_clISt17integral_constantIbLb1EESV_IbLb0EEEEDaSR_SS_EUlSR_E_NS1_11comp_targetILNS1_3genE4ELNS1_11target_archE910ELNS1_3gpuE8ELNS1_3repE0EEENS1_30default_config_static_selectorELNS0_4arch9wavefront6targetE0EEEvT1_.has_recursion, 0
	.set _ZN7rocprim17ROCPRIM_400000_NS6detail17trampoline_kernelINS0_14default_configENS1_20scan_config_selectorIdEEZZNS1_9scan_implILNS1_25lookback_scan_determinismE0ELb0ELb0ES3_PKdPddZZZN2at6native31launch_logcumsumexp_cuda_kernelERKNSB_10TensorBaseESF_lENKUlvE_clEvENKUlvE_clEvEUlddE_dEEDaPvRmT3_T4_T5_mT6_P12ihipStream_tbENKUlT_T0_E_clISt17integral_constantIbLb1EESV_IbLb0EEEEDaSR_SS_EUlSR_E_NS1_11comp_targetILNS1_3genE4ELNS1_11target_archE910ELNS1_3gpuE8ELNS1_3repE0EEENS1_30default_config_static_selectorELNS0_4arch9wavefront6targetE0EEEvT1_.has_indirect_call, 0
	.section	.AMDGPU.csdata,"",@progbits
; Kernel info:
; codeLenInByte = 0
; TotalNumSgprs: 0
; NumVgprs: 0
; ScratchSize: 0
; MemoryBound: 0
; FloatMode: 240
; IeeeMode: 1
; LDSByteSize: 0 bytes/workgroup (compile time only)
; SGPRBlocks: 0
; VGPRBlocks: 0
; NumSGPRsForWavesPerEU: 1
; NumVGPRsForWavesPerEU: 1
; Occupancy: 16
; WaveLimiterHint : 0
; COMPUTE_PGM_RSRC2:SCRATCH_EN: 0
; COMPUTE_PGM_RSRC2:USER_SGPR: 6
; COMPUTE_PGM_RSRC2:TRAP_HANDLER: 0
; COMPUTE_PGM_RSRC2:TGID_X_EN: 1
; COMPUTE_PGM_RSRC2:TGID_Y_EN: 0
; COMPUTE_PGM_RSRC2:TGID_Z_EN: 0
; COMPUTE_PGM_RSRC2:TIDIG_COMP_CNT: 0
	.section	.text._ZN7rocprim17ROCPRIM_400000_NS6detail17trampoline_kernelINS0_14default_configENS1_20scan_config_selectorIdEEZZNS1_9scan_implILNS1_25lookback_scan_determinismE0ELb0ELb0ES3_PKdPddZZZN2at6native31launch_logcumsumexp_cuda_kernelERKNSB_10TensorBaseESF_lENKUlvE_clEvENKUlvE_clEvEUlddE_dEEDaPvRmT3_T4_T5_mT6_P12ihipStream_tbENKUlT_T0_E_clISt17integral_constantIbLb1EESV_IbLb0EEEEDaSR_SS_EUlSR_E_NS1_11comp_targetILNS1_3genE3ELNS1_11target_archE908ELNS1_3gpuE7ELNS1_3repE0EEENS1_30default_config_static_selectorELNS0_4arch9wavefront6targetE0EEEvT1_,"axG",@progbits,_ZN7rocprim17ROCPRIM_400000_NS6detail17trampoline_kernelINS0_14default_configENS1_20scan_config_selectorIdEEZZNS1_9scan_implILNS1_25lookback_scan_determinismE0ELb0ELb0ES3_PKdPddZZZN2at6native31launch_logcumsumexp_cuda_kernelERKNSB_10TensorBaseESF_lENKUlvE_clEvENKUlvE_clEvEUlddE_dEEDaPvRmT3_T4_T5_mT6_P12ihipStream_tbENKUlT_T0_E_clISt17integral_constantIbLb1EESV_IbLb0EEEEDaSR_SS_EUlSR_E_NS1_11comp_targetILNS1_3genE3ELNS1_11target_archE908ELNS1_3gpuE7ELNS1_3repE0EEENS1_30default_config_static_selectorELNS0_4arch9wavefront6targetE0EEEvT1_,comdat
	.globl	_ZN7rocprim17ROCPRIM_400000_NS6detail17trampoline_kernelINS0_14default_configENS1_20scan_config_selectorIdEEZZNS1_9scan_implILNS1_25lookback_scan_determinismE0ELb0ELb0ES3_PKdPddZZZN2at6native31launch_logcumsumexp_cuda_kernelERKNSB_10TensorBaseESF_lENKUlvE_clEvENKUlvE_clEvEUlddE_dEEDaPvRmT3_T4_T5_mT6_P12ihipStream_tbENKUlT_T0_E_clISt17integral_constantIbLb1EESV_IbLb0EEEEDaSR_SS_EUlSR_E_NS1_11comp_targetILNS1_3genE3ELNS1_11target_archE908ELNS1_3gpuE7ELNS1_3repE0EEENS1_30default_config_static_selectorELNS0_4arch9wavefront6targetE0EEEvT1_ ; -- Begin function _ZN7rocprim17ROCPRIM_400000_NS6detail17trampoline_kernelINS0_14default_configENS1_20scan_config_selectorIdEEZZNS1_9scan_implILNS1_25lookback_scan_determinismE0ELb0ELb0ES3_PKdPddZZZN2at6native31launch_logcumsumexp_cuda_kernelERKNSB_10TensorBaseESF_lENKUlvE_clEvENKUlvE_clEvEUlddE_dEEDaPvRmT3_T4_T5_mT6_P12ihipStream_tbENKUlT_T0_E_clISt17integral_constantIbLb1EESV_IbLb0EEEEDaSR_SS_EUlSR_E_NS1_11comp_targetILNS1_3genE3ELNS1_11target_archE908ELNS1_3gpuE7ELNS1_3repE0EEENS1_30default_config_static_selectorELNS0_4arch9wavefront6targetE0EEEvT1_
	.p2align	8
	.type	_ZN7rocprim17ROCPRIM_400000_NS6detail17trampoline_kernelINS0_14default_configENS1_20scan_config_selectorIdEEZZNS1_9scan_implILNS1_25lookback_scan_determinismE0ELb0ELb0ES3_PKdPddZZZN2at6native31launch_logcumsumexp_cuda_kernelERKNSB_10TensorBaseESF_lENKUlvE_clEvENKUlvE_clEvEUlddE_dEEDaPvRmT3_T4_T5_mT6_P12ihipStream_tbENKUlT_T0_E_clISt17integral_constantIbLb1EESV_IbLb0EEEEDaSR_SS_EUlSR_E_NS1_11comp_targetILNS1_3genE3ELNS1_11target_archE908ELNS1_3gpuE7ELNS1_3repE0EEENS1_30default_config_static_selectorELNS0_4arch9wavefront6targetE0EEEvT1_,@function
_ZN7rocprim17ROCPRIM_400000_NS6detail17trampoline_kernelINS0_14default_configENS1_20scan_config_selectorIdEEZZNS1_9scan_implILNS1_25lookback_scan_determinismE0ELb0ELb0ES3_PKdPddZZZN2at6native31launch_logcumsumexp_cuda_kernelERKNSB_10TensorBaseESF_lENKUlvE_clEvENKUlvE_clEvEUlddE_dEEDaPvRmT3_T4_T5_mT6_P12ihipStream_tbENKUlT_T0_E_clISt17integral_constantIbLb1EESV_IbLb0EEEEDaSR_SS_EUlSR_E_NS1_11comp_targetILNS1_3genE3ELNS1_11target_archE908ELNS1_3gpuE7ELNS1_3repE0EEENS1_30default_config_static_selectorELNS0_4arch9wavefront6targetE0EEEvT1_: ; @_ZN7rocprim17ROCPRIM_400000_NS6detail17trampoline_kernelINS0_14default_configENS1_20scan_config_selectorIdEEZZNS1_9scan_implILNS1_25lookback_scan_determinismE0ELb0ELb0ES3_PKdPddZZZN2at6native31launch_logcumsumexp_cuda_kernelERKNSB_10TensorBaseESF_lENKUlvE_clEvENKUlvE_clEvEUlddE_dEEDaPvRmT3_T4_T5_mT6_P12ihipStream_tbENKUlT_T0_E_clISt17integral_constantIbLb1EESV_IbLb0EEEEDaSR_SS_EUlSR_E_NS1_11comp_targetILNS1_3genE3ELNS1_11target_archE908ELNS1_3gpuE7ELNS1_3repE0EEENS1_30default_config_static_selectorELNS0_4arch9wavefront6targetE0EEEvT1_
; %bb.0:
	.section	.rodata,"a",@progbits
	.p2align	6, 0x0
	.amdhsa_kernel _ZN7rocprim17ROCPRIM_400000_NS6detail17trampoline_kernelINS0_14default_configENS1_20scan_config_selectorIdEEZZNS1_9scan_implILNS1_25lookback_scan_determinismE0ELb0ELb0ES3_PKdPddZZZN2at6native31launch_logcumsumexp_cuda_kernelERKNSB_10TensorBaseESF_lENKUlvE_clEvENKUlvE_clEvEUlddE_dEEDaPvRmT3_T4_T5_mT6_P12ihipStream_tbENKUlT_T0_E_clISt17integral_constantIbLb1EESV_IbLb0EEEEDaSR_SS_EUlSR_E_NS1_11comp_targetILNS1_3genE3ELNS1_11target_archE908ELNS1_3gpuE7ELNS1_3repE0EEENS1_30default_config_static_selectorELNS0_4arch9wavefront6targetE0EEEvT1_
		.amdhsa_group_segment_fixed_size 0
		.amdhsa_private_segment_fixed_size 0
		.amdhsa_kernarg_size 104
		.amdhsa_user_sgpr_count 6
		.amdhsa_user_sgpr_private_segment_buffer 1
		.amdhsa_user_sgpr_dispatch_ptr 0
		.amdhsa_user_sgpr_queue_ptr 0
		.amdhsa_user_sgpr_kernarg_segment_ptr 1
		.amdhsa_user_sgpr_dispatch_id 0
		.amdhsa_user_sgpr_flat_scratch_init 0
		.amdhsa_user_sgpr_private_segment_size 0
		.amdhsa_wavefront_size32 1
		.amdhsa_uses_dynamic_stack 0
		.amdhsa_system_sgpr_private_segment_wavefront_offset 0
		.amdhsa_system_sgpr_workgroup_id_x 1
		.amdhsa_system_sgpr_workgroup_id_y 0
		.amdhsa_system_sgpr_workgroup_id_z 0
		.amdhsa_system_sgpr_workgroup_info 0
		.amdhsa_system_vgpr_workitem_id 0
		.amdhsa_next_free_vgpr 1
		.amdhsa_next_free_sgpr 1
		.amdhsa_reserve_vcc 0
		.amdhsa_reserve_flat_scratch 0
		.amdhsa_float_round_mode_32 0
		.amdhsa_float_round_mode_16_64 0
		.amdhsa_float_denorm_mode_32 3
		.amdhsa_float_denorm_mode_16_64 3
		.amdhsa_dx10_clamp 1
		.amdhsa_ieee_mode 1
		.amdhsa_fp16_overflow 0
		.amdhsa_workgroup_processor_mode 1
		.amdhsa_memory_ordered 1
		.amdhsa_forward_progress 1
		.amdhsa_shared_vgpr_count 0
		.amdhsa_exception_fp_ieee_invalid_op 0
		.amdhsa_exception_fp_denorm_src 0
		.amdhsa_exception_fp_ieee_div_zero 0
		.amdhsa_exception_fp_ieee_overflow 0
		.amdhsa_exception_fp_ieee_underflow 0
		.amdhsa_exception_fp_ieee_inexact 0
		.amdhsa_exception_int_div_zero 0
	.end_amdhsa_kernel
	.section	.text._ZN7rocprim17ROCPRIM_400000_NS6detail17trampoline_kernelINS0_14default_configENS1_20scan_config_selectorIdEEZZNS1_9scan_implILNS1_25lookback_scan_determinismE0ELb0ELb0ES3_PKdPddZZZN2at6native31launch_logcumsumexp_cuda_kernelERKNSB_10TensorBaseESF_lENKUlvE_clEvENKUlvE_clEvEUlddE_dEEDaPvRmT3_T4_T5_mT6_P12ihipStream_tbENKUlT_T0_E_clISt17integral_constantIbLb1EESV_IbLb0EEEEDaSR_SS_EUlSR_E_NS1_11comp_targetILNS1_3genE3ELNS1_11target_archE908ELNS1_3gpuE7ELNS1_3repE0EEENS1_30default_config_static_selectorELNS0_4arch9wavefront6targetE0EEEvT1_,"axG",@progbits,_ZN7rocprim17ROCPRIM_400000_NS6detail17trampoline_kernelINS0_14default_configENS1_20scan_config_selectorIdEEZZNS1_9scan_implILNS1_25lookback_scan_determinismE0ELb0ELb0ES3_PKdPddZZZN2at6native31launch_logcumsumexp_cuda_kernelERKNSB_10TensorBaseESF_lENKUlvE_clEvENKUlvE_clEvEUlddE_dEEDaPvRmT3_T4_T5_mT6_P12ihipStream_tbENKUlT_T0_E_clISt17integral_constantIbLb1EESV_IbLb0EEEEDaSR_SS_EUlSR_E_NS1_11comp_targetILNS1_3genE3ELNS1_11target_archE908ELNS1_3gpuE7ELNS1_3repE0EEENS1_30default_config_static_selectorELNS0_4arch9wavefront6targetE0EEEvT1_,comdat
.Lfunc_end50:
	.size	_ZN7rocprim17ROCPRIM_400000_NS6detail17trampoline_kernelINS0_14default_configENS1_20scan_config_selectorIdEEZZNS1_9scan_implILNS1_25lookback_scan_determinismE0ELb0ELb0ES3_PKdPddZZZN2at6native31launch_logcumsumexp_cuda_kernelERKNSB_10TensorBaseESF_lENKUlvE_clEvENKUlvE_clEvEUlddE_dEEDaPvRmT3_T4_T5_mT6_P12ihipStream_tbENKUlT_T0_E_clISt17integral_constantIbLb1EESV_IbLb0EEEEDaSR_SS_EUlSR_E_NS1_11comp_targetILNS1_3genE3ELNS1_11target_archE908ELNS1_3gpuE7ELNS1_3repE0EEENS1_30default_config_static_selectorELNS0_4arch9wavefront6targetE0EEEvT1_, .Lfunc_end50-_ZN7rocprim17ROCPRIM_400000_NS6detail17trampoline_kernelINS0_14default_configENS1_20scan_config_selectorIdEEZZNS1_9scan_implILNS1_25lookback_scan_determinismE0ELb0ELb0ES3_PKdPddZZZN2at6native31launch_logcumsumexp_cuda_kernelERKNSB_10TensorBaseESF_lENKUlvE_clEvENKUlvE_clEvEUlddE_dEEDaPvRmT3_T4_T5_mT6_P12ihipStream_tbENKUlT_T0_E_clISt17integral_constantIbLb1EESV_IbLb0EEEEDaSR_SS_EUlSR_E_NS1_11comp_targetILNS1_3genE3ELNS1_11target_archE908ELNS1_3gpuE7ELNS1_3repE0EEENS1_30default_config_static_selectorELNS0_4arch9wavefront6targetE0EEEvT1_
                                        ; -- End function
	.set _ZN7rocprim17ROCPRIM_400000_NS6detail17trampoline_kernelINS0_14default_configENS1_20scan_config_selectorIdEEZZNS1_9scan_implILNS1_25lookback_scan_determinismE0ELb0ELb0ES3_PKdPddZZZN2at6native31launch_logcumsumexp_cuda_kernelERKNSB_10TensorBaseESF_lENKUlvE_clEvENKUlvE_clEvEUlddE_dEEDaPvRmT3_T4_T5_mT6_P12ihipStream_tbENKUlT_T0_E_clISt17integral_constantIbLb1EESV_IbLb0EEEEDaSR_SS_EUlSR_E_NS1_11comp_targetILNS1_3genE3ELNS1_11target_archE908ELNS1_3gpuE7ELNS1_3repE0EEENS1_30default_config_static_selectorELNS0_4arch9wavefront6targetE0EEEvT1_.num_vgpr, 0
	.set _ZN7rocprim17ROCPRIM_400000_NS6detail17trampoline_kernelINS0_14default_configENS1_20scan_config_selectorIdEEZZNS1_9scan_implILNS1_25lookback_scan_determinismE0ELb0ELb0ES3_PKdPddZZZN2at6native31launch_logcumsumexp_cuda_kernelERKNSB_10TensorBaseESF_lENKUlvE_clEvENKUlvE_clEvEUlddE_dEEDaPvRmT3_T4_T5_mT6_P12ihipStream_tbENKUlT_T0_E_clISt17integral_constantIbLb1EESV_IbLb0EEEEDaSR_SS_EUlSR_E_NS1_11comp_targetILNS1_3genE3ELNS1_11target_archE908ELNS1_3gpuE7ELNS1_3repE0EEENS1_30default_config_static_selectorELNS0_4arch9wavefront6targetE0EEEvT1_.num_agpr, 0
	.set _ZN7rocprim17ROCPRIM_400000_NS6detail17trampoline_kernelINS0_14default_configENS1_20scan_config_selectorIdEEZZNS1_9scan_implILNS1_25lookback_scan_determinismE0ELb0ELb0ES3_PKdPddZZZN2at6native31launch_logcumsumexp_cuda_kernelERKNSB_10TensorBaseESF_lENKUlvE_clEvENKUlvE_clEvEUlddE_dEEDaPvRmT3_T4_T5_mT6_P12ihipStream_tbENKUlT_T0_E_clISt17integral_constantIbLb1EESV_IbLb0EEEEDaSR_SS_EUlSR_E_NS1_11comp_targetILNS1_3genE3ELNS1_11target_archE908ELNS1_3gpuE7ELNS1_3repE0EEENS1_30default_config_static_selectorELNS0_4arch9wavefront6targetE0EEEvT1_.numbered_sgpr, 0
	.set _ZN7rocprim17ROCPRIM_400000_NS6detail17trampoline_kernelINS0_14default_configENS1_20scan_config_selectorIdEEZZNS1_9scan_implILNS1_25lookback_scan_determinismE0ELb0ELb0ES3_PKdPddZZZN2at6native31launch_logcumsumexp_cuda_kernelERKNSB_10TensorBaseESF_lENKUlvE_clEvENKUlvE_clEvEUlddE_dEEDaPvRmT3_T4_T5_mT6_P12ihipStream_tbENKUlT_T0_E_clISt17integral_constantIbLb1EESV_IbLb0EEEEDaSR_SS_EUlSR_E_NS1_11comp_targetILNS1_3genE3ELNS1_11target_archE908ELNS1_3gpuE7ELNS1_3repE0EEENS1_30default_config_static_selectorELNS0_4arch9wavefront6targetE0EEEvT1_.num_named_barrier, 0
	.set _ZN7rocprim17ROCPRIM_400000_NS6detail17trampoline_kernelINS0_14default_configENS1_20scan_config_selectorIdEEZZNS1_9scan_implILNS1_25lookback_scan_determinismE0ELb0ELb0ES3_PKdPddZZZN2at6native31launch_logcumsumexp_cuda_kernelERKNSB_10TensorBaseESF_lENKUlvE_clEvENKUlvE_clEvEUlddE_dEEDaPvRmT3_T4_T5_mT6_P12ihipStream_tbENKUlT_T0_E_clISt17integral_constantIbLb1EESV_IbLb0EEEEDaSR_SS_EUlSR_E_NS1_11comp_targetILNS1_3genE3ELNS1_11target_archE908ELNS1_3gpuE7ELNS1_3repE0EEENS1_30default_config_static_selectorELNS0_4arch9wavefront6targetE0EEEvT1_.private_seg_size, 0
	.set _ZN7rocprim17ROCPRIM_400000_NS6detail17trampoline_kernelINS0_14default_configENS1_20scan_config_selectorIdEEZZNS1_9scan_implILNS1_25lookback_scan_determinismE0ELb0ELb0ES3_PKdPddZZZN2at6native31launch_logcumsumexp_cuda_kernelERKNSB_10TensorBaseESF_lENKUlvE_clEvENKUlvE_clEvEUlddE_dEEDaPvRmT3_T4_T5_mT6_P12ihipStream_tbENKUlT_T0_E_clISt17integral_constantIbLb1EESV_IbLb0EEEEDaSR_SS_EUlSR_E_NS1_11comp_targetILNS1_3genE3ELNS1_11target_archE908ELNS1_3gpuE7ELNS1_3repE0EEENS1_30default_config_static_selectorELNS0_4arch9wavefront6targetE0EEEvT1_.uses_vcc, 0
	.set _ZN7rocprim17ROCPRIM_400000_NS6detail17trampoline_kernelINS0_14default_configENS1_20scan_config_selectorIdEEZZNS1_9scan_implILNS1_25lookback_scan_determinismE0ELb0ELb0ES3_PKdPddZZZN2at6native31launch_logcumsumexp_cuda_kernelERKNSB_10TensorBaseESF_lENKUlvE_clEvENKUlvE_clEvEUlddE_dEEDaPvRmT3_T4_T5_mT6_P12ihipStream_tbENKUlT_T0_E_clISt17integral_constantIbLb1EESV_IbLb0EEEEDaSR_SS_EUlSR_E_NS1_11comp_targetILNS1_3genE3ELNS1_11target_archE908ELNS1_3gpuE7ELNS1_3repE0EEENS1_30default_config_static_selectorELNS0_4arch9wavefront6targetE0EEEvT1_.uses_flat_scratch, 0
	.set _ZN7rocprim17ROCPRIM_400000_NS6detail17trampoline_kernelINS0_14default_configENS1_20scan_config_selectorIdEEZZNS1_9scan_implILNS1_25lookback_scan_determinismE0ELb0ELb0ES3_PKdPddZZZN2at6native31launch_logcumsumexp_cuda_kernelERKNSB_10TensorBaseESF_lENKUlvE_clEvENKUlvE_clEvEUlddE_dEEDaPvRmT3_T4_T5_mT6_P12ihipStream_tbENKUlT_T0_E_clISt17integral_constantIbLb1EESV_IbLb0EEEEDaSR_SS_EUlSR_E_NS1_11comp_targetILNS1_3genE3ELNS1_11target_archE908ELNS1_3gpuE7ELNS1_3repE0EEENS1_30default_config_static_selectorELNS0_4arch9wavefront6targetE0EEEvT1_.has_dyn_sized_stack, 0
	.set _ZN7rocprim17ROCPRIM_400000_NS6detail17trampoline_kernelINS0_14default_configENS1_20scan_config_selectorIdEEZZNS1_9scan_implILNS1_25lookback_scan_determinismE0ELb0ELb0ES3_PKdPddZZZN2at6native31launch_logcumsumexp_cuda_kernelERKNSB_10TensorBaseESF_lENKUlvE_clEvENKUlvE_clEvEUlddE_dEEDaPvRmT3_T4_T5_mT6_P12ihipStream_tbENKUlT_T0_E_clISt17integral_constantIbLb1EESV_IbLb0EEEEDaSR_SS_EUlSR_E_NS1_11comp_targetILNS1_3genE3ELNS1_11target_archE908ELNS1_3gpuE7ELNS1_3repE0EEENS1_30default_config_static_selectorELNS0_4arch9wavefront6targetE0EEEvT1_.has_recursion, 0
	.set _ZN7rocprim17ROCPRIM_400000_NS6detail17trampoline_kernelINS0_14default_configENS1_20scan_config_selectorIdEEZZNS1_9scan_implILNS1_25lookback_scan_determinismE0ELb0ELb0ES3_PKdPddZZZN2at6native31launch_logcumsumexp_cuda_kernelERKNSB_10TensorBaseESF_lENKUlvE_clEvENKUlvE_clEvEUlddE_dEEDaPvRmT3_T4_T5_mT6_P12ihipStream_tbENKUlT_T0_E_clISt17integral_constantIbLb1EESV_IbLb0EEEEDaSR_SS_EUlSR_E_NS1_11comp_targetILNS1_3genE3ELNS1_11target_archE908ELNS1_3gpuE7ELNS1_3repE0EEENS1_30default_config_static_selectorELNS0_4arch9wavefront6targetE0EEEvT1_.has_indirect_call, 0
	.section	.AMDGPU.csdata,"",@progbits
; Kernel info:
; codeLenInByte = 0
; TotalNumSgprs: 0
; NumVgprs: 0
; ScratchSize: 0
; MemoryBound: 0
; FloatMode: 240
; IeeeMode: 1
; LDSByteSize: 0 bytes/workgroup (compile time only)
; SGPRBlocks: 0
; VGPRBlocks: 0
; NumSGPRsForWavesPerEU: 1
; NumVGPRsForWavesPerEU: 1
; Occupancy: 16
; WaveLimiterHint : 0
; COMPUTE_PGM_RSRC2:SCRATCH_EN: 0
; COMPUTE_PGM_RSRC2:USER_SGPR: 6
; COMPUTE_PGM_RSRC2:TRAP_HANDLER: 0
; COMPUTE_PGM_RSRC2:TGID_X_EN: 1
; COMPUTE_PGM_RSRC2:TGID_Y_EN: 0
; COMPUTE_PGM_RSRC2:TGID_Z_EN: 0
; COMPUTE_PGM_RSRC2:TIDIG_COMP_CNT: 0
	.section	.text._ZN7rocprim17ROCPRIM_400000_NS6detail17trampoline_kernelINS0_14default_configENS1_20scan_config_selectorIdEEZZNS1_9scan_implILNS1_25lookback_scan_determinismE0ELb0ELb0ES3_PKdPddZZZN2at6native31launch_logcumsumexp_cuda_kernelERKNSB_10TensorBaseESF_lENKUlvE_clEvENKUlvE_clEvEUlddE_dEEDaPvRmT3_T4_T5_mT6_P12ihipStream_tbENKUlT_T0_E_clISt17integral_constantIbLb1EESV_IbLb0EEEEDaSR_SS_EUlSR_E_NS1_11comp_targetILNS1_3genE2ELNS1_11target_archE906ELNS1_3gpuE6ELNS1_3repE0EEENS1_30default_config_static_selectorELNS0_4arch9wavefront6targetE0EEEvT1_,"axG",@progbits,_ZN7rocprim17ROCPRIM_400000_NS6detail17trampoline_kernelINS0_14default_configENS1_20scan_config_selectorIdEEZZNS1_9scan_implILNS1_25lookback_scan_determinismE0ELb0ELb0ES3_PKdPddZZZN2at6native31launch_logcumsumexp_cuda_kernelERKNSB_10TensorBaseESF_lENKUlvE_clEvENKUlvE_clEvEUlddE_dEEDaPvRmT3_T4_T5_mT6_P12ihipStream_tbENKUlT_T0_E_clISt17integral_constantIbLb1EESV_IbLb0EEEEDaSR_SS_EUlSR_E_NS1_11comp_targetILNS1_3genE2ELNS1_11target_archE906ELNS1_3gpuE6ELNS1_3repE0EEENS1_30default_config_static_selectorELNS0_4arch9wavefront6targetE0EEEvT1_,comdat
	.globl	_ZN7rocprim17ROCPRIM_400000_NS6detail17trampoline_kernelINS0_14default_configENS1_20scan_config_selectorIdEEZZNS1_9scan_implILNS1_25lookback_scan_determinismE0ELb0ELb0ES3_PKdPddZZZN2at6native31launch_logcumsumexp_cuda_kernelERKNSB_10TensorBaseESF_lENKUlvE_clEvENKUlvE_clEvEUlddE_dEEDaPvRmT3_T4_T5_mT6_P12ihipStream_tbENKUlT_T0_E_clISt17integral_constantIbLb1EESV_IbLb0EEEEDaSR_SS_EUlSR_E_NS1_11comp_targetILNS1_3genE2ELNS1_11target_archE906ELNS1_3gpuE6ELNS1_3repE0EEENS1_30default_config_static_selectorELNS0_4arch9wavefront6targetE0EEEvT1_ ; -- Begin function _ZN7rocprim17ROCPRIM_400000_NS6detail17trampoline_kernelINS0_14default_configENS1_20scan_config_selectorIdEEZZNS1_9scan_implILNS1_25lookback_scan_determinismE0ELb0ELb0ES3_PKdPddZZZN2at6native31launch_logcumsumexp_cuda_kernelERKNSB_10TensorBaseESF_lENKUlvE_clEvENKUlvE_clEvEUlddE_dEEDaPvRmT3_T4_T5_mT6_P12ihipStream_tbENKUlT_T0_E_clISt17integral_constantIbLb1EESV_IbLb0EEEEDaSR_SS_EUlSR_E_NS1_11comp_targetILNS1_3genE2ELNS1_11target_archE906ELNS1_3gpuE6ELNS1_3repE0EEENS1_30default_config_static_selectorELNS0_4arch9wavefront6targetE0EEEvT1_
	.p2align	8
	.type	_ZN7rocprim17ROCPRIM_400000_NS6detail17trampoline_kernelINS0_14default_configENS1_20scan_config_selectorIdEEZZNS1_9scan_implILNS1_25lookback_scan_determinismE0ELb0ELb0ES3_PKdPddZZZN2at6native31launch_logcumsumexp_cuda_kernelERKNSB_10TensorBaseESF_lENKUlvE_clEvENKUlvE_clEvEUlddE_dEEDaPvRmT3_T4_T5_mT6_P12ihipStream_tbENKUlT_T0_E_clISt17integral_constantIbLb1EESV_IbLb0EEEEDaSR_SS_EUlSR_E_NS1_11comp_targetILNS1_3genE2ELNS1_11target_archE906ELNS1_3gpuE6ELNS1_3repE0EEENS1_30default_config_static_selectorELNS0_4arch9wavefront6targetE0EEEvT1_,@function
_ZN7rocprim17ROCPRIM_400000_NS6detail17trampoline_kernelINS0_14default_configENS1_20scan_config_selectorIdEEZZNS1_9scan_implILNS1_25lookback_scan_determinismE0ELb0ELb0ES3_PKdPddZZZN2at6native31launch_logcumsumexp_cuda_kernelERKNSB_10TensorBaseESF_lENKUlvE_clEvENKUlvE_clEvEUlddE_dEEDaPvRmT3_T4_T5_mT6_P12ihipStream_tbENKUlT_T0_E_clISt17integral_constantIbLb1EESV_IbLb0EEEEDaSR_SS_EUlSR_E_NS1_11comp_targetILNS1_3genE2ELNS1_11target_archE906ELNS1_3gpuE6ELNS1_3repE0EEENS1_30default_config_static_selectorELNS0_4arch9wavefront6targetE0EEEvT1_: ; @_ZN7rocprim17ROCPRIM_400000_NS6detail17trampoline_kernelINS0_14default_configENS1_20scan_config_selectorIdEEZZNS1_9scan_implILNS1_25lookback_scan_determinismE0ELb0ELb0ES3_PKdPddZZZN2at6native31launch_logcumsumexp_cuda_kernelERKNSB_10TensorBaseESF_lENKUlvE_clEvENKUlvE_clEvEUlddE_dEEDaPvRmT3_T4_T5_mT6_P12ihipStream_tbENKUlT_T0_E_clISt17integral_constantIbLb1EESV_IbLb0EEEEDaSR_SS_EUlSR_E_NS1_11comp_targetILNS1_3genE2ELNS1_11target_archE906ELNS1_3gpuE6ELNS1_3repE0EEENS1_30default_config_static_selectorELNS0_4arch9wavefront6targetE0EEEvT1_
; %bb.0:
	.section	.rodata,"a",@progbits
	.p2align	6, 0x0
	.amdhsa_kernel _ZN7rocprim17ROCPRIM_400000_NS6detail17trampoline_kernelINS0_14default_configENS1_20scan_config_selectorIdEEZZNS1_9scan_implILNS1_25lookback_scan_determinismE0ELb0ELb0ES3_PKdPddZZZN2at6native31launch_logcumsumexp_cuda_kernelERKNSB_10TensorBaseESF_lENKUlvE_clEvENKUlvE_clEvEUlddE_dEEDaPvRmT3_T4_T5_mT6_P12ihipStream_tbENKUlT_T0_E_clISt17integral_constantIbLb1EESV_IbLb0EEEEDaSR_SS_EUlSR_E_NS1_11comp_targetILNS1_3genE2ELNS1_11target_archE906ELNS1_3gpuE6ELNS1_3repE0EEENS1_30default_config_static_selectorELNS0_4arch9wavefront6targetE0EEEvT1_
		.amdhsa_group_segment_fixed_size 0
		.amdhsa_private_segment_fixed_size 0
		.amdhsa_kernarg_size 104
		.amdhsa_user_sgpr_count 6
		.amdhsa_user_sgpr_private_segment_buffer 1
		.amdhsa_user_sgpr_dispatch_ptr 0
		.amdhsa_user_sgpr_queue_ptr 0
		.amdhsa_user_sgpr_kernarg_segment_ptr 1
		.amdhsa_user_sgpr_dispatch_id 0
		.amdhsa_user_sgpr_flat_scratch_init 0
		.amdhsa_user_sgpr_private_segment_size 0
		.amdhsa_wavefront_size32 1
		.amdhsa_uses_dynamic_stack 0
		.amdhsa_system_sgpr_private_segment_wavefront_offset 0
		.amdhsa_system_sgpr_workgroup_id_x 1
		.amdhsa_system_sgpr_workgroup_id_y 0
		.amdhsa_system_sgpr_workgroup_id_z 0
		.amdhsa_system_sgpr_workgroup_info 0
		.amdhsa_system_vgpr_workitem_id 0
		.amdhsa_next_free_vgpr 1
		.amdhsa_next_free_sgpr 1
		.amdhsa_reserve_vcc 0
		.amdhsa_reserve_flat_scratch 0
		.amdhsa_float_round_mode_32 0
		.amdhsa_float_round_mode_16_64 0
		.amdhsa_float_denorm_mode_32 3
		.amdhsa_float_denorm_mode_16_64 3
		.amdhsa_dx10_clamp 1
		.amdhsa_ieee_mode 1
		.amdhsa_fp16_overflow 0
		.amdhsa_workgroup_processor_mode 1
		.amdhsa_memory_ordered 1
		.amdhsa_forward_progress 1
		.amdhsa_shared_vgpr_count 0
		.amdhsa_exception_fp_ieee_invalid_op 0
		.amdhsa_exception_fp_denorm_src 0
		.amdhsa_exception_fp_ieee_div_zero 0
		.amdhsa_exception_fp_ieee_overflow 0
		.amdhsa_exception_fp_ieee_underflow 0
		.amdhsa_exception_fp_ieee_inexact 0
		.amdhsa_exception_int_div_zero 0
	.end_amdhsa_kernel
	.section	.text._ZN7rocprim17ROCPRIM_400000_NS6detail17trampoline_kernelINS0_14default_configENS1_20scan_config_selectorIdEEZZNS1_9scan_implILNS1_25lookback_scan_determinismE0ELb0ELb0ES3_PKdPddZZZN2at6native31launch_logcumsumexp_cuda_kernelERKNSB_10TensorBaseESF_lENKUlvE_clEvENKUlvE_clEvEUlddE_dEEDaPvRmT3_T4_T5_mT6_P12ihipStream_tbENKUlT_T0_E_clISt17integral_constantIbLb1EESV_IbLb0EEEEDaSR_SS_EUlSR_E_NS1_11comp_targetILNS1_3genE2ELNS1_11target_archE906ELNS1_3gpuE6ELNS1_3repE0EEENS1_30default_config_static_selectorELNS0_4arch9wavefront6targetE0EEEvT1_,"axG",@progbits,_ZN7rocprim17ROCPRIM_400000_NS6detail17trampoline_kernelINS0_14default_configENS1_20scan_config_selectorIdEEZZNS1_9scan_implILNS1_25lookback_scan_determinismE0ELb0ELb0ES3_PKdPddZZZN2at6native31launch_logcumsumexp_cuda_kernelERKNSB_10TensorBaseESF_lENKUlvE_clEvENKUlvE_clEvEUlddE_dEEDaPvRmT3_T4_T5_mT6_P12ihipStream_tbENKUlT_T0_E_clISt17integral_constantIbLb1EESV_IbLb0EEEEDaSR_SS_EUlSR_E_NS1_11comp_targetILNS1_3genE2ELNS1_11target_archE906ELNS1_3gpuE6ELNS1_3repE0EEENS1_30default_config_static_selectorELNS0_4arch9wavefront6targetE0EEEvT1_,comdat
.Lfunc_end51:
	.size	_ZN7rocprim17ROCPRIM_400000_NS6detail17trampoline_kernelINS0_14default_configENS1_20scan_config_selectorIdEEZZNS1_9scan_implILNS1_25lookback_scan_determinismE0ELb0ELb0ES3_PKdPddZZZN2at6native31launch_logcumsumexp_cuda_kernelERKNSB_10TensorBaseESF_lENKUlvE_clEvENKUlvE_clEvEUlddE_dEEDaPvRmT3_T4_T5_mT6_P12ihipStream_tbENKUlT_T0_E_clISt17integral_constantIbLb1EESV_IbLb0EEEEDaSR_SS_EUlSR_E_NS1_11comp_targetILNS1_3genE2ELNS1_11target_archE906ELNS1_3gpuE6ELNS1_3repE0EEENS1_30default_config_static_selectorELNS0_4arch9wavefront6targetE0EEEvT1_, .Lfunc_end51-_ZN7rocprim17ROCPRIM_400000_NS6detail17trampoline_kernelINS0_14default_configENS1_20scan_config_selectorIdEEZZNS1_9scan_implILNS1_25lookback_scan_determinismE0ELb0ELb0ES3_PKdPddZZZN2at6native31launch_logcumsumexp_cuda_kernelERKNSB_10TensorBaseESF_lENKUlvE_clEvENKUlvE_clEvEUlddE_dEEDaPvRmT3_T4_T5_mT6_P12ihipStream_tbENKUlT_T0_E_clISt17integral_constantIbLb1EESV_IbLb0EEEEDaSR_SS_EUlSR_E_NS1_11comp_targetILNS1_3genE2ELNS1_11target_archE906ELNS1_3gpuE6ELNS1_3repE0EEENS1_30default_config_static_selectorELNS0_4arch9wavefront6targetE0EEEvT1_
                                        ; -- End function
	.set _ZN7rocprim17ROCPRIM_400000_NS6detail17trampoline_kernelINS0_14default_configENS1_20scan_config_selectorIdEEZZNS1_9scan_implILNS1_25lookback_scan_determinismE0ELb0ELb0ES3_PKdPddZZZN2at6native31launch_logcumsumexp_cuda_kernelERKNSB_10TensorBaseESF_lENKUlvE_clEvENKUlvE_clEvEUlddE_dEEDaPvRmT3_T4_T5_mT6_P12ihipStream_tbENKUlT_T0_E_clISt17integral_constantIbLb1EESV_IbLb0EEEEDaSR_SS_EUlSR_E_NS1_11comp_targetILNS1_3genE2ELNS1_11target_archE906ELNS1_3gpuE6ELNS1_3repE0EEENS1_30default_config_static_selectorELNS0_4arch9wavefront6targetE0EEEvT1_.num_vgpr, 0
	.set _ZN7rocprim17ROCPRIM_400000_NS6detail17trampoline_kernelINS0_14default_configENS1_20scan_config_selectorIdEEZZNS1_9scan_implILNS1_25lookback_scan_determinismE0ELb0ELb0ES3_PKdPddZZZN2at6native31launch_logcumsumexp_cuda_kernelERKNSB_10TensorBaseESF_lENKUlvE_clEvENKUlvE_clEvEUlddE_dEEDaPvRmT3_T4_T5_mT6_P12ihipStream_tbENKUlT_T0_E_clISt17integral_constantIbLb1EESV_IbLb0EEEEDaSR_SS_EUlSR_E_NS1_11comp_targetILNS1_3genE2ELNS1_11target_archE906ELNS1_3gpuE6ELNS1_3repE0EEENS1_30default_config_static_selectorELNS0_4arch9wavefront6targetE0EEEvT1_.num_agpr, 0
	.set _ZN7rocprim17ROCPRIM_400000_NS6detail17trampoline_kernelINS0_14default_configENS1_20scan_config_selectorIdEEZZNS1_9scan_implILNS1_25lookback_scan_determinismE0ELb0ELb0ES3_PKdPddZZZN2at6native31launch_logcumsumexp_cuda_kernelERKNSB_10TensorBaseESF_lENKUlvE_clEvENKUlvE_clEvEUlddE_dEEDaPvRmT3_T4_T5_mT6_P12ihipStream_tbENKUlT_T0_E_clISt17integral_constantIbLb1EESV_IbLb0EEEEDaSR_SS_EUlSR_E_NS1_11comp_targetILNS1_3genE2ELNS1_11target_archE906ELNS1_3gpuE6ELNS1_3repE0EEENS1_30default_config_static_selectorELNS0_4arch9wavefront6targetE0EEEvT1_.numbered_sgpr, 0
	.set _ZN7rocprim17ROCPRIM_400000_NS6detail17trampoline_kernelINS0_14default_configENS1_20scan_config_selectorIdEEZZNS1_9scan_implILNS1_25lookback_scan_determinismE0ELb0ELb0ES3_PKdPddZZZN2at6native31launch_logcumsumexp_cuda_kernelERKNSB_10TensorBaseESF_lENKUlvE_clEvENKUlvE_clEvEUlddE_dEEDaPvRmT3_T4_T5_mT6_P12ihipStream_tbENKUlT_T0_E_clISt17integral_constantIbLb1EESV_IbLb0EEEEDaSR_SS_EUlSR_E_NS1_11comp_targetILNS1_3genE2ELNS1_11target_archE906ELNS1_3gpuE6ELNS1_3repE0EEENS1_30default_config_static_selectorELNS0_4arch9wavefront6targetE0EEEvT1_.num_named_barrier, 0
	.set _ZN7rocprim17ROCPRIM_400000_NS6detail17trampoline_kernelINS0_14default_configENS1_20scan_config_selectorIdEEZZNS1_9scan_implILNS1_25lookback_scan_determinismE0ELb0ELb0ES3_PKdPddZZZN2at6native31launch_logcumsumexp_cuda_kernelERKNSB_10TensorBaseESF_lENKUlvE_clEvENKUlvE_clEvEUlddE_dEEDaPvRmT3_T4_T5_mT6_P12ihipStream_tbENKUlT_T0_E_clISt17integral_constantIbLb1EESV_IbLb0EEEEDaSR_SS_EUlSR_E_NS1_11comp_targetILNS1_3genE2ELNS1_11target_archE906ELNS1_3gpuE6ELNS1_3repE0EEENS1_30default_config_static_selectorELNS0_4arch9wavefront6targetE0EEEvT1_.private_seg_size, 0
	.set _ZN7rocprim17ROCPRIM_400000_NS6detail17trampoline_kernelINS0_14default_configENS1_20scan_config_selectorIdEEZZNS1_9scan_implILNS1_25lookback_scan_determinismE0ELb0ELb0ES3_PKdPddZZZN2at6native31launch_logcumsumexp_cuda_kernelERKNSB_10TensorBaseESF_lENKUlvE_clEvENKUlvE_clEvEUlddE_dEEDaPvRmT3_T4_T5_mT6_P12ihipStream_tbENKUlT_T0_E_clISt17integral_constantIbLb1EESV_IbLb0EEEEDaSR_SS_EUlSR_E_NS1_11comp_targetILNS1_3genE2ELNS1_11target_archE906ELNS1_3gpuE6ELNS1_3repE0EEENS1_30default_config_static_selectorELNS0_4arch9wavefront6targetE0EEEvT1_.uses_vcc, 0
	.set _ZN7rocprim17ROCPRIM_400000_NS6detail17trampoline_kernelINS0_14default_configENS1_20scan_config_selectorIdEEZZNS1_9scan_implILNS1_25lookback_scan_determinismE0ELb0ELb0ES3_PKdPddZZZN2at6native31launch_logcumsumexp_cuda_kernelERKNSB_10TensorBaseESF_lENKUlvE_clEvENKUlvE_clEvEUlddE_dEEDaPvRmT3_T4_T5_mT6_P12ihipStream_tbENKUlT_T0_E_clISt17integral_constantIbLb1EESV_IbLb0EEEEDaSR_SS_EUlSR_E_NS1_11comp_targetILNS1_3genE2ELNS1_11target_archE906ELNS1_3gpuE6ELNS1_3repE0EEENS1_30default_config_static_selectorELNS0_4arch9wavefront6targetE0EEEvT1_.uses_flat_scratch, 0
	.set _ZN7rocprim17ROCPRIM_400000_NS6detail17trampoline_kernelINS0_14default_configENS1_20scan_config_selectorIdEEZZNS1_9scan_implILNS1_25lookback_scan_determinismE0ELb0ELb0ES3_PKdPddZZZN2at6native31launch_logcumsumexp_cuda_kernelERKNSB_10TensorBaseESF_lENKUlvE_clEvENKUlvE_clEvEUlddE_dEEDaPvRmT3_T4_T5_mT6_P12ihipStream_tbENKUlT_T0_E_clISt17integral_constantIbLb1EESV_IbLb0EEEEDaSR_SS_EUlSR_E_NS1_11comp_targetILNS1_3genE2ELNS1_11target_archE906ELNS1_3gpuE6ELNS1_3repE0EEENS1_30default_config_static_selectorELNS0_4arch9wavefront6targetE0EEEvT1_.has_dyn_sized_stack, 0
	.set _ZN7rocprim17ROCPRIM_400000_NS6detail17trampoline_kernelINS0_14default_configENS1_20scan_config_selectorIdEEZZNS1_9scan_implILNS1_25lookback_scan_determinismE0ELb0ELb0ES3_PKdPddZZZN2at6native31launch_logcumsumexp_cuda_kernelERKNSB_10TensorBaseESF_lENKUlvE_clEvENKUlvE_clEvEUlddE_dEEDaPvRmT3_T4_T5_mT6_P12ihipStream_tbENKUlT_T0_E_clISt17integral_constantIbLb1EESV_IbLb0EEEEDaSR_SS_EUlSR_E_NS1_11comp_targetILNS1_3genE2ELNS1_11target_archE906ELNS1_3gpuE6ELNS1_3repE0EEENS1_30default_config_static_selectorELNS0_4arch9wavefront6targetE0EEEvT1_.has_recursion, 0
	.set _ZN7rocprim17ROCPRIM_400000_NS6detail17trampoline_kernelINS0_14default_configENS1_20scan_config_selectorIdEEZZNS1_9scan_implILNS1_25lookback_scan_determinismE0ELb0ELb0ES3_PKdPddZZZN2at6native31launch_logcumsumexp_cuda_kernelERKNSB_10TensorBaseESF_lENKUlvE_clEvENKUlvE_clEvEUlddE_dEEDaPvRmT3_T4_T5_mT6_P12ihipStream_tbENKUlT_T0_E_clISt17integral_constantIbLb1EESV_IbLb0EEEEDaSR_SS_EUlSR_E_NS1_11comp_targetILNS1_3genE2ELNS1_11target_archE906ELNS1_3gpuE6ELNS1_3repE0EEENS1_30default_config_static_selectorELNS0_4arch9wavefront6targetE0EEEvT1_.has_indirect_call, 0
	.section	.AMDGPU.csdata,"",@progbits
; Kernel info:
; codeLenInByte = 0
; TotalNumSgprs: 0
; NumVgprs: 0
; ScratchSize: 0
; MemoryBound: 0
; FloatMode: 240
; IeeeMode: 1
; LDSByteSize: 0 bytes/workgroup (compile time only)
; SGPRBlocks: 0
; VGPRBlocks: 0
; NumSGPRsForWavesPerEU: 1
; NumVGPRsForWavesPerEU: 1
; Occupancy: 16
; WaveLimiterHint : 0
; COMPUTE_PGM_RSRC2:SCRATCH_EN: 0
; COMPUTE_PGM_RSRC2:USER_SGPR: 6
; COMPUTE_PGM_RSRC2:TRAP_HANDLER: 0
; COMPUTE_PGM_RSRC2:TGID_X_EN: 1
; COMPUTE_PGM_RSRC2:TGID_Y_EN: 0
; COMPUTE_PGM_RSRC2:TGID_Z_EN: 0
; COMPUTE_PGM_RSRC2:TIDIG_COMP_CNT: 0
	.section	.text._ZN7rocprim17ROCPRIM_400000_NS6detail17trampoline_kernelINS0_14default_configENS1_20scan_config_selectorIdEEZZNS1_9scan_implILNS1_25lookback_scan_determinismE0ELb0ELb0ES3_PKdPddZZZN2at6native31launch_logcumsumexp_cuda_kernelERKNSB_10TensorBaseESF_lENKUlvE_clEvENKUlvE_clEvEUlddE_dEEDaPvRmT3_T4_T5_mT6_P12ihipStream_tbENKUlT_T0_E_clISt17integral_constantIbLb1EESV_IbLb0EEEEDaSR_SS_EUlSR_E_NS1_11comp_targetILNS1_3genE10ELNS1_11target_archE1201ELNS1_3gpuE5ELNS1_3repE0EEENS1_30default_config_static_selectorELNS0_4arch9wavefront6targetE0EEEvT1_,"axG",@progbits,_ZN7rocprim17ROCPRIM_400000_NS6detail17trampoline_kernelINS0_14default_configENS1_20scan_config_selectorIdEEZZNS1_9scan_implILNS1_25lookback_scan_determinismE0ELb0ELb0ES3_PKdPddZZZN2at6native31launch_logcumsumexp_cuda_kernelERKNSB_10TensorBaseESF_lENKUlvE_clEvENKUlvE_clEvEUlddE_dEEDaPvRmT3_T4_T5_mT6_P12ihipStream_tbENKUlT_T0_E_clISt17integral_constantIbLb1EESV_IbLb0EEEEDaSR_SS_EUlSR_E_NS1_11comp_targetILNS1_3genE10ELNS1_11target_archE1201ELNS1_3gpuE5ELNS1_3repE0EEENS1_30default_config_static_selectorELNS0_4arch9wavefront6targetE0EEEvT1_,comdat
	.globl	_ZN7rocprim17ROCPRIM_400000_NS6detail17trampoline_kernelINS0_14default_configENS1_20scan_config_selectorIdEEZZNS1_9scan_implILNS1_25lookback_scan_determinismE0ELb0ELb0ES3_PKdPddZZZN2at6native31launch_logcumsumexp_cuda_kernelERKNSB_10TensorBaseESF_lENKUlvE_clEvENKUlvE_clEvEUlddE_dEEDaPvRmT3_T4_T5_mT6_P12ihipStream_tbENKUlT_T0_E_clISt17integral_constantIbLb1EESV_IbLb0EEEEDaSR_SS_EUlSR_E_NS1_11comp_targetILNS1_3genE10ELNS1_11target_archE1201ELNS1_3gpuE5ELNS1_3repE0EEENS1_30default_config_static_selectorELNS0_4arch9wavefront6targetE0EEEvT1_ ; -- Begin function _ZN7rocprim17ROCPRIM_400000_NS6detail17trampoline_kernelINS0_14default_configENS1_20scan_config_selectorIdEEZZNS1_9scan_implILNS1_25lookback_scan_determinismE0ELb0ELb0ES3_PKdPddZZZN2at6native31launch_logcumsumexp_cuda_kernelERKNSB_10TensorBaseESF_lENKUlvE_clEvENKUlvE_clEvEUlddE_dEEDaPvRmT3_T4_T5_mT6_P12ihipStream_tbENKUlT_T0_E_clISt17integral_constantIbLb1EESV_IbLb0EEEEDaSR_SS_EUlSR_E_NS1_11comp_targetILNS1_3genE10ELNS1_11target_archE1201ELNS1_3gpuE5ELNS1_3repE0EEENS1_30default_config_static_selectorELNS0_4arch9wavefront6targetE0EEEvT1_
	.p2align	8
	.type	_ZN7rocprim17ROCPRIM_400000_NS6detail17trampoline_kernelINS0_14default_configENS1_20scan_config_selectorIdEEZZNS1_9scan_implILNS1_25lookback_scan_determinismE0ELb0ELb0ES3_PKdPddZZZN2at6native31launch_logcumsumexp_cuda_kernelERKNSB_10TensorBaseESF_lENKUlvE_clEvENKUlvE_clEvEUlddE_dEEDaPvRmT3_T4_T5_mT6_P12ihipStream_tbENKUlT_T0_E_clISt17integral_constantIbLb1EESV_IbLb0EEEEDaSR_SS_EUlSR_E_NS1_11comp_targetILNS1_3genE10ELNS1_11target_archE1201ELNS1_3gpuE5ELNS1_3repE0EEENS1_30default_config_static_selectorELNS0_4arch9wavefront6targetE0EEEvT1_,@function
_ZN7rocprim17ROCPRIM_400000_NS6detail17trampoline_kernelINS0_14default_configENS1_20scan_config_selectorIdEEZZNS1_9scan_implILNS1_25lookback_scan_determinismE0ELb0ELb0ES3_PKdPddZZZN2at6native31launch_logcumsumexp_cuda_kernelERKNSB_10TensorBaseESF_lENKUlvE_clEvENKUlvE_clEvEUlddE_dEEDaPvRmT3_T4_T5_mT6_P12ihipStream_tbENKUlT_T0_E_clISt17integral_constantIbLb1EESV_IbLb0EEEEDaSR_SS_EUlSR_E_NS1_11comp_targetILNS1_3genE10ELNS1_11target_archE1201ELNS1_3gpuE5ELNS1_3repE0EEENS1_30default_config_static_selectorELNS0_4arch9wavefront6targetE0EEEvT1_: ; @_ZN7rocprim17ROCPRIM_400000_NS6detail17trampoline_kernelINS0_14default_configENS1_20scan_config_selectorIdEEZZNS1_9scan_implILNS1_25lookback_scan_determinismE0ELb0ELb0ES3_PKdPddZZZN2at6native31launch_logcumsumexp_cuda_kernelERKNSB_10TensorBaseESF_lENKUlvE_clEvENKUlvE_clEvEUlddE_dEEDaPvRmT3_T4_T5_mT6_P12ihipStream_tbENKUlT_T0_E_clISt17integral_constantIbLb1EESV_IbLb0EEEEDaSR_SS_EUlSR_E_NS1_11comp_targetILNS1_3genE10ELNS1_11target_archE1201ELNS1_3gpuE5ELNS1_3repE0EEENS1_30default_config_static_selectorELNS0_4arch9wavefront6targetE0EEEvT1_
; %bb.0:
	.section	.rodata,"a",@progbits
	.p2align	6, 0x0
	.amdhsa_kernel _ZN7rocprim17ROCPRIM_400000_NS6detail17trampoline_kernelINS0_14default_configENS1_20scan_config_selectorIdEEZZNS1_9scan_implILNS1_25lookback_scan_determinismE0ELb0ELb0ES3_PKdPddZZZN2at6native31launch_logcumsumexp_cuda_kernelERKNSB_10TensorBaseESF_lENKUlvE_clEvENKUlvE_clEvEUlddE_dEEDaPvRmT3_T4_T5_mT6_P12ihipStream_tbENKUlT_T0_E_clISt17integral_constantIbLb1EESV_IbLb0EEEEDaSR_SS_EUlSR_E_NS1_11comp_targetILNS1_3genE10ELNS1_11target_archE1201ELNS1_3gpuE5ELNS1_3repE0EEENS1_30default_config_static_selectorELNS0_4arch9wavefront6targetE0EEEvT1_
		.amdhsa_group_segment_fixed_size 0
		.amdhsa_private_segment_fixed_size 0
		.amdhsa_kernarg_size 104
		.amdhsa_user_sgpr_count 6
		.amdhsa_user_sgpr_private_segment_buffer 1
		.amdhsa_user_sgpr_dispatch_ptr 0
		.amdhsa_user_sgpr_queue_ptr 0
		.amdhsa_user_sgpr_kernarg_segment_ptr 1
		.amdhsa_user_sgpr_dispatch_id 0
		.amdhsa_user_sgpr_flat_scratch_init 0
		.amdhsa_user_sgpr_private_segment_size 0
		.amdhsa_wavefront_size32 1
		.amdhsa_uses_dynamic_stack 0
		.amdhsa_system_sgpr_private_segment_wavefront_offset 0
		.amdhsa_system_sgpr_workgroup_id_x 1
		.amdhsa_system_sgpr_workgroup_id_y 0
		.amdhsa_system_sgpr_workgroup_id_z 0
		.amdhsa_system_sgpr_workgroup_info 0
		.amdhsa_system_vgpr_workitem_id 0
		.amdhsa_next_free_vgpr 1
		.amdhsa_next_free_sgpr 1
		.amdhsa_reserve_vcc 0
		.amdhsa_reserve_flat_scratch 0
		.amdhsa_float_round_mode_32 0
		.amdhsa_float_round_mode_16_64 0
		.amdhsa_float_denorm_mode_32 3
		.amdhsa_float_denorm_mode_16_64 3
		.amdhsa_dx10_clamp 1
		.amdhsa_ieee_mode 1
		.amdhsa_fp16_overflow 0
		.amdhsa_workgroup_processor_mode 1
		.amdhsa_memory_ordered 1
		.amdhsa_forward_progress 1
		.amdhsa_shared_vgpr_count 0
		.amdhsa_exception_fp_ieee_invalid_op 0
		.amdhsa_exception_fp_denorm_src 0
		.amdhsa_exception_fp_ieee_div_zero 0
		.amdhsa_exception_fp_ieee_overflow 0
		.amdhsa_exception_fp_ieee_underflow 0
		.amdhsa_exception_fp_ieee_inexact 0
		.amdhsa_exception_int_div_zero 0
	.end_amdhsa_kernel
	.section	.text._ZN7rocprim17ROCPRIM_400000_NS6detail17trampoline_kernelINS0_14default_configENS1_20scan_config_selectorIdEEZZNS1_9scan_implILNS1_25lookback_scan_determinismE0ELb0ELb0ES3_PKdPddZZZN2at6native31launch_logcumsumexp_cuda_kernelERKNSB_10TensorBaseESF_lENKUlvE_clEvENKUlvE_clEvEUlddE_dEEDaPvRmT3_T4_T5_mT6_P12ihipStream_tbENKUlT_T0_E_clISt17integral_constantIbLb1EESV_IbLb0EEEEDaSR_SS_EUlSR_E_NS1_11comp_targetILNS1_3genE10ELNS1_11target_archE1201ELNS1_3gpuE5ELNS1_3repE0EEENS1_30default_config_static_selectorELNS0_4arch9wavefront6targetE0EEEvT1_,"axG",@progbits,_ZN7rocprim17ROCPRIM_400000_NS6detail17trampoline_kernelINS0_14default_configENS1_20scan_config_selectorIdEEZZNS1_9scan_implILNS1_25lookback_scan_determinismE0ELb0ELb0ES3_PKdPddZZZN2at6native31launch_logcumsumexp_cuda_kernelERKNSB_10TensorBaseESF_lENKUlvE_clEvENKUlvE_clEvEUlddE_dEEDaPvRmT3_T4_T5_mT6_P12ihipStream_tbENKUlT_T0_E_clISt17integral_constantIbLb1EESV_IbLb0EEEEDaSR_SS_EUlSR_E_NS1_11comp_targetILNS1_3genE10ELNS1_11target_archE1201ELNS1_3gpuE5ELNS1_3repE0EEENS1_30default_config_static_selectorELNS0_4arch9wavefront6targetE0EEEvT1_,comdat
.Lfunc_end52:
	.size	_ZN7rocprim17ROCPRIM_400000_NS6detail17trampoline_kernelINS0_14default_configENS1_20scan_config_selectorIdEEZZNS1_9scan_implILNS1_25lookback_scan_determinismE0ELb0ELb0ES3_PKdPddZZZN2at6native31launch_logcumsumexp_cuda_kernelERKNSB_10TensorBaseESF_lENKUlvE_clEvENKUlvE_clEvEUlddE_dEEDaPvRmT3_T4_T5_mT6_P12ihipStream_tbENKUlT_T0_E_clISt17integral_constantIbLb1EESV_IbLb0EEEEDaSR_SS_EUlSR_E_NS1_11comp_targetILNS1_3genE10ELNS1_11target_archE1201ELNS1_3gpuE5ELNS1_3repE0EEENS1_30default_config_static_selectorELNS0_4arch9wavefront6targetE0EEEvT1_, .Lfunc_end52-_ZN7rocprim17ROCPRIM_400000_NS6detail17trampoline_kernelINS0_14default_configENS1_20scan_config_selectorIdEEZZNS1_9scan_implILNS1_25lookback_scan_determinismE0ELb0ELb0ES3_PKdPddZZZN2at6native31launch_logcumsumexp_cuda_kernelERKNSB_10TensorBaseESF_lENKUlvE_clEvENKUlvE_clEvEUlddE_dEEDaPvRmT3_T4_T5_mT6_P12ihipStream_tbENKUlT_T0_E_clISt17integral_constantIbLb1EESV_IbLb0EEEEDaSR_SS_EUlSR_E_NS1_11comp_targetILNS1_3genE10ELNS1_11target_archE1201ELNS1_3gpuE5ELNS1_3repE0EEENS1_30default_config_static_selectorELNS0_4arch9wavefront6targetE0EEEvT1_
                                        ; -- End function
	.set _ZN7rocprim17ROCPRIM_400000_NS6detail17trampoline_kernelINS0_14default_configENS1_20scan_config_selectorIdEEZZNS1_9scan_implILNS1_25lookback_scan_determinismE0ELb0ELb0ES3_PKdPddZZZN2at6native31launch_logcumsumexp_cuda_kernelERKNSB_10TensorBaseESF_lENKUlvE_clEvENKUlvE_clEvEUlddE_dEEDaPvRmT3_T4_T5_mT6_P12ihipStream_tbENKUlT_T0_E_clISt17integral_constantIbLb1EESV_IbLb0EEEEDaSR_SS_EUlSR_E_NS1_11comp_targetILNS1_3genE10ELNS1_11target_archE1201ELNS1_3gpuE5ELNS1_3repE0EEENS1_30default_config_static_selectorELNS0_4arch9wavefront6targetE0EEEvT1_.num_vgpr, 0
	.set _ZN7rocprim17ROCPRIM_400000_NS6detail17trampoline_kernelINS0_14default_configENS1_20scan_config_selectorIdEEZZNS1_9scan_implILNS1_25lookback_scan_determinismE0ELb0ELb0ES3_PKdPddZZZN2at6native31launch_logcumsumexp_cuda_kernelERKNSB_10TensorBaseESF_lENKUlvE_clEvENKUlvE_clEvEUlddE_dEEDaPvRmT3_T4_T5_mT6_P12ihipStream_tbENKUlT_T0_E_clISt17integral_constantIbLb1EESV_IbLb0EEEEDaSR_SS_EUlSR_E_NS1_11comp_targetILNS1_3genE10ELNS1_11target_archE1201ELNS1_3gpuE5ELNS1_3repE0EEENS1_30default_config_static_selectorELNS0_4arch9wavefront6targetE0EEEvT1_.num_agpr, 0
	.set _ZN7rocprim17ROCPRIM_400000_NS6detail17trampoline_kernelINS0_14default_configENS1_20scan_config_selectorIdEEZZNS1_9scan_implILNS1_25lookback_scan_determinismE0ELb0ELb0ES3_PKdPddZZZN2at6native31launch_logcumsumexp_cuda_kernelERKNSB_10TensorBaseESF_lENKUlvE_clEvENKUlvE_clEvEUlddE_dEEDaPvRmT3_T4_T5_mT6_P12ihipStream_tbENKUlT_T0_E_clISt17integral_constantIbLb1EESV_IbLb0EEEEDaSR_SS_EUlSR_E_NS1_11comp_targetILNS1_3genE10ELNS1_11target_archE1201ELNS1_3gpuE5ELNS1_3repE0EEENS1_30default_config_static_selectorELNS0_4arch9wavefront6targetE0EEEvT1_.numbered_sgpr, 0
	.set _ZN7rocprim17ROCPRIM_400000_NS6detail17trampoline_kernelINS0_14default_configENS1_20scan_config_selectorIdEEZZNS1_9scan_implILNS1_25lookback_scan_determinismE0ELb0ELb0ES3_PKdPddZZZN2at6native31launch_logcumsumexp_cuda_kernelERKNSB_10TensorBaseESF_lENKUlvE_clEvENKUlvE_clEvEUlddE_dEEDaPvRmT3_T4_T5_mT6_P12ihipStream_tbENKUlT_T0_E_clISt17integral_constantIbLb1EESV_IbLb0EEEEDaSR_SS_EUlSR_E_NS1_11comp_targetILNS1_3genE10ELNS1_11target_archE1201ELNS1_3gpuE5ELNS1_3repE0EEENS1_30default_config_static_selectorELNS0_4arch9wavefront6targetE0EEEvT1_.num_named_barrier, 0
	.set _ZN7rocprim17ROCPRIM_400000_NS6detail17trampoline_kernelINS0_14default_configENS1_20scan_config_selectorIdEEZZNS1_9scan_implILNS1_25lookback_scan_determinismE0ELb0ELb0ES3_PKdPddZZZN2at6native31launch_logcumsumexp_cuda_kernelERKNSB_10TensorBaseESF_lENKUlvE_clEvENKUlvE_clEvEUlddE_dEEDaPvRmT3_T4_T5_mT6_P12ihipStream_tbENKUlT_T0_E_clISt17integral_constantIbLb1EESV_IbLb0EEEEDaSR_SS_EUlSR_E_NS1_11comp_targetILNS1_3genE10ELNS1_11target_archE1201ELNS1_3gpuE5ELNS1_3repE0EEENS1_30default_config_static_selectorELNS0_4arch9wavefront6targetE0EEEvT1_.private_seg_size, 0
	.set _ZN7rocprim17ROCPRIM_400000_NS6detail17trampoline_kernelINS0_14default_configENS1_20scan_config_selectorIdEEZZNS1_9scan_implILNS1_25lookback_scan_determinismE0ELb0ELb0ES3_PKdPddZZZN2at6native31launch_logcumsumexp_cuda_kernelERKNSB_10TensorBaseESF_lENKUlvE_clEvENKUlvE_clEvEUlddE_dEEDaPvRmT3_T4_T5_mT6_P12ihipStream_tbENKUlT_T0_E_clISt17integral_constantIbLb1EESV_IbLb0EEEEDaSR_SS_EUlSR_E_NS1_11comp_targetILNS1_3genE10ELNS1_11target_archE1201ELNS1_3gpuE5ELNS1_3repE0EEENS1_30default_config_static_selectorELNS0_4arch9wavefront6targetE0EEEvT1_.uses_vcc, 0
	.set _ZN7rocprim17ROCPRIM_400000_NS6detail17trampoline_kernelINS0_14default_configENS1_20scan_config_selectorIdEEZZNS1_9scan_implILNS1_25lookback_scan_determinismE0ELb0ELb0ES3_PKdPddZZZN2at6native31launch_logcumsumexp_cuda_kernelERKNSB_10TensorBaseESF_lENKUlvE_clEvENKUlvE_clEvEUlddE_dEEDaPvRmT3_T4_T5_mT6_P12ihipStream_tbENKUlT_T0_E_clISt17integral_constantIbLb1EESV_IbLb0EEEEDaSR_SS_EUlSR_E_NS1_11comp_targetILNS1_3genE10ELNS1_11target_archE1201ELNS1_3gpuE5ELNS1_3repE0EEENS1_30default_config_static_selectorELNS0_4arch9wavefront6targetE0EEEvT1_.uses_flat_scratch, 0
	.set _ZN7rocprim17ROCPRIM_400000_NS6detail17trampoline_kernelINS0_14default_configENS1_20scan_config_selectorIdEEZZNS1_9scan_implILNS1_25lookback_scan_determinismE0ELb0ELb0ES3_PKdPddZZZN2at6native31launch_logcumsumexp_cuda_kernelERKNSB_10TensorBaseESF_lENKUlvE_clEvENKUlvE_clEvEUlddE_dEEDaPvRmT3_T4_T5_mT6_P12ihipStream_tbENKUlT_T0_E_clISt17integral_constantIbLb1EESV_IbLb0EEEEDaSR_SS_EUlSR_E_NS1_11comp_targetILNS1_3genE10ELNS1_11target_archE1201ELNS1_3gpuE5ELNS1_3repE0EEENS1_30default_config_static_selectorELNS0_4arch9wavefront6targetE0EEEvT1_.has_dyn_sized_stack, 0
	.set _ZN7rocprim17ROCPRIM_400000_NS6detail17trampoline_kernelINS0_14default_configENS1_20scan_config_selectorIdEEZZNS1_9scan_implILNS1_25lookback_scan_determinismE0ELb0ELb0ES3_PKdPddZZZN2at6native31launch_logcumsumexp_cuda_kernelERKNSB_10TensorBaseESF_lENKUlvE_clEvENKUlvE_clEvEUlddE_dEEDaPvRmT3_T4_T5_mT6_P12ihipStream_tbENKUlT_T0_E_clISt17integral_constantIbLb1EESV_IbLb0EEEEDaSR_SS_EUlSR_E_NS1_11comp_targetILNS1_3genE10ELNS1_11target_archE1201ELNS1_3gpuE5ELNS1_3repE0EEENS1_30default_config_static_selectorELNS0_4arch9wavefront6targetE0EEEvT1_.has_recursion, 0
	.set _ZN7rocprim17ROCPRIM_400000_NS6detail17trampoline_kernelINS0_14default_configENS1_20scan_config_selectorIdEEZZNS1_9scan_implILNS1_25lookback_scan_determinismE0ELb0ELb0ES3_PKdPddZZZN2at6native31launch_logcumsumexp_cuda_kernelERKNSB_10TensorBaseESF_lENKUlvE_clEvENKUlvE_clEvEUlddE_dEEDaPvRmT3_T4_T5_mT6_P12ihipStream_tbENKUlT_T0_E_clISt17integral_constantIbLb1EESV_IbLb0EEEEDaSR_SS_EUlSR_E_NS1_11comp_targetILNS1_3genE10ELNS1_11target_archE1201ELNS1_3gpuE5ELNS1_3repE0EEENS1_30default_config_static_selectorELNS0_4arch9wavefront6targetE0EEEvT1_.has_indirect_call, 0
	.section	.AMDGPU.csdata,"",@progbits
; Kernel info:
; codeLenInByte = 0
; TotalNumSgprs: 0
; NumVgprs: 0
; ScratchSize: 0
; MemoryBound: 0
; FloatMode: 240
; IeeeMode: 1
; LDSByteSize: 0 bytes/workgroup (compile time only)
; SGPRBlocks: 0
; VGPRBlocks: 0
; NumSGPRsForWavesPerEU: 1
; NumVGPRsForWavesPerEU: 1
; Occupancy: 16
; WaveLimiterHint : 0
; COMPUTE_PGM_RSRC2:SCRATCH_EN: 0
; COMPUTE_PGM_RSRC2:USER_SGPR: 6
; COMPUTE_PGM_RSRC2:TRAP_HANDLER: 0
; COMPUTE_PGM_RSRC2:TGID_X_EN: 1
; COMPUTE_PGM_RSRC2:TGID_Y_EN: 0
; COMPUTE_PGM_RSRC2:TGID_Z_EN: 0
; COMPUTE_PGM_RSRC2:TIDIG_COMP_CNT: 0
	.section	.text._ZN7rocprim17ROCPRIM_400000_NS6detail17trampoline_kernelINS0_14default_configENS1_20scan_config_selectorIdEEZZNS1_9scan_implILNS1_25lookback_scan_determinismE0ELb0ELb0ES3_PKdPddZZZN2at6native31launch_logcumsumexp_cuda_kernelERKNSB_10TensorBaseESF_lENKUlvE_clEvENKUlvE_clEvEUlddE_dEEDaPvRmT3_T4_T5_mT6_P12ihipStream_tbENKUlT_T0_E_clISt17integral_constantIbLb1EESV_IbLb0EEEEDaSR_SS_EUlSR_E_NS1_11comp_targetILNS1_3genE10ELNS1_11target_archE1200ELNS1_3gpuE4ELNS1_3repE0EEENS1_30default_config_static_selectorELNS0_4arch9wavefront6targetE0EEEvT1_,"axG",@progbits,_ZN7rocprim17ROCPRIM_400000_NS6detail17trampoline_kernelINS0_14default_configENS1_20scan_config_selectorIdEEZZNS1_9scan_implILNS1_25lookback_scan_determinismE0ELb0ELb0ES3_PKdPddZZZN2at6native31launch_logcumsumexp_cuda_kernelERKNSB_10TensorBaseESF_lENKUlvE_clEvENKUlvE_clEvEUlddE_dEEDaPvRmT3_T4_T5_mT6_P12ihipStream_tbENKUlT_T0_E_clISt17integral_constantIbLb1EESV_IbLb0EEEEDaSR_SS_EUlSR_E_NS1_11comp_targetILNS1_3genE10ELNS1_11target_archE1200ELNS1_3gpuE4ELNS1_3repE0EEENS1_30default_config_static_selectorELNS0_4arch9wavefront6targetE0EEEvT1_,comdat
	.globl	_ZN7rocprim17ROCPRIM_400000_NS6detail17trampoline_kernelINS0_14default_configENS1_20scan_config_selectorIdEEZZNS1_9scan_implILNS1_25lookback_scan_determinismE0ELb0ELb0ES3_PKdPddZZZN2at6native31launch_logcumsumexp_cuda_kernelERKNSB_10TensorBaseESF_lENKUlvE_clEvENKUlvE_clEvEUlddE_dEEDaPvRmT3_T4_T5_mT6_P12ihipStream_tbENKUlT_T0_E_clISt17integral_constantIbLb1EESV_IbLb0EEEEDaSR_SS_EUlSR_E_NS1_11comp_targetILNS1_3genE10ELNS1_11target_archE1200ELNS1_3gpuE4ELNS1_3repE0EEENS1_30default_config_static_selectorELNS0_4arch9wavefront6targetE0EEEvT1_ ; -- Begin function _ZN7rocprim17ROCPRIM_400000_NS6detail17trampoline_kernelINS0_14default_configENS1_20scan_config_selectorIdEEZZNS1_9scan_implILNS1_25lookback_scan_determinismE0ELb0ELb0ES3_PKdPddZZZN2at6native31launch_logcumsumexp_cuda_kernelERKNSB_10TensorBaseESF_lENKUlvE_clEvENKUlvE_clEvEUlddE_dEEDaPvRmT3_T4_T5_mT6_P12ihipStream_tbENKUlT_T0_E_clISt17integral_constantIbLb1EESV_IbLb0EEEEDaSR_SS_EUlSR_E_NS1_11comp_targetILNS1_3genE10ELNS1_11target_archE1200ELNS1_3gpuE4ELNS1_3repE0EEENS1_30default_config_static_selectorELNS0_4arch9wavefront6targetE0EEEvT1_
	.p2align	8
	.type	_ZN7rocprim17ROCPRIM_400000_NS6detail17trampoline_kernelINS0_14default_configENS1_20scan_config_selectorIdEEZZNS1_9scan_implILNS1_25lookback_scan_determinismE0ELb0ELb0ES3_PKdPddZZZN2at6native31launch_logcumsumexp_cuda_kernelERKNSB_10TensorBaseESF_lENKUlvE_clEvENKUlvE_clEvEUlddE_dEEDaPvRmT3_T4_T5_mT6_P12ihipStream_tbENKUlT_T0_E_clISt17integral_constantIbLb1EESV_IbLb0EEEEDaSR_SS_EUlSR_E_NS1_11comp_targetILNS1_3genE10ELNS1_11target_archE1200ELNS1_3gpuE4ELNS1_3repE0EEENS1_30default_config_static_selectorELNS0_4arch9wavefront6targetE0EEEvT1_,@function
_ZN7rocprim17ROCPRIM_400000_NS6detail17trampoline_kernelINS0_14default_configENS1_20scan_config_selectorIdEEZZNS1_9scan_implILNS1_25lookback_scan_determinismE0ELb0ELb0ES3_PKdPddZZZN2at6native31launch_logcumsumexp_cuda_kernelERKNSB_10TensorBaseESF_lENKUlvE_clEvENKUlvE_clEvEUlddE_dEEDaPvRmT3_T4_T5_mT6_P12ihipStream_tbENKUlT_T0_E_clISt17integral_constantIbLb1EESV_IbLb0EEEEDaSR_SS_EUlSR_E_NS1_11comp_targetILNS1_3genE10ELNS1_11target_archE1200ELNS1_3gpuE4ELNS1_3repE0EEENS1_30default_config_static_selectorELNS0_4arch9wavefront6targetE0EEEvT1_: ; @_ZN7rocprim17ROCPRIM_400000_NS6detail17trampoline_kernelINS0_14default_configENS1_20scan_config_selectorIdEEZZNS1_9scan_implILNS1_25lookback_scan_determinismE0ELb0ELb0ES3_PKdPddZZZN2at6native31launch_logcumsumexp_cuda_kernelERKNSB_10TensorBaseESF_lENKUlvE_clEvENKUlvE_clEvEUlddE_dEEDaPvRmT3_T4_T5_mT6_P12ihipStream_tbENKUlT_T0_E_clISt17integral_constantIbLb1EESV_IbLb0EEEEDaSR_SS_EUlSR_E_NS1_11comp_targetILNS1_3genE10ELNS1_11target_archE1200ELNS1_3gpuE4ELNS1_3repE0EEENS1_30default_config_static_selectorELNS0_4arch9wavefront6targetE0EEEvT1_
; %bb.0:
	.section	.rodata,"a",@progbits
	.p2align	6, 0x0
	.amdhsa_kernel _ZN7rocprim17ROCPRIM_400000_NS6detail17trampoline_kernelINS0_14default_configENS1_20scan_config_selectorIdEEZZNS1_9scan_implILNS1_25lookback_scan_determinismE0ELb0ELb0ES3_PKdPddZZZN2at6native31launch_logcumsumexp_cuda_kernelERKNSB_10TensorBaseESF_lENKUlvE_clEvENKUlvE_clEvEUlddE_dEEDaPvRmT3_T4_T5_mT6_P12ihipStream_tbENKUlT_T0_E_clISt17integral_constantIbLb1EESV_IbLb0EEEEDaSR_SS_EUlSR_E_NS1_11comp_targetILNS1_3genE10ELNS1_11target_archE1200ELNS1_3gpuE4ELNS1_3repE0EEENS1_30default_config_static_selectorELNS0_4arch9wavefront6targetE0EEEvT1_
		.amdhsa_group_segment_fixed_size 0
		.amdhsa_private_segment_fixed_size 0
		.amdhsa_kernarg_size 104
		.amdhsa_user_sgpr_count 6
		.amdhsa_user_sgpr_private_segment_buffer 1
		.amdhsa_user_sgpr_dispatch_ptr 0
		.amdhsa_user_sgpr_queue_ptr 0
		.amdhsa_user_sgpr_kernarg_segment_ptr 1
		.amdhsa_user_sgpr_dispatch_id 0
		.amdhsa_user_sgpr_flat_scratch_init 0
		.amdhsa_user_sgpr_private_segment_size 0
		.amdhsa_wavefront_size32 1
		.amdhsa_uses_dynamic_stack 0
		.amdhsa_system_sgpr_private_segment_wavefront_offset 0
		.amdhsa_system_sgpr_workgroup_id_x 1
		.amdhsa_system_sgpr_workgroup_id_y 0
		.amdhsa_system_sgpr_workgroup_id_z 0
		.amdhsa_system_sgpr_workgroup_info 0
		.amdhsa_system_vgpr_workitem_id 0
		.amdhsa_next_free_vgpr 1
		.amdhsa_next_free_sgpr 1
		.amdhsa_reserve_vcc 0
		.amdhsa_reserve_flat_scratch 0
		.amdhsa_float_round_mode_32 0
		.amdhsa_float_round_mode_16_64 0
		.amdhsa_float_denorm_mode_32 3
		.amdhsa_float_denorm_mode_16_64 3
		.amdhsa_dx10_clamp 1
		.amdhsa_ieee_mode 1
		.amdhsa_fp16_overflow 0
		.amdhsa_workgroup_processor_mode 1
		.amdhsa_memory_ordered 1
		.amdhsa_forward_progress 1
		.amdhsa_shared_vgpr_count 0
		.amdhsa_exception_fp_ieee_invalid_op 0
		.amdhsa_exception_fp_denorm_src 0
		.amdhsa_exception_fp_ieee_div_zero 0
		.amdhsa_exception_fp_ieee_overflow 0
		.amdhsa_exception_fp_ieee_underflow 0
		.amdhsa_exception_fp_ieee_inexact 0
		.amdhsa_exception_int_div_zero 0
	.end_amdhsa_kernel
	.section	.text._ZN7rocprim17ROCPRIM_400000_NS6detail17trampoline_kernelINS0_14default_configENS1_20scan_config_selectorIdEEZZNS1_9scan_implILNS1_25lookback_scan_determinismE0ELb0ELb0ES3_PKdPddZZZN2at6native31launch_logcumsumexp_cuda_kernelERKNSB_10TensorBaseESF_lENKUlvE_clEvENKUlvE_clEvEUlddE_dEEDaPvRmT3_T4_T5_mT6_P12ihipStream_tbENKUlT_T0_E_clISt17integral_constantIbLb1EESV_IbLb0EEEEDaSR_SS_EUlSR_E_NS1_11comp_targetILNS1_3genE10ELNS1_11target_archE1200ELNS1_3gpuE4ELNS1_3repE0EEENS1_30default_config_static_selectorELNS0_4arch9wavefront6targetE0EEEvT1_,"axG",@progbits,_ZN7rocprim17ROCPRIM_400000_NS6detail17trampoline_kernelINS0_14default_configENS1_20scan_config_selectorIdEEZZNS1_9scan_implILNS1_25lookback_scan_determinismE0ELb0ELb0ES3_PKdPddZZZN2at6native31launch_logcumsumexp_cuda_kernelERKNSB_10TensorBaseESF_lENKUlvE_clEvENKUlvE_clEvEUlddE_dEEDaPvRmT3_T4_T5_mT6_P12ihipStream_tbENKUlT_T0_E_clISt17integral_constantIbLb1EESV_IbLb0EEEEDaSR_SS_EUlSR_E_NS1_11comp_targetILNS1_3genE10ELNS1_11target_archE1200ELNS1_3gpuE4ELNS1_3repE0EEENS1_30default_config_static_selectorELNS0_4arch9wavefront6targetE0EEEvT1_,comdat
.Lfunc_end53:
	.size	_ZN7rocprim17ROCPRIM_400000_NS6detail17trampoline_kernelINS0_14default_configENS1_20scan_config_selectorIdEEZZNS1_9scan_implILNS1_25lookback_scan_determinismE0ELb0ELb0ES3_PKdPddZZZN2at6native31launch_logcumsumexp_cuda_kernelERKNSB_10TensorBaseESF_lENKUlvE_clEvENKUlvE_clEvEUlddE_dEEDaPvRmT3_T4_T5_mT6_P12ihipStream_tbENKUlT_T0_E_clISt17integral_constantIbLb1EESV_IbLb0EEEEDaSR_SS_EUlSR_E_NS1_11comp_targetILNS1_3genE10ELNS1_11target_archE1200ELNS1_3gpuE4ELNS1_3repE0EEENS1_30default_config_static_selectorELNS0_4arch9wavefront6targetE0EEEvT1_, .Lfunc_end53-_ZN7rocprim17ROCPRIM_400000_NS6detail17trampoline_kernelINS0_14default_configENS1_20scan_config_selectorIdEEZZNS1_9scan_implILNS1_25lookback_scan_determinismE0ELb0ELb0ES3_PKdPddZZZN2at6native31launch_logcumsumexp_cuda_kernelERKNSB_10TensorBaseESF_lENKUlvE_clEvENKUlvE_clEvEUlddE_dEEDaPvRmT3_T4_T5_mT6_P12ihipStream_tbENKUlT_T0_E_clISt17integral_constantIbLb1EESV_IbLb0EEEEDaSR_SS_EUlSR_E_NS1_11comp_targetILNS1_3genE10ELNS1_11target_archE1200ELNS1_3gpuE4ELNS1_3repE0EEENS1_30default_config_static_selectorELNS0_4arch9wavefront6targetE0EEEvT1_
                                        ; -- End function
	.set _ZN7rocprim17ROCPRIM_400000_NS6detail17trampoline_kernelINS0_14default_configENS1_20scan_config_selectorIdEEZZNS1_9scan_implILNS1_25lookback_scan_determinismE0ELb0ELb0ES3_PKdPddZZZN2at6native31launch_logcumsumexp_cuda_kernelERKNSB_10TensorBaseESF_lENKUlvE_clEvENKUlvE_clEvEUlddE_dEEDaPvRmT3_T4_T5_mT6_P12ihipStream_tbENKUlT_T0_E_clISt17integral_constantIbLb1EESV_IbLb0EEEEDaSR_SS_EUlSR_E_NS1_11comp_targetILNS1_3genE10ELNS1_11target_archE1200ELNS1_3gpuE4ELNS1_3repE0EEENS1_30default_config_static_selectorELNS0_4arch9wavefront6targetE0EEEvT1_.num_vgpr, 0
	.set _ZN7rocprim17ROCPRIM_400000_NS6detail17trampoline_kernelINS0_14default_configENS1_20scan_config_selectorIdEEZZNS1_9scan_implILNS1_25lookback_scan_determinismE0ELb0ELb0ES3_PKdPddZZZN2at6native31launch_logcumsumexp_cuda_kernelERKNSB_10TensorBaseESF_lENKUlvE_clEvENKUlvE_clEvEUlddE_dEEDaPvRmT3_T4_T5_mT6_P12ihipStream_tbENKUlT_T0_E_clISt17integral_constantIbLb1EESV_IbLb0EEEEDaSR_SS_EUlSR_E_NS1_11comp_targetILNS1_3genE10ELNS1_11target_archE1200ELNS1_3gpuE4ELNS1_3repE0EEENS1_30default_config_static_selectorELNS0_4arch9wavefront6targetE0EEEvT1_.num_agpr, 0
	.set _ZN7rocprim17ROCPRIM_400000_NS6detail17trampoline_kernelINS0_14default_configENS1_20scan_config_selectorIdEEZZNS1_9scan_implILNS1_25lookback_scan_determinismE0ELb0ELb0ES3_PKdPddZZZN2at6native31launch_logcumsumexp_cuda_kernelERKNSB_10TensorBaseESF_lENKUlvE_clEvENKUlvE_clEvEUlddE_dEEDaPvRmT3_T4_T5_mT6_P12ihipStream_tbENKUlT_T0_E_clISt17integral_constantIbLb1EESV_IbLb0EEEEDaSR_SS_EUlSR_E_NS1_11comp_targetILNS1_3genE10ELNS1_11target_archE1200ELNS1_3gpuE4ELNS1_3repE0EEENS1_30default_config_static_selectorELNS0_4arch9wavefront6targetE0EEEvT1_.numbered_sgpr, 0
	.set _ZN7rocprim17ROCPRIM_400000_NS6detail17trampoline_kernelINS0_14default_configENS1_20scan_config_selectorIdEEZZNS1_9scan_implILNS1_25lookback_scan_determinismE0ELb0ELb0ES3_PKdPddZZZN2at6native31launch_logcumsumexp_cuda_kernelERKNSB_10TensorBaseESF_lENKUlvE_clEvENKUlvE_clEvEUlddE_dEEDaPvRmT3_T4_T5_mT6_P12ihipStream_tbENKUlT_T0_E_clISt17integral_constantIbLb1EESV_IbLb0EEEEDaSR_SS_EUlSR_E_NS1_11comp_targetILNS1_3genE10ELNS1_11target_archE1200ELNS1_3gpuE4ELNS1_3repE0EEENS1_30default_config_static_selectorELNS0_4arch9wavefront6targetE0EEEvT1_.num_named_barrier, 0
	.set _ZN7rocprim17ROCPRIM_400000_NS6detail17trampoline_kernelINS0_14default_configENS1_20scan_config_selectorIdEEZZNS1_9scan_implILNS1_25lookback_scan_determinismE0ELb0ELb0ES3_PKdPddZZZN2at6native31launch_logcumsumexp_cuda_kernelERKNSB_10TensorBaseESF_lENKUlvE_clEvENKUlvE_clEvEUlddE_dEEDaPvRmT3_T4_T5_mT6_P12ihipStream_tbENKUlT_T0_E_clISt17integral_constantIbLb1EESV_IbLb0EEEEDaSR_SS_EUlSR_E_NS1_11comp_targetILNS1_3genE10ELNS1_11target_archE1200ELNS1_3gpuE4ELNS1_3repE0EEENS1_30default_config_static_selectorELNS0_4arch9wavefront6targetE0EEEvT1_.private_seg_size, 0
	.set _ZN7rocprim17ROCPRIM_400000_NS6detail17trampoline_kernelINS0_14default_configENS1_20scan_config_selectorIdEEZZNS1_9scan_implILNS1_25lookback_scan_determinismE0ELb0ELb0ES3_PKdPddZZZN2at6native31launch_logcumsumexp_cuda_kernelERKNSB_10TensorBaseESF_lENKUlvE_clEvENKUlvE_clEvEUlddE_dEEDaPvRmT3_T4_T5_mT6_P12ihipStream_tbENKUlT_T0_E_clISt17integral_constantIbLb1EESV_IbLb0EEEEDaSR_SS_EUlSR_E_NS1_11comp_targetILNS1_3genE10ELNS1_11target_archE1200ELNS1_3gpuE4ELNS1_3repE0EEENS1_30default_config_static_selectorELNS0_4arch9wavefront6targetE0EEEvT1_.uses_vcc, 0
	.set _ZN7rocprim17ROCPRIM_400000_NS6detail17trampoline_kernelINS0_14default_configENS1_20scan_config_selectorIdEEZZNS1_9scan_implILNS1_25lookback_scan_determinismE0ELb0ELb0ES3_PKdPddZZZN2at6native31launch_logcumsumexp_cuda_kernelERKNSB_10TensorBaseESF_lENKUlvE_clEvENKUlvE_clEvEUlddE_dEEDaPvRmT3_T4_T5_mT6_P12ihipStream_tbENKUlT_T0_E_clISt17integral_constantIbLb1EESV_IbLb0EEEEDaSR_SS_EUlSR_E_NS1_11comp_targetILNS1_3genE10ELNS1_11target_archE1200ELNS1_3gpuE4ELNS1_3repE0EEENS1_30default_config_static_selectorELNS0_4arch9wavefront6targetE0EEEvT1_.uses_flat_scratch, 0
	.set _ZN7rocprim17ROCPRIM_400000_NS6detail17trampoline_kernelINS0_14default_configENS1_20scan_config_selectorIdEEZZNS1_9scan_implILNS1_25lookback_scan_determinismE0ELb0ELb0ES3_PKdPddZZZN2at6native31launch_logcumsumexp_cuda_kernelERKNSB_10TensorBaseESF_lENKUlvE_clEvENKUlvE_clEvEUlddE_dEEDaPvRmT3_T4_T5_mT6_P12ihipStream_tbENKUlT_T0_E_clISt17integral_constantIbLb1EESV_IbLb0EEEEDaSR_SS_EUlSR_E_NS1_11comp_targetILNS1_3genE10ELNS1_11target_archE1200ELNS1_3gpuE4ELNS1_3repE0EEENS1_30default_config_static_selectorELNS0_4arch9wavefront6targetE0EEEvT1_.has_dyn_sized_stack, 0
	.set _ZN7rocprim17ROCPRIM_400000_NS6detail17trampoline_kernelINS0_14default_configENS1_20scan_config_selectorIdEEZZNS1_9scan_implILNS1_25lookback_scan_determinismE0ELb0ELb0ES3_PKdPddZZZN2at6native31launch_logcumsumexp_cuda_kernelERKNSB_10TensorBaseESF_lENKUlvE_clEvENKUlvE_clEvEUlddE_dEEDaPvRmT3_T4_T5_mT6_P12ihipStream_tbENKUlT_T0_E_clISt17integral_constantIbLb1EESV_IbLb0EEEEDaSR_SS_EUlSR_E_NS1_11comp_targetILNS1_3genE10ELNS1_11target_archE1200ELNS1_3gpuE4ELNS1_3repE0EEENS1_30default_config_static_selectorELNS0_4arch9wavefront6targetE0EEEvT1_.has_recursion, 0
	.set _ZN7rocprim17ROCPRIM_400000_NS6detail17trampoline_kernelINS0_14default_configENS1_20scan_config_selectorIdEEZZNS1_9scan_implILNS1_25lookback_scan_determinismE0ELb0ELb0ES3_PKdPddZZZN2at6native31launch_logcumsumexp_cuda_kernelERKNSB_10TensorBaseESF_lENKUlvE_clEvENKUlvE_clEvEUlddE_dEEDaPvRmT3_T4_T5_mT6_P12ihipStream_tbENKUlT_T0_E_clISt17integral_constantIbLb1EESV_IbLb0EEEEDaSR_SS_EUlSR_E_NS1_11comp_targetILNS1_3genE10ELNS1_11target_archE1200ELNS1_3gpuE4ELNS1_3repE0EEENS1_30default_config_static_selectorELNS0_4arch9wavefront6targetE0EEEvT1_.has_indirect_call, 0
	.section	.AMDGPU.csdata,"",@progbits
; Kernel info:
; codeLenInByte = 0
; TotalNumSgprs: 0
; NumVgprs: 0
; ScratchSize: 0
; MemoryBound: 0
; FloatMode: 240
; IeeeMode: 1
; LDSByteSize: 0 bytes/workgroup (compile time only)
; SGPRBlocks: 0
; VGPRBlocks: 0
; NumSGPRsForWavesPerEU: 1
; NumVGPRsForWavesPerEU: 1
; Occupancy: 16
; WaveLimiterHint : 0
; COMPUTE_PGM_RSRC2:SCRATCH_EN: 0
; COMPUTE_PGM_RSRC2:USER_SGPR: 6
; COMPUTE_PGM_RSRC2:TRAP_HANDLER: 0
; COMPUTE_PGM_RSRC2:TGID_X_EN: 1
; COMPUTE_PGM_RSRC2:TGID_Y_EN: 0
; COMPUTE_PGM_RSRC2:TGID_Z_EN: 0
; COMPUTE_PGM_RSRC2:TIDIG_COMP_CNT: 0
	.section	.text._ZN7rocprim17ROCPRIM_400000_NS6detail17trampoline_kernelINS0_14default_configENS1_20scan_config_selectorIdEEZZNS1_9scan_implILNS1_25lookback_scan_determinismE0ELb0ELb0ES3_PKdPddZZZN2at6native31launch_logcumsumexp_cuda_kernelERKNSB_10TensorBaseESF_lENKUlvE_clEvENKUlvE_clEvEUlddE_dEEDaPvRmT3_T4_T5_mT6_P12ihipStream_tbENKUlT_T0_E_clISt17integral_constantIbLb1EESV_IbLb0EEEEDaSR_SS_EUlSR_E_NS1_11comp_targetILNS1_3genE9ELNS1_11target_archE1100ELNS1_3gpuE3ELNS1_3repE0EEENS1_30default_config_static_selectorELNS0_4arch9wavefront6targetE0EEEvT1_,"axG",@progbits,_ZN7rocprim17ROCPRIM_400000_NS6detail17trampoline_kernelINS0_14default_configENS1_20scan_config_selectorIdEEZZNS1_9scan_implILNS1_25lookback_scan_determinismE0ELb0ELb0ES3_PKdPddZZZN2at6native31launch_logcumsumexp_cuda_kernelERKNSB_10TensorBaseESF_lENKUlvE_clEvENKUlvE_clEvEUlddE_dEEDaPvRmT3_T4_T5_mT6_P12ihipStream_tbENKUlT_T0_E_clISt17integral_constantIbLb1EESV_IbLb0EEEEDaSR_SS_EUlSR_E_NS1_11comp_targetILNS1_3genE9ELNS1_11target_archE1100ELNS1_3gpuE3ELNS1_3repE0EEENS1_30default_config_static_selectorELNS0_4arch9wavefront6targetE0EEEvT1_,comdat
	.globl	_ZN7rocprim17ROCPRIM_400000_NS6detail17trampoline_kernelINS0_14default_configENS1_20scan_config_selectorIdEEZZNS1_9scan_implILNS1_25lookback_scan_determinismE0ELb0ELb0ES3_PKdPddZZZN2at6native31launch_logcumsumexp_cuda_kernelERKNSB_10TensorBaseESF_lENKUlvE_clEvENKUlvE_clEvEUlddE_dEEDaPvRmT3_T4_T5_mT6_P12ihipStream_tbENKUlT_T0_E_clISt17integral_constantIbLb1EESV_IbLb0EEEEDaSR_SS_EUlSR_E_NS1_11comp_targetILNS1_3genE9ELNS1_11target_archE1100ELNS1_3gpuE3ELNS1_3repE0EEENS1_30default_config_static_selectorELNS0_4arch9wavefront6targetE0EEEvT1_ ; -- Begin function _ZN7rocprim17ROCPRIM_400000_NS6detail17trampoline_kernelINS0_14default_configENS1_20scan_config_selectorIdEEZZNS1_9scan_implILNS1_25lookback_scan_determinismE0ELb0ELb0ES3_PKdPddZZZN2at6native31launch_logcumsumexp_cuda_kernelERKNSB_10TensorBaseESF_lENKUlvE_clEvENKUlvE_clEvEUlddE_dEEDaPvRmT3_T4_T5_mT6_P12ihipStream_tbENKUlT_T0_E_clISt17integral_constantIbLb1EESV_IbLb0EEEEDaSR_SS_EUlSR_E_NS1_11comp_targetILNS1_3genE9ELNS1_11target_archE1100ELNS1_3gpuE3ELNS1_3repE0EEENS1_30default_config_static_selectorELNS0_4arch9wavefront6targetE0EEEvT1_
	.p2align	8
	.type	_ZN7rocprim17ROCPRIM_400000_NS6detail17trampoline_kernelINS0_14default_configENS1_20scan_config_selectorIdEEZZNS1_9scan_implILNS1_25lookback_scan_determinismE0ELb0ELb0ES3_PKdPddZZZN2at6native31launch_logcumsumexp_cuda_kernelERKNSB_10TensorBaseESF_lENKUlvE_clEvENKUlvE_clEvEUlddE_dEEDaPvRmT3_T4_T5_mT6_P12ihipStream_tbENKUlT_T0_E_clISt17integral_constantIbLb1EESV_IbLb0EEEEDaSR_SS_EUlSR_E_NS1_11comp_targetILNS1_3genE9ELNS1_11target_archE1100ELNS1_3gpuE3ELNS1_3repE0EEENS1_30default_config_static_selectorELNS0_4arch9wavefront6targetE0EEEvT1_,@function
_ZN7rocprim17ROCPRIM_400000_NS6detail17trampoline_kernelINS0_14default_configENS1_20scan_config_selectorIdEEZZNS1_9scan_implILNS1_25lookback_scan_determinismE0ELb0ELb0ES3_PKdPddZZZN2at6native31launch_logcumsumexp_cuda_kernelERKNSB_10TensorBaseESF_lENKUlvE_clEvENKUlvE_clEvEUlddE_dEEDaPvRmT3_T4_T5_mT6_P12ihipStream_tbENKUlT_T0_E_clISt17integral_constantIbLb1EESV_IbLb0EEEEDaSR_SS_EUlSR_E_NS1_11comp_targetILNS1_3genE9ELNS1_11target_archE1100ELNS1_3gpuE3ELNS1_3repE0EEENS1_30default_config_static_selectorELNS0_4arch9wavefront6targetE0EEEvT1_: ; @_ZN7rocprim17ROCPRIM_400000_NS6detail17trampoline_kernelINS0_14default_configENS1_20scan_config_selectorIdEEZZNS1_9scan_implILNS1_25lookback_scan_determinismE0ELb0ELb0ES3_PKdPddZZZN2at6native31launch_logcumsumexp_cuda_kernelERKNSB_10TensorBaseESF_lENKUlvE_clEvENKUlvE_clEvEUlddE_dEEDaPvRmT3_T4_T5_mT6_P12ihipStream_tbENKUlT_T0_E_clISt17integral_constantIbLb1EESV_IbLb0EEEEDaSR_SS_EUlSR_E_NS1_11comp_targetILNS1_3genE9ELNS1_11target_archE1100ELNS1_3gpuE3ELNS1_3repE0EEENS1_30default_config_static_selectorELNS0_4arch9wavefront6targetE0EEEvT1_
; %bb.0:
	.section	.rodata,"a",@progbits
	.p2align	6, 0x0
	.amdhsa_kernel _ZN7rocprim17ROCPRIM_400000_NS6detail17trampoline_kernelINS0_14default_configENS1_20scan_config_selectorIdEEZZNS1_9scan_implILNS1_25lookback_scan_determinismE0ELb0ELb0ES3_PKdPddZZZN2at6native31launch_logcumsumexp_cuda_kernelERKNSB_10TensorBaseESF_lENKUlvE_clEvENKUlvE_clEvEUlddE_dEEDaPvRmT3_T4_T5_mT6_P12ihipStream_tbENKUlT_T0_E_clISt17integral_constantIbLb1EESV_IbLb0EEEEDaSR_SS_EUlSR_E_NS1_11comp_targetILNS1_3genE9ELNS1_11target_archE1100ELNS1_3gpuE3ELNS1_3repE0EEENS1_30default_config_static_selectorELNS0_4arch9wavefront6targetE0EEEvT1_
		.amdhsa_group_segment_fixed_size 0
		.amdhsa_private_segment_fixed_size 0
		.amdhsa_kernarg_size 104
		.amdhsa_user_sgpr_count 6
		.amdhsa_user_sgpr_private_segment_buffer 1
		.amdhsa_user_sgpr_dispatch_ptr 0
		.amdhsa_user_sgpr_queue_ptr 0
		.amdhsa_user_sgpr_kernarg_segment_ptr 1
		.amdhsa_user_sgpr_dispatch_id 0
		.amdhsa_user_sgpr_flat_scratch_init 0
		.amdhsa_user_sgpr_private_segment_size 0
		.amdhsa_wavefront_size32 1
		.amdhsa_uses_dynamic_stack 0
		.amdhsa_system_sgpr_private_segment_wavefront_offset 0
		.amdhsa_system_sgpr_workgroup_id_x 1
		.amdhsa_system_sgpr_workgroup_id_y 0
		.amdhsa_system_sgpr_workgroup_id_z 0
		.amdhsa_system_sgpr_workgroup_info 0
		.amdhsa_system_vgpr_workitem_id 0
		.amdhsa_next_free_vgpr 1
		.amdhsa_next_free_sgpr 1
		.amdhsa_reserve_vcc 0
		.amdhsa_reserve_flat_scratch 0
		.amdhsa_float_round_mode_32 0
		.amdhsa_float_round_mode_16_64 0
		.amdhsa_float_denorm_mode_32 3
		.amdhsa_float_denorm_mode_16_64 3
		.amdhsa_dx10_clamp 1
		.amdhsa_ieee_mode 1
		.amdhsa_fp16_overflow 0
		.amdhsa_workgroup_processor_mode 1
		.amdhsa_memory_ordered 1
		.amdhsa_forward_progress 1
		.amdhsa_shared_vgpr_count 0
		.amdhsa_exception_fp_ieee_invalid_op 0
		.amdhsa_exception_fp_denorm_src 0
		.amdhsa_exception_fp_ieee_div_zero 0
		.amdhsa_exception_fp_ieee_overflow 0
		.amdhsa_exception_fp_ieee_underflow 0
		.amdhsa_exception_fp_ieee_inexact 0
		.amdhsa_exception_int_div_zero 0
	.end_amdhsa_kernel
	.section	.text._ZN7rocprim17ROCPRIM_400000_NS6detail17trampoline_kernelINS0_14default_configENS1_20scan_config_selectorIdEEZZNS1_9scan_implILNS1_25lookback_scan_determinismE0ELb0ELb0ES3_PKdPddZZZN2at6native31launch_logcumsumexp_cuda_kernelERKNSB_10TensorBaseESF_lENKUlvE_clEvENKUlvE_clEvEUlddE_dEEDaPvRmT3_T4_T5_mT6_P12ihipStream_tbENKUlT_T0_E_clISt17integral_constantIbLb1EESV_IbLb0EEEEDaSR_SS_EUlSR_E_NS1_11comp_targetILNS1_3genE9ELNS1_11target_archE1100ELNS1_3gpuE3ELNS1_3repE0EEENS1_30default_config_static_selectorELNS0_4arch9wavefront6targetE0EEEvT1_,"axG",@progbits,_ZN7rocprim17ROCPRIM_400000_NS6detail17trampoline_kernelINS0_14default_configENS1_20scan_config_selectorIdEEZZNS1_9scan_implILNS1_25lookback_scan_determinismE0ELb0ELb0ES3_PKdPddZZZN2at6native31launch_logcumsumexp_cuda_kernelERKNSB_10TensorBaseESF_lENKUlvE_clEvENKUlvE_clEvEUlddE_dEEDaPvRmT3_T4_T5_mT6_P12ihipStream_tbENKUlT_T0_E_clISt17integral_constantIbLb1EESV_IbLb0EEEEDaSR_SS_EUlSR_E_NS1_11comp_targetILNS1_3genE9ELNS1_11target_archE1100ELNS1_3gpuE3ELNS1_3repE0EEENS1_30default_config_static_selectorELNS0_4arch9wavefront6targetE0EEEvT1_,comdat
.Lfunc_end54:
	.size	_ZN7rocprim17ROCPRIM_400000_NS6detail17trampoline_kernelINS0_14default_configENS1_20scan_config_selectorIdEEZZNS1_9scan_implILNS1_25lookback_scan_determinismE0ELb0ELb0ES3_PKdPddZZZN2at6native31launch_logcumsumexp_cuda_kernelERKNSB_10TensorBaseESF_lENKUlvE_clEvENKUlvE_clEvEUlddE_dEEDaPvRmT3_T4_T5_mT6_P12ihipStream_tbENKUlT_T0_E_clISt17integral_constantIbLb1EESV_IbLb0EEEEDaSR_SS_EUlSR_E_NS1_11comp_targetILNS1_3genE9ELNS1_11target_archE1100ELNS1_3gpuE3ELNS1_3repE0EEENS1_30default_config_static_selectorELNS0_4arch9wavefront6targetE0EEEvT1_, .Lfunc_end54-_ZN7rocprim17ROCPRIM_400000_NS6detail17trampoline_kernelINS0_14default_configENS1_20scan_config_selectorIdEEZZNS1_9scan_implILNS1_25lookback_scan_determinismE0ELb0ELb0ES3_PKdPddZZZN2at6native31launch_logcumsumexp_cuda_kernelERKNSB_10TensorBaseESF_lENKUlvE_clEvENKUlvE_clEvEUlddE_dEEDaPvRmT3_T4_T5_mT6_P12ihipStream_tbENKUlT_T0_E_clISt17integral_constantIbLb1EESV_IbLb0EEEEDaSR_SS_EUlSR_E_NS1_11comp_targetILNS1_3genE9ELNS1_11target_archE1100ELNS1_3gpuE3ELNS1_3repE0EEENS1_30default_config_static_selectorELNS0_4arch9wavefront6targetE0EEEvT1_
                                        ; -- End function
	.set _ZN7rocprim17ROCPRIM_400000_NS6detail17trampoline_kernelINS0_14default_configENS1_20scan_config_selectorIdEEZZNS1_9scan_implILNS1_25lookback_scan_determinismE0ELb0ELb0ES3_PKdPddZZZN2at6native31launch_logcumsumexp_cuda_kernelERKNSB_10TensorBaseESF_lENKUlvE_clEvENKUlvE_clEvEUlddE_dEEDaPvRmT3_T4_T5_mT6_P12ihipStream_tbENKUlT_T0_E_clISt17integral_constantIbLb1EESV_IbLb0EEEEDaSR_SS_EUlSR_E_NS1_11comp_targetILNS1_3genE9ELNS1_11target_archE1100ELNS1_3gpuE3ELNS1_3repE0EEENS1_30default_config_static_selectorELNS0_4arch9wavefront6targetE0EEEvT1_.num_vgpr, 0
	.set _ZN7rocprim17ROCPRIM_400000_NS6detail17trampoline_kernelINS0_14default_configENS1_20scan_config_selectorIdEEZZNS1_9scan_implILNS1_25lookback_scan_determinismE0ELb0ELb0ES3_PKdPddZZZN2at6native31launch_logcumsumexp_cuda_kernelERKNSB_10TensorBaseESF_lENKUlvE_clEvENKUlvE_clEvEUlddE_dEEDaPvRmT3_T4_T5_mT6_P12ihipStream_tbENKUlT_T0_E_clISt17integral_constantIbLb1EESV_IbLb0EEEEDaSR_SS_EUlSR_E_NS1_11comp_targetILNS1_3genE9ELNS1_11target_archE1100ELNS1_3gpuE3ELNS1_3repE0EEENS1_30default_config_static_selectorELNS0_4arch9wavefront6targetE0EEEvT1_.num_agpr, 0
	.set _ZN7rocprim17ROCPRIM_400000_NS6detail17trampoline_kernelINS0_14default_configENS1_20scan_config_selectorIdEEZZNS1_9scan_implILNS1_25lookback_scan_determinismE0ELb0ELb0ES3_PKdPddZZZN2at6native31launch_logcumsumexp_cuda_kernelERKNSB_10TensorBaseESF_lENKUlvE_clEvENKUlvE_clEvEUlddE_dEEDaPvRmT3_T4_T5_mT6_P12ihipStream_tbENKUlT_T0_E_clISt17integral_constantIbLb1EESV_IbLb0EEEEDaSR_SS_EUlSR_E_NS1_11comp_targetILNS1_3genE9ELNS1_11target_archE1100ELNS1_3gpuE3ELNS1_3repE0EEENS1_30default_config_static_selectorELNS0_4arch9wavefront6targetE0EEEvT1_.numbered_sgpr, 0
	.set _ZN7rocprim17ROCPRIM_400000_NS6detail17trampoline_kernelINS0_14default_configENS1_20scan_config_selectorIdEEZZNS1_9scan_implILNS1_25lookback_scan_determinismE0ELb0ELb0ES3_PKdPddZZZN2at6native31launch_logcumsumexp_cuda_kernelERKNSB_10TensorBaseESF_lENKUlvE_clEvENKUlvE_clEvEUlddE_dEEDaPvRmT3_T4_T5_mT6_P12ihipStream_tbENKUlT_T0_E_clISt17integral_constantIbLb1EESV_IbLb0EEEEDaSR_SS_EUlSR_E_NS1_11comp_targetILNS1_3genE9ELNS1_11target_archE1100ELNS1_3gpuE3ELNS1_3repE0EEENS1_30default_config_static_selectorELNS0_4arch9wavefront6targetE0EEEvT1_.num_named_barrier, 0
	.set _ZN7rocprim17ROCPRIM_400000_NS6detail17trampoline_kernelINS0_14default_configENS1_20scan_config_selectorIdEEZZNS1_9scan_implILNS1_25lookback_scan_determinismE0ELb0ELb0ES3_PKdPddZZZN2at6native31launch_logcumsumexp_cuda_kernelERKNSB_10TensorBaseESF_lENKUlvE_clEvENKUlvE_clEvEUlddE_dEEDaPvRmT3_T4_T5_mT6_P12ihipStream_tbENKUlT_T0_E_clISt17integral_constantIbLb1EESV_IbLb0EEEEDaSR_SS_EUlSR_E_NS1_11comp_targetILNS1_3genE9ELNS1_11target_archE1100ELNS1_3gpuE3ELNS1_3repE0EEENS1_30default_config_static_selectorELNS0_4arch9wavefront6targetE0EEEvT1_.private_seg_size, 0
	.set _ZN7rocprim17ROCPRIM_400000_NS6detail17trampoline_kernelINS0_14default_configENS1_20scan_config_selectorIdEEZZNS1_9scan_implILNS1_25lookback_scan_determinismE0ELb0ELb0ES3_PKdPddZZZN2at6native31launch_logcumsumexp_cuda_kernelERKNSB_10TensorBaseESF_lENKUlvE_clEvENKUlvE_clEvEUlddE_dEEDaPvRmT3_T4_T5_mT6_P12ihipStream_tbENKUlT_T0_E_clISt17integral_constantIbLb1EESV_IbLb0EEEEDaSR_SS_EUlSR_E_NS1_11comp_targetILNS1_3genE9ELNS1_11target_archE1100ELNS1_3gpuE3ELNS1_3repE0EEENS1_30default_config_static_selectorELNS0_4arch9wavefront6targetE0EEEvT1_.uses_vcc, 0
	.set _ZN7rocprim17ROCPRIM_400000_NS6detail17trampoline_kernelINS0_14default_configENS1_20scan_config_selectorIdEEZZNS1_9scan_implILNS1_25lookback_scan_determinismE0ELb0ELb0ES3_PKdPddZZZN2at6native31launch_logcumsumexp_cuda_kernelERKNSB_10TensorBaseESF_lENKUlvE_clEvENKUlvE_clEvEUlddE_dEEDaPvRmT3_T4_T5_mT6_P12ihipStream_tbENKUlT_T0_E_clISt17integral_constantIbLb1EESV_IbLb0EEEEDaSR_SS_EUlSR_E_NS1_11comp_targetILNS1_3genE9ELNS1_11target_archE1100ELNS1_3gpuE3ELNS1_3repE0EEENS1_30default_config_static_selectorELNS0_4arch9wavefront6targetE0EEEvT1_.uses_flat_scratch, 0
	.set _ZN7rocprim17ROCPRIM_400000_NS6detail17trampoline_kernelINS0_14default_configENS1_20scan_config_selectorIdEEZZNS1_9scan_implILNS1_25lookback_scan_determinismE0ELb0ELb0ES3_PKdPddZZZN2at6native31launch_logcumsumexp_cuda_kernelERKNSB_10TensorBaseESF_lENKUlvE_clEvENKUlvE_clEvEUlddE_dEEDaPvRmT3_T4_T5_mT6_P12ihipStream_tbENKUlT_T0_E_clISt17integral_constantIbLb1EESV_IbLb0EEEEDaSR_SS_EUlSR_E_NS1_11comp_targetILNS1_3genE9ELNS1_11target_archE1100ELNS1_3gpuE3ELNS1_3repE0EEENS1_30default_config_static_selectorELNS0_4arch9wavefront6targetE0EEEvT1_.has_dyn_sized_stack, 0
	.set _ZN7rocprim17ROCPRIM_400000_NS6detail17trampoline_kernelINS0_14default_configENS1_20scan_config_selectorIdEEZZNS1_9scan_implILNS1_25lookback_scan_determinismE0ELb0ELb0ES3_PKdPddZZZN2at6native31launch_logcumsumexp_cuda_kernelERKNSB_10TensorBaseESF_lENKUlvE_clEvENKUlvE_clEvEUlddE_dEEDaPvRmT3_T4_T5_mT6_P12ihipStream_tbENKUlT_T0_E_clISt17integral_constantIbLb1EESV_IbLb0EEEEDaSR_SS_EUlSR_E_NS1_11comp_targetILNS1_3genE9ELNS1_11target_archE1100ELNS1_3gpuE3ELNS1_3repE0EEENS1_30default_config_static_selectorELNS0_4arch9wavefront6targetE0EEEvT1_.has_recursion, 0
	.set _ZN7rocprim17ROCPRIM_400000_NS6detail17trampoline_kernelINS0_14default_configENS1_20scan_config_selectorIdEEZZNS1_9scan_implILNS1_25lookback_scan_determinismE0ELb0ELb0ES3_PKdPddZZZN2at6native31launch_logcumsumexp_cuda_kernelERKNSB_10TensorBaseESF_lENKUlvE_clEvENKUlvE_clEvEUlddE_dEEDaPvRmT3_T4_T5_mT6_P12ihipStream_tbENKUlT_T0_E_clISt17integral_constantIbLb1EESV_IbLb0EEEEDaSR_SS_EUlSR_E_NS1_11comp_targetILNS1_3genE9ELNS1_11target_archE1100ELNS1_3gpuE3ELNS1_3repE0EEENS1_30default_config_static_selectorELNS0_4arch9wavefront6targetE0EEEvT1_.has_indirect_call, 0
	.section	.AMDGPU.csdata,"",@progbits
; Kernel info:
; codeLenInByte = 0
; TotalNumSgprs: 0
; NumVgprs: 0
; ScratchSize: 0
; MemoryBound: 0
; FloatMode: 240
; IeeeMode: 1
; LDSByteSize: 0 bytes/workgroup (compile time only)
; SGPRBlocks: 0
; VGPRBlocks: 0
; NumSGPRsForWavesPerEU: 1
; NumVGPRsForWavesPerEU: 1
; Occupancy: 16
; WaveLimiterHint : 0
; COMPUTE_PGM_RSRC2:SCRATCH_EN: 0
; COMPUTE_PGM_RSRC2:USER_SGPR: 6
; COMPUTE_PGM_RSRC2:TRAP_HANDLER: 0
; COMPUTE_PGM_RSRC2:TGID_X_EN: 1
; COMPUTE_PGM_RSRC2:TGID_Y_EN: 0
; COMPUTE_PGM_RSRC2:TGID_Z_EN: 0
; COMPUTE_PGM_RSRC2:TIDIG_COMP_CNT: 0
	.section	.text._ZN7rocprim17ROCPRIM_400000_NS6detail17trampoline_kernelINS0_14default_configENS1_20scan_config_selectorIdEEZZNS1_9scan_implILNS1_25lookback_scan_determinismE0ELb0ELb0ES3_PKdPddZZZN2at6native31launch_logcumsumexp_cuda_kernelERKNSB_10TensorBaseESF_lENKUlvE_clEvENKUlvE_clEvEUlddE_dEEDaPvRmT3_T4_T5_mT6_P12ihipStream_tbENKUlT_T0_E_clISt17integral_constantIbLb1EESV_IbLb0EEEEDaSR_SS_EUlSR_E_NS1_11comp_targetILNS1_3genE8ELNS1_11target_archE1030ELNS1_3gpuE2ELNS1_3repE0EEENS1_30default_config_static_selectorELNS0_4arch9wavefront6targetE0EEEvT1_,"axG",@progbits,_ZN7rocprim17ROCPRIM_400000_NS6detail17trampoline_kernelINS0_14default_configENS1_20scan_config_selectorIdEEZZNS1_9scan_implILNS1_25lookback_scan_determinismE0ELb0ELb0ES3_PKdPddZZZN2at6native31launch_logcumsumexp_cuda_kernelERKNSB_10TensorBaseESF_lENKUlvE_clEvENKUlvE_clEvEUlddE_dEEDaPvRmT3_T4_T5_mT6_P12ihipStream_tbENKUlT_T0_E_clISt17integral_constantIbLb1EESV_IbLb0EEEEDaSR_SS_EUlSR_E_NS1_11comp_targetILNS1_3genE8ELNS1_11target_archE1030ELNS1_3gpuE2ELNS1_3repE0EEENS1_30default_config_static_selectorELNS0_4arch9wavefront6targetE0EEEvT1_,comdat
	.globl	_ZN7rocprim17ROCPRIM_400000_NS6detail17trampoline_kernelINS0_14default_configENS1_20scan_config_selectorIdEEZZNS1_9scan_implILNS1_25lookback_scan_determinismE0ELb0ELb0ES3_PKdPddZZZN2at6native31launch_logcumsumexp_cuda_kernelERKNSB_10TensorBaseESF_lENKUlvE_clEvENKUlvE_clEvEUlddE_dEEDaPvRmT3_T4_T5_mT6_P12ihipStream_tbENKUlT_T0_E_clISt17integral_constantIbLb1EESV_IbLb0EEEEDaSR_SS_EUlSR_E_NS1_11comp_targetILNS1_3genE8ELNS1_11target_archE1030ELNS1_3gpuE2ELNS1_3repE0EEENS1_30default_config_static_selectorELNS0_4arch9wavefront6targetE0EEEvT1_ ; -- Begin function _ZN7rocprim17ROCPRIM_400000_NS6detail17trampoline_kernelINS0_14default_configENS1_20scan_config_selectorIdEEZZNS1_9scan_implILNS1_25lookback_scan_determinismE0ELb0ELb0ES3_PKdPddZZZN2at6native31launch_logcumsumexp_cuda_kernelERKNSB_10TensorBaseESF_lENKUlvE_clEvENKUlvE_clEvEUlddE_dEEDaPvRmT3_T4_T5_mT6_P12ihipStream_tbENKUlT_T0_E_clISt17integral_constantIbLb1EESV_IbLb0EEEEDaSR_SS_EUlSR_E_NS1_11comp_targetILNS1_3genE8ELNS1_11target_archE1030ELNS1_3gpuE2ELNS1_3repE0EEENS1_30default_config_static_selectorELNS0_4arch9wavefront6targetE0EEEvT1_
	.p2align	8
	.type	_ZN7rocprim17ROCPRIM_400000_NS6detail17trampoline_kernelINS0_14default_configENS1_20scan_config_selectorIdEEZZNS1_9scan_implILNS1_25lookback_scan_determinismE0ELb0ELb0ES3_PKdPddZZZN2at6native31launch_logcumsumexp_cuda_kernelERKNSB_10TensorBaseESF_lENKUlvE_clEvENKUlvE_clEvEUlddE_dEEDaPvRmT3_T4_T5_mT6_P12ihipStream_tbENKUlT_T0_E_clISt17integral_constantIbLb1EESV_IbLb0EEEEDaSR_SS_EUlSR_E_NS1_11comp_targetILNS1_3genE8ELNS1_11target_archE1030ELNS1_3gpuE2ELNS1_3repE0EEENS1_30default_config_static_selectorELNS0_4arch9wavefront6targetE0EEEvT1_,@function
_ZN7rocprim17ROCPRIM_400000_NS6detail17trampoline_kernelINS0_14default_configENS1_20scan_config_selectorIdEEZZNS1_9scan_implILNS1_25lookback_scan_determinismE0ELb0ELb0ES3_PKdPddZZZN2at6native31launch_logcumsumexp_cuda_kernelERKNSB_10TensorBaseESF_lENKUlvE_clEvENKUlvE_clEvEUlddE_dEEDaPvRmT3_T4_T5_mT6_P12ihipStream_tbENKUlT_T0_E_clISt17integral_constantIbLb1EESV_IbLb0EEEEDaSR_SS_EUlSR_E_NS1_11comp_targetILNS1_3genE8ELNS1_11target_archE1030ELNS1_3gpuE2ELNS1_3repE0EEENS1_30default_config_static_selectorELNS0_4arch9wavefront6targetE0EEEvT1_: ; @_ZN7rocprim17ROCPRIM_400000_NS6detail17trampoline_kernelINS0_14default_configENS1_20scan_config_selectorIdEEZZNS1_9scan_implILNS1_25lookback_scan_determinismE0ELb0ELb0ES3_PKdPddZZZN2at6native31launch_logcumsumexp_cuda_kernelERKNSB_10TensorBaseESF_lENKUlvE_clEvENKUlvE_clEvEUlddE_dEEDaPvRmT3_T4_T5_mT6_P12ihipStream_tbENKUlT_T0_E_clISt17integral_constantIbLb1EESV_IbLb0EEEEDaSR_SS_EUlSR_E_NS1_11comp_targetILNS1_3genE8ELNS1_11target_archE1030ELNS1_3gpuE2ELNS1_3repE0EEENS1_30default_config_static_selectorELNS0_4arch9wavefront6targetE0EEEvT1_
; %bb.0:
	s_endpgm
	.section	.rodata,"a",@progbits
	.p2align	6, 0x0
	.amdhsa_kernel _ZN7rocprim17ROCPRIM_400000_NS6detail17trampoline_kernelINS0_14default_configENS1_20scan_config_selectorIdEEZZNS1_9scan_implILNS1_25lookback_scan_determinismE0ELb0ELb0ES3_PKdPddZZZN2at6native31launch_logcumsumexp_cuda_kernelERKNSB_10TensorBaseESF_lENKUlvE_clEvENKUlvE_clEvEUlddE_dEEDaPvRmT3_T4_T5_mT6_P12ihipStream_tbENKUlT_T0_E_clISt17integral_constantIbLb1EESV_IbLb0EEEEDaSR_SS_EUlSR_E_NS1_11comp_targetILNS1_3genE8ELNS1_11target_archE1030ELNS1_3gpuE2ELNS1_3repE0EEENS1_30default_config_static_selectorELNS0_4arch9wavefront6targetE0EEEvT1_
		.amdhsa_group_segment_fixed_size 0
		.amdhsa_private_segment_fixed_size 0
		.amdhsa_kernarg_size 104
		.amdhsa_user_sgpr_count 6
		.amdhsa_user_sgpr_private_segment_buffer 1
		.amdhsa_user_sgpr_dispatch_ptr 0
		.amdhsa_user_sgpr_queue_ptr 0
		.amdhsa_user_sgpr_kernarg_segment_ptr 1
		.amdhsa_user_sgpr_dispatch_id 0
		.amdhsa_user_sgpr_flat_scratch_init 0
		.amdhsa_user_sgpr_private_segment_size 0
		.amdhsa_wavefront_size32 1
		.amdhsa_uses_dynamic_stack 0
		.amdhsa_system_sgpr_private_segment_wavefront_offset 0
		.amdhsa_system_sgpr_workgroup_id_x 1
		.amdhsa_system_sgpr_workgroup_id_y 0
		.amdhsa_system_sgpr_workgroup_id_z 0
		.amdhsa_system_sgpr_workgroup_info 0
		.amdhsa_system_vgpr_workitem_id 0
		.amdhsa_next_free_vgpr 1
		.amdhsa_next_free_sgpr 1
		.amdhsa_reserve_vcc 0
		.amdhsa_reserve_flat_scratch 0
		.amdhsa_float_round_mode_32 0
		.amdhsa_float_round_mode_16_64 0
		.amdhsa_float_denorm_mode_32 3
		.amdhsa_float_denorm_mode_16_64 3
		.amdhsa_dx10_clamp 1
		.amdhsa_ieee_mode 1
		.amdhsa_fp16_overflow 0
		.amdhsa_workgroup_processor_mode 1
		.amdhsa_memory_ordered 1
		.amdhsa_forward_progress 1
		.amdhsa_shared_vgpr_count 0
		.amdhsa_exception_fp_ieee_invalid_op 0
		.amdhsa_exception_fp_denorm_src 0
		.amdhsa_exception_fp_ieee_div_zero 0
		.amdhsa_exception_fp_ieee_overflow 0
		.amdhsa_exception_fp_ieee_underflow 0
		.amdhsa_exception_fp_ieee_inexact 0
		.amdhsa_exception_int_div_zero 0
	.end_amdhsa_kernel
	.section	.text._ZN7rocprim17ROCPRIM_400000_NS6detail17trampoline_kernelINS0_14default_configENS1_20scan_config_selectorIdEEZZNS1_9scan_implILNS1_25lookback_scan_determinismE0ELb0ELb0ES3_PKdPddZZZN2at6native31launch_logcumsumexp_cuda_kernelERKNSB_10TensorBaseESF_lENKUlvE_clEvENKUlvE_clEvEUlddE_dEEDaPvRmT3_T4_T5_mT6_P12ihipStream_tbENKUlT_T0_E_clISt17integral_constantIbLb1EESV_IbLb0EEEEDaSR_SS_EUlSR_E_NS1_11comp_targetILNS1_3genE8ELNS1_11target_archE1030ELNS1_3gpuE2ELNS1_3repE0EEENS1_30default_config_static_selectorELNS0_4arch9wavefront6targetE0EEEvT1_,"axG",@progbits,_ZN7rocprim17ROCPRIM_400000_NS6detail17trampoline_kernelINS0_14default_configENS1_20scan_config_selectorIdEEZZNS1_9scan_implILNS1_25lookback_scan_determinismE0ELb0ELb0ES3_PKdPddZZZN2at6native31launch_logcumsumexp_cuda_kernelERKNSB_10TensorBaseESF_lENKUlvE_clEvENKUlvE_clEvEUlddE_dEEDaPvRmT3_T4_T5_mT6_P12ihipStream_tbENKUlT_T0_E_clISt17integral_constantIbLb1EESV_IbLb0EEEEDaSR_SS_EUlSR_E_NS1_11comp_targetILNS1_3genE8ELNS1_11target_archE1030ELNS1_3gpuE2ELNS1_3repE0EEENS1_30default_config_static_selectorELNS0_4arch9wavefront6targetE0EEEvT1_,comdat
.Lfunc_end55:
	.size	_ZN7rocprim17ROCPRIM_400000_NS6detail17trampoline_kernelINS0_14default_configENS1_20scan_config_selectorIdEEZZNS1_9scan_implILNS1_25lookback_scan_determinismE0ELb0ELb0ES3_PKdPddZZZN2at6native31launch_logcumsumexp_cuda_kernelERKNSB_10TensorBaseESF_lENKUlvE_clEvENKUlvE_clEvEUlddE_dEEDaPvRmT3_T4_T5_mT6_P12ihipStream_tbENKUlT_T0_E_clISt17integral_constantIbLb1EESV_IbLb0EEEEDaSR_SS_EUlSR_E_NS1_11comp_targetILNS1_3genE8ELNS1_11target_archE1030ELNS1_3gpuE2ELNS1_3repE0EEENS1_30default_config_static_selectorELNS0_4arch9wavefront6targetE0EEEvT1_, .Lfunc_end55-_ZN7rocprim17ROCPRIM_400000_NS6detail17trampoline_kernelINS0_14default_configENS1_20scan_config_selectorIdEEZZNS1_9scan_implILNS1_25lookback_scan_determinismE0ELb0ELb0ES3_PKdPddZZZN2at6native31launch_logcumsumexp_cuda_kernelERKNSB_10TensorBaseESF_lENKUlvE_clEvENKUlvE_clEvEUlddE_dEEDaPvRmT3_T4_T5_mT6_P12ihipStream_tbENKUlT_T0_E_clISt17integral_constantIbLb1EESV_IbLb0EEEEDaSR_SS_EUlSR_E_NS1_11comp_targetILNS1_3genE8ELNS1_11target_archE1030ELNS1_3gpuE2ELNS1_3repE0EEENS1_30default_config_static_selectorELNS0_4arch9wavefront6targetE0EEEvT1_
                                        ; -- End function
	.set _ZN7rocprim17ROCPRIM_400000_NS6detail17trampoline_kernelINS0_14default_configENS1_20scan_config_selectorIdEEZZNS1_9scan_implILNS1_25lookback_scan_determinismE0ELb0ELb0ES3_PKdPddZZZN2at6native31launch_logcumsumexp_cuda_kernelERKNSB_10TensorBaseESF_lENKUlvE_clEvENKUlvE_clEvEUlddE_dEEDaPvRmT3_T4_T5_mT6_P12ihipStream_tbENKUlT_T0_E_clISt17integral_constantIbLb1EESV_IbLb0EEEEDaSR_SS_EUlSR_E_NS1_11comp_targetILNS1_3genE8ELNS1_11target_archE1030ELNS1_3gpuE2ELNS1_3repE0EEENS1_30default_config_static_selectorELNS0_4arch9wavefront6targetE0EEEvT1_.num_vgpr, 0
	.set _ZN7rocprim17ROCPRIM_400000_NS6detail17trampoline_kernelINS0_14default_configENS1_20scan_config_selectorIdEEZZNS1_9scan_implILNS1_25lookback_scan_determinismE0ELb0ELb0ES3_PKdPddZZZN2at6native31launch_logcumsumexp_cuda_kernelERKNSB_10TensorBaseESF_lENKUlvE_clEvENKUlvE_clEvEUlddE_dEEDaPvRmT3_T4_T5_mT6_P12ihipStream_tbENKUlT_T0_E_clISt17integral_constantIbLb1EESV_IbLb0EEEEDaSR_SS_EUlSR_E_NS1_11comp_targetILNS1_3genE8ELNS1_11target_archE1030ELNS1_3gpuE2ELNS1_3repE0EEENS1_30default_config_static_selectorELNS0_4arch9wavefront6targetE0EEEvT1_.num_agpr, 0
	.set _ZN7rocprim17ROCPRIM_400000_NS6detail17trampoline_kernelINS0_14default_configENS1_20scan_config_selectorIdEEZZNS1_9scan_implILNS1_25lookback_scan_determinismE0ELb0ELb0ES3_PKdPddZZZN2at6native31launch_logcumsumexp_cuda_kernelERKNSB_10TensorBaseESF_lENKUlvE_clEvENKUlvE_clEvEUlddE_dEEDaPvRmT3_T4_T5_mT6_P12ihipStream_tbENKUlT_T0_E_clISt17integral_constantIbLb1EESV_IbLb0EEEEDaSR_SS_EUlSR_E_NS1_11comp_targetILNS1_3genE8ELNS1_11target_archE1030ELNS1_3gpuE2ELNS1_3repE0EEENS1_30default_config_static_selectorELNS0_4arch9wavefront6targetE0EEEvT1_.numbered_sgpr, 0
	.set _ZN7rocprim17ROCPRIM_400000_NS6detail17trampoline_kernelINS0_14default_configENS1_20scan_config_selectorIdEEZZNS1_9scan_implILNS1_25lookback_scan_determinismE0ELb0ELb0ES3_PKdPddZZZN2at6native31launch_logcumsumexp_cuda_kernelERKNSB_10TensorBaseESF_lENKUlvE_clEvENKUlvE_clEvEUlddE_dEEDaPvRmT3_T4_T5_mT6_P12ihipStream_tbENKUlT_T0_E_clISt17integral_constantIbLb1EESV_IbLb0EEEEDaSR_SS_EUlSR_E_NS1_11comp_targetILNS1_3genE8ELNS1_11target_archE1030ELNS1_3gpuE2ELNS1_3repE0EEENS1_30default_config_static_selectorELNS0_4arch9wavefront6targetE0EEEvT1_.num_named_barrier, 0
	.set _ZN7rocprim17ROCPRIM_400000_NS6detail17trampoline_kernelINS0_14default_configENS1_20scan_config_selectorIdEEZZNS1_9scan_implILNS1_25lookback_scan_determinismE0ELb0ELb0ES3_PKdPddZZZN2at6native31launch_logcumsumexp_cuda_kernelERKNSB_10TensorBaseESF_lENKUlvE_clEvENKUlvE_clEvEUlddE_dEEDaPvRmT3_T4_T5_mT6_P12ihipStream_tbENKUlT_T0_E_clISt17integral_constantIbLb1EESV_IbLb0EEEEDaSR_SS_EUlSR_E_NS1_11comp_targetILNS1_3genE8ELNS1_11target_archE1030ELNS1_3gpuE2ELNS1_3repE0EEENS1_30default_config_static_selectorELNS0_4arch9wavefront6targetE0EEEvT1_.private_seg_size, 0
	.set _ZN7rocprim17ROCPRIM_400000_NS6detail17trampoline_kernelINS0_14default_configENS1_20scan_config_selectorIdEEZZNS1_9scan_implILNS1_25lookback_scan_determinismE0ELb0ELb0ES3_PKdPddZZZN2at6native31launch_logcumsumexp_cuda_kernelERKNSB_10TensorBaseESF_lENKUlvE_clEvENKUlvE_clEvEUlddE_dEEDaPvRmT3_T4_T5_mT6_P12ihipStream_tbENKUlT_T0_E_clISt17integral_constantIbLb1EESV_IbLb0EEEEDaSR_SS_EUlSR_E_NS1_11comp_targetILNS1_3genE8ELNS1_11target_archE1030ELNS1_3gpuE2ELNS1_3repE0EEENS1_30default_config_static_selectorELNS0_4arch9wavefront6targetE0EEEvT1_.uses_vcc, 0
	.set _ZN7rocprim17ROCPRIM_400000_NS6detail17trampoline_kernelINS0_14default_configENS1_20scan_config_selectorIdEEZZNS1_9scan_implILNS1_25lookback_scan_determinismE0ELb0ELb0ES3_PKdPddZZZN2at6native31launch_logcumsumexp_cuda_kernelERKNSB_10TensorBaseESF_lENKUlvE_clEvENKUlvE_clEvEUlddE_dEEDaPvRmT3_T4_T5_mT6_P12ihipStream_tbENKUlT_T0_E_clISt17integral_constantIbLb1EESV_IbLb0EEEEDaSR_SS_EUlSR_E_NS1_11comp_targetILNS1_3genE8ELNS1_11target_archE1030ELNS1_3gpuE2ELNS1_3repE0EEENS1_30default_config_static_selectorELNS0_4arch9wavefront6targetE0EEEvT1_.uses_flat_scratch, 0
	.set _ZN7rocprim17ROCPRIM_400000_NS6detail17trampoline_kernelINS0_14default_configENS1_20scan_config_selectorIdEEZZNS1_9scan_implILNS1_25lookback_scan_determinismE0ELb0ELb0ES3_PKdPddZZZN2at6native31launch_logcumsumexp_cuda_kernelERKNSB_10TensorBaseESF_lENKUlvE_clEvENKUlvE_clEvEUlddE_dEEDaPvRmT3_T4_T5_mT6_P12ihipStream_tbENKUlT_T0_E_clISt17integral_constantIbLb1EESV_IbLb0EEEEDaSR_SS_EUlSR_E_NS1_11comp_targetILNS1_3genE8ELNS1_11target_archE1030ELNS1_3gpuE2ELNS1_3repE0EEENS1_30default_config_static_selectorELNS0_4arch9wavefront6targetE0EEEvT1_.has_dyn_sized_stack, 0
	.set _ZN7rocprim17ROCPRIM_400000_NS6detail17trampoline_kernelINS0_14default_configENS1_20scan_config_selectorIdEEZZNS1_9scan_implILNS1_25lookback_scan_determinismE0ELb0ELb0ES3_PKdPddZZZN2at6native31launch_logcumsumexp_cuda_kernelERKNSB_10TensorBaseESF_lENKUlvE_clEvENKUlvE_clEvEUlddE_dEEDaPvRmT3_T4_T5_mT6_P12ihipStream_tbENKUlT_T0_E_clISt17integral_constantIbLb1EESV_IbLb0EEEEDaSR_SS_EUlSR_E_NS1_11comp_targetILNS1_3genE8ELNS1_11target_archE1030ELNS1_3gpuE2ELNS1_3repE0EEENS1_30default_config_static_selectorELNS0_4arch9wavefront6targetE0EEEvT1_.has_recursion, 0
	.set _ZN7rocprim17ROCPRIM_400000_NS6detail17trampoline_kernelINS0_14default_configENS1_20scan_config_selectorIdEEZZNS1_9scan_implILNS1_25lookback_scan_determinismE0ELb0ELb0ES3_PKdPddZZZN2at6native31launch_logcumsumexp_cuda_kernelERKNSB_10TensorBaseESF_lENKUlvE_clEvENKUlvE_clEvEUlddE_dEEDaPvRmT3_T4_T5_mT6_P12ihipStream_tbENKUlT_T0_E_clISt17integral_constantIbLb1EESV_IbLb0EEEEDaSR_SS_EUlSR_E_NS1_11comp_targetILNS1_3genE8ELNS1_11target_archE1030ELNS1_3gpuE2ELNS1_3repE0EEENS1_30default_config_static_selectorELNS0_4arch9wavefront6targetE0EEEvT1_.has_indirect_call, 0
	.section	.AMDGPU.csdata,"",@progbits
; Kernel info:
; codeLenInByte = 4
; TotalNumSgprs: 0
; NumVgprs: 0
; ScratchSize: 0
; MemoryBound: 0
; FloatMode: 240
; IeeeMode: 1
; LDSByteSize: 0 bytes/workgroup (compile time only)
; SGPRBlocks: 0
; VGPRBlocks: 0
; NumSGPRsForWavesPerEU: 1
; NumVGPRsForWavesPerEU: 1
; Occupancy: 16
; WaveLimiterHint : 0
; COMPUTE_PGM_RSRC2:SCRATCH_EN: 0
; COMPUTE_PGM_RSRC2:USER_SGPR: 6
; COMPUTE_PGM_RSRC2:TRAP_HANDLER: 0
; COMPUTE_PGM_RSRC2:TGID_X_EN: 1
; COMPUTE_PGM_RSRC2:TGID_Y_EN: 0
; COMPUTE_PGM_RSRC2:TGID_Z_EN: 0
; COMPUTE_PGM_RSRC2:TIDIG_COMP_CNT: 0
	.section	.text._ZN7rocprim17ROCPRIM_400000_NS6detail17trampoline_kernelINS0_14default_configENS1_20scan_config_selectorIdEEZZNS1_9scan_implILNS1_25lookback_scan_determinismE0ELb0ELb0ES3_PKdPddZZZN2at6native31launch_logcumsumexp_cuda_kernelERKNSB_10TensorBaseESF_lENKUlvE_clEvENKUlvE_clEvEUlddE_dEEDaPvRmT3_T4_T5_mT6_P12ihipStream_tbENKUlT_T0_E_clISt17integral_constantIbLb1EESV_IbLb0EEEEDaSR_SS_EUlSR_E0_NS1_11comp_targetILNS1_3genE0ELNS1_11target_archE4294967295ELNS1_3gpuE0ELNS1_3repE0EEENS1_30default_config_static_selectorELNS0_4arch9wavefront6targetE0EEEvT1_,"axG",@progbits,_ZN7rocprim17ROCPRIM_400000_NS6detail17trampoline_kernelINS0_14default_configENS1_20scan_config_selectorIdEEZZNS1_9scan_implILNS1_25lookback_scan_determinismE0ELb0ELb0ES3_PKdPddZZZN2at6native31launch_logcumsumexp_cuda_kernelERKNSB_10TensorBaseESF_lENKUlvE_clEvENKUlvE_clEvEUlddE_dEEDaPvRmT3_T4_T5_mT6_P12ihipStream_tbENKUlT_T0_E_clISt17integral_constantIbLb1EESV_IbLb0EEEEDaSR_SS_EUlSR_E0_NS1_11comp_targetILNS1_3genE0ELNS1_11target_archE4294967295ELNS1_3gpuE0ELNS1_3repE0EEENS1_30default_config_static_selectorELNS0_4arch9wavefront6targetE0EEEvT1_,comdat
	.globl	_ZN7rocprim17ROCPRIM_400000_NS6detail17trampoline_kernelINS0_14default_configENS1_20scan_config_selectorIdEEZZNS1_9scan_implILNS1_25lookback_scan_determinismE0ELb0ELb0ES3_PKdPddZZZN2at6native31launch_logcumsumexp_cuda_kernelERKNSB_10TensorBaseESF_lENKUlvE_clEvENKUlvE_clEvEUlddE_dEEDaPvRmT3_T4_T5_mT6_P12ihipStream_tbENKUlT_T0_E_clISt17integral_constantIbLb1EESV_IbLb0EEEEDaSR_SS_EUlSR_E0_NS1_11comp_targetILNS1_3genE0ELNS1_11target_archE4294967295ELNS1_3gpuE0ELNS1_3repE0EEENS1_30default_config_static_selectorELNS0_4arch9wavefront6targetE0EEEvT1_ ; -- Begin function _ZN7rocprim17ROCPRIM_400000_NS6detail17trampoline_kernelINS0_14default_configENS1_20scan_config_selectorIdEEZZNS1_9scan_implILNS1_25lookback_scan_determinismE0ELb0ELb0ES3_PKdPddZZZN2at6native31launch_logcumsumexp_cuda_kernelERKNSB_10TensorBaseESF_lENKUlvE_clEvENKUlvE_clEvEUlddE_dEEDaPvRmT3_T4_T5_mT6_P12ihipStream_tbENKUlT_T0_E_clISt17integral_constantIbLb1EESV_IbLb0EEEEDaSR_SS_EUlSR_E0_NS1_11comp_targetILNS1_3genE0ELNS1_11target_archE4294967295ELNS1_3gpuE0ELNS1_3repE0EEENS1_30default_config_static_selectorELNS0_4arch9wavefront6targetE0EEEvT1_
	.p2align	8
	.type	_ZN7rocprim17ROCPRIM_400000_NS6detail17trampoline_kernelINS0_14default_configENS1_20scan_config_selectorIdEEZZNS1_9scan_implILNS1_25lookback_scan_determinismE0ELb0ELb0ES3_PKdPddZZZN2at6native31launch_logcumsumexp_cuda_kernelERKNSB_10TensorBaseESF_lENKUlvE_clEvENKUlvE_clEvEUlddE_dEEDaPvRmT3_T4_T5_mT6_P12ihipStream_tbENKUlT_T0_E_clISt17integral_constantIbLb1EESV_IbLb0EEEEDaSR_SS_EUlSR_E0_NS1_11comp_targetILNS1_3genE0ELNS1_11target_archE4294967295ELNS1_3gpuE0ELNS1_3repE0EEENS1_30default_config_static_selectorELNS0_4arch9wavefront6targetE0EEEvT1_,@function
_ZN7rocprim17ROCPRIM_400000_NS6detail17trampoline_kernelINS0_14default_configENS1_20scan_config_selectorIdEEZZNS1_9scan_implILNS1_25lookback_scan_determinismE0ELb0ELb0ES3_PKdPddZZZN2at6native31launch_logcumsumexp_cuda_kernelERKNSB_10TensorBaseESF_lENKUlvE_clEvENKUlvE_clEvEUlddE_dEEDaPvRmT3_T4_T5_mT6_P12ihipStream_tbENKUlT_T0_E_clISt17integral_constantIbLb1EESV_IbLb0EEEEDaSR_SS_EUlSR_E0_NS1_11comp_targetILNS1_3genE0ELNS1_11target_archE4294967295ELNS1_3gpuE0ELNS1_3repE0EEENS1_30default_config_static_selectorELNS0_4arch9wavefront6targetE0EEEvT1_: ; @_ZN7rocprim17ROCPRIM_400000_NS6detail17trampoline_kernelINS0_14default_configENS1_20scan_config_selectorIdEEZZNS1_9scan_implILNS1_25lookback_scan_determinismE0ELb0ELb0ES3_PKdPddZZZN2at6native31launch_logcumsumexp_cuda_kernelERKNSB_10TensorBaseESF_lENKUlvE_clEvENKUlvE_clEvEUlddE_dEEDaPvRmT3_T4_T5_mT6_P12ihipStream_tbENKUlT_T0_E_clISt17integral_constantIbLb1EESV_IbLb0EEEEDaSR_SS_EUlSR_E0_NS1_11comp_targetILNS1_3genE0ELNS1_11target_archE4294967295ELNS1_3gpuE0ELNS1_3repE0EEENS1_30default_config_static_selectorELNS0_4arch9wavefront6targetE0EEEvT1_
; %bb.0:
	.section	.rodata,"a",@progbits
	.p2align	6, 0x0
	.amdhsa_kernel _ZN7rocprim17ROCPRIM_400000_NS6detail17trampoline_kernelINS0_14default_configENS1_20scan_config_selectorIdEEZZNS1_9scan_implILNS1_25lookback_scan_determinismE0ELb0ELb0ES3_PKdPddZZZN2at6native31launch_logcumsumexp_cuda_kernelERKNSB_10TensorBaseESF_lENKUlvE_clEvENKUlvE_clEvEUlddE_dEEDaPvRmT3_T4_T5_mT6_P12ihipStream_tbENKUlT_T0_E_clISt17integral_constantIbLb1EESV_IbLb0EEEEDaSR_SS_EUlSR_E0_NS1_11comp_targetILNS1_3genE0ELNS1_11target_archE4294967295ELNS1_3gpuE0ELNS1_3repE0EEENS1_30default_config_static_selectorELNS0_4arch9wavefront6targetE0EEEvT1_
		.amdhsa_group_segment_fixed_size 0
		.amdhsa_private_segment_fixed_size 0
		.amdhsa_kernarg_size 40
		.amdhsa_user_sgpr_count 6
		.amdhsa_user_sgpr_private_segment_buffer 1
		.amdhsa_user_sgpr_dispatch_ptr 0
		.amdhsa_user_sgpr_queue_ptr 0
		.amdhsa_user_sgpr_kernarg_segment_ptr 1
		.amdhsa_user_sgpr_dispatch_id 0
		.amdhsa_user_sgpr_flat_scratch_init 0
		.amdhsa_user_sgpr_private_segment_size 0
		.amdhsa_wavefront_size32 1
		.amdhsa_uses_dynamic_stack 0
		.amdhsa_system_sgpr_private_segment_wavefront_offset 0
		.amdhsa_system_sgpr_workgroup_id_x 1
		.amdhsa_system_sgpr_workgroup_id_y 0
		.amdhsa_system_sgpr_workgroup_id_z 0
		.amdhsa_system_sgpr_workgroup_info 0
		.amdhsa_system_vgpr_workitem_id 0
		.amdhsa_next_free_vgpr 1
		.amdhsa_next_free_sgpr 1
		.amdhsa_reserve_vcc 0
		.amdhsa_reserve_flat_scratch 0
		.amdhsa_float_round_mode_32 0
		.amdhsa_float_round_mode_16_64 0
		.amdhsa_float_denorm_mode_32 3
		.amdhsa_float_denorm_mode_16_64 3
		.amdhsa_dx10_clamp 1
		.amdhsa_ieee_mode 1
		.amdhsa_fp16_overflow 0
		.amdhsa_workgroup_processor_mode 1
		.amdhsa_memory_ordered 1
		.amdhsa_forward_progress 1
		.amdhsa_shared_vgpr_count 0
		.amdhsa_exception_fp_ieee_invalid_op 0
		.amdhsa_exception_fp_denorm_src 0
		.amdhsa_exception_fp_ieee_div_zero 0
		.amdhsa_exception_fp_ieee_overflow 0
		.amdhsa_exception_fp_ieee_underflow 0
		.amdhsa_exception_fp_ieee_inexact 0
		.amdhsa_exception_int_div_zero 0
	.end_amdhsa_kernel
	.section	.text._ZN7rocprim17ROCPRIM_400000_NS6detail17trampoline_kernelINS0_14default_configENS1_20scan_config_selectorIdEEZZNS1_9scan_implILNS1_25lookback_scan_determinismE0ELb0ELb0ES3_PKdPddZZZN2at6native31launch_logcumsumexp_cuda_kernelERKNSB_10TensorBaseESF_lENKUlvE_clEvENKUlvE_clEvEUlddE_dEEDaPvRmT3_T4_T5_mT6_P12ihipStream_tbENKUlT_T0_E_clISt17integral_constantIbLb1EESV_IbLb0EEEEDaSR_SS_EUlSR_E0_NS1_11comp_targetILNS1_3genE0ELNS1_11target_archE4294967295ELNS1_3gpuE0ELNS1_3repE0EEENS1_30default_config_static_selectorELNS0_4arch9wavefront6targetE0EEEvT1_,"axG",@progbits,_ZN7rocprim17ROCPRIM_400000_NS6detail17trampoline_kernelINS0_14default_configENS1_20scan_config_selectorIdEEZZNS1_9scan_implILNS1_25lookback_scan_determinismE0ELb0ELb0ES3_PKdPddZZZN2at6native31launch_logcumsumexp_cuda_kernelERKNSB_10TensorBaseESF_lENKUlvE_clEvENKUlvE_clEvEUlddE_dEEDaPvRmT3_T4_T5_mT6_P12ihipStream_tbENKUlT_T0_E_clISt17integral_constantIbLb1EESV_IbLb0EEEEDaSR_SS_EUlSR_E0_NS1_11comp_targetILNS1_3genE0ELNS1_11target_archE4294967295ELNS1_3gpuE0ELNS1_3repE0EEENS1_30default_config_static_selectorELNS0_4arch9wavefront6targetE0EEEvT1_,comdat
.Lfunc_end56:
	.size	_ZN7rocprim17ROCPRIM_400000_NS6detail17trampoline_kernelINS0_14default_configENS1_20scan_config_selectorIdEEZZNS1_9scan_implILNS1_25lookback_scan_determinismE0ELb0ELb0ES3_PKdPddZZZN2at6native31launch_logcumsumexp_cuda_kernelERKNSB_10TensorBaseESF_lENKUlvE_clEvENKUlvE_clEvEUlddE_dEEDaPvRmT3_T4_T5_mT6_P12ihipStream_tbENKUlT_T0_E_clISt17integral_constantIbLb1EESV_IbLb0EEEEDaSR_SS_EUlSR_E0_NS1_11comp_targetILNS1_3genE0ELNS1_11target_archE4294967295ELNS1_3gpuE0ELNS1_3repE0EEENS1_30default_config_static_selectorELNS0_4arch9wavefront6targetE0EEEvT1_, .Lfunc_end56-_ZN7rocprim17ROCPRIM_400000_NS6detail17trampoline_kernelINS0_14default_configENS1_20scan_config_selectorIdEEZZNS1_9scan_implILNS1_25lookback_scan_determinismE0ELb0ELb0ES3_PKdPddZZZN2at6native31launch_logcumsumexp_cuda_kernelERKNSB_10TensorBaseESF_lENKUlvE_clEvENKUlvE_clEvEUlddE_dEEDaPvRmT3_T4_T5_mT6_P12ihipStream_tbENKUlT_T0_E_clISt17integral_constantIbLb1EESV_IbLb0EEEEDaSR_SS_EUlSR_E0_NS1_11comp_targetILNS1_3genE0ELNS1_11target_archE4294967295ELNS1_3gpuE0ELNS1_3repE0EEENS1_30default_config_static_selectorELNS0_4arch9wavefront6targetE0EEEvT1_
                                        ; -- End function
	.set _ZN7rocprim17ROCPRIM_400000_NS6detail17trampoline_kernelINS0_14default_configENS1_20scan_config_selectorIdEEZZNS1_9scan_implILNS1_25lookback_scan_determinismE0ELb0ELb0ES3_PKdPddZZZN2at6native31launch_logcumsumexp_cuda_kernelERKNSB_10TensorBaseESF_lENKUlvE_clEvENKUlvE_clEvEUlddE_dEEDaPvRmT3_T4_T5_mT6_P12ihipStream_tbENKUlT_T0_E_clISt17integral_constantIbLb1EESV_IbLb0EEEEDaSR_SS_EUlSR_E0_NS1_11comp_targetILNS1_3genE0ELNS1_11target_archE4294967295ELNS1_3gpuE0ELNS1_3repE0EEENS1_30default_config_static_selectorELNS0_4arch9wavefront6targetE0EEEvT1_.num_vgpr, 0
	.set _ZN7rocprim17ROCPRIM_400000_NS6detail17trampoline_kernelINS0_14default_configENS1_20scan_config_selectorIdEEZZNS1_9scan_implILNS1_25lookback_scan_determinismE0ELb0ELb0ES3_PKdPddZZZN2at6native31launch_logcumsumexp_cuda_kernelERKNSB_10TensorBaseESF_lENKUlvE_clEvENKUlvE_clEvEUlddE_dEEDaPvRmT3_T4_T5_mT6_P12ihipStream_tbENKUlT_T0_E_clISt17integral_constantIbLb1EESV_IbLb0EEEEDaSR_SS_EUlSR_E0_NS1_11comp_targetILNS1_3genE0ELNS1_11target_archE4294967295ELNS1_3gpuE0ELNS1_3repE0EEENS1_30default_config_static_selectorELNS0_4arch9wavefront6targetE0EEEvT1_.num_agpr, 0
	.set _ZN7rocprim17ROCPRIM_400000_NS6detail17trampoline_kernelINS0_14default_configENS1_20scan_config_selectorIdEEZZNS1_9scan_implILNS1_25lookback_scan_determinismE0ELb0ELb0ES3_PKdPddZZZN2at6native31launch_logcumsumexp_cuda_kernelERKNSB_10TensorBaseESF_lENKUlvE_clEvENKUlvE_clEvEUlddE_dEEDaPvRmT3_T4_T5_mT6_P12ihipStream_tbENKUlT_T0_E_clISt17integral_constantIbLb1EESV_IbLb0EEEEDaSR_SS_EUlSR_E0_NS1_11comp_targetILNS1_3genE0ELNS1_11target_archE4294967295ELNS1_3gpuE0ELNS1_3repE0EEENS1_30default_config_static_selectorELNS0_4arch9wavefront6targetE0EEEvT1_.numbered_sgpr, 0
	.set _ZN7rocprim17ROCPRIM_400000_NS6detail17trampoline_kernelINS0_14default_configENS1_20scan_config_selectorIdEEZZNS1_9scan_implILNS1_25lookback_scan_determinismE0ELb0ELb0ES3_PKdPddZZZN2at6native31launch_logcumsumexp_cuda_kernelERKNSB_10TensorBaseESF_lENKUlvE_clEvENKUlvE_clEvEUlddE_dEEDaPvRmT3_T4_T5_mT6_P12ihipStream_tbENKUlT_T0_E_clISt17integral_constantIbLb1EESV_IbLb0EEEEDaSR_SS_EUlSR_E0_NS1_11comp_targetILNS1_3genE0ELNS1_11target_archE4294967295ELNS1_3gpuE0ELNS1_3repE0EEENS1_30default_config_static_selectorELNS0_4arch9wavefront6targetE0EEEvT1_.num_named_barrier, 0
	.set _ZN7rocprim17ROCPRIM_400000_NS6detail17trampoline_kernelINS0_14default_configENS1_20scan_config_selectorIdEEZZNS1_9scan_implILNS1_25lookback_scan_determinismE0ELb0ELb0ES3_PKdPddZZZN2at6native31launch_logcumsumexp_cuda_kernelERKNSB_10TensorBaseESF_lENKUlvE_clEvENKUlvE_clEvEUlddE_dEEDaPvRmT3_T4_T5_mT6_P12ihipStream_tbENKUlT_T0_E_clISt17integral_constantIbLb1EESV_IbLb0EEEEDaSR_SS_EUlSR_E0_NS1_11comp_targetILNS1_3genE0ELNS1_11target_archE4294967295ELNS1_3gpuE0ELNS1_3repE0EEENS1_30default_config_static_selectorELNS0_4arch9wavefront6targetE0EEEvT1_.private_seg_size, 0
	.set _ZN7rocprim17ROCPRIM_400000_NS6detail17trampoline_kernelINS0_14default_configENS1_20scan_config_selectorIdEEZZNS1_9scan_implILNS1_25lookback_scan_determinismE0ELb0ELb0ES3_PKdPddZZZN2at6native31launch_logcumsumexp_cuda_kernelERKNSB_10TensorBaseESF_lENKUlvE_clEvENKUlvE_clEvEUlddE_dEEDaPvRmT3_T4_T5_mT6_P12ihipStream_tbENKUlT_T0_E_clISt17integral_constantIbLb1EESV_IbLb0EEEEDaSR_SS_EUlSR_E0_NS1_11comp_targetILNS1_3genE0ELNS1_11target_archE4294967295ELNS1_3gpuE0ELNS1_3repE0EEENS1_30default_config_static_selectorELNS0_4arch9wavefront6targetE0EEEvT1_.uses_vcc, 0
	.set _ZN7rocprim17ROCPRIM_400000_NS6detail17trampoline_kernelINS0_14default_configENS1_20scan_config_selectorIdEEZZNS1_9scan_implILNS1_25lookback_scan_determinismE0ELb0ELb0ES3_PKdPddZZZN2at6native31launch_logcumsumexp_cuda_kernelERKNSB_10TensorBaseESF_lENKUlvE_clEvENKUlvE_clEvEUlddE_dEEDaPvRmT3_T4_T5_mT6_P12ihipStream_tbENKUlT_T0_E_clISt17integral_constantIbLb1EESV_IbLb0EEEEDaSR_SS_EUlSR_E0_NS1_11comp_targetILNS1_3genE0ELNS1_11target_archE4294967295ELNS1_3gpuE0ELNS1_3repE0EEENS1_30default_config_static_selectorELNS0_4arch9wavefront6targetE0EEEvT1_.uses_flat_scratch, 0
	.set _ZN7rocprim17ROCPRIM_400000_NS6detail17trampoline_kernelINS0_14default_configENS1_20scan_config_selectorIdEEZZNS1_9scan_implILNS1_25lookback_scan_determinismE0ELb0ELb0ES3_PKdPddZZZN2at6native31launch_logcumsumexp_cuda_kernelERKNSB_10TensorBaseESF_lENKUlvE_clEvENKUlvE_clEvEUlddE_dEEDaPvRmT3_T4_T5_mT6_P12ihipStream_tbENKUlT_T0_E_clISt17integral_constantIbLb1EESV_IbLb0EEEEDaSR_SS_EUlSR_E0_NS1_11comp_targetILNS1_3genE0ELNS1_11target_archE4294967295ELNS1_3gpuE0ELNS1_3repE0EEENS1_30default_config_static_selectorELNS0_4arch9wavefront6targetE0EEEvT1_.has_dyn_sized_stack, 0
	.set _ZN7rocprim17ROCPRIM_400000_NS6detail17trampoline_kernelINS0_14default_configENS1_20scan_config_selectorIdEEZZNS1_9scan_implILNS1_25lookback_scan_determinismE0ELb0ELb0ES3_PKdPddZZZN2at6native31launch_logcumsumexp_cuda_kernelERKNSB_10TensorBaseESF_lENKUlvE_clEvENKUlvE_clEvEUlddE_dEEDaPvRmT3_T4_T5_mT6_P12ihipStream_tbENKUlT_T0_E_clISt17integral_constantIbLb1EESV_IbLb0EEEEDaSR_SS_EUlSR_E0_NS1_11comp_targetILNS1_3genE0ELNS1_11target_archE4294967295ELNS1_3gpuE0ELNS1_3repE0EEENS1_30default_config_static_selectorELNS0_4arch9wavefront6targetE0EEEvT1_.has_recursion, 0
	.set _ZN7rocprim17ROCPRIM_400000_NS6detail17trampoline_kernelINS0_14default_configENS1_20scan_config_selectorIdEEZZNS1_9scan_implILNS1_25lookback_scan_determinismE0ELb0ELb0ES3_PKdPddZZZN2at6native31launch_logcumsumexp_cuda_kernelERKNSB_10TensorBaseESF_lENKUlvE_clEvENKUlvE_clEvEUlddE_dEEDaPvRmT3_T4_T5_mT6_P12ihipStream_tbENKUlT_T0_E_clISt17integral_constantIbLb1EESV_IbLb0EEEEDaSR_SS_EUlSR_E0_NS1_11comp_targetILNS1_3genE0ELNS1_11target_archE4294967295ELNS1_3gpuE0ELNS1_3repE0EEENS1_30default_config_static_selectorELNS0_4arch9wavefront6targetE0EEEvT1_.has_indirect_call, 0
	.section	.AMDGPU.csdata,"",@progbits
; Kernel info:
; codeLenInByte = 0
; TotalNumSgprs: 0
; NumVgprs: 0
; ScratchSize: 0
; MemoryBound: 0
; FloatMode: 240
; IeeeMode: 1
; LDSByteSize: 0 bytes/workgroup (compile time only)
; SGPRBlocks: 0
; VGPRBlocks: 0
; NumSGPRsForWavesPerEU: 1
; NumVGPRsForWavesPerEU: 1
; Occupancy: 16
; WaveLimiterHint : 0
; COMPUTE_PGM_RSRC2:SCRATCH_EN: 0
; COMPUTE_PGM_RSRC2:USER_SGPR: 6
; COMPUTE_PGM_RSRC2:TRAP_HANDLER: 0
; COMPUTE_PGM_RSRC2:TGID_X_EN: 1
; COMPUTE_PGM_RSRC2:TGID_Y_EN: 0
; COMPUTE_PGM_RSRC2:TGID_Z_EN: 0
; COMPUTE_PGM_RSRC2:TIDIG_COMP_CNT: 0
	.section	.text._ZN7rocprim17ROCPRIM_400000_NS6detail17trampoline_kernelINS0_14default_configENS1_20scan_config_selectorIdEEZZNS1_9scan_implILNS1_25lookback_scan_determinismE0ELb0ELb0ES3_PKdPddZZZN2at6native31launch_logcumsumexp_cuda_kernelERKNSB_10TensorBaseESF_lENKUlvE_clEvENKUlvE_clEvEUlddE_dEEDaPvRmT3_T4_T5_mT6_P12ihipStream_tbENKUlT_T0_E_clISt17integral_constantIbLb1EESV_IbLb0EEEEDaSR_SS_EUlSR_E0_NS1_11comp_targetILNS1_3genE5ELNS1_11target_archE942ELNS1_3gpuE9ELNS1_3repE0EEENS1_30default_config_static_selectorELNS0_4arch9wavefront6targetE0EEEvT1_,"axG",@progbits,_ZN7rocprim17ROCPRIM_400000_NS6detail17trampoline_kernelINS0_14default_configENS1_20scan_config_selectorIdEEZZNS1_9scan_implILNS1_25lookback_scan_determinismE0ELb0ELb0ES3_PKdPddZZZN2at6native31launch_logcumsumexp_cuda_kernelERKNSB_10TensorBaseESF_lENKUlvE_clEvENKUlvE_clEvEUlddE_dEEDaPvRmT3_T4_T5_mT6_P12ihipStream_tbENKUlT_T0_E_clISt17integral_constantIbLb1EESV_IbLb0EEEEDaSR_SS_EUlSR_E0_NS1_11comp_targetILNS1_3genE5ELNS1_11target_archE942ELNS1_3gpuE9ELNS1_3repE0EEENS1_30default_config_static_selectorELNS0_4arch9wavefront6targetE0EEEvT1_,comdat
	.globl	_ZN7rocprim17ROCPRIM_400000_NS6detail17trampoline_kernelINS0_14default_configENS1_20scan_config_selectorIdEEZZNS1_9scan_implILNS1_25lookback_scan_determinismE0ELb0ELb0ES3_PKdPddZZZN2at6native31launch_logcumsumexp_cuda_kernelERKNSB_10TensorBaseESF_lENKUlvE_clEvENKUlvE_clEvEUlddE_dEEDaPvRmT3_T4_T5_mT6_P12ihipStream_tbENKUlT_T0_E_clISt17integral_constantIbLb1EESV_IbLb0EEEEDaSR_SS_EUlSR_E0_NS1_11comp_targetILNS1_3genE5ELNS1_11target_archE942ELNS1_3gpuE9ELNS1_3repE0EEENS1_30default_config_static_selectorELNS0_4arch9wavefront6targetE0EEEvT1_ ; -- Begin function _ZN7rocprim17ROCPRIM_400000_NS6detail17trampoline_kernelINS0_14default_configENS1_20scan_config_selectorIdEEZZNS1_9scan_implILNS1_25lookback_scan_determinismE0ELb0ELb0ES3_PKdPddZZZN2at6native31launch_logcumsumexp_cuda_kernelERKNSB_10TensorBaseESF_lENKUlvE_clEvENKUlvE_clEvEUlddE_dEEDaPvRmT3_T4_T5_mT6_P12ihipStream_tbENKUlT_T0_E_clISt17integral_constantIbLb1EESV_IbLb0EEEEDaSR_SS_EUlSR_E0_NS1_11comp_targetILNS1_3genE5ELNS1_11target_archE942ELNS1_3gpuE9ELNS1_3repE0EEENS1_30default_config_static_selectorELNS0_4arch9wavefront6targetE0EEEvT1_
	.p2align	8
	.type	_ZN7rocprim17ROCPRIM_400000_NS6detail17trampoline_kernelINS0_14default_configENS1_20scan_config_selectorIdEEZZNS1_9scan_implILNS1_25lookback_scan_determinismE0ELb0ELb0ES3_PKdPddZZZN2at6native31launch_logcumsumexp_cuda_kernelERKNSB_10TensorBaseESF_lENKUlvE_clEvENKUlvE_clEvEUlddE_dEEDaPvRmT3_T4_T5_mT6_P12ihipStream_tbENKUlT_T0_E_clISt17integral_constantIbLb1EESV_IbLb0EEEEDaSR_SS_EUlSR_E0_NS1_11comp_targetILNS1_3genE5ELNS1_11target_archE942ELNS1_3gpuE9ELNS1_3repE0EEENS1_30default_config_static_selectorELNS0_4arch9wavefront6targetE0EEEvT1_,@function
_ZN7rocprim17ROCPRIM_400000_NS6detail17trampoline_kernelINS0_14default_configENS1_20scan_config_selectorIdEEZZNS1_9scan_implILNS1_25lookback_scan_determinismE0ELb0ELb0ES3_PKdPddZZZN2at6native31launch_logcumsumexp_cuda_kernelERKNSB_10TensorBaseESF_lENKUlvE_clEvENKUlvE_clEvEUlddE_dEEDaPvRmT3_T4_T5_mT6_P12ihipStream_tbENKUlT_T0_E_clISt17integral_constantIbLb1EESV_IbLb0EEEEDaSR_SS_EUlSR_E0_NS1_11comp_targetILNS1_3genE5ELNS1_11target_archE942ELNS1_3gpuE9ELNS1_3repE0EEENS1_30default_config_static_selectorELNS0_4arch9wavefront6targetE0EEEvT1_: ; @_ZN7rocprim17ROCPRIM_400000_NS6detail17trampoline_kernelINS0_14default_configENS1_20scan_config_selectorIdEEZZNS1_9scan_implILNS1_25lookback_scan_determinismE0ELb0ELb0ES3_PKdPddZZZN2at6native31launch_logcumsumexp_cuda_kernelERKNSB_10TensorBaseESF_lENKUlvE_clEvENKUlvE_clEvEUlddE_dEEDaPvRmT3_T4_T5_mT6_P12ihipStream_tbENKUlT_T0_E_clISt17integral_constantIbLb1EESV_IbLb0EEEEDaSR_SS_EUlSR_E0_NS1_11comp_targetILNS1_3genE5ELNS1_11target_archE942ELNS1_3gpuE9ELNS1_3repE0EEENS1_30default_config_static_selectorELNS0_4arch9wavefront6targetE0EEEvT1_
; %bb.0:
	.section	.rodata,"a",@progbits
	.p2align	6, 0x0
	.amdhsa_kernel _ZN7rocprim17ROCPRIM_400000_NS6detail17trampoline_kernelINS0_14default_configENS1_20scan_config_selectorIdEEZZNS1_9scan_implILNS1_25lookback_scan_determinismE0ELb0ELb0ES3_PKdPddZZZN2at6native31launch_logcumsumexp_cuda_kernelERKNSB_10TensorBaseESF_lENKUlvE_clEvENKUlvE_clEvEUlddE_dEEDaPvRmT3_T4_T5_mT6_P12ihipStream_tbENKUlT_T0_E_clISt17integral_constantIbLb1EESV_IbLb0EEEEDaSR_SS_EUlSR_E0_NS1_11comp_targetILNS1_3genE5ELNS1_11target_archE942ELNS1_3gpuE9ELNS1_3repE0EEENS1_30default_config_static_selectorELNS0_4arch9wavefront6targetE0EEEvT1_
		.amdhsa_group_segment_fixed_size 0
		.amdhsa_private_segment_fixed_size 0
		.amdhsa_kernarg_size 40
		.amdhsa_user_sgpr_count 6
		.amdhsa_user_sgpr_private_segment_buffer 1
		.amdhsa_user_sgpr_dispatch_ptr 0
		.amdhsa_user_sgpr_queue_ptr 0
		.amdhsa_user_sgpr_kernarg_segment_ptr 1
		.amdhsa_user_sgpr_dispatch_id 0
		.amdhsa_user_sgpr_flat_scratch_init 0
		.amdhsa_user_sgpr_private_segment_size 0
		.amdhsa_wavefront_size32 1
		.amdhsa_uses_dynamic_stack 0
		.amdhsa_system_sgpr_private_segment_wavefront_offset 0
		.amdhsa_system_sgpr_workgroup_id_x 1
		.amdhsa_system_sgpr_workgroup_id_y 0
		.amdhsa_system_sgpr_workgroup_id_z 0
		.amdhsa_system_sgpr_workgroup_info 0
		.amdhsa_system_vgpr_workitem_id 0
		.amdhsa_next_free_vgpr 1
		.amdhsa_next_free_sgpr 1
		.amdhsa_reserve_vcc 0
		.amdhsa_reserve_flat_scratch 0
		.amdhsa_float_round_mode_32 0
		.amdhsa_float_round_mode_16_64 0
		.amdhsa_float_denorm_mode_32 3
		.amdhsa_float_denorm_mode_16_64 3
		.amdhsa_dx10_clamp 1
		.amdhsa_ieee_mode 1
		.amdhsa_fp16_overflow 0
		.amdhsa_workgroup_processor_mode 1
		.amdhsa_memory_ordered 1
		.amdhsa_forward_progress 1
		.amdhsa_shared_vgpr_count 0
		.amdhsa_exception_fp_ieee_invalid_op 0
		.amdhsa_exception_fp_denorm_src 0
		.amdhsa_exception_fp_ieee_div_zero 0
		.amdhsa_exception_fp_ieee_overflow 0
		.amdhsa_exception_fp_ieee_underflow 0
		.amdhsa_exception_fp_ieee_inexact 0
		.amdhsa_exception_int_div_zero 0
	.end_amdhsa_kernel
	.section	.text._ZN7rocprim17ROCPRIM_400000_NS6detail17trampoline_kernelINS0_14default_configENS1_20scan_config_selectorIdEEZZNS1_9scan_implILNS1_25lookback_scan_determinismE0ELb0ELb0ES3_PKdPddZZZN2at6native31launch_logcumsumexp_cuda_kernelERKNSB_10TensorBaseESF_lENKUlvE_clEvENKUlvE_clEvEUlddE_dEEDaPvRmT3_T4_T5_mT6_P12ihipStream_tbENKUlT_T0_E_clISt17integral_constantIbLb1EESV_IbLb0EEEEDaSR_SS_EUlSR_E0_NS1_11comp_targetILNS1_3genE5ELNS1_11target_archE942ELNS1_3gpuE9ELNS1_3repE0EEENS1_30default_config_static_selectorELNS0_4arch9wavefront6targetE0EEEvT1_,"axG",@progbits,_ZN7rocprim17ROCPRIM_400000_NS6detail17trampoline_kernelINS0_14default_configENS1_20scan_config_selectorIdEEZZNS1_9scan_implILNS1_25lookback_scan_determinismE0ELb0ELb0ES3_PKdPddZZZN2at6native31launch_logcumsumexp_cuda_kernelERKNSB_10TensorBaseESF_lENKUlvE_clEvENKUlvE_clEvEUlddE_dEEDaPvRmT3_T4_T5_mT6_P12ihipStream_tbENKUlT_T0_E_clISt17integral_constantIbLb1EESV_IbLb0EEEEDaSR_SS_EUlSR_E0_NS1_11comp_targetILNS1_3genE5ELNS1_11target_archE942ELNS1_3gpuE9ELNS1_3repE0EEENS1_30default_config_static_selectorELNS0_4arch9wavefront6targetE0EEEvT1_,comdat
.Lfunc_end57:
	.size	_ZN7rocprim17ROCPRIM_400000_NS6detail17trampoline_kernelINS0_14default_configENS1_20scan_config_selectorIdEEZZNS1_9scan_implILNS1_25lookback_scan_determinismE0ELb0ELb0ES3_PKdPddZZZN2at6native31launch_logcumsumexp_cuda_kernelERKNSB_10TensorBaseESF_lENKUlvE_clEvENKUlvE_clEvEUlddE_dEEDaPvRmT3_T4_T5_mT6_P12ihipStream_tbENKUlT_T0_E_clISt17integral_constantIbLb1EESV_IbLb0EEEEDaSR_SS_EUlSR_E0_NS1_11comp_targetILNS1_3genE5ELNS1_11target_archE942ELNS1_3gpuE9ELNS1_3repE0EEENS1_30default_config_static_selectorELNS0_4arch9wavefront6targetE0EEEvT1_, .Lfunc_end57-_ZN7rocprim17ROCPRIM_400000_NS6detail17trampoline_kernelINS0_14default_configENS1_20scan_config_selectorIdEEZZNS1_9scan_implILNS1_25lookback_scan_determinismE0ELb0ELb0ES3_PKdPddZZZN2at6native31launch_logcumsumexp_cuda_kernelERKNSB_10TensorBaseESF_lENKUlvE_clEvENKUlvE_clEvEUlddE_dEEDaPvRmT3_T4_T5_mT6_P12ihipStream_tbENKUlT_T0_E_clISt17integral_constantIbLb1EESV_IbLb0EEEEDaSR_SS_EUlSR_E0_NS1_11comp_targetILNS1_3genE5ELNS1_11target_archE942ELNS1_3gpuE9ELNS1_3repE0EEENS1_30default_config_static_selectorELNS0_4arch9wavefront6targetE0EEEvT1_
                                        ; -- End function
	.set _ZN7rocprim17ROCPRIM_400000_NS6detail17trampoline_kernelINS0_14default_configENS1_20scan_config_selectorIdEEZZNS1_9scan_implILNS1_25lookback_scan_determinismE0ELb0ELb0ES3_PKdPddZZZN2at6native31launch_logcumsumexp_cuda_kernelERKNSB_10TensorBaseESF_lENKUlvE_clEvENKUlvE_clEvEUlddE_dEEDaPvRmT3_T4_T5_mT6_P12ihipStream_tbENKUlT_T0_E_clISt17integral_constantIbLb1EESV_IbLb0EEEEDaSR_SS_EUlSR_E0_NS1_11comp_targetILNS1_3genE5ELNS1_11target_archE942ELNS1_3gpuE9ELNS1_3repE0EEENS1_30default_config_static_selectorELNS0_4arch9wavefront6targetE0EEEvT1_.num_vgpr, 0
	.set _ZN7rocprim17ROCPRIM_400000_NS6detail17trampoline_kernelINS0_14default_configENS1_20scan_config_selectorIdEEZZNS1_9scan_implILNS1_25lookback_scan_determinismE0ELb0ELb0ES3_PKdPddZZZN2at6native31launch_logcumsumexp_cuda_kernelERKNSB_10TensorBaseESF_lENKUlvE_clEvENKUlvE_clEvEUlddE_dEEDaPvRmT3_T4_T5_mT6_P12ihipStream_tbENKUlT_T0_E_clISt17integral_constantIbLb1EESV_IbLb0EEEEDaSR_SS_EUlSR_E0_NS1_11comp_targetILNS1_3genE5ELNS1_11target_archE942ELNS1_3gpuE9ELNS1_3repE0EEENS1_30default_config_static_selectorELNS0_4arch9wavefront6targetE0EEEvT1_.num_agpr, 0
	.set _ZN7rocprim17ROCPRIM_400000_NS6detail17trampoline_kernelINS0_14default_configENS1_20scan_config_selectorIdEEZZNS1_9scan_implILNS1_25lookback_scan_determinismE0ELb0ELb0ES3_PKdPddZZZN2at6native31launch_logcumsumexp_cuda_kernelERKNSB_10TensorBaseESF_lENKUlvE_clEvENKUlvE_clEvEUlddE_dEEDaPvRmT3_T4_T5_mT6_P12ihipStream_tbENKUlT_T0_E_clISt17integral_constantIbLb1EESV_IbLb0EEEEDaSR_SS_EUlSR_E0_NS1_11comp_targetILNS1_3genE5ELNS1_11target_archE942ELNS1_3gpuE9ELNS1_3repE0EEENS1_30default_config_static_selectorELNS0_4arch9wavefront6targetE0EEEvT1_.numbered_sgpr, 0
	.set _ZN7rocprim17ROCPRIM_400000_NS6detail17trampoline_kernelINS0_14default_configENS1_20scan_config_selectorIdEEZZNS1_9scan_implILNS1_25lookback_scan_determinismE0ELb0ELb0ES3_PKdPddZZZN2at6native31launch_logcumsumexp_cuda_kernelERKNSB_10TensorBaseESF_lENKUlvE_clEvENKUlvE_clEvEUlddE_dEEDaPvRmT3_T4_T5_mT6_P12ihipStream_tbENKUlT_T0_E_clISt17integral_constantIbLb1EESV_IbLb0EEEEDaSR_SS_EUlSR_E0_NS1_11comp_targetILNS1_3genE5ELNS1_11target_archE942ELNS1_3gpuE9ELNS1_3repE0EEENS1_30default_config_static_selectorELNS0_4arch9wavefront6targetE0EEEvT1_.num_named_barrier, 0
	.set _ZN7rocprim17ROCPRIM_400000_NS6detail17trampoline_kernelINS0_14default_configENS1_20scan_config_selectorIdEEZZNS1_9scan_implILNS1_25lookback_scan_determinismE0ELb0ELb0ES3_PKdPddZZZN2at6native31launch_logcumsumexp_cuda_kernelERKNSB_10TensorBaseESF_lENKUlvE_clEvENKUlvE_clEvEUlddE_dEEDaPvRmT3_T4_T5_mT6_P12ihipStream_tbENKUlT_T0_E_clISt17integral_constantIbLb1EESV_IbLb0EEEEDaSR_SS_EUlSR_E0_NS1_11comp_targetILNS1_3genE5ELNS1_11target_archE942ELNS1_3gpuE9ELNS1_3repE0EEENS1_30default_config_static_selectorELNS0_4arch9wavefront6targetE0EEEvT1_.private_seg_size, 0
	.set _ZN7rocprim17ROCPRIM_400000_NS6detail17trampoline_kernelINS0_14default_configENS1_20scan_config_selectorIdEEZZNS1_9scan_implILNS1_25lookback_scan_determinismE0ELb0ELb0ES3_PKdPddZZZN2at6native31launch_logcumsumexp_cuda_kernelERKNSB_10TensorBaseESF_lENKUlvE_clEvENKUlvE_clEvEUlddE_dEEDaPvRmT3_T4_T5_mT6_P12ihipStream_tbENKUlT_T0_E_clISt17integral_constantIbLb1EESV_IbLb0EEEEDaSR_SS_EUlSR_E0_NS1_11comp_targetILNS1_3genE5ELNS1_11target_archE942ELNS1_3gpuE9ELNS1_3repE0EEENS1_30default_config_static_selectorELNS0_4arch9wavefront6targetE0EEEvT1_.uses_vcc, 0
	.set _ZN7rocprim17ROCPRIM_400000_NS6detail17trampoline_kernelINS0_14default_configENS1_20scan_config_selectorIdEEZZNS1_9scan_implILNS1_25lookback_scan_determinismE0ELb0ELb0ES3_PKdPddZZZN2at6native31launch_logcumsumexp_cuda_kernelERKNSB_10TensorBaseESF_lENKUlvE_clEvENKUlvE_clEvEUlddE_dEEDaPvRmT3_T4_T5_mT6_P12ihipStream_tbENKUlT_T0_E_clISt17integral_constantIbLb1EESV_IbLb0EEEEDaSR_SS_EUlSR_E0_NS1_11comp_targetILNS1_3genE5ELNS1_11target_archE942ELNS1_3gpuE9ELNS1_3repE0EEENS1_30default_config_static_selectorELNS0_4arch9wavefront6targetE0EEEvT1_.uses_flat_scratch, 0
	.set _ZN7rocprim17ROCPRIM_400000_NS6detail17trampoline_kernelINS0_14default_configENS1_20scan_config_selectorIdEEZZNS1_9scan_implILNS1_25lookback_scan_determinismE0ELb0ELb0ES3_PKdPddZZZN2at6native31launch_logcumsumexp_cuda_kernelERKNSB_10TensorBaseESF_lENKUlvE_clEvENKUlvE_clEvEUlddE_dEEDaPvRmT3_T4_T5_mT6_P12ihipStream_tbENKUlT_T0_E_clISt17integral_constantIbLb1EESV_IbLb0EEEEDaSR_SS_EUlSR_E0_NS1_11comp_targetILNS1_3genE5ELNS1_11target_archE942ELNS1_3gpuE9ELNS1_3repE0EEENS1_30default_config_static_selectorELNS0_4arch9wavefront6targetE0EEEvT1_.has_dyn_sized_stack, 0
	.set _ZN7rocprim17ROCPRIM_400000_NS6detail17trampoline_kernelINS0_14default_configENS1_20scan_config_selectorIdEEZZNS1_9scan_implILNS1_25lookback_scan_determinismE0ELb0ELb0ES3_PKdPddZZZN2at6native31launch_logcumsumexp_cuda_kernelERKNSB_10TensorBaseESF_lENKUlvE_clEvENKUlvE_clEvEUlddE_dEEDaPvRmT3_T4_T5_mT6_P12ihipStream_tbENKUlT_T0_E_clISt17integral_constantIbLb1EESV_IbLb0EEEEDaSR_SS_EUlSR_E0_NS1_11comp_targetILNS1_3genE5ELNS1_11target_archE942ELNS1_3gpuE9ELNS1_3repE0EEENS1_30default_config_static_selectorELNS0_4arch9wavefront6targetE0EEEvT1_.has_recursion, 0
	.set _ZN7rocprim17ROCPRIM_400000_NS6detail17trampoline_kernelINS0_14default_configENS1_20scan_config_selectorIdEEZZNS1_9scan_implILNS1_25lookback_scan_determinismE0ELb0ELb0ES3_PKdPddZZZN2at6native31launch_logcumsumexp_cuda_kernelERKNSB_10TensorBaseESF_lENKUlvE_clEvENKUlvE_clEvEUlddE_dEEDaPvRmT3_T4_T5_mT6_P12ihipStream_tbENKUlT_T0_E_clISt17integral_constantIbLb1EESV_IbLb0EEEEDaSR_SS_EUlSR_E0_NS1_11comp_targetILNS1_3genE5ELNS1_11target_archE942ELNS1_3gpuE9ELNS1_3repE0EEENS1_30default_config_static_selectorELNS0_4arch9wavefront6targetE0EEEvT1_.has_indirect_call, 0
	.section	.AMDGPU.csdata,"",@progbits
; Kernel info:
; codeLenInByte = 0
; TotalNumSgprs: 0
; NumVgprs: 0
; ScratchSize: 0
; MemoryBound: 0
; FloatMode: 240
; IeeeMode: 1
; LDSByteSize: 0 bytes/workgroup (compile time only)
; SGPRBlocks: 0
; VGPRBlocks: 0
; NumSGPRsForWavesPerEU: 1
; NumVGPRsForWavesPerEU: 1
; Occupancy: 16
; WaveLimiterHint : 0
; COMPUTE_PGM_RSRC2:SCRATCH_EN: 0
; COMPUTE_PGM_RSRC2:USER_SGPR: 6
; COMPUTE_PGM_RSRC2:TRAP_HANDLER: 0
; COMPUTE_PGM_RSRC2:TGID_X_EN: 1
; COMPUTE_PGM_RSRC2:TGID_Y_EN: 0
; COMPUTE_PGM_RSRC2:TGID_Z_EN: 0
; COMPUTE_PGM_RSRC2:TIDIG_COMP_CNT: 0
	.section	.text._ZN7rocprim17ROCPRIM_400000_NS6detail17trampoline_kernelINS0_14default_configENS1_20scan_config_selectorIdEEZZNS1_9scan_implILNS1_25lookback_scan_determinismE0ELb0ELb0ES3_PKdPddZZZN2at6native31launch_logcumsumexp_cuda_kernelERKNSB_10TensorBaseESF_lENKUlvE_clEvENKUlvE_clEvEUlddE_dEEDaPvRmT3_T4_T5_mT6_P12ihipStream_tbENKUlT_T0_E_clISt17integral_constantIbLb1EESV_IbLb0EEEEDaSR_SS_EUlSR_E0_NS1_11comp_targetILNS1_3genE4ELNS1_11target_archE910ELNS1_3gpuE8ELNS1_3repE0EEENS1_30default_config_static_selectorELNS0_4arch9wavefront6targetE0EEEvT1_,"axG",@progbits,_ZN7rocprim17ROCPRIM_400000_NS6detail17trampoline_kernelINS0_14default_configENS1_20scan_config_selectorIdEEZZNS1_9scan_implILNS1_25lookback_scan_determinismE0ELb0ELb0ES3_PKdPddZZZN2at6native31launch_logcumsumexp_cuda_kernelERKNSB_10TensorBaseESF_lENKUlvE_clEvENKUlvE_clEvEUlddE_dEEDaPvRmT3_T4_T5_mT6_P12ihipStream_tbENKUlT_T0_E_clISt17integral_constantIbLb1EESV_IbLb0EEEEDaSR_SS_EUlSR_E0_NS1_11comp_targetILNS1_3genE4ELNS1_11target_archE910ELNS1_3gpuE8ELNS1_3repE0EEENS1_30default_config_static_selectorELNS0_4arch9wavefront6targetE0EEEvT1_,comdat
	.globl	_ZN7rocprim17ROCPRIM_400000_NS6detail17trampoline_kernelINS0_14default_configENS1_20scan_config_selectorIdEEZZNS1_9scan_implILNS1_25lookback_scan_determinismE0ELb0ELb0ES3_PKdPddZZZN2at6native31launch_logcumsumexp_cuda_kernelERKNSB_10TensorBaseESF_lENKUlvE_clEvENKUlvE_clEvEUlddE_dEEDaPvRmT3_T4_T5_mT6_P12ihipStream_tbENKUlT_T0_E_clISt17integral_constantIbLb1EESV_IbLb0EEEEDaSR_SS_EUlSR_E0_NS1_11comp_targetILNS1_3genE4ELNS1_11target_archE910ELNS1_3gpuE8ELNS1_3repE0EEENS1_30default_config_static_selectorELNS0_4arch9wavefront6targetE0EEEvT1_ ; -- Begin function _ZN7rocprim17ROCPRIM_400000_NS6detail17trampoline_kernelINS0_14default_configENS1_20scan_config_selectorIdEEZZNS1_9scan_implILNS1_25lookback_scan_determinismE0ELb0ELb0ES3_PKdPddZZZN2at6native31launch_logcumsumexp_cuda_kernelERKNSB_10TensorBaseESF_lENKUlvE_clEvENKUlvE_clEvEUlddE_dEEDaPvRmT3_T4_T5_mT6_P12ihipStream_tbENKUlT_T0_E_clISt17integral_constantIbLb1EESV_IbLb0EEEEDaSR_SS_EUlSR_E0_NS1_11comp_targetILNS1_3genE4ELNS1_11target_archE910ELNS1_3gpuE8ELNS1_3repE0EEENS1_30default_config_static_selectorELNS0_4arch9wavefront6targetE0EEEvT1_
	.p2align	8
	.type	_ZN7rocprim17ROCPRIM_400000_NS6detail17trampoline_kernelINS0_14default_configENS1_20scan_config_selectorIdEEZZNS1_9scan_implILNS1_25lookback_scan_determinismE0ELb0ELb0ES3_PKdPddZZZN2at6native31launch_logcumsumexp_cuda_kernelERKNSB_10TensorBaseESF_lENKUlvE_clEvENKUlvE_clEvEUlddE_dEEDaPvRmT3_T4_T5_mT6_P12ihipStream_tbENKUlT_T0_E_clISt17integral_constantIbLb1EESV_IbLb0EEEEDaSR_SS_EUlSR_E0_NS1_11comp_targetILNS1_3genE4ELNS1_11target_archE910ELNS1_3gpuE8ELNS1_3repE0EEENS1_30default_config_static_selectorELNS0_4arch9wavefront6targetE0EEEvT1_,@function
_ZN7rocprim17ROCPRIM_400000_NS6detail17trampoline_kernelINS0_14default_configENS1_20scan_config_selectorIdEEZZNS1_9scan_implILNS1_25lookback_scan_determinismE0ELb0ELb0ES3_PKdPddZZZN2at6native31launch_logcumsumexp_cuda_kernelERKNSB_10TensorBaseESF_lENKUlvE_clEvENKUlvE_clEvEUlddE_dEEDaPvRmT3_T4_T5_mT6_P12ihipStream_tbENKUlT_T0_E_clISt17integral_constantIbLb1EESV_IbLb0EEEEDaSR_SS_EUlSR_E0_NS1_11comp_targetILNS1_3genE4ELNS1_11target_archE910ELNS1_3gpuE8ELNS1_3repE0EEENS1_30default_config_static_selectorELNS0_4arch9wavefront6targetE0EEEvT1_: ; @_ZN7rocprim17ROCPRIM_400000_NS6detail17trampoline_kernelINS0_14default_configENS1_20scan_config_selectorIdEEZZNS1_9scan_implILNS1_25lookback_scan_determinismE0ELb0ELb0ES3_PKdPddZZZN2at6native31launch_logcumsumexp_cuda_kernelERKNSB_10TensorBaseESF_lENKUlvE_clEvENKUlvE_clEvEUlddE_dEEDaPvRmT3_T4_T5_mT6_P12ihipStream_tbENKUlT_T0_E_clISt17integral_constantIbLb1EESV_IbLb0EEEEDaSR_SS_EUlSR_E0_NS1_11comp_targetILNS1_3genE4ELNS1_11target_archE910ELNS1_3gpuE8ELNS1_3repE0EEENS1_30default_config_static_selectorELNS0_4arch9wavefront6targetE0EEEvT1_
; %bb.0:
	.section	.rodata,"a",@progbits
	.p2align	6, 0x0
	.amdhsa_kernel _ZN7rocprim17ROCPRIM_400000_NS6detail17trampoline_kernelINS0_14default_configENS1_20scan_config_selectorIdEEZZNS1_9scan_implILNS1_25lookback_scan_determinismE0ELb0ELb0ES3_PKdPddZZZN2at6native31launch_logcumsumexp_cuda_kernelERKNSB_10TensorBaseESF_lENKUlvE_clEvENKUlvE_clEvEUlddE_dEEDaPvRmT3_T4_T5_mT6_P12ihipStream_tbENKUlT_T0_E_clISt17integral_constantIbLb1EESV_IbLb0EEEEDaSR_SS_EUlSR_E0_NS1_11comp_targetILNS1_3genE4ELNS1_11target_archE910ELNS1_3gpuE8ELNS1_3repE0EEENS1_30default_config_static_selectorELNS0_4arch9wavefront6targetE0EEEvT1_
		.amdhsa_group_segment_fixed_size 0
		.amdhsa_private_segment_fixed_size 0
		.amdhsa_kernarg_size 40
		.amdhsa_user_sgpr_count 6
		.amdhsa_user_sgpr_private_segment_buffer 1
		.amdhsa_user_sgpr_dispatch_ptr 0
		.amdhsa_user_sgpr_queue_ptr 0
		.amdhsa_user_sgpr_kernarg_segment_ptr 1
		.amdhsa_user_sgpr_dispatch_id 0
		.amdhsa_user_sgpr_flat_scratch_init 0
		.amdhsa_user_sgpr_private_segment_size 0
		.amdhsa_wavefront_size32 1
		.amdhsa_uses_dynamic_stack 0
		.amdhsa_system_sgpr_private_segment_wavefront_offset 0
		.amdhsa_system_sgpr_workgroup_id_x 1
		.amdhsa_system_sgpr_workgroup_id_y 0
		.amdhsa_system_sgpr_workgroup_id_z 0
		.amdhsa_system_sgpr_workgroup_info 0
		.amdhsa_system_vgpr_workitem_id 0
		.amdhsa_next_free_vgpr 1
		.amdhsa_next_free_sgpr 1
		.amdhsa_reserve_vcc 0
		.amdhsa_reserve_flat_scratch 0
		.amdhsa_float_round_mode_32 0
		.amdhsa_float_round_mode_16_64 0
		.amdhsa_float_denorm_mode_32 3
		.amdhsa_float_denorm_mode_16_64 3
		.amdhsa_dx10_clamp 1
		.amdhsa_ieee_mode 1
		.amdhsa_fp16_overflow 0
		.amdhsa_workgroup_processor_mode 1
		.amdhsa_memory_ordered 1
		.amdhsa_forward_progress 1
		.amdhsa_shared_vgpr_count 0
		.amdhsa_exception_fp_ieee_invalid_op 0
		.amdhsa_exception_fp_denorm_src 0
		.amdhsa_exception_fp_ieee_div_zero 0
		.amdhsa_exception_fp_ieee_overflow 0
		.amdhsa_exception_fp_ieee_underflow 0
		.amdhsa_exception_fp_ieee_inexact 0
		.amdhsa_exception_int_div_zero 0
	.end_amdhsa_kernel
	.section	.text._ZN7rocprim17ROCPRIM_400000_NS6detail17trampoline_kernelINS0_14default_configENS1_20scan_config_selectorIdEEZZNS1_9scan_implILNS1_25lookback_scan_determinismE0ELb0ELb0ES3_PKdPddZZZN2at6native31launch_logcumsumexp_cuda_kernelERKNSB_10TensorBaseESF_lENKUlvE_clEvENKUlvE_clEvEUlddE_dEEDaPvRmT3_T4_T5_mT6_P12ihipStream_tbENKUlT_T0_E_clISt17integral_constantIbLb1EESV_IbLb0EEEEDaSR_SS_EUlSR_E0_NS1_11comp_targetILNS1_3genE4ELNS1_11target_archE910ELNS1_3gpuE8ELNS1_3repE0EEENS1_30default_config_static_selectorELNS0_4arch9wavefront6targetE0EEEvT1_,"axG",@progbits,_ZN7rocprim17ROCPRIM_400000_NS6detail17trampoline_kernelINS0_14default_configENS1_20scan_config_selectorIdEEZZNS1_9scan_implILNS1_25lookback_scan_determinismE0ELb0ELb0ES3_PKdPddZZZN2at6native31launch_logcumsumexp_cuda_kernelERKNSB_10TensorBaseESF_lENKUlvE_clEvENKUlvE_clEvEUlddE_dEEDaPvRmT3_T4_T5_mT6_P12ihipStream_tbENKUlT_T0_E_clISt17integral_constantIbLb1EESV_IbLb0EEEEDaSR_SS_EUlSR_E0_NS1_11comp_targetILNS1_3genE4ELNS1_11target_archE910ELNS1_3gpuE8ELNS1_3repE0EEENS1_30default_config_static_selectorELNS0_4arch9wavefront6targetE0EEEvT1_,comdat
.Lfunc_end58:
	.size	_ZN7rocprim17ROCPRIM_400000_NS6detail17trampoline_kernelINS0_14default_configENS1_20scan_config_selectorIdEEZZNS1_9scan_implILNS1_25lookback_scan_determinismE0ELb0ELb0ES3_PKdPddZZZN2at6native31launch_logcumsumexp_cuda_kernelERKNSB_10TensorBaseESF_lENKUlvE_clEvENKUlvE_clEvEUlddE_dEEDaPvRmT3_T4_T5_mT6_P12ihipStream_tbENKUlT_T0_E_clISt17integral_constantIbLb1EESV_IbLb0EEEEDaSR_SS_EUlSR_E0_NS1_11comp_targetILNS1_3genE4ELNS1_11target_archE910ELNS1_3gpuE8ELNS1_3repE0EEENS1_30default_config_static_selectorELNS0_4arch9wavefront6targetE0EEEvT1_, .Lfunc_end58-_ZN7rocprim17ROCPRIM_400000_NS6detail17trampoline_kernelINS0_14default_configENS1_20scan_config_selectorIdEEZZNS1_9scan_implILNS1_25lookback_scan_determinismE0ELb0ELb0ES3_PKdPddZZZN2at6native31launch_logcumsumexp_cuda_kernelERKNSB_10TensorBaseESF_lENKUlvE_clEvENKUlvE_clEvEUlddE_dEEDaPvRmT3_T4_T5_mT6_P12ihipStream_tbENKUlT_T0_E_clISt17integral_constantIbLb1EESV_IbLb0EEEEDaSR_SS_EUlSR_E0_NS1_11comp_targetILNS1_3genE4ELNS1_11target_archE910ELNS1_3gpuE8ELNS1_3repE0EEENS1_30default_config_static_selectorELNS0_4arch9wavefront6targetE0EEEvT1_
                                        ; -- End function
	.set _ZN7rocprim17ROCPRIM_400000_NS6detail17trampoline_kernelINS0_14default_configENS1_20scan_config_selectorIdEEZZNS1_9scan_implILNS1_25lookback_scan_determinismE0ELb0ELb0ES3_PKdPddZZZN2at6native31launch_logcumsumexp_cuda_kernelERKNSB_10TensorBaseESF_lENKUlvE_clEvENKUlvE_clEvEUlddE_dEEDaPvRmT3_T4_T5_mT6_P12ihipStream_tbENKUlT_T0_E_clISt17integral_constantIbLb1EESV_IbLb0EEEEDaSR_SS_EUlSR_E0_NS1_11comp_targetILNS1_3genE4ELNS1_11target_archE910ELNS1_3gpuE8ELNS1_3repE0EEENS1_30default_config_static_selectorELNS0_4arch9wavefront6targetE0EEEvT1_.num_vgpr, 0
	.set _ZN7rocprim17ROCPRIM_400000_NS6detail17trampoline_kernelINS0_14default_configENS1_20scan_config_selectorIdEEZZNS1_9scan_implILNS1_25lookback_scan_determinismE0ELb0ELb0ES3_PKdPddZZZN2at6native31launch_logcumsumexp_cuda_kernelERKNSB_10TensorBaseESF_lENKUlvE_clEvENKUlvE_clEvEUlddE_dEEDaPvRmT3_T4_T5_mT6_P12ihipStream_tbENKUlT_T0_E_clISt17integral_constantIbLb1EESV_IbLb0EEEEDaSR_SS_EUlSR_E0_NS1_11comp_targetILNS1_3genE4ELNS1_11target_archE910ELNS1_3gpuE8ELNS1_3repE0EEENS1_30default_config_static_selectorELNS0_4arch9wavefront6targetE0EEEvT1_.num_agpr, 0
	.set _ZN7rocprim17ROCPRIM_400000_NS6detail17trampoline_kernelINS0_14default_configENS1_20scan_config_selectorIdEEZZNS1_9scan_implILNS1_25lookback_scan_determinismE0ELb0ELb0ES3_PKdPddZZZN2at6native31launch_logcumsumexp_cuda_kernelERKNSB_10TensorBaseESF_lENKUlvE_clEvENKUlvE_clEvEUlddE_dEEDaPvRmT3_T4_T5_mT6_P12ihipStream_tbENKUlT_T0_E_clISt17integral_constantIbLb1EESV_IbLb0EEEEDaSR_SS_EUlSR_E0_NS1_11comp_targetILNS1_3genE4ELNS1_11target_archE910ELNS1_3gpuE8ELNS1_3repE0EEENS1_30default_config_static_selectorELNS0_4arch9wavefront6targetE0EEEvT1_.numbered_sgpr, 0
	.set _ZN7rocprim17ROCPRIM_400000_NS6detail17trampoline_kernelINS0_14default_configENS1_20scan_config_selectorIdEEZZNS1_9scan_implILNS1_25lookback_scan_determinismE0ELb0ELb0ES3_PKdPddZZZN2at6native31launch_logcumsumexp_cuda_kernelERKNSB_10TensorBaseESF_lENKUlvE_clEvENKUlvE_clEvEUlddE_dEEDaPvRmT3_T4_T5_mT6_P12ihipStream_tbENKUlT_T0_E_clISt17integral_constantIbLb1EESV_IbLb0EEEEDaSR_SS_EUlSR_E0_NS1_11comp_targetILNS1_3genE4ELNS1_11target_archE910ELNS1_3gpuE8ELNS1_3repE0EEENS1_30default_config_static_selectorELNS0_4arch9wavefront6targetE0EEEvT1_.num_named_barrier, 0
	.set _ZN7rocprim17ROCPRIM_400000_NS6detail17trampoline_kernelINS0_14default_configENS1_20scan_config_selectorIdEEZZNS1_9scan_implILNS1_25lookback_scan_determinismE0ELb0ELb0ES3_PKdPddZZZN2at6native31launch_logcumsumexp_cuda_kernelERKNSB_10TensorBaseESF_lENKUlvE_clEvENKUlvE_clEvEUlddE_dEEDaPvRmT3_T4_T5_mT6_P12ihipStream_tbENKUlT_T0_E_clISt17integral_constantIbLb1EESV_IbLb0EEEEDaSR_SS_EUlSR_E0_NS1_11comp_targetILNS1_3genE4ELNS1_11target_archE910ELNS1_3gpuE8ELNS1_3repE0EEENS1_30default_config_static_selectorELNS0_4arch9wavefront6targetE0EEEvT1_.private_seg_size, 0
	.set _ZN7rocprim17ROCPRIM_400000_NS6detail17trampoline_kernelINS0_14default_configENS1_20scan_config_selectorIdEEZZNS1_9scan_implILNS1_25lookback_scan_determinismE0ELb0ELb0ES3_PKdPddZZZN2at6native31launch_logcumsumexp_cuda_kernelERKNSB_10TensorBaseESF_lENKUlvE_clEvENKUlvE_clEvEUlddE_dEEDaPvRmT3_T4_T5_mT6_P12ihipStream_tbENKUlT_T0_E_clISt17integral_constantIbLb1EESV_IbLb0EEEEDaSR_SS_EUlSR_E0_NS1_11comp_targetILNS1_3genE4ELNS1_11target_archE910ELNS1_3gpuE8ELNS1_3repE0EEENS1_30default_config_static_selectorELNS0_4arch9wavefront6targetE0EEEvT1_.uses_vcc, 0
	.set _ZN7rocprim17ROCPRIM_400000_NS6detail17trampoline_kernelINS0_14default_configENS1_20scan_config_selectorIdEEZZNS1_9scan_implILNS1_25lookback_scan_determinismE0ELb0ELb0ES3_PKdPddZZZN2at6native31launch_logcumsumexp_cuda_kernelERKNSB_10TensorBaseESF_lENKUlvE_clEvENKUlvE_clEvEUlddE_dEEDaPvRmT3_T4_T5_mT6_P12ihipStream_tbENKUlT_T0_E_clISt17integral_constantIbLb1EESV_IbLb0EEEEDaSR_SS_EUlSR_E0_NS1_11comp_targetILNS1_3genE4ELNS1_11target_archE910ELNS1_3gpuE8ELNS1_3repE0EEENS1_30default_config_static_selectorELNS0_4arch9wavefront6targetE0EEEvT1_.uses_flat_scratch, 0
	.set _ZN7rocprim17ROCPRIM_400000_NS6detail17trampoline_kernelINS0_14default_configENS1_20scan_config_selectorIdEEZZNS1_9scan_implILNS1_25lookback_scan_determinismE0ELb0ELb0ES3_PKdPddZZZN2at6native31launch_logcumsumexp_cuda_kernelERKNSB_10TensorBaseESF_lENKUlvE_clEvENKUlvE_clEvEUlddE_dEEDaPvRmT3_T4_T5_mT6_P12ihipStream_tbENKUlT_T0_E_clISt17integral_constantIbLb1EESV_IbLb0EEEEDaSR_SS_EUlSR_E0_NS1_11comp_targetILNS1_3genE4ELNS1_11target_archE910ELNS1_3gpuE8ELNS1_3repE0EEENS1_30default_config_static_selectorELNS0_4arch9wavefront6targetE0EEEvT1_.has_dyn_sized_stack, 0
	.set _ZN7rocprim17ROCPRIM_400000_NS6detail17trampoline_kernelINS0_14default_configENS1_20scan_config_selectorIdEEZZNS1_9scan_implILNS1_25lookback_scan_determinismE0ELb0ELb0ES3_PKdPddZZZN2at6native31launch_logcumsumexp_cuda_kernelERKNSB_10TensorBaseESF_lENKUlvE_clEvENKUlvE_clEvEUlddE_dEEDaPvRmT3_T4_T5_mT6_P12ihipStream_tbENKUlT_T0_E_clISt17integral_constantIbLb1EESV_IbLb0EEEEDaSR_SS_EUlSR_E0_NS1_11comp_targetILNS1_3genE4ELNS1_11target_archE910ELNS1_3gpuE8ELNS1_3repE0EEENS1_30default_config_static_selectorELNS0_4arch9wavefront6targetE0EEEvT1_.has_recursion, 0
	.set _ZN7rocprim17ROCPRIM_400000_NS6detail17trampoline_kernelINS0_14default_configENS1_20scan_config_selectorIdEEZZNS1_9scan_implILNS1_25lookback_scan_determinismE0ELb0ELb0ES3_PKdPddZZZN2at6native31launch_logcumsumexp_cuda_kernelERKNSB_10TensorBaseESF_lENKUlvE_clEvENKUlvE_clEvEUlddE_dEEDaPvRmT3_T4_T5_mT6_P12ihipStream_tbENKUlT_T0_E_clISt17integral_constantIbLb1EESV_IbLb0EEEEDaSR_SS_EUlSR_E0_NS1_11comp_targetILNS1_3genE4ELNS1_11target_archE910ELNS1_3gpuE8ELNS1_3repE0EEENS1_30default_config_static_selectorELNS0_4arch9wavefront6targetE0EEEvT1_.has_indirect_call, 0
	.section	.AMDGPU.csdata,"",@progbits
; Kernel info:
; codeLenInByte = 0
; TotalNumSgprs: 0
; NumVgprs: 0
; ScratchSize: 0
; MemoryBound: 0
; FloatMode: 240
; IeeeMode: 1
; LDSByteSize: 0 bytes/workgroup (compile time only)
; SGPRBlocks: 0
; VGPRBlocks: 0
; NumSGPRsForWavesPerEU: 1
; NumVGPRsForWavesPerEU: 1
; Occupancy: 16
; WaveLimiterHint : 0
; COMPUTE_PGM_RSRC2:SCRATCH_EN: 0
; COMPUTE_PGM_RSRC2:USER_SGPR: 6
; COMPUTE_PGM_RSRC2:TRAP_HANDLER: 0
; COMPUTE_PGM_RSRC2:TGID_X_EN: 1
; COMPUTE_PGM_RSRC2:TGID_Y_EN: 0
; COMPUTE_PGM_RSRC2:TGID_Z_EN: 0
; COMPUTE_PGM_RSRC2:TIDIG_COMP_CNT: 0
	.section	.text._ZN7rocprim17ROCPRIM_400000_NS6detail17trampoline_kernelINS0_14default_configENS1_20scan_config_selectorIdEEZZNS1_9scan_implILNS1_25lookback_scan_determinismE0ELb0ELb0ES3_PKdPddZZZN2at6native31launch_logcumsumexp_cuda_kernelERKNSB_10TensorBaseESF_lENKUlvE_clEvENKUlvE_clEvEUlddE_dEEDaPvRmT3_T4_T5_mT6_P12ihipStream_tbENKUlT_T0_E_clISt17integral_constantIbLb1EESV_IbLb0EEEEDaSR_SS_EUlSR_E0_NS1_11comp_targetILNS1_3genE3ELNS1_11target_archE908ELNS1_3gpuE7ELNS1_3repE0EEENS1_30default_config_static_selectorELNS0_4arch9wavefront6targetE0EEEvT1_,"axG",@progbits,_ZN7rocprim17ROCPRIM_400000_NS6detail17trampoline_kernelINS0_14default_configENS1_20scan_config_selectorIdEEZZNS1_9scan_implILNS1_25lookback_scan_determinismE0ELb0ELb0ES3_PKdPddZZZN2at6native31launch_logcumsumexp_cuda_kernelERKNSB_10TensorBaseESF_lENKUlvE_clEvENKUlvE_clEvEUlddE_dEEDaPvRmT3_T4_T5_mT6_P12ihipStream_tbENKUlT_T0_E_clISt17integral_constantIbLb1EESV_IbLb0EEEEDaSR_SS_EUlSR_E0_NS1_11comp_targetILNS1_3genE3ELNS1_11target_archE908ELNS1_3gpuE7ELNS1_3repE0EEENS1_30default_config_static_selectorELNS0_4arch9wavefront6targetE0EEEvT1_,comdat
	.globl	_ZN7rocprim17ROCPRIM_400000_NS6detail17trampoline_kernelINS0_14default_configENS1_20scan_config_selectorIdEEZZNS1_9scan_implILNS1_25lookback_scan_determinismE0ELb0ELb0ES3_PKdPddZZZN2at6native31launch_logcumsumexp_cuda_kernelERKNSB_10TensorBaseESF_lENKUlvE_clEvENKUlvE_clEvEUlddE_dEEDaPvRmT3_T4_T5_mT6_P12ihipStream_tbENKUlT_T0_E_clISt17integral_constantIbLb1EESV_IbLb0EEEEDaSR_SS_EUlSR_E0_NS1_11comp_targetILNS1_3genE3ELNS1_11target_archE908ELNS1_3gpuE7ELNS1_3repE0EEENS1_30default_config_static_selectorELNS0_4arch9wavefront6targetE0EEEvT1_ ; -- Begin function _ZN7rocprim17ROCPRIM_400000_NS6detail17trampoline_kernelINS0_14default_configENS1_20scan_config_selectorIdEEZZNS1_9scan_implILNS1_25lookback_scan_determinismE0ELb0ELb0ES3_PKdPddZZZN2at6native31launch_logcumsumexp_cuda_kernelERKNSB_10TensorBaseESF_lENKUlvE_clEvENKUlvE_clEvEUlddE_dEEDaPvRmT3_T4_T5_mT6_P12ihipStream_tbENKUlT_T0_E_clISt17integral_constantIbLb1EESV_IbLb0EEEEDaSR_SS_EUlSR_E0_NS1_11comp_targetILNS1_3genE3ELNS1_11target_archE908ELNS1_3gpuE7ELNS1_3repE0EEENS1_30default_config_static_selectorELNS0_4arch9wavefront6targetE0EEEvT1_
	.p2align	8
	.type	_ZN7rocprim17ROCPRIM_400000_NS6detail17trampoline_kernelINS0_14default_configENS1_20scan_config_selectorIdEEZZNS1_9scan_implILNS1_25lookback_scan_determinismE0ELb0ELb0ES3_PKdPddZZZN2at6native31launch_logcumsumexp_cuda_kernelERKNSB_10TensorBaseESF_lENKUlvE_clEvENKUlvE_clEvEUlddE_dEEDaPvRmT3_T4_T5_mT6_P12ihipStream_tbENKUlT_T0_E_clISt17integral_constantIbLb1EESV_IbLb0EEEEDaSR_SS_EUlSR_E0_NS1_11comp_targetILNS1_3genE3ELNS1_11target_archE908ELNS1_3gpuE7ELNS1_3repE0EEENS1_30default_config_static_selectorELNS0_4arch9wavefront6targetE0EEEvT1_,@function
_ZN7rocprim17ROCPRIM_400000_NS6detail17trampoline_kernelINS0_14default_configENS1_20scan_config_selectorIdEEZZNS1_9scan_implILNS1_25lookback_scan_determinismE0ELb0ELb0ES3_PKdPddZZZN2at6native31launch_logcumsumexp_cuda_kernelERKNSB_10TensorBaseESF_lENKUlvE_clEvENKUlvE_clEvEUlddE_dEEDaPvRmT3_T4_T5_mT6_P12ihipStream_tbENKUlT_T0_E_clISt17integral_constantIbLb1EESV_IbLb0EEEEDaSR_SS_EUlSR_E0_NS1_11comp_targetILNS1_3genE3ELNS1_11target_archE908ELNS1_3gpuE7ELNS1_3repE0EEENS1_30default_config_static_selectorELNS0_4arch9wavefront6targetE0EEEvT1_: ; @_ZN7rocprim17ROCPRIM_400000_NS6detail17trampoline_kernelINS0_14default_configENS1_20scan_config_selectorIdEEZZNS1_9scan_implILNS1_25lookback_scan_determinismE0ELb0ELb0ES3_PKdPddZZZN2at6native31launch_logcumsumexp_cuda_kernelERKNSB_10TensorBaseESF_lENKUlvE_clEvENKUlvE_clEvEUlddE_dEEDaPvRmT3_T4_T5_mT6_P12ihipStream_tbENKUlT_T0_E_clISt17integral_constantIbLb1EESV_IbLb0EEEEDaSR_SS_EUlSR_E0_NS1_11comp_targetILNS1_3genE3ELNS1_11target_archE908ELNS1_3gpuE7ELNS1_3repE0EEENS1_30default_config_static_selectorELNS0_4arch9wavefront6targetE0EEEvT1_
; %bb.0:
	.section	.rodata,"a",@progbits
	.p2align	6, 0x0
	.amdhsa_kernel _ZN7rocprim17ROCPRIM_400000_NS6detail17trampoline_kernelINS0_14default_configENS1_20scan_config_selectorIdEEZZNS1_9scan_implILNS1_25lookback_scan_determinismE0ELb0ELb0ES3_PKdPddZZZN2at6native31launch_logcumsumexp_cuda_kernelERKNSB_10TensorBaseESF_lENKUlvE_clEvENKUlvE_clEvEUlddE_dEEDaPvRmT3_T4_T5_mT6_P12ihipStream_tbENKUlT_T0_E_clISt17integral_constantIbLb1EESV_IbLb0EEEEDaSR_SS_EUlSR_E0_NS1_11comp_targetILNS1_3genE3ELNS1_11target_archE908ELNS1_3gpuE7ELNS1_3repE0EEENS1_30default_config_static_selectorELNS0_4arch9wavefront6targetE0EEEvT1_
		.amdhsa_group_segment_fixed_size 0
		.amdhsa_private_segment_fixed_size 0
		.amdhsa_kernarg_size 40
		.amdhsa_user_sgpr_count 6
		.amdhsa_user_sgpr_private_segment_buffer 1
		.amdhsa_user_sgpr_dispatch_ptr 0
		.amdhsa_user_sgpr_queue_ptr 0
		.amdhsa_user_sgpr_kernarg_segment_ptr 1
		.amdhsa_user_sgpr_dispatch_id 0
		.amdhsa_user_sgpr_flat_scratch_init 0
		.amdhsa_user_sgpr_private_segment_size 0
		.amdhsa_wavefront_size32 1
		.amdhsa_uses_dynamic_stack 0
		.amdhsa_system_sgpr_private_segment_wavefront_offset 0
		.amdhsa_system_sgpr_workgroup_id_x 1
		.amdhsa_system_sgpr_workgroup_id_y 0
		.amdhsa_system_sgpr_workgroup_id_z 0
		.amdhsa_system_sgpr_workgroup_info 0
		.amdhsa_system_vgpr_workitem_id 0
		.amdhsa_next_free_vgpr 1
		.amdhsa_next_free_sgpr 1
		.amdhsa_reserve_vcc 0
		.amdhsa_reserve_flat_scratch 0
		.amdhsa_float_round_mode_32 0
		.amdhsa_float_round_mode_16_64 0
		.amdhsa_float_denorm_mode_32 3
		.amdhsa_float_denorm_mode_16_64 3
		.amdhsa_dx10_clamp 1
		.amdhsa_ieee_mode 1
		.amdhsa_fp16_overflow 0
		.amdhsa_workgroup_processor_mode 1
		.amdhsa_memory_ordered 1
		.amdhsa_forward_progress 1
		.amdhsa_shared_vgpr_count 0
		.amdhsa_exception_fp_ieee_invalid_op 0
		.amdhsa_exception_fp_denorm_src 0
		.amdhsa_exception_fp_ieee_div_zero 0
		.amdhsa_exception_fp_ieee_overflow 0
		.amdhsa_exception_fp_ieee_underflow 0
		.amdhsa_exception_fp_ieee_inexact 0
		.amdhsa_exception_int_div_zero 0
	.end_amdhsa_kernel
	.section	.text._ZN7rocprim17ROCPRIM_400000_NS6detail17trampoline_kernelINS0_14default_configENS1_20scan_config_selectorIdEEZZNS1_9scan_implILNS1_25lookback_scan_determinismE0ELb0ELb0ES3_PKdPddZZZN2at6native31launch_logcumsumexp_cuda_kernelERKNSB_10TensorBaseESF_lENKUlvE_clEvENKUlvE_clEvEUlddE_dEEDaPvRmT3_T4_T5_mT6_P12ihipStream_tbENKUlT_T0_E_clISt17integral_constantIbLb1EESV_IbLb0EEEEDaSR_SS_EUlSR_E0_NS1_11comp_targetILNS1_3genE3ELNS1_11target_archE908ELNS1_3gpuE7ELNS1_3repE0EEENS1_30default_config_static_selectorELNS0_4arch9wavefront6targetE0EEEvT1_,"axG",@progbits,_ZN7rocprim17ROCPRIM_400000_NS6detail17trampoline_kernelINS0_14default_configENS1_20scan_config_selectorIdEEZZNS1_9scan_implILNS1_25lookback_scan_determinismE0ELb0ELb0ES3_PKdPddZZZN2at6native31launch_logcumsumexp_cuda_kernelERKNSB_10TensorBaseESF_lENKUlvE_clEvENKUlvE_clEvEUlddE_dEEDaPvRmT3_T4_T5_mT6_P12ihipStream_tbENKUlT_T0_E_clISt17integral_constantIbLb1EESV_IbLb0EEEEDaSR_SS_EUlSR_E0_NS1_11comp_targetILNS1_3genE3ELNS1_11target_archE908ELNS1_3gpuE7ELNS1_3repE0EEENS1_30default_config_static_selectorELNS0_4arch9wavefront6targetE0EEEvT1_,comdat
.Lfunc_end59:
	.size	_ZN7rocprim17ROCPRIM_400000_NS6detail17trampoline_kernelINS0_14default_configENS1_20scan_config_selectorIdEEZZNS1_9scan_implILNS1_25lookback_scan_determinismE0ELb0ELb0ES3_PKdPddZZZN2at6native31launch_logcumsumexp_cuda_kernelERKNSB_10TensorBaseESF_lENKUlvE_clEvENKUlvE_clEvEUlddE_dEEDaPvRmT3_T4_T5_mT6_P12ihipStream_tbENKUlT_T0_E_clISt17integral_constantIbLb1EESV_IbLb0EEEEDaSR_SS_EUlSR_E0_NS1_11comp_targetILNS1_3genE3ELNS1_11target_archE908ELNS1_3gpuE7ELNS1_3repE0EEENS1_30default_config_static_selectorELNS0_4arch9wavefront6targetE0EEEvT1_, .Lfunc_end59-_ZN7rocprim17ROCPRIM_400000_NS6detail17trampoline_kernelINS0_14default_configENS1_20scan_config_selectorIdEEZZNS1_9scan_implILNS1_25lookback_scan_determinismE0ELb0ELb0ES3_PKdPddZZZN2at6native31launch_logcumsumexp_cuda_kernelERKNSB_10TensorBaseESF_lENKUlvE_clEvENKUlvE_clEvEUlddE_dEEDaPvRmT3_T4_T5_mT6_P12ihipStream_tbENKUlT_T0_E_clISt17integral_constantIbLb1EESV_IbLb0EEEEDaSR_SS_EUlSR_E0_NS1_11comp_targetILNS1_3genE3ELNS1_11target_archE908ELNS1_3gpuE7ELNS1_3repE0EEENS1_30default_config_static_selectorELNS0_4arch9wavefront6targetE0EEEvT1_
                                        ; -- End function
	.set _ZN7rocprim17ROCPRIM_400000_NS6detail17trampoline_kernelINS0_14default_configENS1_20scan_config_selectorIdEEZZNS1_9scan_implILNS1_25lookback_scan_determinismE0ELb0ELb0ES3_PKdPddZZZN2at6native31launch_logcumsumexp_cuda_kernelERKNSB_10TensorBaseESF_lENKUlvE_clEvENKUlvE_clEvEUlddE_dEEDaPvRmT3_T4_T5_mT6_P12ihipStream_tbENKUlT_T0_E_clISt17integral_constantIbLb1EESV_IbLb0EEEEDaSR_SS_EUlSR_E0_NS1_11comp_targetILNS1_3genE3ELNS1_11target_archE908ELNS1_3gpuE7ELNS1_3repE0EEENS1_30default_config_static_selectorELNS0_4arch9wavefront6targetE0EEEvT1_.num_vgpr, 0
	.set _ZN7rocprim17ROCPRIM_400000_NS6detail17trampoline_kernelINS0_14default_configENS1_20scan_config_selectorIdEEZZNS1_9scan_implILNS1_25lookback_scan_determinismE0ELb0ELb0ES3_PKdPddZZZN2at6native31launch_logcumsumexp_cuda_kernelERKNSB_10TensorBaseESF_lENKUlvE_clEvENKUlvE_clEvEUlddE_dEEDaPvRmT3_T4_T5_mT6_P12ihipStream_tbENKUlT_T0_E_clISt17integral_constantIbLb1EESV_IbLb0EEEEDaSR_SS_EUlSR_E0_NS1_11comp_targetILNS1_3genE3ELNS1_11target_archE908ELNS1_3gpuE7ELNS1_3repE0EEENS1_30default_config_static_selectorELNS0_4arch9wavefront6targetE0EEEvT1_.num_agpr, 0
	.set _ZN7rocprim17ROCPRIM_400000_NS6detail17trampoline_kernelINS0_14default_configENS1_20scan_config_selectorIdEEZZNS1_9scan_implILNS1_25lookback_scan_determinismE0ELb0ELb0ES3_PKdPddZZZN2at6native31launch_logcumsumexp_cuda_kernelERKNSB_10TensorBaseESF_lENKUlvE_clEvENKUlvE_clEvEUlddE_dEEDaPvRmT3_T4_T5_mT6_P12ihipStream_tbENKUlT_T0_E_clISt17integral_constantIbLb1EESV_IbLb0EEEEDaSR_SS_EUlSR_E0_NS1_11comp_targetILNS1_3genE3ELNS1_11target_archE908ELNS1_3gpuE7ELNS1_3repE0EEENS1_30default_config_static_selectorELNS0_4arch9wavefront6targetE0EEEvT1_.numbered_sgpr, 0
	.set _ZN7rocprim17ROCPRIM_400000_NS6detail17trampoline_kernelINS0_14default_configENS1_20scan_config_selectorIdEEZZNS1_9scan_implILNS1_25lookback_scan_determinismE0ELb0ELb0ES3_PKdPddZZZN2at6native31launch_logcumsumexp_cuda_kernelERKNSB_10TensorBaseESF_lENKUlvE_clEvENKUlvE_clEvEUlddE_dEEDaPvRmT3_T4_T5_mT6_P12ihipStream_tbENKUlT_T0_E_clISt17integral_constantIbLb1EESV_IbLb0EEEEDaSR_SS_EUlSR_E0_NS1_11comp_targetILNS1_3genE3ELNS1_11target_archE908ELNS1_3gpuE7ELNS1_3repE0EEENS1_30default_config_static_selectorELNS0_4arch9wavefront6targetE0EEEvT1_.num_named_barrier, 0
	.set _ZN7rocprim17ROCPRIM_400000_NS6detail17trampoline_kernelINS0_14default_configENS1_20scan_config_selectorIdEEZZNS1_9scan_implILNS1_25lookback_scan_determinismE0ELb0ELb0ES3_PKdPddZZZN2at6native31launch_logcumsumexp_cuda_kernelERKNSB_10TensorBaseESF_lENKUlvE_clEvENKUlvE_clEvEUlddE_dEEDaPvRmT3_T4_T5_mT6_P12ihipStream_tbENKUlT_T0_E_clISt17integral_constantIbLb1EESV_IbLb0EEEEDaSR_SS_EUlSR_E0_NS1_11comp_targetILNS1_3genE3ELNS1_11target_archE908ELNS1_3gpuE7ELNS1_3repE0EEENS1_30default_config_static_selectorELNS0_4arch9wavefront6targetE0EEEvT1_.private_seg_size, 0
	.set _ZN7rocprim17ROCPRIM_400000_NS6detail17trampoline_kernelINS0_14default_configENS1_20scan_config_selectorIdEEZZNS1_9scan_implILNS1_25lookback_scan_determinismE0ELb0ELb0ES3_PKdPddZZZN2at6native31launch_logcumsumexp_cuda_kernelERKNSB_10TensorBaseESF_lENKUlvE_clEvENKUlvE_clEvEUlddE_dEEDaPvRmT3_T4_T5_mT6_P12ihipStream_tbENKUlT_T0_E_clISt17integral_constantIbLb1EESV_IbLb0EEEEDaSR_SS_EUlSR_E0_NS1_11comp_targetILNS1_3genE3ELNS1_11target_archE908ELNS1_3gpuE7ELNS1_3repE0EEENS1_30default_config_static_selectorELNS0_4arch9wavefront6targetE0EEEvT1_.uses_vcc, 0
	.set _ZN7rocprim17ROCPRIM_400000_NS6detail17trampoline_kernelINS0_14default_configENS1_20scan_config_selectorIdEEZZNS1_9scan_implILNS1_25lookback_scan_determinismE0ELb0ELb0ES3_PKdPddZZZN2at6native31launch_logcumsumexp_cuda_kernelERKNSB_10TensorBaseESF_lENKUlvE_clEvENKUlvE_clEvEUlddE_dEEDaPvRmT3_T4_T5_mT6_P12ihipStream_tbENKUlT_T0_E_clISt17integral_constantIbLb1EESV_IbLb0EEEEDaSR_SS_EUlSR_E0_NS1_11comp_targetILNS1_3genE3ELNS1_11target_archE908ELNS1_3gpuE7ELNS1_3repE0EEENS1_30default_config_static_selectorELNS0_4arch9wavefront6targetE0EEEvT1_.uses_flat_scratch, 0
	.set _ZN7rocprim17ROCPRIM_400000_NS6detail17trampoline_kernelINS0_14default_configENS1_20scan_config_selectorIdEEZZNS1_9scan_implILNS1_25lookback_scan_determinismE0ELb0ELb0ES3_PKdPddZZZN2at6native31launch_logcumsumexp_cuda_kernelERKNSB_10TensorBaseESF_lENKUlvE_clEvENKUlvE_clEvEUlddE_dEEDaPvRmT3_T4_T5_mT6_P12ihipStream_tbENKUlT_T0_E_clISt17integral_constantIbLb1EESV_IbLb0EEEEDaSR_SS_EUlSR_E0_NS1_11comp_targetILNS1_3genE3ELNS1_11target_archE908ELNS1_3gpuE7ELNS1_3repE0EEENS1_30default_config_static_selectorELNS0_4arch9wavefront6targetE0EEEvT1_.has_dyn_sized_stack, 0
	.set _ZN7rocprim17ROCPRIM_400000_NS6detail17trampoline_kernelINS0_14default_configENS1_20scan_config_selectorIdEEZZNS1_9scan_implILNS1_25lookback_scan_determinismE0ELb0ELb0ES3_PKdPddZZZN2at6native31launch_logcumsumexp_cuda_kernelERKNSB_10TensorBaseESF_lENKUlvE_clEvENKUlvE_clEvEUlddE_dEEDaPvRmT3_T4_T5_mT6_P12ihipStream_tbENKUlT_T0_E_clISt17integral_constantIbLb1EESV_IbLb0EEEEDaSR_SS_EUlSR_E0_NS1_11comp_targetILNS1_3genE3ELNS1_11target_archE908ELNS1_3gpuE7ELNS1_3repE0EEENS1_30default_config_static_selectorELNS0_4arch9wavefront6targetE0EEEvT1_.has_recursion, 0
	.set _ZN7rocprim17ROCPRIM_400000_NS6detail17trampoline_kernelINS0_14default_configENS1_20scan_config_selectorIdEEZZNS1_9scan_implILNS1_25lookback_scan_determinismE0ELb0ELb0ES3_PKdPddZZZN2at6native31launch_logcumsumexp_cuda_kernelERKNSB_10TensorBaseESF_lENKUlvE_clEvENKUlvE_clEvEUlddE_dEEDaPvRmT3_T4_T5_mT6_P12ihipStream_tbENKUlT_T0_E_clISt17integral_constantIbLb1EESV_IbLb0EEEEDaSR_SS_EUlSR_E0_NS1_11comp_targetILNS1_3genE3ELNS1_11target_archE908ELNS1_3gpuE7ELNS1_3repE0EEENS1_30default_config_static_selectorELNS0_4arch9wavefront6targetE0EEEvT1_.has_indirect_call, 0
	.section	.AMDGPU.csdata,"",@progbits
; Kernel info:
; codeLenInByte = 0
; TotalNumSgprs: 0
; NumVgprs: 0
; ScratchSize: 0
; MemoryBound: 0
; FloatMode: 240
; IeeeMode: 1
; LDSByteSize: 0 bytes/workgroup (compile time only)
; SGPRBlocks: 0
; VGPRBlocks: 0
; NumSGPRsForWavesPerEU: 1
; NumVGPRsForWavesPerEU: 1
; Occupancy: 16
; WaveLimiterHint : 0
; COMPUTE_PGM_RSRC2:SCRATCH_EN: 0
; COMPUTE_PGM_RSRC2:USER_SGPR: 6
; COMPUTE_PGM_RSRC2:TRAP_HANDLER: 0
; COMPUTE_PGM_RSRC2:TGID_X_EN: 1
; COMPUTE_PGM_RSRC2:TGID_Y_EN: 0
; COMPUTE_PGM_RSRC2:TGID_Z_EN: 0
; COMPUTE_PGM_RSRC2:TIDIG_COMP_CNT: 0
	.section	.text._ZN7rocprim17ROCPRIM_400000_NS6detail17trampoline_kernelINS0_14default_configENS1_20scan_config_selectorIdEEZZNS1_9scan_implILNS1_25lookback_scan_determinismE0ELb0ELb0ES3_PKdPddZZZN2at6native31launch_logcumsumexp_cuda_kernelERKNSB_10TensorBaseESF_lENKUlvE_clEvENKUlvE_clEvEUlddE_dEEDaPvRmT3_T4_T5_mT6_P12ihipStream_tbENKUlT_T0_E_clISt17integral_constantIbLb1EESV_IbLb0EEEEDaSR_SS_EUlSR_E0_NS1_11comp_targetILNS1_3genE2ELNS1_11target_archE906ELNS1_3gpuE6ELNS1_3repE0EEENS1_30default_config_static_selectorELNS0_4arch9wavefront6targetE0EEEvT1_,"axG",@progbits,_ZN7rocprim17ROCPRIM_400000_NS6detail17trampoline_kernelINS0_14default_configENS1_20scan_config_selectorIdEEZZNS1_9scan_implILNS1_25lookback_scan_determinismE0ELb0ELb0ES3_PKdPddZZZN2at6native31launch_logcumsumexp_cuda_kernelERKNSB_10TensorBaseESF_lENKUlvE_clEvENKUlvE_clEvEUlddE_dEEDaPvRmT3_T4_T5_mT6_P12ihipStream_tbENKUlT_T0_E_clISt17integral_constantIbLb1EESV_IbLb0EEEEDaSR_SS_EUlSR_E0_NS1_11comp_targetILNS1_3genE2ELNS1_11target_archE906ELNS1_3gpuE6ELNS1_3repE0EEENS1_30default_config_static_selectorELNS0_4arch9wavefront6targetE0EEEvT1_,comdat
	.globl	_ZN7rocprim17ROCPRIM_400000_NS6detail17trampoline_kernelINS0_14default_configENS1_20scan_config_selectorIdEEZZNS1_9scan_implILNS1_25lookback_scan_determinismE0ELb0ELb0ES3_PKdPddZZZN2at6native31launch_logcumsumexp_cuda_kernelERKNSB_10TensorBaseESF_lENKUlvE_clEvENKUlvE_clEvEUlddE_dEEDaPvRmT3_T4_T5_mT6_P12ihipStream_tbENKUlT_T0_E_clISt17integral_constantIbLb1EESV_IbLb0EEEEDaSR_SS_EUlSR_E0_NS1_11comp_targetILNS1_3genE2ELNS1_11target_archE906ELNS1_3gpuE6ELNS1_3repE0EEENS1_30default_config_static_selectorELNS0_4arch9wavefront6targetE0EEEvT1_ ; -- Begin function _ZN7rocprim17ROCPRIM_400000_NS6detail17trampoline_kernelINS0_14default_configENS1_20scan_config_selectorIdEEZZNS1_9scan_implILNS1_25lookback_scan_determinismE0ELb0ELb0ES3_PKdPddZZZN2at6native31launch_logcumsumexp_cuda_kernelERKNSB_10TensorBaseESF_lENKUlvE_clEvENKUlvE_clEvEUlddE_dEEDaPvRmT3_T4_T5_mT6_P12ihipStream_tbENKUlT_T0_E_clISt17integral_constantIbLb1EESV_IbLb0EEEEDaSR_SS_EUlSR_E0_NS1_11comp_targetILNS1_3genE2ELNS1_11target_archE906ELNS1_3gpuE6ELNS1_3repE0EEENS1_30default_config_static_selectorELNS0_4arch9wavefront6targetE0EEEvT1_
	.p2align	8
	.type	_ZN7rocprim17ROCPRIM_400000_NS6detail17trampoline_kernelINS0_14default_configENS1_20scan_config_selectorIdEEZZNS1_9scan_implILNS1_25lookback_scan_determinismE0ELb0ELb0ES3_PKdPddZZZN2at6native31launch_logcumsumexp_cuda_kernelERKNSB_10TensorBaseESF_lENKUlvE_clEvENKUlvE_clEvEUlddE_dEEDaPvRmT3_T4_T5_mT6_P12ihipStream_tbENKUlT_T0_E_clISt17integral_constantIbLb1EESV_IbLb0EEEEDaSR_SS_EUlSR_E0_NS1_11comp_targetILNS1_3genE2ELNS1_11target_archE906ELNS1_3gpuE6ELNS1_3repE0EEENS1_30default_config_static_selectorELNS0_4arch9wavefront6targetE0EEEvT1_,@function
_ZN7rocprim17ROCPRIM_400000_NS6detail17trampoline_kernelINS0_14default_configENS1_20scan_config_selectorIdEEZZNS1_9scan_implILNS1_25lookback_scan_determinismE0ELb0ELb0ES3_PKdPddZZZN2at6native31launch_logcumsumexp_cuda_kernelERKNSB_10TensorBaseESF_lENKUlvE_clEvENKUlvE_clEvEUlddE_dEEDaPvRmT3_T4_T5_mT6_P12ihipStream_tbENKUlT_T0_E_clISt17integral_constantIbLb1EESV_IbLb0EEEEDaSR_SS_EUlSR_E0_NS1_11comp_targetILNS1_3genE2ELNS1_11target_archE906ELNS1_3gpuE6ELNS1_3repE0EEENS1_30default_config_static_selectorELNS0_4arch9wavefront6targetE0EEEvT1_: ; @_ZN7rocprim17ROCPRIM_400000_NS6detail17trampoline_kernelINS0_14default_configENS1_20scan_config_selectorIdEEZZNS1_9scan_implILNS1_25lookback_scan_determinismE0ELb0ELb0ES3_PKdPddZZZN2at6native31launch_logcumsumexp_cuda_kernelERKNSB_10TensorBaseESF_lENKUlvE_clEvENKUlvE_clEvEUlddE_dEEDaPvRmT3_T4_T5_mT6_P12ihipStream_tbENKUlT_T0_E_clISt17integral_constantIbLb1EESV_IbLb0EEEEDaSR_SS_EUlSR_E0_NS1_11comp_targetILNS1_3genE2ELNS1_11target_archE906ELNS1_3gpuE6ELNS1_3repE0EEENS1_30default_config_static_selectorELNS0_4arch9wavefront6targetE0EEEvT1_
; %bb.0:
	.section	.rodata,"a",@progbits
	.p2align	6, 0x0
	.amdhsa_kernel _ZN7rocprim17ROCPRIM_400000_NS6detail17trampoline_kernelINS0_14default_configENS1_20scan_config_selectorIdEEZZNS1_9scan_implILNS1_25lookback_scan_determinismE0ELb0ELb0ES3_PKdPddZZZN2at6native31launch_logcumsumexp_cuda_kernelERKNSB_10TensorBaseESF_lENKUlvE_clEvENKUlvE_clEvEUlddE_dEEDaPvRmT3_T4_T5_mT6_P12ihipStream_tbENKUlT_T0_E_clISt17integral_constantIbLb1EESV_IbLb0EEEEDaSR_SS_EUlSR_E0_NS1_11comp_targetILNS1_3genE2ELNS1_11target_archE906ELNS1_3gpuE6ELNS1_3repE0EEENS1_30default_config_static_selectorELNS0_4arch9wavefront6targetE0EEEvT1_
		.amdhsa_group_segment_fixed_size 0
		.amdhsa_private_segment_fixed_size 0
		.amdhsa_kernarg_size 40
		.amdhsa_user_sgpr_count 6
		.amdhsa_user_sgpr_private_segment_buffer 1
		.amdhsa_user_sgpr_dispatch_ptr 0
		.amdhsa_user_sgpr_queue_ptr 0
		.amdhsa_user_sgpr_kernarg_segment_ptr 1
		.amdhsa_user_sgpr_dispatch_id 0
		.amdhsa_user_sgpr_flat_scratch_init 0
		.amdhsa_user_sgpr_private_segment_size 0
		.amdhsa_wavefront_size32 1
		.amdhsa_uses_dynamic_stack 0
		.amdhsa_system_sgpr_private_segment_wavefront_offset 0
		.amdhsa_system_sgpr_workgroup_id_x 1
		.amdhsa_system_sgpr_workgroup_id_y 0
		.amdhsa_system_sgpr_workgroup_id_z 0
		.amdhsa_system_sgpr_workgroup_info 0
		.amdhsa_system_vgpr_workitem_id 0
		.amdhsa_next_free_vgpr 1
		.amdhsa_next_free_sgpr 1
		.amdhsa_reserve_vcc 0
		.amdhsa_reserve_flat_scratch 0
		.amdhsa_float_round_mode_32 0
		.amdhsa_float_round_mode_16_64 0
		.amdhsa_float_denorm_mode_32 3
		.amdhsa_float_denorm_mode_16_64 3
		.amdhsa_dx10_clamp 1
		.amdhsa_ieee_mode 1
		.amdhsa_fp16_overflow 0
		.amdhsa_workgroup_processor_mode 1
		.amdhsa_memory_ordered 1
		.amdhsa_forward_progress 1
		.amdhsa_shared_vgpr_count 0
		.amdhsa_exception_fp_ieee_invalid_op 0
		.amdhsa_exception_fp_denorm_src 0
		.amdhsa_exception_fp_ieee_div_zero 0
		.amdhsa_exception_fp_ieee_overflow 0
		.amdhsa_exception_fp_ieee_underflow 0
		.amdhsa_exception_fp_ieee_inexact 0
		.amdhsa_exception_int_div_zero 0
	.end_amdhsa_kernel
	.section	.text._ZN7rocprim17ROCPRIM_400000_NS6detail17trampoline_kernelINS0_14default_configENS1_20scan_config_selectorIdEEZZNS1_9scan_implILNS1_25lookback_scan_determinismE0ELb0ELb0ES3_PKdPddZZZN2at6native31launch_logcumsumexp_cuda_kernelERKNSB_10TensorBaseESF_lENKUlvE_clEvENKUlvE_clEvEUlddE_dEEDaPvRmT3_T4_T5_mT6_P12ihipStream_tbENKUlT_T0_E_clISt17integral_constantIbLb1EESV_IbLb0EEEEDaSR_SS_EUlSR_E0_NS1_11comp_targetILNS1_3genE2ELNS1_11target_archE906ELNS1_3gpuE6ELNS1_3repE0EEENS1_30default_config_static_selectorELNS0_4arch9wavefront6targetE0EEEvT1_,"axG",@progbits,_ZN7rocprim17ROCPRIM_400000_NS6detail17trampoline_kernelINS0_14default_configENS1_20scan_config_selectorIdEEZZNS1_9scan_implILNS1_25lookback_scan_determinismE0ELb0ELb0ES3_PKdPddZZZN2at6native31launch_logcumsumexp_cuda_kernelERKNSB_10TensorBaseESF_lENKUlvE_clEvENKUlvE_clEvEUlddE_dEEDaPvRmT3_T4_T5_mT6_P12ihipStream_tbENKUlT_T0_E_clISt17integral_constantIbLb1EESV_IbLb0EEEEDaSR_SS_EUlSR_E0_NS1_11comp_targetILNS1_3genE2ELNS1_11target_archE906ELNS1_3gpuE6ELNS1_3repE0EEENS1_30default_config_static_selectorELNS0_4arch9wavefront6targetE0EEEvT1_,comdat
.Lfunc_end60:
	.size	_ZN7rocprim17ROCPRIM_400000_NS6detail17trampoline_kernelINS0_14default_configENS1_20scan_config_selectorIdEEZZNS1_9scan_implILNS1_25lookback_scan_determinismE0ELb0ELb0ES3_PKdPddZZZN2at6native31launch_logcumsumexp_cuda_kernelERKNSB_10TensorBaseESF_lENKUlvE_clEvENKUlvE_clEvEUlddE_dEEDaPvRmT3_T4_T5_mT6_P12ihipStream_tbENKUlT_T0_E_clISt17integral_constantIbLb1EESV_IbLb0EEEEDaSR_SS_EUlSR_E0_NS1_11comp_targetILNS1_3genE2ELNS1_11target_archE906ELNS1_3gpuE6ELNS1_3repE0EEENS1_30default_config_static_selectorELNS0_4arch9wavefront6targetE0EEEvT1_, .Lfunc_end60-_ZN7rocprim17ROCPRIM_400000_NS6detail17trampoline_kernelINS0_14default_configENS1_20scan_config_selectorIdEEZZNS1_9scan_implILNS1_25lookback_scan_determinismE0ELb0ELb0ES3_PKdPddZZZN2at6native31launch_logcumsumexp_cuda_kernelERKNSB_10TensorBaseESF_lENKUlvE_clEvENKUlvE_clEvEUlddE_dEEDaPvRmT3_T4_T5_mT6_P12ihipStream_tbENKUlT_T0_E_clISt17integral_constantIbLb1EESV_IbLb0EEEEDaSR_SS_EUlSR_E0_NS1_11comp_targetILNS1_3genE2ELNS1_11target_archE906ELNS1_3gpuE6ELNS1_3repE0EEENS1_30default_config_static_selectorELNS0_4arch9wavefront6targetE0EEEvT1_
                                        ; -- End function
	.set _ZN7rocprim17ROCPRIM_400000_NS6detail17trampoline_kernelINS0_14default_configENS1_20scan_config_selectorIdEEZZNS1_9scan_implILNS1_25lookback_scan_determinismE0ELb0ELb0ES3_PKdPddZZZN2at6native31launch_logcumsumexp_cuda_kernelERKNSB_10TensorBaseESF_lENKUlvE_clEvENKUlvE_clEvEUlddE_dEEDaPvRmT3_T4_T5_mT6_P12ihipStream_tbENKUlT_T0_E_clISt17integral_constantIbLb1EESV_IbLb0EEEEDaSR_SS_EUlSR_E0_NS1_11comp_targetILNS1_3genE2ELNS1_11target_archE906ELNS1_3gpuE6ELNS1_3repE0EEENS1_30default_config_static_selectorELNS0_4arch9wavefront6targetE0EEEvT1_.num_vgpr, 0
	.set _ZN7rocprim17ROCPRIM_400000_NS6detail17trampoline_kernelINS0_14default_configENS1_20scan_config_selectorIdEEZZNS1_9scan_implILNS1_25lookback_scan_determinismE0ELb0ELb0ES3_PKdPddZZZN2at6native31launch_logcumsumexp_cuda_kernelERKNSB_10TensorBaseESF_lENKUlvE_clEvENKUlvE_clEvEUlddE_dEEDaPvRmT3_T4_T5_mT6_P12ihipStream_tbENKUlT_T0_E_clISt17integral_constantIbLb1EESV_IbLb0EEEEDaSR_SS_EUlSR_E0_NS1_11comp_targetILNS1_3genE2ELNS1_11target_archE906ELNS1_3gpuE6ELNS1_3repE0EEENS1_30default_config_static_selectorELNS0_4arch9wavefront6targetE0EEEvT1_.num_agpr, 0
	.set _ZN7rocprim17ROCPRIM_400000_NS6detail17trampoline_kernelINS0_14default_configENS1_20scan_config_selectorIdEEZZNS1_9scan_implILNS1_25lookback_scan_determinismE0ELb0ELb0ES3_PKdPddZZZN2at6native31launch_logcumsumexp_cuda_kernelERKNSB_10TensorBaseESF_lENKUlvE_clEvENKUlvE_clEvEUlddE_dEEDaPvRmT3_T4_T5_mT6_P12ihipStream_tbENKUlT_T0_E_clISt17integral_constantIbLb1EESV_IbLb0EEEEDaSR_SS_EUlSR_E0_NS1_11comp_targetILNS1_3genE2ELNS1_11target_archE906ELNS1_3gpuE6ELNS1_3repE0EEENS1_30default_config_static_selectorELNS0_4arch9wavefront6targetE0EEEvT1_.numbered_sgpr, 0
	.set _ZN7rocprim17ROCPRIM_400000_NS6detail17trampoline_kernelINS0_14default_configENS1_20scan_config_selectorIdEEZZNS1_9scan_implILNS1_25lookback_scan_determinismE0ELb0ELb0ES3_PKdPddZZZN2at6native31launch_logcumsumexp_cuda_kernelERKNSB_10TensorBaseESF_lENKUlvE_clEvENKUlvE_clEvEUlddE_dEEDaPvRmT3_T4_T5_mT6_P12ihipStream_tbENKUlT_T0_E_clISt17integral_constantIbLb1EESV_IbLb0EEEEDaSR_SS_EUlSR_E0_NS1_11comp_targetILNS1_3genE2ELNS1_11target_archE906ELNS1_3gpuE6ELNS1_3repE0EEENS1_30default_config_static_selectorELNS0_4arch9wavefront6targetE0EEEvT1_.num_named_barrier, 0
	.set _ZN7rocprim17ROCPRIM_400000_NS6detail17trampoline_kernelINS0_14default_configENS1_20scan_config_selectorIdEEZZNS1_9scan_implILNS1_25lookback_scan_determinismE0ELb0ELb0ES3_PKdPddZZZN2at6native31launch_logcumsumexp_cuda_kernelERKNSB_10TensorBaseESF_lENKUlvE_clEvENKUlvE_clEvEUlddE_dEEDaPvRmT3_T4_T5_mT6_P12ihipStream_tbENKUlT_T0_E_clISt17integral_constantIbLb1EESV_IbLb0EEEEDaSR_SS_EUlSR_E0_NS1_11comp_targetILNS1_3genE2ELNS1_11target_archE906ELNS1_3gpuE6ELNS1_3repE0EEENS1_30default_config_static_selectorELNS0_4arch9wavefront6targetE0EEEvT1_.private_seg_size, 0
	.set _ZN7rocprim17ROCPRIM_400000_NS6detail17trampoline_kernelINS0_14default_configENS1_20scan_config_selectorIdEEZZNS1_9scan_implILNS1_25lookback_scan_determinismE0ELb0ELb0ES3_PKdPddZZZN2at6native31launch_logcumsumexp_cuda_kernelERKNSB_10TensorBaseESF_lENKUlvE_clEvENKUlvE_clEvEUlddE_dEEDaPvRmT3_T4_T5_mT6_P12ihipStream_tbENKUlT_T0_E_clISt17integral_constantIbLb1EESV_IbLb0EEEEDaSR_SS_EUlSR_E0_NS1_11comp_targetILNS1_3genE2ELNS1_11target_archE906ELNS1_3gpuE6ELNS1_3repE0EEENS1_30default_config_static_selectorELNS0_4arch9wavefront6targetE0EEEvT1_.uses_vcc, 0
	.set _ZN7rocprim17ROCPRIM_400000_NS6detail17trampoline_kernelINS0_14default_configENS1_20scan_config_selectorIdEEZZNS1_9scan_implILNS1_25lookback_scan_determinismE0ELb0ELb0ES3_PKdPddZZZN2at6native31launch_logcumsumexp_cuda_kernelERKNSB_10TensorBaseESF_lENKUlvE_clEvENKUlvE_clEvEUlddE_dEEDaPvRmT3_T4_T5_mT6_P12ihipStream_tbENKUlT_T0_E_clISt17integral_constantIbLb1EESV_IbLb0EEEEDaSR_SS_EUlSR_E0_NS1_11comp_targetILNS1_3genE2ELNS1_11target_archE906ELNS1_3gpuE6ELNS1_3repE0EEENS1_30default_config_static_selectorELNS0_4arch9wavefront6targetE0EEEvT1_.uses_flat_scratch, 0
	.set _ZN7rocprim17ROCPRIM_400000_NS6detail17trampoline_kernelINS0_14default_configENS1_20scan_config_selectorIdEEZZNS1_9scan_implILNS1_25lookback_scan_determinismE0ELb0ELb0ES3_PKdPddZZZN2at6native31launch_logcumsumexp_cuda_kernelERKNSB_10TensorBaseESF_lENKUlvE_clEvENKUlvE_clEvEUlddE_dEEDaPvRmT3_T4_T5_mT6_P12ihipStream_tbENKUlT_T0_E_clISt17integral_constantIbLb1EESV_IbLb0EEEEDaSR_SS_EUlSR_E0_NS1_11comp_targetILNS1_3genE2ELNS1_11target_archE906ELNS1_3gpuE6ELNS1_3repE0EEENS1_30default_config_static_selectorELNS0_4arch9wavefront6targetE0EEEvT1_.has_dyn_sized_stack, 0
	.set _ZN7rocprim17ROCPRIM_400000_NS6detail17trampoline_kernelINS0_14default_configENS1_20scan_config_selectorIdEEZZNS1_9scan_implILNS1_25lookback_scan_determinismE0ELb0ELb0ES3_PKdPddZZZN2at6native31launch_logcumsumexp_cuda_kernelERKNSB_10TensorBaseESF_lENKUlvE_clEvENKUlvE_clEvEUlddE_dEEDaPvRmT3_T4_T5_mT6_P12ihipStream_tbENKUlT_T0_E_clISt17integral_constantIbLb1EESV_IbLb0EEEEDaSR_SS_EUlSR_E0_NS1_11comp_targetILNS1_3genE2ELNS1_11target_archE906ELNS1_3gpuE6ELNS1_3repE0EEENS1_30default_config_static_selectorELNS0_4arch9wavefront6targetE0EEEvT1_.has_recursion, 0
	.set _ZN7rocprim17ROCPRIM_400000_NS6detail17trampoline_kernelINS0_14default_configENS1_20scan_config_selectorIdEEZZNS1_9scan_implILNS1_25lookback_scan_determinismE0ELb0ELb0ES3_PKdPddZZZN2at6native31launch_logcumsumexp_cuda_kernelERKNSB_10TensorBaseESF_lENKUlvE_clEvENKUlvE_clEvEUlddE_dEEDaPvRmT3_T4_T5_mT6_P12ihipStream_tbENKUlT_T0_E_clISt17integral_constantIbLb1EESV_IbLb0EEEEDaSR_SS_EUlSR_E0_NS1_11comp_targetILNS1_3genE2ELNS1_11target_archE906ELNS1_3gpuE6ELNS1_3repE0EEENS1_30default_config_static_selectorELNS0_4arch9wavefront6targetE0EEEvT1_.has_indirect_call, 0
	.section	.AMDGPU.csdata,"",@progbits
; Kernel info:
; codeLenInByte = 0
; TotalNumSgprs: 0
; NumVgprs: 0
; ScratchSize: 0
; MemoryBound: 0
; FloatMode: 240
; IeeeMode: 1
; LDSByteSize: 0 bytes/workgroup (compile time only)
; SGPRBlocks: 0
; VGPRBlocks: 0
; NumSGPRsForWavesPerEU: 1
; NumVGPRsForWavesPerEU: 1
; Occupancy: 16
; WaveLimiterHint : 0
; COMPUTE_PGM_RSRC2:SCRATCH_EN: 0
; COMPUTE_PGM_RSRC2:USER_SGPR: 6
; COMPUTE_PGM_RSRC2:TRAP_HANDLER: 0
; COMPUTE_PGM_RSRC2:TGID_X_EN: 1
; COMPUTE_PGM_RSRC2:TGID_Y_EN: 0
; COMPUTE_PGM_RSRC2:TGID_Z_EN: 0
; COMPUTE_PGM_RSRC2:TIDIG_COMP_CNT: 0
	.section	.text._ZN7rocprim17ROCPRIM_400000_NS6detail17trampoline_kernelINS0_14default_configENS1_20scan_config_selectorIdEEZZNS1_9scan_implILNS1_25lookback_scan_determinismE0ELb0ELb0ES3_PKdPddZZZN2at6native31launch_logcumsumexp_cuda_kernelERKNSB_10TensorBaseESF_lENKUlvE_clEvENKUlvE_clEvEUlddE_dEEDaPvRmT3_T4_T5_mT6_P12ihipStream_tbENKUlT_T0_E_clISt17integral_constantIbLb1EESV_IbLb0EEEEDaSR_SS_EUlSR_E0_NS1_11comp_targetILNS1_3genE10ELNS1_11target_archE1201ELNS1_3gpuE5ELNS1_3repE0EEENS1_30default_config_static_selectorELNS0_4arch9wavefront6targetE0EEEvT1_,"axG",@progbits,_ZN7rocprim17ROCPRIM_400000_NS6detail17trampoline_kernelINS0_14default_configENS1_20scan_config_selectorIdEEZZNS1_9scan_implILNS1_25lookback_scan_determinismE0ELb0ELb0ES3_PKdPddZZZN2at6native31launch_logcumsumexp_cuda_kernelERKNSB_10TensorBaseESF_lENKUlvE_clEvENKUlvE_clEvEUlddE_dEEDaPvRmT3_T4_T5_mT6_P12ihipStream_tbENKUlT_T0_E_clISt17integral_constantIbLb1EESV_IbLb0EEEEDaSR_SS_EUlSR_E0_NS1_11comp_targetILNS1_3genE10ELNS1_11target_archE1201ELNS1_3gpuE5ELNS1_3repE0EEENS1_30default_config_static_selectorELNS0_4arch9wavefront6targetE0EEEvT1_,comdat
	.globl	_ZN7rocprim17ROCPRIM_400000_NS6detail17trampoline_kernelINS0_14default_configENS1_20scan_config_selectorIdEEZZNS1_9scan_implILNS1_25lookback_scan_determinismE0ELb0ELb0ES3_PKdPddZZZN2at6native31launch_logcumsumexp_cuda_kernelERKNSB_10TensorBaseESF_lENKUlvE_clEvENKUlvE_clEvEUlddE_dEEDaPvRmT3_T4_T5_mT6_P12ihipStream_tbENKUlT_T0_E_clISt17integral_constantIbLb1EESV_IbLb0EEEEDaSR_SS_EUlSR_E0_NS1_11comp_targetILNS1_3genE10ELNS1_11target_archE1201ELNS1_3gpuE5ELNS1_3repE0EEENS1_30default_config_static_selectorELNS0_4arch9wavefront6targetE0EEEvT1_ ; -- Begin function _ZN7rocprim17ROCPRIM_400000_NS6detail17trampoline_kernelINS0_14default_configENS1_20scan_config_selectorIdEEZZNS1_9scan_implILNS1_25lookback_scan_determinismE0ELb0ELb0ES3_PKdPddZZZN2at6native31launch_logcumsumexp_cuda_kernelERKNSB_10TensorBaseESF_lENKUlvE_clEvENKUlvE_clEvEUlddE_dEEDaPvRmT3_T4_T5_mT6_P12ihipStream_tbENKUlT_T0_E_clISt17integral_constantIbLb1EESV_IbLb0EEEEDaSR_SS_EUlSR_E0_NS1_11comp_targetILNS1_3genE10ELNS1_11target_archE1201ELNS1_3gpuE5ELNS1_3repE0EEENS1_30default_config_static_selectorELNS0_4arch9wavefront6targetE0EEEvT1_
	.p2align	8
	.type	_ZN7rocprim17ROCPRIM_400000_NS6detail17trampoline_kernelINS0_14default_configENS1_20scan_config_selectorIdEEZZNS1_9scan_implILNS1_25lookback_scan_determinismE0ELb0ELb0ES3_PKdPddZZZN2at6native31launch_logcumsumexp_cuda_kernelERKNSB_10TensorBaseESF_lENKUlvE_clEvENKUlvE_clEvEUlddE_dEEDaPvRmT3_T4_T5_mT6_P12ihipStream_tbENKUlT_T0_E_clISt17integral_constantIbLb1EESV_IbLb0EEEEDaSR_SS_EUlSR_E0_NS1_11comp_targetILNS1_3genE10ELNS1_11target_archE1201ELNS1_3gpuE5ELNS1_3repE0EEENS1_30default_config_static_selectorELNS0_4arch9wavefront6targetE0EEEvT1_,@function
_ZN7rocprim17ROCPRIM_400000_NS6detail17trampoline_kernelINS0_14default_configENS1_20scan_config_selectorIdEEZZNS1_9scan_implILNS1_25lookback_scan_determinismE0ELb0ELb0ES3_PKdPddZZZN2at6native31launch_logcumsumexp_cuda_kernelERKNSB_10TensorBaseESF_lENKUlvE_clEvENKUlvE_clEvEUlddE_dEEDaPvRmT3_T4_T5_mT6_P12ihipStream_tbENKUlT_T0_E_clISt17integral_constantIbLb1EESV_IbLb0EEEEDaSR_SS_EUlSR_E0_NS1_11comp_targetILNS1_3genE10ELNS1_11target_archE1201ELNS1_3gpuE5ELNS1_3repE0EEENS1_30default_config_static_selectorELNS0_4arch9wavefront6targetE0EEEvT1_: ; @_ZN7rocprim17ROCPRIM_400000_NS6detail17trampoline_kernelINS0_14default_configENS1_20scan_config_selectorIdEEZZNS1_9scan_implILNS1_25lookback_scan_determinismE0ELb0ELb0ES3_PKdPddZZZN2at6native31launch_logcumsumexp_cuda_kernelERKNSB_10TensorBaseESF_lENKUlvE_clEvENKUlvE_clEvEUlddE_dEEDaPvRmT3_T4_T5_mT6_P12ihipStream_tbENKUlT_T0_E_clISt17integral_constantIbLb1EESV_IbLb0EEEEDaSR_SS_EUlSR_E0_NS1_11comp_targetILNS1_3genE10ELNS1_11target_archE1201ELNS1_3gpuE5ELNS1_3repE0EEENS1_30default_config_static_selectorELNS0_4arch9wavefront6targetE0EEEvT1_
; %bb.0:
	.section	.rodata,"a",@progbits
	.p2align	6, 0x0
	.amdhsa_kernel _ZN7rocprim17ROCPRIM_400000_NS6detail17trampoline_kernelINS0_14default_configENS1_20scan_config_selectorIdEEZZNS1_9scan_implILNS1_25lookback_scan_determinismE0ELb0ELb0ES3_PKdPddZZZN2at6native31launch_logcumsumexp_cuda_kernelERKNSB_10TensorBaseESF_lENKUlvE_clEvENKUlvE_clEvEUlddE_dEEDaPvRmT3_T4_T5_mT6_P12ihipStream_tbENKUlT_T0_E_clISt17integral_constantIbLb1EESV_IbLb0EEEEDaSR_SS_EUlSR_E0_NS1_11comp_targetILNS1_3genE10ELNS1_11target_archE1201ELNS1_3gpuE5ELNS1_3repE0EEENS1_30default_config_static_selectorELNS0_4arch9wavefront6targetE0EEEvT1_
		.amdhsa_group_segment_fixed_size 0
		.amdhsa_private_segment_fixed_size 0
		.amdhsa_kernarg_size 40
		.amdhsa_user_sgpr_count 6
		.amdhsa_user_sgpr_private_segment_buffer 1
		.amdhsa_user_sgpr_dispatch_ptr 0
		.amdhsa_user_sgpr_queue_ptr 0
		.amdhsa_user_sgpr_kernarg_segment_ptr 1
		.amdhsa_user_sgpr_dispatch_id 0
		.amdhsa_user_sgpr_flat_scratch_init 0
		.amdhsa_user_sgpr_private_segment_size 0
		.amdhsa_wavefront_size32 1
		.amdhsa_uses_dynamic_stack 0
		.amdhsa_system_sgpr_private_segment_wavefront_offset 0
		.amdhsa_system_sgpr_workgroup_id_x 1
		.amdhsa_system_sgpr_workgroup_id_y 0
		.amdhsa_system_sgpr_workgroup_id_z 0
		.amdhsa_system_sgpr_workgroup_info 0
		.amdhsa_system_vgpr_workitem_id 0
		.amdhsa_next_free_vgpr 1
		.amdhsa_next_free_sgpr 1
		.amdhsa_reserve_vcc 0
		.amdhsa_reserve_flat_scratch 0
		.amdhsa_float_round_mode_32 0
		.amdhsa_float_round_mode_16_64 0
		.amdhsa_float_denorm_mode_32 3
		.amdhsa_float_denorm_mode_16_64 3
		.amdhsa_dx10_clamp 1
		.amdhsa_ieee_mode 1
		.amdhsa_fp16_overflow 0
		.amdhsa_workgroup_processor_mode 1
		.amdhsa_memory_ordered 1
		.amdhsa_forward_progress 1
		.amdhsa_shared_vgpr_count 0
		.amdhsa_exception_fp_ieee_invalid_op 0
		.amdhsa_exception_fp_denorm_src 0
		.amdhsa_exception_fp_ieee_div_zero 0
		.amdhsa_exception_fp_ieee_overflow 0
		.amdhsa_exception_fp_ieee_underflow 0
		.amdhsa_exception_fp_ieee_inexact 0
		.amdhsa_exception_int_div_zero 0
	.end_amdhsa_kernel
	.section	.text._ZN7rocprim17ROCPRIM_400000_NS6detail17trampoline_kernelINS0_14default_configENS1_20scan_config_selectorIdEEZZNS1_9scan_implILNS1_25lookback_scan_determinismE0ELb0ELb0ES3_PKdPddZZZN2at6native31launch_logcumsumexp_cuda_kernelERKNSB_10TensorBaseESF_lENKUlvE_clEvENKUlvE_clEvEUlddE_dEEDaPvRmT3_T4_T5_mT6_P12ihipStream_tbENKUlT_T0_E_clISt17integral_constantIbLb1EESV_IbLb0EEEEDaSR_SS_EUlSR_E0_NS1_11comp_targetILNS1_3genE10ELNS1_11target_archE1201ELNS1_3gpuE5ELNS1_3repE0EEENS1_30default_config_static_selectorELNS0_4arch9wavefront6targetE0EEEvT1_,"axG",@progbits,_ZN7rocprim17ROCPRIM_400000_NS6detail17trampoline_kernelINS0_14default_configENS1_20scan_config_selectorIdEEZZNS1_9scan_implILNS1_25lookback_scan_determinismE0ELb0ELb0ES3_PKdPddZZZN2at6native31launch_logcumsumexp_cuda_kernelERKNSB_10TensorBaseESF_lENKUlvE_clEvENKUlvE_clEvEUlddE_dEEDaPvRmT3_T4_T5_mT6_P12ihipStream_tbENKUlT_T0_E_clISt17integral_constantIbLb1EESV_IbLb0EEEEDaSR_SS_EUlSR_E0_NS1_11comp_targetILNS1_3genE10ELNS1_11target_archE1201ELNS1_3gpuE5ELNS1_3repE0EEENS1_30default_config_static_selectorELNS0_4arch9wavefront6targetE0EEEvT1_,comdat
.Lfunc_end61:
	.size	_ZN7rocprim17ROCPRIM_400000_NS6detail17trampoline_kernelINS0_14default_configENS1_20scan_config_selectorIdEEZZNS1_9scan_implILNS1_25lookback_scan_determinismE0ELb0ELb0ES3_PKdPddZZZN2at6native31launch_logcumsumexp_cuda_kernelERKNSB_10TensorBaseESF_lENKUlvE_clEvENKUlvE_clEvEUlddE_dEEDaPvRmT3_T4_T5_mT6_P12ihipStream_tbENKUlT_T0_E_clISt17integral_constantIbLb1EESV_IbLb0EEEEDaSR_SS_EUlSR_E0_NS1_11comp_targetILNS1_3genE10ELNS1_11target_archE1201ELNS1_3gpuE5ELNS1_3repE0EEENS1_30default_config_static_selectorELNS0_4arch9wavefront6targetE0EEEvT1_, .Lfunc_end61-_ZN7rocprim17ROCPRIM_400000_NS6detail17trampoline_kernelINS0_14default_configENS1_20scan_config_selectorIdEEZZNS1_9scan_implILNS1_25lookback_scan_determinismE0ELb0ELb0ES3_PKdPddZZZN2at6native31launch_logcumsumexp_cuda_kernelERKNSB_10TensorBaseESF_lENKUlvE_clEvENKUlvE_clEvEUlddE_dEEDaPvRmT3_T4_T5_mT6_P12ihipStream_tbENKUlT_T0_E_clISt17integral_constantIbLb1EESV_IbLb0EEEEDaSR_SS_EUlSR_E0_NS1_11comp_targetILNS1_3genE10ELNS1_11target_archE1201ELNS1_3gpuE5ELNS1_3repE0EEENS1_30default_config_static_selectorELNS0_4arch9wavefront6targetE0EEEvT1_
                                        ; -- End function
	.set _ZN7rocprim17ROCPRIM_400000_NS6detail17trampoline_kernelINS0_14default_configENS1_20scan_config_selectorIdEEZZNS1_9scan_implILNS1_25lookback_scan_determinismE0ELb0ELb0ES3_PKdPddZZZN2at6native31launch_logcumsumexp_cuda_kernelERKNSB_10TensorBaseESF_lENKUlvE_clEvENKUlvE_clEvEUlddE_dEEDaPvRmT3_T4_T5_mT6_P12ihipStream_tbENKUlT_T0_E_clISt17integral_constantIbLb1EESV_IbLb0EEEEDaSR_SS_EUlSR_E0_NS1_11comp_targetILNS1_3genE10ELNS1_11target_archE1201ELNS1_3gpuE5ELNS1_3repE0EEENS1_30default_config_static_selectorELNS0_4arch9wavefront6targetE0EEEvT1_.num_vgpr, 0
	.set _ZN7rocprim17ROCPRIM_400000_NS6detail17trampoline_kernelINS0_14default_configENS1_20scan_config_selectorIdEEZZNS1_9scan_implILNS1_25lookback_scan_determinismE0ELb0ELb0ES3_PKdPddZZZN2at6native31launch_logcumsumexp_cuda_kernelERKNSB_10TensorBaseESF_lENKUlvE_clEvENKUlvE_clEvEUlddE_dEEDaPvRmT3_T4_T5_mT6_P12ihipStream_tbENKUlT_T0_E_clISt17integral_constantIbLb1EESV_IbLb0EEEEDaSR_SS_EUlSR_E0_NS1_11comp_targetILNS1_3genE10ELNS1_11target_archE1201ELNS1_3gpuE5ELNS1_3repE0EEENS1_30default_config_static_selectorELNS0_4arch9wavefront6targetE0EEEvT1_.num_agpr, 0
	.set _ZN7rocprim17ROCPRIM_400000_NS6detail17trampoline_kernelINS0_14default_configENS1_20scan_config_selectorIdEEZZNS1_9scan_implILNS1_25lookback_scan_determinismE0ELb0ELb0ES3_PKdPddZZZN2at6native31launch_logcumsumexp_cuda_kernelERKNSB_10TensorBaseESF_lENKUlvE_clEvENKUlvE_clEvEUlddE_dEEDaPvRmT3_T4_T5_mT6_P12ihipStream_tbENKUlT_T0_E_clISt17integral_constantIbLb1EESV_IbLb0EEEEDaSR_SS_EUlSR_E0_NS1_11comp_targetILNS1_3genE10ELNS1_11target_archE1201ELNS1_3gpuE5ELNS1_3repE0EEENS1_30default_config_static_selectorELNS0_4arch9wavefront6targetE0EEEvT1_.numbered_sgpr, 0
	.set _ZN7rocprim17ROCPRIM_400000_NS6detail17trampoline_kernelINS0_14default_configENS1_20scan_config_selectorIdEEZZNS1_9scan_implILNS1_25lookback_scan_determinismE0ELb0ELb0ES3_PKdPddZZZN2at6native31launch_logcumsumexp_cuda_kernelERKNSB_10TensorBaseESF_lENKUlvE_clEvENKUlvE_clEvEUlddE_dEEDaPvRmT3_T4_T5_mT6_P12ihipStream_tbENKUlT_T0_E_clISt17integral_constantIbLb1EESV_IbLb0EEEEDaSR_SS_EUlSR_E0_NS1_11comp_targetILNS1_3genE10ELNS1_11target_archE1201ELNS1_3gpuE5ELNS1_3repE0EEENS1_30default_config_static_selectorELNS0_4arch9wavefront6targetE0EEEvT1_.num_named_barrier, 0
	.set _ZN7rocprim17ROCPRIM_400000_NS6detail17trampoline_kernelINS0_14default_configENS1_20scan_config_selectorIdEEZZNS1_9scan_implILNS1_25lookback_scan_determinismE0ELb0ELb0ES3_PKdPddZZZN2at6native31launch_logcumsumexp_cuda_kernelERKNSB_10TensorBaseESF_lENKUlvE_clEvENKUlvE_clEvEUlddE_dEEDaPvRmT3_T4_T5_mT6_P12ihipStream_tbENKUlT_T0_E_clISt17integral_constantIbLb1EESV_IbLb0EEEEDaSR_SS_EUlSR_E0_NS1_11comp_targetILNS1_3genE10ELNS1_11target_archE1201ELNS1_3gpuE5ELNS1_3repE0EEENS1_30default_config_static_selectorELNS0_4arch9wavefront6targetE0EEEvT1_.private_seg_size, 0
	.set _ZN7rocprim17ROCPRIM_400000_NS6detail17trampoline_kernelINS0_14default_configENS1_20scan_config_selectorIdEEZZNS1_9scan_implILNS1_25lookback_scan_determinismE0ELb0ELb0ES3_PKdPddZZZN2at6native31launch_logcumsumexp_cuda_kernelERKNSB_10TensorBaseESF_lENKUlvE_clEvENKUlvE_clEvEUlddE_dEEDaPvRmT3_T4_T5_mT6_P12ihipStream_tbENKUlT_T0_E_clISt17integral_constantIbLb1EESV_IbLb0EEEEDaSR_SS_EUlSR_E0_NS1_11comp_targetILNS1_3genE10ELNS1_11target_archE1201ELNS1_3gpuE5ELNS1_3repE0EEENS1_30default_config_static_selectorELNS0_4arch9wavefront6targetE0EEEvT1_.uses_vcc, 0
	.set _ZN7rocprim17ROCPRIM_400000_NS6detail17trampoline_kernelINS0_14default_configENS1_20scan_config_selectorIdEEZZNS1_9scan_implILNS1_25lookback_scan_determinismE0ELb0ELb0ES3_PKdPddZZZN2at6native31launch_logcumsumexp_cuda_kernelERKNSB_10TensorBaseESF_lENKUlvE_clEvENKUlvE_clEvEUlddE_dEEDaPvRmT3_T4_T5_mT6_P12ihipStream_tbENKUlT_T0_E_clISt17integral_constantIbLb1EESV_IbLb0EEEEDaSR_SS_EUlSR_E0_NS1_11comp_targetILNS1_3genE10ELNS1_11target_archE1201ELNS1_3gpuE5ELNS1_3repE0EEENS1_30default_config_static_selectorELNS0_4arch9wavefront6targetE0EEEvT1_.uses_flat_scratch, 0
	.set _ZN7rocprim17ROCPRIM_400000_NS6detail17trampoline_kernelINS0_14default_configENS1_20scan_config_selectorIdEEZZNS1_9scan_implILNS1_25lookback_scan_determinismE0ELb0ELb0ES3_PKdPddZZZN2at6native31launch_logcumsumexp_cuda_kernelERKNSB_10TensorBaseESF_lENKUlvE_clEvENKUlvE_clEvEUlddE_dEEDaPvRmT3_T4_T5_mT6_P12ihipStream_tbENKUlT_T0_E_clISt17integral_constantIbLb1EESV_IbLb0EEEEDaSR_SS_EUlSR_E0_NS1_11comp_targetILNS1_3genE10ELNS1_11target_archE1201ELNS1_3gpuE5ELNS1_3repE0EEENS1_30default_config_static_selectorELNS0_4arch9wavefront6targetE0EEEvT1_.has_dyn_sized_stack, 0
	.set _ZN7rocprim17ROCPRIM_400000_NS6detail17trampoline_kernelINS0_14default_configENS1_20scan_config_selectorIdEEZZNS1_9scan_implILNS1_25lookback_scan_determinismE0ELb0ELb0ES3_PKdPddZZZN2at6native31launch_logcumsumexp_cuda_kernelERKNSB_10TensorBaseESF_lENKUlvE_clEvENKUlvE_clEvEUlddE_dEEDaPvRmT3_T4_T5_mT6_P12ihipStream_tbENKUlT_T0_E_clISt17integral_constantIbLb1EESV_IbLb0EEEEDaSR_SS_EUlSR_E0_NS1_11comp_targetILNS1_3genE10ELNS1_11target_archE1201ELNS1_3gpuE5ELNS1_3repE0EEENS1_30default_config_static_selectorELNS0_4arch9wavefront6targetE0EEEvT1_.has_recursion, 0
	.set _ZN7rocprim17ROCPRIM_400000_NS6detail17trampoline_kernelINS0_14default_configENS1_20scan_config_selectorIdEEZZNS1_9scan_implILNS1_25lookback_scan_determinismE0ELb0ELb0ES3_PKdPddZZZN2at6native31launch_logcumsumexp_cuda_kernelERKNSB_10TensorBaseESF_lENKUlvE_clEvENKUlvE_clEvEUlddE_dEEDaPvRmT3_T4_T5_mT6_P12ihipStream_tbENKUlT_T0_E_clISt17integral_constantIbLb1EESV_IbLb0EEEEDaSR_SS_EUlSR_E0_NS1_11comp_targetILNS1_3genE10ELNS1_11target_archE1201ELNS1_3gpuE5ELNS1_3repE0EEENS1_30default_config_static_selectorELNS0_4arch9wavefront6targetE0EEEvT1_.has_indirect_call, 0
	.section	.AMDGPU.csdata,"",@progbits
; Kernel info:
; codeLenInByte = 0
; TotalNumSgprs: 0
; NumVgprs: 0
; ScratchSize: 0
; MemoryBound: 0
; FloatMode: 240
; IeeeMode: 1
; LDSByteSize: 0 bytes/workgroup (compile time only)
; SGPRBlocks: 0
; VGPRBlocks: 0
; NumSGPRsForWavesPerEU: 1
; NumVGPRsForWavesPerEU: 1
; Occupancy: 16
; WaveLimiterHint : 0
; COMPUTE_PGM_RSRC2:SCRATCH_EN: 0
; COMPUTE_PGM_RSRC2:USER_SGPR: 6
; COMPUTE_PGM_RSRC2:TRAP_HANDLER: 0
; COMPUTE_PGM_RSRC2:TGID_X_EN: 1
; COMPUTE_PGM_RSRC2:TGID_Y_EN: 0
; COMPUTE_PGM_RSRC2:TGID_Z_EN: 0
; COMPUTE_PGM_RSRC2:TIDIG_COMP_CNT: 0
	.section	.text._ZN7rocprim17ROCPRIM_400000_NS6detail17trampoline_kernelINS0_14default_configENS1_20scan_config_selectorIdEEZZNS1_9scan_implILNS1_25lookback_scan_determinismE0ELb0ELb0ES3_PKdPddZZZN2at6native31launch_logcumsumexp_cuda_kernelERKNSB_10TensorBaseESF_lENKUlvE_clEvENKUlvE_clEvEUlddE_dEEDaPvRmT3_T4_T5_mT6_P12ihipStream_tbENKUlT_T0_E_clISt17integral_constantIbLb1EESV_IbLb0EEEEDaSR_SS_EUlSR_E0_NS1_11comp_targetILNS1_3genE10ELNS1_11target_archE1200ELNS1_3gpuE4ELNS1_3repE0EEENS1_30default_config_static_selectorELNS0_4arch9wavefront6targetE0EEEvT1_,"axG",@progbits,_ZN7rocprim17ROCPRIM_400000_NS6detail17trampoline_kernelINS0_14default_configENS1_20scan_config_selectorIdEEZZNS1_9scan_implILNS1_25lookback_scan_determinismE0ELb0ELb0ES3_PKdPddZZZN2at6native31launch_logcumsumexp_cuda_kernelERKNSB_10TensorBaseESF_lENKUlvE_clEvENKUlvE_clEvEUlddE_dEEDaPvRmT3_T4_T5_mT6_P12ihipStream_tbENKUlT_T0_E_clISt17integral_constantIbLb1EESV_IbLb0EEEEDaSR_SS_EUlSR_E0_NS1_11comp_targetILNS1_3genE10ELNS1_11target_archE1200ELNS1_3gpuE4ELNS1_3repE0EEENS1_30default_config_static_selectorELNS0_4arch9wavefront6targetE0EEEvT1_,comdat
	.globl	_ZN7rocprim17ROCPRIM_400000_NS6detail17trampoline_kernelINS0_14default_configENS1_20scan_config_selectorIdEEZZNS1_9scan_implILNS1_25lookback_scan_determinismE0ELb0ELb0ES3_PKdPddZZZN2at6native31launch_logcumsumexp_cuda_kernelERKNSB_10TensorBaseESF_lENKUlvE_clEvENKUlvE_clEvEUlddE_dEEDaPvRmT3_T4_T5_mT6_P12ihipStream_tbENKUlT_T0_E_clISt17integral_constantIbLb1EESV_IbLb0EEEEDaSR_SS_EUlSR_E0_NS1_11comp_targetILNS1_3genE10ELNS1_11target_archE1200ELNS1_3gpuE4ELNS1_3repE0EEENS1_30default_config_static_selectorELNS0_4arch9wavefront6targetE0EEEvT1_ ; -- Begin function _ZN7rocprim17ROCPRIM_400000_NS6detail17trampoline_kernelINS0_14default_configENS1_20scan_config_selectorIdEEZZNS1_9scan_implILNS1_25lookback_scan_determinismE0ELb0ELb0ES3_PKdPddZZZN2at6native31launch_logcumsumexp_cuda_kernelERKNSB_10TensorBaseESF_lENKUlvE_clEvENKUlvE_clEvEUlddE_dEEDaPvRmT3_T4_T5_mT6_P12ihipStream_tbENKUlT_T0_E_clISt17integral_constantIbLb1EESV_IbLb0EEEEDaSR_SS_EUlSR_E0_NS1_11comp_targetILNS1_3genE10ELNS1_11target_archE1200ELNS1_3gpuE4ELNS1_3repE0EEENS1_30default_config_static_selectorELNS0_4arch9wavefront6targetE0EEEvT1_
	.p2align	8
	.type	_ZN7rocprim17ROCPRIM_400000_NS6detail17trampoline_kernelINS0_14default_configENS1_20scan_config_selectorIdEEZZNS1_9scan_implILNS1_25lookback_scan_determinismE0ELb0ELb0ES3_PKdPddZZZN2at6native31launch_logcumsumexp_cuda_kernelERKNSB_10TensorBaseESF_lENKUlvE_clEvENKUlvE_clEvEUlddE_dEEDaPvRmT3_T4_T5_mT6_P12ihipStream_tbENKUlT_T0_E_clISt17integral_constantIbLb1EESV_IbLb0EEEEDaSR_SS_EUlSR_E0_NS1_11comp_targetILNS1_3genE10ELNS1_11target_archE1200ELNS1_3gpuE4ELNS1_3repE0EEENS1_30default_config_static_selectorELNS0_4arch9wavefront6targetE0EEEvT1_,@function
_ZN7rocprim17ROCPRIM_400000_NS6detail17trampoline_kernelINS0_14default_configENS1_20scan_config_selectorIdEEZZNS1_9scan_implILNS1_25lookback_scan_determinismE0ELb0ELb0ES3_PKdPddZZZN2at6native31launch_logcumsumexp_cuda_kernelERKNSB_10TensorBaseESF_lENKUlvE_clEvENKUlvE_clEvEUlddE_dEEDaPvRmT3_T4_T5_mT6_P12ihipStream_tbENKUlT_T0_E_clISt17integral_constantIbLb1EESV_IbLb0EEEEDaSR_SS_EUlSR_E0_NS1_11comp_targetILNS1_3genE10ELNS1_11target_archE1200ELNS1_3gpuE4ELNS1_3repE0EEENS1_30default_config_static_selectorELNS0_4arch9wavefront6targetE0EEEvT1_: ; @_ZN7rocprim17ROCPRIM_400000_NS6detail17trampoline_kernelINS0_14default_configENS1_20scan_config_selectorIdEEZZNS1_9scan_implILNS1_25lookback_scan_determinismE0ELb0ELb0ES3_PKdPddZZZN2at6native31launch_logcumsumexp_cuda_kernelERKNSB_10TensorBaseESF_lENKUlvE_clEvENKUlvE_clEvEUlddE_dEEDaPvRmT3_T4_T5_mT6_P12ihipStream_tbENKUlT_T0_E_clISt17integral_constantIbLb1EESV_IbLb0EEEEDaSR_SS_EUlSR_E0_NS1_11comp_targetILNS1_3genE10ELNS1_11target_archE1200ELNS1_3gpuE4ELNS1_3repE0EEENS1_30default_config_static_selectorELNS0_4arch9wavefront6targetE0EEEvT1_
; %bb.0:
	.section	.rodata,"a",@progbits
	.p2align	6, 0x0
	.amdhsa_kernel _ZN7rocprim17ROCPRIM_400000_NS6detail17trampoline_kernelINS0_14default_configENS1_20scan_config_selectorIdEEZZNS1_9scan_implILNS1_25lookback_scan_determinismE0ELb0ELb0ES3_PKdPddZZZN2at6native31launch_logcumsumexp_cuda_kernelERKNSB_10TensorBaseESF_lENKUlvE_clEvENKUlvE_clEvEUlddE_dEEDaPvRmT3_T4_T5_mT6_P12ihipStream_tbENKUlT_T0_E_clISt17integral_constantIbLb1EESV_IbLb0EEEEDaSR_SS_EUlSR_E0_NS1_11comp_targetILNS1_3genE10ELNS1_11target_archE1200ELNS1_3gpuE4ELNS1_3repE0EEENS1_30default_config_static_selectorELNS0_4arch9wavefront6targetE0EEEvT1_
		.amdhsa_group_segment_fixed_size 0
		.amdhsa_private_segment_fixed_size 0
		.amdhsa_kernarg_size 40
		.amdhsa_user_sgpr_count 6
		.amdhsa_user_sgpr_private_segment_buffer 1
		.amdhsa_user_sgpr_dispatch_ptr 0
		.amdhsa_user_sgpr_queue_ptr 0
		.amdhsa_user_sgpr_kernarg_segment_ptr 1
		.amdhsa_user_sgpr_dispatch_id 0
		.amdhsa_user_sgpr_flat_scratch_init 0
		.amdhsa_user_sgpr_private_segment_size 0
		.amdhsa_wavefront_size32 1
		.amdhsa_uses_dynamic_stack 0
		.amdhsa_system_sgpr_private_segment_wavefront_offset 0
		.amdhsa_system_sgpr_workgroup_id_x 1
		.amdhsa_system_sgpr_workgroup_id_y 0
		.amdhsa_system_sgpr_workgroup_id_z 0
		.amdhsa_system_sgpr_workgroup_info 0
		.amdhsa_system_vgpr_workitem_id 0
		.amdhsa_next_free_vgpr 1
		.amdhsa_next_free_sgpr 1
		.amdhsa_reserve_vcc 0
		.amdhsa_reserve_flat_scratch 0
		.amdhsa_float_round_mode_32 0
		.amdhsa_float_round_mode_16_64 0
		.amdhsa_float_denorm_mode_32 3
		.amdhsa_float_denorm_mode_16_64 3
		.amdhsa_dx10_clamp 1
		.amdhsa_ieee_mode 1
		.amdhsa_fp16_overflow 0
		.amdhsa_workgroup_processor_mode 1
		.amdhsa_memory_ordered 1
		.amdhsa_forward_progress 1
		.amdhsa_shared_vgpr_count 0
		.amdhsa_exception_fp_ieee_invalid_op 0
		.amdhsa_exception_fp_denorm_src 0
		.amdhsa_exception_fp_ieee_div_zero 0
		.amdhsa_exception_fp_ieee_overflow 0
		.amdhsa_exception_fp_ieee_underflow 0
		.amdhsa_exception_fp_ieee_inexact 0
		.amdhsa_exception_int_div_zero 0
	.end_amdhsa_kernel
	.section	.text._ZN7rocprim17ROCPRIM_400000_NS6detail17trampoline_kernelINS0_14default_configENS1_20scan_config_selectorIdEEZZNS1_9scan_implILNS1_25lookback_scan_determinismE0ELb0ELb0ES3_PKdPddZZZN2at6native31launch_logcumsumexp_cuda_kernelERKNSB_10TensorBaseESF_lENKUlvE_clEvENKUlvE_clEvEUlddE_dEEDaPvRmT3_T4_T5_mT6_P12ihipStream_tbENKUlT_T0_E_clISt17integral_constantIbLb1EESV_IbLb0EEEEDaSR_SS_EUlSR_E0_NS1_11comp_targetILNS1_3genE10ELNS1_11target_archE1200ELNS1_3gpuE4ELNS1_3repE0EEENS1_30default_config_static_selectorELNS0_4arch9wavefront6targetE0EEEvT1_,"axG",@progbits,_ZN7rocprim17ROCPRIM_400000_NS6detail17trampoline_kernelINS0_14default_configENS1_20scan_config_selectorIdEEZZNS1_9scan_implILNS1_25lookback_scan_determinismE0ELb0ELb0ES3_PKdPddZZZN2at6native31launch_logcumsumexp_cuda_kernelERKNSB_10TensorBaseESF_lENKUlvE_clEvENKUlvE_clEvEUlddE_dEEDaPvRmT3_T4_T5_mT6_P12ihipStream_tbENKUlT_T0_E_clISt17integral_constantIbLb1EESV_IbLb0EEEEDaSR_SS_EUlSR_E0_NS1_11comp_targetILNS1_3genE10ELNS1_11target_archE1200ELNS1_3gpuE4ELNS1_3repE0EEENS1_30default_config_static_selectorELNS0_4arch9wavefront6targetE0EEEvT1_,comdat
.Lfunc_end62:
	.size	_ZN7rocprim17ROCPRIM_400000_NS6detail17trampoline_kernelINS0_14default_configENS1_20scan_config_selectorIdEEZZNS1_9scan_implILNS1_25lookback_scan_determinismE0ELb0ELb0ES3_PKdPddZZZN2at6native31launch_logcumsumexp_cuda_kernelERKNSB_10TensorBaseESF_lENKUlvE_clEvENKUlvE_clEvEUlddE_dEEDaPvRmT3_T4_T5_mT6_P12ihipStream_tbENKUlT_T0_E_clISt17integral_constantIbLb1EESV_IbLb0EEEEDaSR_SS_EUlSR_E0_NS1_11comp_targetILNS1_3genE10ELNS1_11target_archE1200ELNS1_3gpuE4ELNS1_3repE0EEENS1_30default_config_static_selectorELNS0_4arch9wavefront6targetE0EEEvT1_, .Lfunc_end62-_ZN7rocprim17ROCPRIM_400000_NS6detail17trampoline_kernelINS0_14default_configENS1_20scan_config_selectorIdEEZZNS1_9scan_implILNS1_25lookback_scan_determinismE0ELb0ELb0ES3_PKdPddZZZN2at6native31launch_logcumsumexp_cuda_kernelERKNSB_10TensorBaseESF_lENKUlvE_clEvENKUlvE_clEvEUlddE_dEEDaPvRmT3_T4_T5_mT6_P12ihipStream_tbENKUlT_T0_E_clISt17integral_constantIbLb1EESV_IbLb0EEEEDaSR_SS_EUlSR_E0_NS1_11comp_targetILNS1_3genE10ELNS1_11target_archE1200ELNS1_3gpuE4ELNS1_3repE0EEENS1_30default_config_static_selectorELNS0_4arch9wavefront6targetE0EEEvT1_
                                        ; -- End function
	.set _ZN7rocprim17ROCPRIM_400000_NS6detail17trampoline_kernelINS0_14default_configENS1_20scan_config_selectorIdEEZZNS1_9scan_implILNS1_25lookback_scan_determinismE0ELb0ELb0ES3_PKdPddZZZN2at6native31launch_logcumsumexp_cuda_kernelERKNSB_10TensorBaseESF_lENKUlvE_clEvENKUlvE_clEvEUlddE_dEEDaPvRmT3_T4_T5_mT6_P12ihipStream_tbENKUlT_T0_E_clISt17integral_constantIbLb1EESV_IbLb0EEEEDaSR_SS_EUlSR_E0_NS1_11comp_targetILNS1_3genE10ELNS1_11target_archE1200ELNS1_3gpuE4ELNS1_3repE0EEENS1_30default_config_static_selectorELNS0_4arch9wavefront6targetE0EEEvT1_.num_vgpr, 0
	.set _ZN7rocprim17ROCPRIM_400000_NS6detail17trampoline_kernelINS0_14default_configENS1_20scan_config_selectorIdEEZZNS1_9scan_implILNS1_25lookback_scan_determinismE0ELb0ELb0ES3_PKdPddZZZN2at6native31launch_logcumsumexp_cuda_kernelERKNSB_10TensorBaseESF_lENKUlvE_clEvENKUlvE_clEvEUlddE_dEEDaPvRmT3_T4_T5_mT6_P12ihipStream_tbENKUlT_T0_E_clISt17integral_constantIbLb1EESV_IbLb0EEEEDaSR_SS_EUlSR_E0_NS1_11comp_targetILNS1_3genE10ELNS1_11target_archE1200ELNS1_3gpuE4ELNS1_3repE0EEENS1_30default_config_static_selectorELNS0_4arch9wavefront6targetE0EEEvT1_.num_agpr, 0
	.set _ZN7rocprim17ROCPRIM_400000_NS6detail17trampoline_kernelINS0_14default_configENS1_20scan_config_selectorIdEEZZNS1_9scan_implILNS1_25lookback_scan_determinismE0ELb0ELb0ES3_PKdPddZZZN2at6native31launch_logcumsumexp_cuda_kernelERKNSB_10TensorBaseESF_lENKUlvE_clEvENKUlvE_clEvEUlddE_dEEDaPvRmT3_T4_T5_mT6_P12ihipStream_tbENKUlT_T0_E_clISt17integral_constantIbLb1EESV_IbLb0EEEEDaSR_SS_EUlSR_E0_NS1_11comp_targetILNS1_3genE10ELNS1_11target_archE1200ELNS1_3gpuE4ELNS1_3repE0EEENS1_30default_config_static_selectorELNS0_4arch9wavefront6targetE0EEEvT1_.numbered_sgpr, 0
	.set _ZN7rocprim17ROCPRIM_400000_NS6detail17trampoline_kernelINS0_14default_configENS1_20scan_config_selectorIdEEZZNS1_9scan_implILNS1_25lookback_scan_determinismE0ELb0ELb0ES3_PKdPddZZZN2at6native31launch_logcumsumexp_cuda_kernelERKNSB_10TensorBaseESF_lENKUlvE_clEvENKUlvE_clEvEUlddE_dEEDaPvRmT3_T4_T5_mT6_P12ihipStream_tbENKUlT_T0_E_clISt17integral_constantIbLb1EESV_IbLb0EEEEDaSR_SS_EUlSR_E0_NS1_11comp_targetILNS1_3genE10ELNS1_11target_archE1200ELNS1_3gpuE4ELNS1_3repE0EEENS1_30default_config_static_selectorELNS0_4arch9wavefront6targetE0EEEvT1_.num_named_barrier, 0
	.set _ZN7rocprim17ROCPRIM_400000_NS6detail17trampoline_kernelINS0_14default_configENS1_20scan_config_selectorIdEEZZNS1_9scan_implILNS1_25lookback_scan_determinismE0ELb0ELb0ES3_PKdPddZZZN2at6native31launch_logcumsumexp_cuda_kernelERKNSB_10TensorBaseESF_lENKUlvE_clEvENKUlvE_clEvEUlddE_dEEDaPvRmT3_T4_T5_mT6_P12ihipStream_tbENKUlT_T0_E_clISt17integral_constantIbLb1EESV_IbLb0EEEEDaSR_SS_EUlSR_E0_NS1_11comp_targetILNS1_3genE10ELNS1_11target_archE1200ELNS1_3gpuE4ELNS1_3repE0EEENS1_30default_config_static_selectorELNS0_4arch9wavefront6targetE0EEEvT1_.private_seg_size, 0
	.set _ZN7rocprim17ROCPRIM_400000_NS6detail17trampoline_kernelINS0_14default_configENS1_20scan_config_selectorIdEEZZNS1_9scan_implILNS1_25lookback_scan_determinismE0ELb0ELb0ES3_PKdPddZZZN2at6native31launch_logcumsumexp_cuda_kernelERKNSB_10TensorBaseESF_lENKUlvE_clEvENKUlvE_clEvEUlddE_dEEDaPvRmT3_T4_T5_mT6_P12ihipStream_tbENKUlT_T0_E_clISt17integral_constantIbLb1EESV_IbLb0EEEEDaSR_SS_EUlSR_E0_NS1_11comp_targetILNS1_3genE10ELNS1_11target_archE1200ELNS1_3gpuE4ELNS1_3repE0EEENS1_30default_config_static_selectorELNS0_4arch9wavefront6targetE0EEEvT1_.uses_vcc, 0
	.set _ZN7rocprim17ROCPRIM_400000_NS6detail17trampoline_kernelINS0_14default_configENS1_20scan_config_selectorIdEEZZNS1_9scan_implILNS1_25lookback_scan_determinismE0ELb0ELb0ES3_PKdPddZZZN2at6native31launch_logcumsumexp_cuda_kernelERKNSB_10TensorBaseESF_lENKUlvE_clEvENKUlvE_clEvEUlddE_dEEDaPvRmT3_T4_T5_mT6_P12ihipStream_tbENKUlT_T0_E_clISt17integral_constantIbLb1EESV_IbLb0EEEEDaSR_SS_EUlSR_E0_NS1_11comp_targetILNS1_3genE10ELNS1_11target_archE1200ELNS1_3gpuE4ELNS1_3repE0EEENS1_30default_config_static_selectorELNS0_4arch9wavefront6targetE0EEEvT1_.uses_flat_scratch, 0
	.set _ZN7rocprim17ROCPRIM_400000_NS6detail17trampoline_kernelINS0_14default_configENS1_20scan_config_selectorIdEEZZNS1_9scan_implILNS1_25lookback_scan_determinismE0ELb0ELb0ES3_PKdPddZZZN2at6native31launch_logcumsumexp_cuda_kernelERKNSB_10TensorBaseESF_lENKUlvE_clEvENKUlvE_clEvEUlddE_dEEDaPvRmT3_T4_T5_mT6_P12ihipStream_tbENKUlT_T0_E_clISt17integral_constantIbLb1EESV_IbLb0EEEEDaSR_SS_EUlSR_E0_NS1_11comp_targetILNS1_3genE10ELNS1_11target_archE1200ELNS1_3gpuE4ELNS1_3repE0EEENS1_30default_config_static_selectorELNS0_4arch9wavefront6targetE0EEEvT1_.has_dyn_sized_stack, 0
	.set _ZN7rocprim17ROCPRIM_400000_NS6detail17trampoline_kernelINS0_14default_configENS1_20scan_config_selectorIdEEZZNS1_9scan_implILNS1_25lookback_scan_determinismE0ELb0ELb0ES3_PKdPddZZZN2at6native31launch_logcumsumexp_cuda_kernelERKNSB_10TensorBaseESF_lENKUlvE_clEvENKUlvE_clEvEUlddE_dEEDaPvRmT3_T4_T5_mT6_P12ihipStream_tbENKUlT_T0_E_clISt17integral_constantIbLb1EESV_IbLb0EEEEDaSR_SS_EUlSR_E0_NS1_11comp_targetILNS1_3genE10ELNS1_11target_archE1200ELNS1_3gpuE4ELNS1_3repE0EEENS1_30default_config_static_selectorELNS0_4arch9wavefront6targetE0EEEvT1_.has_recursion, 0
	.set _ZN7rocprim17ROCPRIM_400000_NS6detail17trampoline_kernelINS0_14default_configENS1_20scan_config_selectorIdEEZZNS1_9scan_implILNS1_25lookback_scan_determinismE0ELb0ELb0ES3_PKdPddZZZN2at6native31launch_logcumsumexp_cuda_kernelERKNSB_10TensorBaseESF_lENKUlvE_clEvENKUlvE_clEvEUlddE_dEEDaPvRmT3_T4_T5_mT6_P12ihipStream_tbENKUlT_T0_E_clISt17integral_constantIbLb1EESV_IbLb0EEEEDaSR_SS_EUlSR_E0_NS1_11comp_targetILNS1_3genE10ELNS1_11target_archE1200ELNS1_3gpuE4ELNS1_3repE0EEENS1_30default_config_static_selectorELNS0_4arch9wavefront6targetE0EEEvT1_.has_indirect_call, 0
	.section	.AMDGPU.csdata,"",@progbits
; Kernel info:
; codeLenInByte = 0
; TotalNumSgprs: 0
; NumVgprs: 0
; ScratchSize: 0
; MemoryBound: 0
; FloatMode: 240
; IeeeMode: 1
; LDSByteSize: 0 bytes/workgroup (compile time only)
; SGPRBlocks: 0
; VGPRBlocks: 0
; NumSGPRsForWavesPerEU: 1
; NumVGPRsForWavesPerEU: 1
; Occupancy: 16
; WaveLimiterHint : 0
; COMPUTE_PGM_RSRC2:SCRATCH_EN: 0
; COMPUTE_PGM_RSRC2:USER_SGPR: 6
; COMPUTE_PGM_RSRC2:TRAP_HANDLER: 0
; COMPUTE_PGM_RSRC2:TGID_X_EN: 1
; COMPUTE_PGM_RSRC2:TGID_Y_EN: 0
; COMPUTE_PGM_RSRC2:TGID_Z_EN: 0
; COMPUTE_PGM_RSRC2:TIDIG_COMP_CNT: 0
	.section	.text._ZN7rocprim17ROCPRIM_400000_NS6detail17trampoline_kernelINS0_14default_configENS1_20scan_config_selectorIdEEZZNS1_9scan_implILNS1_25lookback_scan_determinismE0ELb0ELb0ES3_PKdPddZZZN2at6native31launch_logcumsumexp_cuda_kernelERKNSB_10TensorBaseESF_lENKUlvE_clEvENKUlvE_clEvEUlddE_dEEDaPvRmT3_T4_T5_mT6_P12ihipStream_tbENKUlT_T0_E_clISt17integral_constantIbLb1EESV_IbLb0EEEEDaSR_SS_EUlSR_E0_NS1_11comp_targetILNS1_3genE9ELNS1_11target_archE1100ELNS1_3gpuE3ELNS1_3repE0EEENS1_30default_config_static_selectorELNS0_4arch9wavefront6targetE0EEEvT1_,"axG",@progbits,_ZN7rocprim17ROCPRIM_400000_NS6detail17trampoline_kernelINS0_14default_configENS1_20scan_config_selectorIdEEZZNS1_9scan_implILNS1_25lookback_scan_determinismE0ELb0ELb0ES3_PKdPddZZZN2at6native31launch_logcumsumexp_cuda_kernelERKNSB_10TensorBaseESF_lENKUlvE_clEvENKUlvE_clEvEUlddE_dEEDaPvRmT3_T4_T5_mT6_P12ihipStream_tbENKUlT_T0_E_clISt17integral_constantIbLb1EESV_IbLb0EEEEDaSR_SS_EUlSR_E0_NS1_11comp_targetILNS1_3genE9ELNS1_11target_archE1100ELNS1_3gpuE3ELNS1_3repE0EEENS1_30default_config_static_selectorELNS0_4arch9wavefront6targetE0EEEvT1_,comdat
	.globl	_ZN7rocprim17ROCPRIM_400000_NS6detail17trampoline_kernelINS0_14default_configENS1_20scan_config_selectorIdEEZZNS1_9scan_implILNS1_25lookback_scan_determinismE0ELb0ELb0ES3_PKdPddZZZN2at6native31launch_logcumsumexp_cuda_kernelERKNSB_10TensorBaseESF_lENKUlvE_clEvENKUlvE_clEvEUlddE_dEEDaPvRmT3_T4_T5_mT6_P12ihipStream_tbENKUlT_T0_E_clISt17integral_constantIbLb1EESV_IbLb0EEEEDaSR_SS_EUlSR_E0_NS1_11comp_targetILNS1_3genE9ELNS1_11target_archE1100ELNS1_3gpuE3ELNS1_3repE0EEENS1_30default_config_static_selectorELNS0_4arch9wavefront6targetE0EEEvT1_ ; -- Begin function _ZN7rocprim17ROCPRIM_400000_NS6detail17trampoline_kernelINS0_14default_configENS1_20scan_config_selectorIdEEZZNS1_9scan_implILNS1_25lookback_scan_determinismE0ELb0ELb0ES3_PKdPddZZZN2at6native31launch_logcumsumexp_cuda_kernelERKNSB_10TensorBaseESF_lENKUlvE_clEvENKUlvE_clEvEUlddE_dEEDaPvRmT3_T4_T5_mT6_P12ihipStream_tbENKUlT_T0_E_clISt17integral_constantIbLb1EESV_IbLb0EEEEDaSR_SS_EUlSR_E0_NS1_11comp_targetILNS1_3genE9ELNS1_11target_archE1100ELNS1_3gpuE3ELNS1_3repE0EEENS1_30default_config_static_selectorELNS0_4arch9wavefront6targetE0EEEvT1_
	.p2align	8
	.type	_ZN7rocprim17ROCPRIM_400000_NS6detail17trampoline_kernelINS0_14default_configENS1_20scan_config_selectorIdEEZZNS1_9scan_implILNS1_25lookback_scan_determinismE0ELb0ELb0ES3_PKdPddZZZN2at6native31launch_logcumsumexp_cuda_kernelERKNSB_10TensorBaseESF_lENKUlvE_clEvENKUlvE_clEvEUlddE_dEEDaPvRmT3_T4_T5_mT6_P12ihipStream_tbENKUlT_T0_E_clISt17integral_constantIbLb1EESV_IbLb0EEEEDaSR_SS_EUlSR_E0_NS1_11comp_targetILNS1_3genE9ELNS1_11target_archE1100ELNS1_3gpuE3ELNS1_3repE0EEENS1_30default_config_static_selectorELNS0_4arch9wavefront6targetE0EEEvT1_,@function
_ZN7rocprim17ROCPRIM_400000_NS6detail17trampoline_kernelINS0_14default_configENS1_20scan_config_selectorIdEEZZNS1_9scan_implILNS1_25lookback_scan_determinismE0ELb0ELb0ES3_PKdPddZZZN2at6native31launch_logcumsumexp_cuda_kernelERKNSB_10TensorBaseESF_lENKUlvE_clEvENKUlvE_clEvEUlddE_dEEDaPvRmT3_T4_T5_mT6_P12ihipStream_tbENKUlT_T0_E_clISt17integral_constantIbLb1EESV_IbLb0EEEEDaSR_SS_EUlSR_E0_NS1_11comp_targetILNS1_3genE9ELNS1_11target_archE1100ELNS1_3gpuE3ELNS1_3repE0EEENS1_30default_config_static_selectorELNS0_4arch9wavefront6targetE0EEEvT1_: ; @_ZN7rocprim17ROCPRIM_400000_NS6detail17trampoline_kernelINS0_14default_configENS1_20scan_config_selectorIdEEZZNS1_9scan_implILNS1_25lookback_scan_determinismE0ELb0ELb0ES3_PKdPddZZZN2at6native31launch_logcumsumexp_cuda_kernelERKNSB_10TensorBaseESF_lENKUlvE_clEvENKUlvE_clEvEUlddE_dEEDaPvRmT3_T4_T5_mT6_P12ihipStream_tbENKUlT_T0_E_clISt17integral_constantIbLb1EESV_IbLb0EEEEDaSR_SS_EUlSR_E0_NS1_11comp_targetILNS1_3genE9ELNS1_11target_archE1100ELNS1_3gpuE3ELNS1_3repE0EEENS1_30default_config_static_selectorELNS0_4arch9wavefront6targetE0EEEvT1_
; %bb.0:
	.section	.rodata,"a",@progbits
	.p2align	6, 0x0
	.amdhsa_kernel _ZN7rocprim17ROCPRIM_400000_NS6detail17trampoline_kernelINS0_14default_configENS1_20scan_config_selectorIdEEZZNS1_9scan_implILNS1_25lookback_scan_determinismE0ELb0ELb0ES3_PKdPddZZZN2at6native31launch_logcumsumexp_cuda_kernelERKNSB_10TensorBaseESF_lENKUlvE_clEvENKUlvE_clEvEUlddE_dEEDaPvRmT3_T4_T5_mT6_P12ihipStream_tbENKUlT_T0_E_clISt17integral_constantIbLb1EESV_IbLb0EEEEDaSR_SS_EUlSR_E0_NS1_11comp_targetILNS1_3genE9ELNS1_11target_archE1100ELNS1_3gpuE3ELNS1_3repE0EEENS1_30default_config_static_selectorELNS0_4arch9wavefront6targetE0EEEvT1_
		.amdhsa_group_segment_fixed_size 0
		.amdhsa_private_segment_fixed_size 0
		.amdhsa_kernarg_size 40
		.amdhsa_user_sgpr_count 6
		.amdhsa_user_sgpr_private_segment_buffer 1
		.amdhsa_user_sgpr_dispatch_ptr 0
		.amdhsa_user_sgpr_queue_ptr 0
		.amdhsa_user_sgpr_kernarg_segment_ptr 1
		.amdhsa_user_sgpr_dispatch_id 0
		.amdhsa_user_sgpr_flat_scratch_init 0
		.amdhsa_user_sgpr_private_segment_size 0
		.amdhsa_wavefront_size32 1
		.amdhsa_uses_dynamic_stack 0
		.amdhsa_system_sgpr_private_segment_wavefront_offset 0
		.amdhsa_system_sgpr_workgroup_id_x 1
		.amdhsa_system_sgpr_workgroup_id_y 0
		.amdhsa_system_sgpr_workgroup_id_z 0
		.amdhsa_system_sgpr_workgroup_info 0
		.amdhsa_system_vgpr_workitem_id 0
		.amdhsa_next_free_vgpr 1
		.amdhsa_next_free_sgpr 1
		.amdhsa_reserve_vcc 0
		.amdhsa_reserve_flat_scratch 0
		.amdhsa_float_round_mode_32 0
		.amdhsa_float_round_mode_16_64 0
		.amdhsa_float_denorm_mode_32 3
		.amdhsa_float_denorm_mode_16_64 3
		.amdhsa_dx10_clamp 1
		.amdhsa_ieee_mode 1
		.amdhsa_fp16_overflow 0
		.amdhsa_workgroup_processor_mode 1
		.amdhsa_memory_ordered 1
		.amdhsa_forward_progress 1
		.amdhsa_shared_vgpr_count 0
		.amdhsa_exception_fp_ieee_invalid_op 0
		.amdhsa_exception_fp_denorm_src 0
		.amdhsa_exception_fp_ieee_div_zero 0
		.amdhsa_exception_fp_ieee_overflow 0
		.amdhsa_exception_fp_ieee_underflow 0
		.amdhsa_exception_fp_ieee_inexact 0
		.amdhsa_exception_int_div_zero 0
	.end_amdhsa_kernel
	.section	.text._ZN7rocprim17ROCPRIM_400000_NS6detail17trampoline_kernelINS0_14default_configENS1_20scan_config_selectorIdEEZZNS1_9scan_implILNS1_25lookback_scan_determinismE0ELb0ELb0ES3_PKdPddZZZN2at6native31launch_logcumsumexp_cuda_kernelERKNSB_10TensorBaseESF_lENKUlvE_clEvENKUlvE_clEvEUlddE_dEEDaPvRmT3_T4_T5_mT6_P12ihipStream_tbENKUlT_T0_E_clISt17integral_constantIbLb1EESV_IbLb0EEEEDaSR_SS_EUlSR_E0_NS1_11comp_targetILNS1_3genE9ELNS1_11target_archE1100ELNS1_3gpuE3ELNS1_3repE0EEENS1_30default_config_static_selectorELNS0_4arch9wavefront6targetE0EEEvT1_,"axG",@progbits,_ZN7rocprim17ROCPRIM_400000_NS6detail17trampoline_kernelINS0_14default_configENS1_20scan_config_selectorIdEEZZNS1_9scan_implILNS1_25lookback_scan_determinismE0ELb0ELb0ES3_PKdPddZZZN2at6native31launch_logcumsumexp_cuda_kernelERKNSB_10TensorBaseESF_lENKUlvE_clEvENKUlvE_clEvEUlddE_dEEDaPvRmT3_T4_T5_mT6_P12ihipStream_tbENKUlT_T0_E_clISt17integral_constantIbLb1EESV_IbLb0EEEEDaSR_SS_EUlSR_E0_NS1_11comp_targetILNS1_3genE9ELNS1_11target_archE1100ELNS1_3gpuE3ELNS1_3repE0EEENS1_30default_config_static_selectorELNS0_4arch9wavefront6targetE0EEEvT1_,comdat
.Lfunc_end63:
	.size	_ZN7rocprim17ROCPRIM_400000_NS6detail17trampoline_kernelINS0_14default_configENS1_20scan_config_selectorIdEEZZNS1_9scan_implILNS1_25lookback_scan_determinismE0ELb0ELb0ES3_PKdPddZZZN2at6native31launch_logcumsumexp_cuda_kernelERKNSB_10TensorBaseESF_lENKUlvE_clEvENKUlvE_clEvEUlddE_dEEDaPvRmT3_T4_T5_mT6_P12ihipStream_tbENKUlT_T0_E_clISt17integral_constantIbLb1EESV_IbLb0EEEEDaSR_SS_EUlSR_E0_NS1_11comp_targetILNS1_3genE9ELNS1_11target_archE1100ELNS1_3gpuE3ELNS1_3repE0EEENS1_30default_config_static_selectorELNS0_4arch9wavefront6targetE0EEEvT1_, .Lfunc_end63-_ZN7rocprim17ROCPRIM_400000_NS6detail17trampoline_kernelINS0_14default_configENS1_20scan_config_selectorIdEEZZNS1_9scan_implILNS1_25lookback_scan_determinismE0ELb0ELb0ES3_PKdPddZZZN2at6native31launch_logcumsumexp_cuda_kernelERKNSB_10TensorBaseESF_lENKUlvE_clEvENKUlvE_clEvEUlddE_dEEDaPvRmT3_T4_T5_mT6_P12ihipStream_tbENKUlT_T0_E_clISt17integral_constantIbLb1EESV_IbLb0EEEEDaSR_SS_EUlSR_E0_NS1_11comp_targetILNS1_3genE9ELNS1_11target_archE1100ELNS1_3gpuE3ELNS1_3repE0EEENS1_30default_config_static_selectorELNS0_4arch9wavefront6targetE0EEEvT1_
                                        ; -- End function
	.set _ZN7rocprim17ROCPRIM_400000_NS6detail17trampoline_kernelINS0_14default_configENS1_20scan_config_selectorIdEEZZNS1_9scan_implILNS1_25lookback_scan_determinismE0ELb0ELb0ES3_PKdPddZZZN2at6native31launch_logcumsumexp_cuda_kernelERKNSB_10TensorBaseESF_lENKUlvE_clEvENKUlvE_clEvEUlddE_dEEDaPvRmT3_T4_T5_mT6_P12ihipStream_tbENKUlT_T0_E_clISt17integral_constantIbLb1EESV_IbLb0EEEEDaSR_SS_EUlSR_E0_NS1_11comp_targetILNS1_3genE9ELNS1_11target_archE1100ELNS1_3gpuE3ELNS1_3repE0EEENS1_30default_config_static_selectorELNS0_4arch9wavefront6targetE0EEEvT1_.num_vgpr, 0
	.set _ZN7rocprim17ROCPRIM_400000_NS6detail17trampoline_kernelINS0_14default_configENS1_20scan_config_selectorIdEEZZNS1_9scan_implILNS1_25lookback_scan_determinismE0ELb0ELb0ES3_PKdPddZZZN2at6native31launch_logcumsumexp_cuda_kernelERKNSB_10TensorBaseESF_lENKUlvE_clEvENKUlvE_clEvEUlddE_dEEDaPvRmT3_T4_T5_mT6_P12ihipStream_tbENKUlT_T0_E_clISt17integral_constantIbLb1EESV_IbLb0EEEEDaSR_SS_EUlSR_E0_NS1_11comp_targetILNS1_3genE9ELNS1_11target_archE1100ELNS1_3gpuE3ELNS1_3repE0EEENS1_30default_config_static_selectorELNS0_4arch9wavefront6targetE0EEEvT1_.num_agpr, 0
	.set _ZN7rocprim17ROCPRIM_400000_NS6detail17trampoline_kernelINS0_14default_configENS1_20scan_config_selectorIdEEZZNS1_9scan_implILNS1_25lookback_scan_determinismE0ELb0ELb0ES3_PKdPddZZZN2at6native31launch_logcumsumexp_cuda_kernelERKNSB_10TensorBaseESF_lENKUlvE_clEvENKUlvE_clEvEUlddE_dEEDaPvRmT3_T4_T5_mT6_P12ihipStream_tbENKUlT_T0_E_clISt17integral_constantIbLb1EESV_IbLb0EEEEDaSR_SS_EUlSR_E0_NS1_11comp_targetILNS1_3genE9ELNS1_11target_archE1100ELNS1_3gpuE3ELNS1_3repE0EEENS1_30default_config_static_selectorELNS0_4arch9wavefront6targetE0EEEvT1_.numbered_sgpr, 0
	.set _ZN7rocprim17ROCPRIM_400000_NS6detail17trampoline_kernelINS0_14default_configENS1_20scan_config_selectorIdEEZZNS1_9scan_implILNS1_25lookback_scan_determinismE0ELb0ELb0ES3_PKdPddZZZN2at6native31launch_logcumsumexp_cuda_kernelERKNSB_10TensorBaseESF_lENKUlvE_clEvENKUlvE_clEvEUlddE_dEEDaPvRmT3_T4_T5_mT6_P12ihipStream_tbENKUlT_T0_E_clISt17integral_constantIbLb1EESV_IbLb0EEEEDaSR_SS_EUlSR_E0_NS1_11comp_targetILNS1_3genE9ELNS1_11target_archE1100ELNS1_3gpuE3ELNS1_3repE0EEENS1_30default_config_static_selectorELNS0_4arch9wavefront6targetE0EEEvT1_.num_named_barrier, 0
	.set _ZN7rocprim17ROCPRIM_400000_NS6detail17trampoline_kernelINS0_14default_configENS1_20scan_config_selectorIdEEZZNS1_9scan_implILNS1_25lookback_scan_determinismE0ELb0ELb0ES3_PKdPddZZZN2at6native31launch_logcumsumexp_cuda_kernelERKNSB_10TensorBaseESF_lENKUlvE_clEvENKUlvE_clEvEUlddE_dEEDaPvRmT3_T4_T5_mT6_P12ihipStream_tbENKUlT_T0_E_clISt17integral_constantIbLb1EESV_IbLb0EEEEDaSR_SS_EUlSR_E0_NS1_11comp_targetILNS1_3genE9ELNS1_11target_archE1100ELNS1_3gpuE3ELNS1_3repE0EEENS1_30default_config_static_selectorELNS0_4arch9wavefront6targetE0EEEvT1_.private_seg_size, 0
	.set _ZN7rocprim17ROCPRIM_400000_NS6detail17trampoline_kernelINS0_14default_configENS1_20scan_config_selectorIdEEZZNS1_9scan_implILNS1_25lookback_scan_determinismE0ELb0ELb0ES3_PKdPddZZZN2at6native31launch_logcumsumexp_cuda_kernelERKNSB_10TensorBaseESF_lENKUlvE_clEvENKUlvE_clEvEUlddE_dEEDaPvRmT3_T4_T5_mT6_P12ihipStream_tbENKUlT_T0_E_clISt17integral_constantIbLb1EESV_IbLb0EEEEDaSR_SS_EUlSR_E0_NS1_11comp_targetILNS1_3genE9ELNS1_11target_archE1100ELNS1_3gpuE3ELNS1_3repE0EEENS1_30default_config_static_selectorELNS0_4arch9wavefront6targetE0EEEvT1_.uses_vcc, 0
	.set _ZN7rocprim17ROCPRIM_400000_NS6detail17trampoline_kernelINS0_14default_configENS1_20scan_config_selectorIdEEZZNS1_9scan_implILNS1_25lookback_scan_determinismE0ELb0ELb0ES3_PKdPddZZZN2at6native31launch_logcumsumexp_cuda_kernelERKNSB_10TensorBaseESF_lENKUlvE_clEvENKUlvE_clEvEUlddE_dEEDaPvRmT3_T4_T5_mT6_P12ihipStream_tbENKUlT_T0_E_clISt17integral_constantIbLb1EESV_IbLb0EEEEDaSR_SS_EUlSR_E0_NS1_11comp_targetILNS1_3genE9ELNS1_11target_archE1100ELNS1_3gpuE3ELNS1_3repE0EEENS1_30default_config_static_selectorELNS0_4arch9wavefront6targetE0EEEvT1_.uses_flat_scratch, 0
	.set _ZN7rocprim17ROCPRIM_400000_NS6detail17trampoline_kernelINS0_14default_configENS1_20scan_config_selectorIdEEZZNS1_9scan_implILNS1_25lookback_scan_determinismE0ELb0ELb0ES3_PKdPddZZZN2at6native31launch_logcumsumexp_cuda_kernelERKNSB_10TensorBaseESF_lENKUlvE_clEvENKUlvE_clEvEUlddE_dEEDaPvRmT3_T4_T5_mT6_P12ihipStream_tbENKUlT_T0_E_clISt17integral_constantIbLb1EESV_IbLb0EEEEDaSR_SS_EUlSR_E0_NS1_11comp_targetILNS1_3genE9ELNS1_11target_archE1100ELNS1_3gpuE3ELNS1_3repE0EEENS1_30default_config_static_selectorELNS0_4arch9wavefront6targetE0EEEvT1_.has_dyn_sized_stack, 0
	.set _ZN7rocprim17ROCPRIM_400000_NS6detail17trampoline_kernelINS0_14default_configENS1_20scan_config_selectorIdEEZZNS1_9scan_implILNS1_25lookback_scan_determinismE0ELb0ELb0ES3_PKdPddZZZN2at6native31launch_logcumsumexp_cuda_kernelERKNSB_10TensorBaseESF_lENKUlvE_clEvENKUlvE_clEvEUlddE_dEEDaPvRmT3_T4_T5_mT6_P12ihipStream_tbENKUlT_T0_E_clISt17integral_constantIbLb1EESV_IbLb0EEEEDaSR_SS_EUlSR_E0_NS1_11comp_targetILNS1_3genE9ELNS1_11target_archE1100ELNS1_3gpuE3ELNS1_3repE0EEENS1_30default_config_static_selectorELNS0_4arch9wavefront6targetE0EEEvT1_.has_recursion, 0
	.set _ZN7rocprim17ROCPRIM_400000_NS6detail17trampoline_kernelINS0_14default_configENS1_20scan_config_selectorIdEEZZNS1_9scan_implILNS1_25lookback_scan_determinismE0ELb0ELb0ES3_PKdPddZZZN2at6native31launch_logcumsumexp_cuda_kernelERKNSB_10TensorBaseESF_lENKUlvE_clEvENKUlvE_clEvEUlddE_dEEDaPvRmT3_T4_T5_mT6_P12ihipStream_tbENKUlT_T0_E_clISt17integral_constantIbLb1EESV_IbLb0EEEEDaSR_SS_EUlSR_E0_NS1_11comp_targetILNS1_3genE9ELNS1_11target_archE1100ELNS1_3gpuE3ELNS1_3repE0EEENS1_30default_config_static_selectorELNS0_4arch9wavefront6targetE0EEEvT1_.has_indirect_call, 0
	.section	.AMDGPU.csdata,"",@progbits
; Kernel info:
; codeLenInByte = 0
; TotalNumSgprs: 0
; NumVgprs: 0
; ScratchSize: 0
; MemoryBound: 0
; FloatMode: 240
; IeeeMode: 1
; LDSByteSize: 0 bytes/workgroup (compile time only)
; SGPRBlocks: 0
; VGPRBlocks: 0
; NumSGPRsForWavesPerEU: 1
; NumVGPRsForWavesPerEU: 1
; Occupancy: 16
; WaveLimiterHint : 0
; COMPUTE_PGM_RSRC2:SCRATCH_EN: 0
; COMPUTE_PGM_RSRC2:USER_SGPR: 6
; COMPUTE_PGM_RSRC2:TRAP_HANDLER: 0
; COMPUTE_PGM_RSRC2:TGID_X_EN: 1
; COMPUTE_PGM_RSRC2:TGID_Y_EN: 0
; COMPUTE_PGM_RSRC2:TGID_Z_EN: 0
; COMPUTE_PGM_RSRC2:TIDIG_COMP_CNT: 0
	.section	.text._ZN7rocprim17ROCPRIM_400000_NS6detail17trampoline_kernelINS0_14default_configENS1_20scan_config_selectorIdEEZZNS1_9scan_implILNS1_25lookback_scan_determinismE0ELb0ELb0ES3_PKdPddZZZN2at6native31launch_logcumsumexp_cuda_kernelERKNSB_10TensorBaseESF_lENKUlvE_clEvENKUlvE_clEvEUlddE_dEEDaPvRmT3_T4_T5_mT6_P12ihipStream_tbENKUlT_T0_E_clISt17integral_constantIbLb1EESV_IbLb0EEEEDaSR_SS_EUlSR_E0_NS1_11comp_targetILNS1_3genE8ELNS1_11target_archE1030ELNS1_3gpuE2ELNS1_3repE0EEENS1_30default_config_static_selectorELNS0_4arch9wavefront6targetE0EEEvT1_,"axG",@progbits,_ZN7rocprim17ROCPRIM_400000_NS6detail17trampoline_kernelINS0_14default_configENS1_20scan_config_selectorIdEEZZNS1_9scan_implILNS1_25lookback_scan_determinismE0ELb0ELb0ES3_PKdPddZZZN2at6native31launch_logcumsumexp_cuda_kernelERKNSB_10TensorBaseESF_lENKUlvE_clEvENKUlvE_clEvEUlddE_dEEDaPvRmT3_T4_T5_mT6_P12ihipStream_tbENKUlT_T0_E_clISt17integral_constantIbLb1EESV_IbLb0EEEEDaSR_SS_EUlSR_E0_NS1_11comp_targetILNS1_3genE8ELNS1_11target_archE1030ELNS1_3gpuE2ELNS1_3repE0EEENS1_30default_config_static_selectorELNS0_4arch9wavefront6targetE0EEEvT1_,comdat
	.globl	_ZN7rocprim17ROCPRIM_400000_NS6detail17trampoline_kernelINS0_14default_configENS1_20scan_config_selectorIdEEZZNS1_9scan_implILNS1_25lookback_scan_determinismE0ELb0ELb0ES3_PKdPddZZZN2at6native31launch_logcumsumexp_cuda_kernelERKNSB_10TensorBaseESF_lENKUlvE_clEvENKUlvE_clEvEUlddE_dEEDaPvRmT3_T4_T5_mT6_P12ihipStream_tbENKUlT_T0_E_clISt17integral_constantIbLb1EESV_IbLb0EEEEDaSR_SS_EUlSR_E0_NS1_11comp_targetILNS1_3genE8ELNS1_11target_archE1030ELNS1_3gpuE2ELNS1_3repE0EEENS1_30default_config_static_selectorELNS0_4arch9wavefront6targetE0EEEvT1_ ; -- Begin function _ZN7rocprim17ROCPRIM_400000_NS6detail17trampoline_kernelINS0_14default_configENS1_20scan_config_selectorIdEEZZNS1_9scan_implILNS1_25lookback_scan_determinismE0ELb0ELb0ES3_PKdPddZZZN2at6native31launch_logcumsumexp_cuda_kernelERKNSB_10TensorBaseESF_lENKUlvE_clEvENKUlvE_clEvEUlddE_dEEDaPvRmT3_T4_T5_mT6_P12ihipStream_tbENKUlT_T0_E_clISt17integral_constantIbLb1EESV_IbLb0EEEEDaSR_SS_EUlSR_E0_NS1_11comp_targetILNS1_3genE8ELNS1_11target_archE1030ELNS1_3gpuE2ELNS1_3repE0EEENS1_30default_config_static_selectorELNS0_4arch9wavefront6targetE0EEEvT1_
	.p2align	8
	.type	_ZN7rocprim17ROCPRIM_400000_NS6detail17trampoline_kernelINS0_14default_configENS1_20scan_config_selectorIdEEZZNS1_9scan_implILNS1_25lookback_scan_determinismE0ELb0ELb0ES3_PKdPddZZZN2at6native31launch_logcumsumexp_cuda_kernelERKNSB_10TensorBaseESF_lENKUlvE_clEvENKUlvE_clEvEUlddE_dEEDaPvRmT3_T4_T5_mT6_P12ihipStream_tbENKUlT_T0_E_clISt17integral_constantIbLb1EESV_IbLb0EEEEDaSR_SS_EUlSR_E0_NS1_11comp_targetILNS1_3genE8ELNS1_11target_archE1030ELNS1_3gpuE2ELNS1_3repE0EEENS1_30default_config_static_selectorELNS0_4arch9wavefront6targetE0EEEvT1_,@function
_ZN7rocprim17ROCPRIM_400000_NS6detail17trampoline_kernelINS0_14default_configENS1_20scan_config_selectorIdEEZZNS1_9scan_implILNS1_25lookback_scan_determinismE0ELb0ELb0ES3_PKdPddZZZN2at6native31launch_logcumsumexp_cuda_kernelERKNSB_10TensorBaseESF_lENKUlvE_clEvENKUlvE_clEvEUlddE_dEEDaPvRmT3_T4_T5_mT6_P12ihipStream_tbENKUlT_T0_E_clISt17integral_constantIbLb1EESV_IbLb0EEEEDaSR_SS_EUlSR_E0_NS1_11comp_targetILNS1_3genE8ELNS1_11target_archE1030ELNS1_3gpuE2ELNS1_3repE0EEENS1_30default_config_static_selectorELNS0_4arch9wavefront6targetE0EEEvT1_: ; @_ZN7rocprim17ROCPRIM_400000_NS6detail17trampoline_kernelINS0_14default_configENS1_20scan_config_selectorIdEEZZNS1_9scan_implILNS1_25lookback_scan_determinismE0ELb0ELb0ES3_PKdPddZZZN2at6native31launch_logcumsumexp_cuda_kernelERKNSB_10TensorBaseESF_lENKUlvE_clEvENKUlvE_clEvEUlddE_dEEDaPvRmT3_T4_T5_mT6_P12ihipStream_tbENKUlT_T0_E_clISt17integral_constantIbLb1EESV_IbLb0EEEEDaSR_SS_EUlSR_E0_NS1_11comp_targetILNS1_3genE8ELNS1_11target_archE1030ELNS1_3gpuE2ELNS1_3repE0EEENS1_30default_config_static_selectorELNS0_4arch9wavefront6targetE0EEEvT1_
; %bb.0:
	s_load_dwordx4 s[16:19], s[4:5], 0x0
	v_lshlrev_b32_e32 v69, 3, v0
	s_waitcnt lgkmcnt(0)
	s_load_dwordx2 s[20:21], s[16:17], 0x0
	v_cmp_gt_u32_e32 vcc_lo, s18, v0
	s_waitcnt lgkmcnt(0)
	v_mov_b32_e32 v1, s20
	v_mov_b32_e32 v2, s21
	s_and_saveexec_b32 s0, vcc_lo
	s_cbranch_execz .LBB64_2
; %bb.1:
	global_load_dwordx2 v[1:2], v69, s[16:17]
.LBB64_2:
	s_or_b32 exec_lo, exec_lo, s0
	v_or_b32_e32 v3, 0x80, v0
	v_cmp_gt_u32_e64 s0, s18, v3
	v_mov_b32_e32 v3, s20
	v_mov_b32_e32 v4, s21
	s_and_saveexec_b32 s1, s0
	s_cbranch_execz .LBB64_4
; %bb.3:
	global_load_dwordx2 v[3:4], v69, s[16:17] offset:1024
.LBB64_4:
	s_or_b32 exec_lo, exec_lo, s1
	v_or_b32_e32 v7, 0x100, v0
	v_mov_b32_e32 v5, s20
	v_mov_b32_e32 v6, s21
	v_cmp_gt_u32_e64 s1, s18, v7
	s_and_saveexec_b32 s2, s1
	s_cbranch_execz .LBB64_6
; %bb.5:
	v_lshlrev_b32_e32 v5, 3, v7
	global_load_dwordx2 v[5:6], v5, s[16:17]
.LBB64_6:
	s_or_b32 exec_lo, exec_lo, s2
	v_or_b32_e32 v9, 0x180, v0
	v_mov_b32_e32 v7, s20
	v_mov_b32_e32 v8, s21
	v_cmp_gt_u32_e64 s2, s18, v9
	s_and_saveexec_b32 s3, s2
	s_cbranch_execz .LBB64_8
; %bb.7:
	v_lshlrev_b32_e32 v7, 3, v9
	global_load_dwordx2 v[7:8], v7, s[16:17]
.LBB64_8:
	;; [unrolled: 11-line block ×12, first 2 shown]
	s_or_b32 exec_lo, exec_lo, s15
	s_waitcnt vmcnt(0)
	ds_write2st64_b64 v69, v[1:2], v[3:4] offset1:2
	ds_write2st64_b64 v69, v[5:6], v[7:8] offset0:4 offset1:6
	ds_write2st64_b64 v69, v[9:10], v[11:12] offset0:8 offset1:10
	;; [unrolled: 1-line block ×5, first 2 shown]
	v_mad_u32_u24 v5, 0x68, v0, v69
	ds_write2st64_b64 v69, v[25:26], v[27:28] offset0:24 offset1:26
	s_waitcnt lgkmcnt(0)
	s_barrier
	buffer_gl0_inv
	ds_read_b128 v[1:4], v5
	ds_read_b128 v[25:28], v5 offset:16
	s_waitcnt lgkmcnt(1)
	v_max_f64 v[33:34], v[3:4], v[3:4]
	v_max_f64 v[55:56], v[1:2], v[1:2]
	v_cmp_u_f64_e64 s28, v[1:2], v[1:2]
	v_cmp_u_f64_e64 s15, v[3:4], v[3:4]
	v_mov_b32_e32 v62, v2
	v_mov_b32_e32 v61, v1
	v_min_f64 v[57:58], v[55:56], v[33:34]
	v_max_f64 v[59:60], v[55:56], v[33:34]
	v_cndmask_b32_e64 v6, v57, v1, s28
	v_cndmask_b32_e64 v7, v58, v2, s28
	v_cndmask_b32_e64 v8, v60, v2, s28
	v_cndmask_b32_e64 v9, v59, v1, s28
	v_cndmask_b32_e64 v31, v6, v3, s15
	v_cndmask_b32_e64 v32, v7, v4, s15
	v_cndmask_b32_e64 v30, v8, v4, s15
	v_cndmask_b32_e64 v29, v9, v3, s15
	ds_read_b128 v[21:24], v5 offset:32
	ds_read_b128 v[17:20], v5 offset:48
	ds_read_b128 v[13:16], v5 offset:64
	ds_read_b128 v[9:12], v5 offset:80
	ds_read_b128 v[5:8], v5 offset:96
	s_waitcnt lgkmcnt(0)
	v_cmp_class_f64_e64 s17, v[31:32], 0x1f8
	s_barrier
	v_cmp_neq_f64_e64 s16, v[31:32], v[29:30]
	buffer_gl0_inv
	s_or_b32 s16, s16, s17
	s_and_saveexec_b32 s22, s16
	s_cbranch_execz .LBB64_30
; %bb.29:
	v_add_f64 v[31:32], v[31:32], -v[29:30]
	s_mov_b32 s16, 0x652b82fe
	s_mov_b32 s17, 0x3ff71547
	;; [unrolled: 1-line block ×10, first 2 shown]
	v_mul_f64 v[35:36], v[31:32], s[16:17]
	s_mov_b32 s16, 0xfca7ab0c
	s_mov_b32 s17, 0x3e928af3
	v_rndne_f64_e32 v[35:36], v[35:36]
	v_fma_f64 v[37:38], v[35:36], s[18:19], v[31:32]
	v_cvt_i32_f64_e32 v41, v[35:36]
	s_mov_b32 s19, 0x3fe62e42
	v_fma_f64 v[37:38], v[35:36], s[20:21], v[37:38]
	s_mov_b32 s21, 0x3c7abc9e
	v_fma_f64 v[39:40], v[37:38], s[24:25], s[16:17]
	s_mov_b32 s16, 0x623fde64
	s_mov_b32 s17, 0x3ec71dee
	;; [unrolled: 1-line block ×4, first 2 shown]
	v_fma_f64 v[39:40], v[37:38], v[39:40], s[16:17]
	s_mov_b32 s16, 0x7c89e6b0
	s_mov_b32 s17, 0x3efa0199
	v_fma_f64 v[39:40], v[37:38], v[39:40], s[16:17]
	s_mov_b32 s16, 0x14761f6e
	s_mov_b32 s17, 0x3f2a01a0
	;; [unrolled: 3-line block ×7, first 2 shown]
	v_fma_f64 v[39:40], v[37:38], v[39:40], s[16:17]
	v_cmp_nlt_f64_e64 s16, 0x40900000, v[31:32]
	v_cmp_ngt_f64_e64 s17, 0xc090cc00, v[31:32]
	v_fma_f64 v[39:40], v[37:38], v[39:40], 1.0
	v_fma_f64 v[35:36], v[37:38], v[39:40], 1.0
	v_ldexp_f64 v[35:36], v[35:36], v41
	v_cndmask_b32_e64 v36, 0x7ff00000, v36, s16
	s_and_b32 s16, s17, s16
	v_cndmask_b32_e64 v31, 0, v35, s16
	s_mov_b32 s16, 0x55555555
	v_cndmask_b32_e64 v32, 0, v36, s17
	s_mov_b32 s17, 0x3fe55555
	v_add_f64 v[35:36], v[31:32], 1.0
	v_frexp_mant_f64_e32 v[37:38], v[35:36]
	v_frexp_exp_i32_f64_e32 v41, v[35:36]
	v_add_f64 v[39:40], v[35:36], -1.0
	v_cmp_gt_f64_e64 s16, s[16:17], v[37:38]
	v_add_f64 v[37:38], v[39:40], -v[35:36]
	v_add_f64 v[39:40], v[31:32], -v[39:40]
	v_subrev_co_ci_u32_e64 v63, null, 0, v41, s16
	v_add_f64 v[37:38], v[37:38], 1.0
	s_mov_b32 s16, 0x55555780
	v_sub_nc_u32_e32 v43, 0, v63
	v_ldexp_f64 v[35:36], v[35:36], v43
	v_add_f64 v[37:38], v[39:40], v[37:38]
	v_add_f64 v[41:42], v[35:36], 1.0
	v_add_f64 v[47:48], v[35:36], -1.0
	v_ldexp_f64 v[37:38], v[37:38], v43
	v_add_f64 v[39:40], v[41:42], -1.0
	v_add_f64 v[49:50], v[47:48], 1.0
	v_add_f64 v[39:40], v[35:36], -v[39:40]
	v_add_f64 v[35:36], v[35:36], -v[49:50]
	v_add_f64 v[39:40], v[37:38], v[39:40]
	v_add_f64 v[35:36], v[37:38], v[35:36]
	v_add_f64 v[43:44], v[41:42], v[39:40]
	v_add_f64 v[49:50], v[47:48], v[35:36]
	v_rcp_f64_e32 v[45:46], v[43:44]
	v_add_f64 v[41:42], v[43:44], -v[41:42]
	v_add_f64 v[47:48], v[49:50], -v[47:48]
	;; [unrolled: 1-line block ×3, first 2 shown]
	v_fma_f64 v[51:52], -v[43:44], v[45:46], 1.0
	v_add_f64 v[35:36], v[35:36], -v[47:48]
	v_fma_f64 v[45:46], v[51:52], v[45:46], v[45:46]
	v_fma_f64 v[37:38], -v[43:44], v[45:46], 1.0
	v_fma_f64 v[37:38], v[37:38], v[45:46], v[45:46]
	v_mul_f64 v[45:46], v[49:50], v[37:38]
	v_mul_f64 v[51:52], v[43:44], v[45:46]
	v_fma_f64 v[41:42], v[45:46], v[43:44], -v[51:52]
	v_fma_f64 v[41:42], v[45:46], v[39:40], v[41:42]
	v_add_f64 v[53:54], v[51:52], v[41:42]
	v_add_f64 v[61:62], v[49:50], -v[53:54]
	v_add_f64 v[47:48], v[53:54], -v[51:52]
	;; [unrolled: 1-line block ×5, first 2 shown]
	v_add_f64 v[35:36], v[35:36], v[49:50]
	v_add_f64 v[35:36], v[41:42], v[35:36]
	;; [unrolled: 1-line block ×3, first 2 shown]
	v_mul_f64 v[47:48], v[37:38], v[41:42]
	v_add_f64 v[53:54], v[61:62], -v[41:42]
	v_mul_f64 v[49:50], v[43:44], v[47:48]
	v_add_f64 v[35:36], v[35:36], v[53:54]
	v_fma_f64 v[43:44], v[47:48], v[43:44], -v[49:50]
	v_fma_f64 v[39:40], v[47:48], v[39:40], v[43:44]
	v_add_f64 v[43:44], v[49:50], v[39:40]
	v_add_f64 v[51:52], v[41:42], -v[43:44]
	v_add_f64 v[49:50], v[43:44], -v[49:50]
	;; [unrolled: 1-line block ×5, first 2 shown]
	v_add_f64 v[35:36], v[35:36], v[41:42]
	v_add_f64 v[41:42], v[45:46], v[47:48]
	;; [unrolled: 1-line block ×3, first 2 shown]
	v_add_f64 v[39:40], v[41:42], -v[45:46]
	v_add_f64 v[35:36], v[51:52], v[35:36]
	v_add_f64 v[39:40], v[47:48], -v[39:40]
	v_mul_f64 v[35:36], v[37:38], v[35:36]
	v_add_f64 v[35:36], v[39:40], v[35:36]
	v_add_f64 v[37:38], v[41:42], v[35:36]
	v_mul_f64 v[39:40], v[37:38], v[37:38]
	v_fma_f64 v[43:44], v[39:40], s[26:27], s[24:25]
	s_mov_b32 s24, 0xd7f4df2e
	s_mov_b32 s25, 0x3fc7474d
	v_mul_f64 v[45:46], v[37:38], v[39:40]
	v_fma_f64 v[43:44], v[39:40], v[43:44], s[24:25]
	s_mov_b32 s24, 0x16291751
	s_mov_b32 s25, 0x3fcc71c0
	v_fma_f64 v[43:44], v[39:40], v[43:44], s[24:25]
	s_mov_b32 s24, 0x9b27acf1
	s_mov_b32 s25, 0x3fd24924
	;; [unrolled: 3-line block ×3, first 2 shown]
	v_fma_f64 v[43:44], v[39:40], v[43:44], s[24:25]
	v_fma_f64 v[39:40], v[39:40], v[43:44], s[16:17]
	v_ldexp_f64 v[43:44], v[37:38], 1
	v_add_f64 v[37:38], v[37:38], -v[41:42]
	v_cmp_nge_f64_e64 s16, -1.0, v[31:32]
	v_cmp_neq_f64_e64 s17, 0x7ff00000, v[31:32]
	v_mul_f64 v[39:40], v[45:46], v[39:40]
	v_cvt_f64_i32_e32 v[45:46], v63
	v_add_f64 v[35:36], v[35:36], -v[37:38]
	s_and_b32 s16, s16, s17
	v_add_f64 v[41:42], v[43:44], v[39:40]
	v_mul_f64 v[47:48], v[45:46], s[18:19]
	v_ldexp_f64 v[35:36], v[35:36], 1
	v_add_f64 v[37:38], v[41:42], -v[43:44]
	v_fma_f64 v[43:44], v[45:46], s[18:19], -v[47:48]
	v_cmp_ngt_f64_e64 s18, -1.0, v[31:32]
	v_add_f64 v[37:38], v[39:40], -v[37:38]
	v_fma_f64 v[39:40], v[45:46], s[20:21], v[43:44]
	v_add_f64 v[35:36], v[35:36], v[37:38]
	v_add_f64 v[37:38], v[47:48], v[39:40]
	;; [unrolled: 1-line block ×3, first 2 shown]
	v_add_f64 v[47:48], v[37:38], -v[47:48]
	v_add_f64 v[45:46], v[37:38], v[43:44]
	v_add_f64 v[41:42], v[43:44], -v[41:42]
	v_add_f64 v[39:40], v[39:40], -v[47:48]
	;; [unrolled: 1-line block ×6, first 2 shown]
	v_add_f64 v[43:44], v[39:40], v[35:36]
	v_add_f64 v[37:38], v[37:38], -v[51:52]
	v_add_f64 v[37:38], v[41:42], v[37:38]
	v_add_f64 v[41:42], v[43:44], -v[39:40]
	;; [unrolled: 2-line block ×3, first 2 shown]
	v_add_f64 v[35:36], v[35:36], -v[41:42]
	v_add_f64 v[47:48], v[45:46], v[37:38]
	v_add_f64 v[39:40], v[39:40], -v[43:44]
	v_add_f64 v[41:42], v[47:48], -v[45:46]
	v_add_f64 v[35:36], v[35:36], v[39:40]
	v_add_f64 v[37:38], v[37:38], -v[41:42]
	v_add_f64 v[35:36], v[35:36], v[37:38]
	v_add_f64 v[35:36], v[47:48], v[35:36]
	v_cndmask_b32_e64 v35, 0, v35, s16
	v_cmp_neq_f64_e64 s16, -1.0, v[31:32]
	v_cndmask_b32_e64 v36, 0x7ff00000, v36, s17
	v_cndmask_b32_e64 v36, 0x7ff80000, v36, s18
	;; [unrolled: 1-line block ×3, first 2 shown]
	v_add_f64 v[61:62], v[29:30], v[35:36]
.LBB64_30:
	s_or_b32 exec_lo, exec_lo, s22
	v_max_f64 v[29:30], v[25:26], v[25:26]
	v_max_f64 v[31:32], v[61:62], v[61:62]
	v_cmp_u_f64_e64 s17, v[61:62], v[61:62]
	v_cmp_u_f64_e64 s16, v[25:26], v[25:26]
	v_min_f64 v[35:36], v[31:32], v[29:30]
	v_max_f64 v[31:32], v[31:32], v[29:30]
	v_cndmask_b32_e64 v35, v35, v61, s17
	v_cndmask_b32_e64 v36, v36, v62, s17
	;; [unrolled: 1-line block ×8, first 2 shown]
	v_cmp_class_f64_e64 s18, v[35:36], 0x1f8
	v_cmp_neq_f64_e64 s17, v[35:36], v[31:32]
	s_or_b32 s17, s17, s18
	s_and_saveexec_b32 s24, s17
	s_cbranch_execz .LBB64_32
; %bb.31:
	v_add_f64 v[35:36], v[35:36], -v[31:32]
	s_mov_b32 s18, 0x652b82fe
	s_mov_b32 s19, 0x3ff71547
	;; [unrolled: 1-line block ×10, first 2 shown]
	v_mul_f64 v[37:38], v[35:36], s[18:19]
	s_mov_b32 s18, 0xfca7ab0c
	s_mov_b32 s19, 0x3e928af3
	v_cmp_nlt_f64_e64 s17, 0x40900000, v[35:36]
	v_rndne_f64_e32 v[37:38], v[37:38]
	v_fma_f64 v[39:40], v[37:38], s[20:21], v[35:36]
	v_cvt_i32_f64_e32 v43, v[37:38]
	s_mov_b32 s21, 0x3fe62e42
	v_fma_f64 v[39:40], v[37:38], s[22:23], v[39:40]
	s_mov_b32 s23, 0x3c7abc9e
	v_fma_f64 v[41:42], v[39:40], s[26:27], s[18:19]
	s_mov_b32 s18, 0x623fde64
	s_mov_b32 s19, 0x3ec71dee
	;; [unrolled: 1-line block ×4, first 2 shown]
	v_fma_f64 v[41:42], v[39:40], v[41:42], s[18:19]
	s_mov_b32 s18, 0x7c89e6b0
	s_mov_b32 s19, 0x3efa0199
	v_fma_f64 v[41:42], v[39:40], v[41:42], s[18:19]
	s_mov_b32 s18, 0x14761f6e
	s_mov_b32 s19, 0x3f2a01a0
	;; [unrolled: 3-line block ×7, first 2 shown]
	v_fma_f64 v[41:42], v[39:40], v[41:42], s[18:19]
	v_cmp_ngt_f64_e64 s18, 0xc090cc00, v[35:36]
	s_mov_b32 s19, 0x3fe55555
	v_fma_f64 v[41:42], v[39:40], v[41:42], 1.0
	v_fma_f64 v[37:38], v[39:40], v[41:42], 1.0
	v_ldexp_f64 v[37:38], v[37:38], v43
	v_cndmask_b32_e64 v38, 0x7ff00000, v38, s17
	s_and_b32 s17, s18, s17
	v_cndmask_b32_e64 v35, 0, v37, s17
	v_cndmask_b32_e64 v36, 0, v38, s18
	s_mov_b32 s18, 0x55555555
	v_add_f64 v[37:38], v[35:36], 1.0
	v_frexp_mant_f64_e32 v[39:40], v[37:38]
	v_frexp_exp_i32_f64_e32 v43, v[37:38]
	v_add_f64 v[41:42], v[37:38], -1.0
	v_cmp_gt_f64_e64 s17, s[18:19], v[39:40]
	s_mov_b32 s18, 0x55555780
	v_add_f64 v[39:40], v[41:42], -v[37:38]
	v_add_f64 v[41:42], v[35:36], -v[41:42]
	v_subrev_co_ci_u32_e64 v65, null, 0, v43, s17
	v_add_f64 v[39:40], v[39:40], 1.0
	v_cmp_nge_f64_e64 s17, -1.0, v[35:36]
	v_sub_nc_u32_e32 v45, 0, v65
	v_ldexp_f64 v[37:38], v[37:38], v45
	v_add_f64 v[39:40], v[41:42], v[39:40]
	v_add_f64 v[43:44], v[37:38], 1.0
	v_add_f64 v[49:50], v[37:38], -1.0
	v_ldexp_f64 v[39:40], v[39:40], v45
	v_add_f64 v[41:42], v[43:44], -1.0
	v_add_f64 v[51:52], v[49:50], 1.0
	v_add_f64 v[41:42], v[37:38], -v[41:42]
	v_add_f64 v[37:38], v[37:38], -v[51:52]
	v_add_f64 v[41:42], v[39:40], v[41:42]
	v_add_f64 v[37:38], v[39:40], v[37:38]
	;; [unrolled: 1-line block ×4, first 2 shown]
	v_rcp_f64_e32 v[47:48], v[45:46]
	v_add_f64 v[43:44], v[45:46], -v[43:44]
	v_add_f64 v[49:50], v[51:52], -v[49:50]
	;; [unrolled: 1-line block ×3, first 2 shown]
	v_fma_f64 v[53:54], -v[45:46], v[47:48], 1.0
	v_add_f64 v[37:38], v[37:38], -v[49:50]
	v_fma_f64 v[47:48], v[53:54], v[47:48], v[47:48]
	v_fma_f64 v[39:40], -v[45:46], v[47:48], 1.0
	v_fma_f64 v[39:40], v[39:40], v[47:48], v[47:48]
	v_mul_f64 v[47:48], v[51:52], v[39:40]
	v_mul_f64 v[53:54], v[45:46], v[47:48]
	v_fma_f64 v[43:44], v[47:48], v[45:46], -v[53:54]
	v_fma_f64 v[43:44], v[47:48], v[41:42], v[43:44]
	v_add_f64 v[61:62], v[53:54], v[43:44]
	v_add_f64 v[63:64], v[51:52], -v[61:62]
	v_add_f64 v[49:50], v[61:62], -v[53:54]
	;; [unrolled: 1-line block ×5, first 2 shown]
	v_add_f64 v[37:38], v[37:38], v[51:52]
	v_add_f64 v[37:38], v[43:44], v[37:38]
	;; [unrolled: 1-line block ×3, first 2 shown]
	v_mul_f64 v[49:50], v[39:40], v[43:44]
	v_add_f64 v[61:62], v[63:64], -v[43:44]
	v_mul_f64 v[51:52], v[45:46], v[49:50]
	v_add_f64 v[37:38], v[37:38], v[61:62]
	v_fma_f64 v[45:46], v[49:50], v[45:46], -v[51:52]
	v_fma_f64 v[41:42], v[49:50], v[41:42], v[45:46]
	v_add_f64 v[45:46], v[51:52], v[41:42]
	v_add_f64 v[53:54], v[43:44], -v[45:46]
	v_add_f64 v[51:52], v[45:46], -v[51:52]
	;; [unrolled: 1-line block ×5, first 2 shown]
	v_add_f64 v[37:38], v[37:38], v[43:44]
	v_add_f64 v[43:44], v[47:48], v[49:50]
	v_add_f64 v[37:38], v[41:42], v[37:38]
	v_add_f64 v[41:42], v[43:44], -v[47:48]
	v_add_f64 v[37:38], v[53:54], v[37:38]
	v_add_f64 v[41:42], v[49:50], -v[41:42]
	v_mul_f64 v[37:38], v[39:40], v[37:38]
	v_add_f64 v[37:38], v[41:42], v[37:38]
	v_add_f64 v[39:40], v[43:44], v[37:38]
	v_mul_f64 v[41:42], v[39:40], v[39:40]
	v_fma_f64 v[45:46], v[41:42], s[30:31], s[26:27]
	s_mov_b32 s26, 0xd7f4df2e
	s_mov_b32 s27, 0x3fc7474d
	v_mul_f64 v[47:48], v[39:40], v[41:42]
	v_fma_f64 v[45:46], v[41:42], v[45:46], s[26:27]
	s_mov_b32 s26, 0x16291751
	s_mov_b32 s27, 0x3fcc71c0
	v_fma_f64 v[45:46], v[41:42], v[45:46], s[26:27]
	s_mov_b32 s26, 0x9b27acf1
	s_mov_b32 s27, 0x3fd24924
	;; [unrolled: 3-line block ×3, first 2 shown]
	v_fma_f64 v[45:46], v[41:42], v[45:46], s[26:27]
	v_fma_f64 v[41:42], v[41:42], v[45:46], s[18:19]
	v_ldexp_f64 v[45:46], v[39:40], 1
	v_add_f64 v[39:40], v[39:40], -v[43:44]
	v_cmp_neq_f64_e64 s18, 0x7ff00000, v[35:36]
	v_cmp_ngt_f64_e64 s19, -1.0, v[35:36]
	v_mul_f64 v[41:42], v[47:48], v[41:42]
	v_cvt_f64_i32_e32 v[47:48], v65
	v_add_f64 v[37:38], v[37:38], -v[39:40]
	s_and_b32 s17, s17, s18
	v_add_f64 v[43:44], v[45:46], v[41:42]
	v_mul_f64 v[49:50], v[47:48], s[20:21]
	v_ldexp_f64 v[37:38], v[37:38], 1
	v_add_f64 v[39:40], v[43:44], -v[45:46]
	v_fma_f64 v[45:46], v[47:48], s[20:21], -v[49:50]
	v_add_f64 v[39:40], v[41:42], -v[39:40]
	v_fma_f64 v[41:42], v[47:48], s[22:23], v[45:46]
	v_add_f64 v[37:38], v[37:38], v[39:40]
	v_add_f64 v[39:40], v[49:50], v[41:42]
	;; [unrolled: 1-line block ×3, first 2 shown]
	v_add_f64 v[49:50], v[39:40], -v[49:50]
	v_add_f64 v[47:48], v[39:40], v[45:46]
	v_add_f64 v[43:44], v[45:46], -v[43:44]
	v_add_f64 v[41:42], v[41:42], -v[49:50]
	;; [unrolled: 1-line block ×6, first 2 shown]
	v_add_f64 v[45:46], v[41:42], v[37:38]
	v_add_f64 v[39:40], v[39:40], -v[53:54]
	v_add_f64 v[39:40], v[43:44], v[39:40]
	v_add_f64 v[43:44], v[45:46], -v[41:42]
	;; [unrolled: 2-line block ×3, first 2 shown]
	v_add_f64 v[37:38], v[37:38], -v[43:44]
	v_add_f64 v[49:50], v[47:48], v[39:40]
	v_add_f64 v[41:42], v[41:42], -v[45:46]
	v_add_f64 v[43:44], v[49:50], -v[47:48]
	v_add_f64 v[37:38], v[37:38], v[41:42]
	v_add_f64 v[39:40], v[39:40], -v[43:44]
	v_add_f64 v[37:38], v[37:38], v[39:40]
	v_add_f64 v[37:38], v[49:50], v[37:38]
	v_cndmask_b32_e64 v37, 0, v37, s17
	v_cmp_neq_f64_e64 s17, -1.0, v[35:36]
	v_cndmask_b32_e64 v38, 0x7ff00000, v38, s18
	v_cndmask_b32_e64 v38, 0x7ff80000, v38, s19
	v_cndmask_b32_e64 v38, 0xfff00000, v38, s17
	v_add_f64 v[61:62], v[31:32], v[37:38]
.LBB64_32:
	s_or_b32 exec_lo, exec_lo, s24
	v_max_f64 v[31:32], v[27:28], v[27:28]
	v_max_f64 v[35:36], v[61:62], v[61:62]
	v_cmp_u_f64_e64 s18, v[61:62], v[61:62]
	v_cmp_u_f64_e64 s17, v[27:28], v[27:28]
	v_min_f64 v[37:38], v[35:36], v[31:32]
	v_max_f64 v[35:36], v[35:36], v[31:32]
	v_cndmask_b32_e64 v37, v37, v61, s18
	v_cndmask_b32_e64 v38, v38, v62, s18
	;; [unrolled: 1-line block ×8, first 2 shown]
	v_cmp_class_f64_e64 s19, v[37:38], 0x1f8
	v_cmp_neq_f64_e64 s18, v[37:38], v[35:36]
	s_or_b32 s18, s18, s19
	s_and_saveexec_b32 s24, s18
	s_cbranch_execz .LBB64_34
; %bb.33:
	v_add_f64 v[37:38], v[37:38], -v[35:36]
	s_mov_b32 s18, 0x652b82fe
	s_mov_b32 s19, 0x3ff71547
	;; [unrolled: 1-line block ×10, first 2 shown]
	v_mul_f64 v[39:40], v[37:38], s[18:19]
	s_mov_b32 s18, 0xfca7ab0c
	s_mov_b32 s19, 0x3e928af3
	v_rndne_f64_e32 v[39:40], v[39:40]
	v_fma_f64 v[41:42], v[39:40], s[20:21], v[37:38]
	v_cvt_i32_f64_e32 v45, v[39:40]
	s_mov_b32 s21, 0x3fe62e42
	v_fma_f64 v[41:42], v[39:40], s[22:23], v[41:42]
	s_mov_b32 s23, 0x3c7abc9e
	v_fma_f64 v[43:44], v[41:42], s[26:27], s[18:19]
	s_mov_b32 s18, 0x623fde64
	s_mov_b32 s19, 0x3ec71dee
	;; [unrolled: 1-line block ×4, first 2 shown]
	v_fma_f64 v[43:44], v[41:42], v[43:44], s[18:19]
	s_mov_b32 s18, 0x7c89e6b0
	s_mov_b32 s19, 0x3efa0199
	v_fma_f64 v[43:44], v[41:42], v[43:44], s[18:19]
	s_mov_b32 s18, 0x14761f6e
	s_mov_b32 s19, 0x3f2a01a0
	;; [unrolled: 3-line block ×7, first 2 shown]
	v_fma_f64 v[43:44], v[41:42], v[43:44], s[18:19]
	v_cmp_nlt_f64_e64 s18, 0x40900000, v[37:38]
	v_cmp_ngt_f64_e64 s19, 0xc090cc00, v[37:38]
	v_fma_f64 v[43:44], v[41:42], v[43:44], 1.0
	v_fma_f64 v[39:40], v[41:42], v[43:44], 1.0
	v_ldexp_f64 v[39:40], v[39:40], v45
	v_cndmask_b32_e64 v40, 0x7ff00000, v40, s18
	s_and_b32 s18, s19, s18
	v_cndmask_b32_e64 v37, 0, v39, s18
	s_mov_b32 s18, 0x55555555
	v_cndmask_b32_e64 v38, 0, v40, s19
	s_mov_b32 s19, 0x3fe55555
	v_add_f64 v[39:40], v[37:38], 1.0
	v_frexp_mant_f64_e32 v[41:42], v[39:40]
	v_frexp_exp_i32_f64_e32 v45, v[39:40]
	v_add_f64 v[43:44], v[39:40], -1.0
	v_cmp_gt_f64_e64 s18, s[18:19], v[41:42]
	v_add_f64 v[41:42], v[43:44], -v[39:40]
	v_add_f64 v[43:44], v[37:38], -v[43:44]
	v_subrev_co_ci_u32_e64 v67, null, 0, v45, s18
	v_add_f64 v[41:42], v[41:42], 1.0
	s_mov_b32 s18, 0x55555780
	v_sub_nc_u32_e32 v47, 0, v67
	v_ldexp_f64 v[39:40], v[39:40], v47
	v_add_f64 v[41:42], v[43:44], v[41:42]
	v_add_f64 v[45:46], v[39:40], 1.0
	v_add_f64 v[51:52], v[39:40], -1.0
	v_ldexp_f64 v[41:42], v[41:42], v47
	v_add_f64 v[43:44], v[45:46], -1.0
	v_add_f64 v[53:54], v[51:52], 1.0
	v_add_f64 v[43:44], v[39:40], -v[43:44]
	v_add_f64 v[39:40], v[39:40], -v[53:54]
	v_add_f64 v[43:44], v[41:42], v[43:44]
	v_add_f64 v[39:40], v[41:42], v[39:40]
	v_add_f64 v[47:48], v[45:46], v[43:44]
	v_add_f64 v[53:54], v[51:52], v[39:40]
	v_rcp_f64_e32 v[49:50], v[47:48]
	v_add_f64 v[45:46], v[47:48], -v[45:46]
	v_add_f64 v[51:52], v[53:54], -v[51:52]
	;; [unrolled: 1-line block ×3, first 2 shown]
	v_fma_f64 v[61:62], -v[47:48], v[49:50], 1.0
	v_add_f64 v[39:40], v[39:40], -v[51:52]
	v_fma_f64 v[49:50], v[61:62], v[49:50], v[49:50]
	v_fma_f64 v[41:42], -v[47:48], v[49:50], 1.0
	v_fma_f64 v[41:42], v[41:42], v[49:50], v[49:50]
	v_mul_f64 v[49:50], v[53:54], v[41:42]
	v_mul_f64 v[61:62], v[47:48], v[49:50]
	v_fma_f64 v[45:46], v[49:50], v[47:48], -v[61:62]
	v_fma_f64 v[45:46], v[49:50], v[43:44], v[45:46]
	v_add_f64 v[63:64], v[61:62], v[45:46]
	v_add_f64 v[65:66], v[53:54], -v[63:64]
	v_add_f64 v[51:52], v[63:64], -v[61:62]
	v_add_f64 v[53:54], v[53:54], -v[65:66]
	v_add_f64 v[45:46], v[51:52], -v[45:46]
	v_add_f64 v[53:54], v[53:54], -v[63:64]
	v_add_f64 v[39:40], v[39:40], v[53:54]
	v_add_f64 v[39:40], v[45:46], v[39:40]
	;; [unrolled: 1-line block ×3, first 2 shown]
	v_mul_f64 v[51:52], v[41:42], v[45:46]
	v_add_f64 v[63:64], v[65:66], -v[45:46]
	v_mul_f64 v[53:54], v[47:48], v[51:52]
	v_add_f64 v[39:40], v[39:40], v[63:64]
	v_fma_f64 v[47:48], v[51:52], v[47:48], -v[53:54]
	v_fma_f64 v[43:44], v[51:52], v[43:44], v[47:48]
	v_add_f64 v[47:48], v[53:54], v[43:44]
	v_add_f64 v[61:62], v[45:46], -v[47:48]
	v_add_f64 v[53:54], v[47:48], -v[53:54]
	;; [unrolled: 1-line block ×5, first 2 shown]
	v_add_f64 v[39:40], v[39:40], v[45:46]
	v_add_f64 v[45:46], v[49:50], v[51:52]
	;; [unrolled: 1-line block ×3, first 2 shown]
	v_add_f64 v[43:44], v[45:46], -v[49:50]
	v_add_f64 v[39:40], v[61:62], v[39:40]
	v_add_f64 v[43:44], v[51:52], -v[43:44]
	v_mul_f64 v[39:40], v[41:42], v[39:40]
	v_add_f64 v[39:40], v[43:44], v[39:40]
	v_add_f64 v[41:42], v[45:46], v[39:40]
	v_mul_f64 v[43:44], v[41:42], v[41:42]
	v_fma_f64 v[47:48], v[43:44], s[30:31], s[26:27]
	s_mov_b32 s26, 0xd7f4df2e
	s_mov_b32 s27, 0x3fc7474d
	v_mul_f64 v[49:50], v[41:42], v[43:44]
	v_fma_f64 v[47:48], v[43:44], v[47:48], s[26:27]
	s_mov_b32 s26, 0x16291751
	s_mov_b32 s27, 0x3fcc71c0
	v_fma_f64 v[47:48], v[43:44], v[47:48], s[26:27]
	s_mov_b32 s26, 0x9b27acf1
	s_mov_b32 s27, 0x3fd24924
	;; [unrolled: 3-line block ×3, first 2 shown]
	v_fma_f64 v[47:48], v[43:44], v[47:48], s[26:27]
	v_fma_f64 v[43:44], v[43:44], v[47:48], s[18:19]
	v_ldexp_f64 v[47:48], v[41:42], 1
	v_add_f64 v[41:42], v[41:42], -v[45:46]
	v_cmp_nge_f64_e64 s18, -1.0, v[37:38]
	v_cmp_neq_f64_e64 s19, 0x7ff00000, v[37:38]
	v_mul_f64 v[43:44], v[49:50], v[43:44]
	v_cvt_f64_i32_e32 v[49:50], v67
	v_add_f64 v[39:40], v[39:40], -v[41:42]
	s_and_b32 s18, s18, s19
	v_add_f64 v[45:46], v[47:48], v[43:44]
	v_mul_f64 v[51:52], v[49:50], s[20:21]
	v_ldexp_f64 v[39:40], v[39:40], 1
	v_add_f64 v[41:42], v[45:46], -v[47:48]
	v_fma_f64 v[47:48], v[49:50], s[20:21], -v[51:52]
	v_cmp_ngt_f64_e64 s20, -1.0, v[37:38]
	v_add_f64 v[41:42], v[43:44], -v[41:42]
	v_fma_f64 v[43:44], v[49:50], s[22:23], v[47:48]
	v_add_f64 v[39:40], v[39:40], v[41:42]
	v_add_f64 v[41:42], v[51:52], v[43:44]
	v_add_f64 v[47:48], v[45:46], v[39:40]
	v_add_f64 v[51:52], v[41:42], -v[51:52]
	v_add_f64 v[49:50], v[41:42], v[47:48]
	v_add_f64 v[45:46], v[47:48], -v[45:46]
	v_add_f64 v[43:44], v[43:44], -v[51:52]
	;; [unrolled: 1-line block ×6, first 2 shown]
	v_add_f64 v[47:48], v[43:44], v[39:40]
	v_add_f64 v[41:42], v[41:42], -v[61:62]
	v_add_f64 v[41:42], v[45:46], v[41:42]
	v_add_f64 v[45:46], v[47:48], -v[43:44]
	;; [unrolled: 2-line block ×3, first 2 shown]
	v_add_f64 v[39:40], v[39:40], -v[45:46]
	v_add_f64 v[51:52], v[49:50], v[41:42]
	v_add_f64 v[43:44], v[43:44], -v[47:48]
	v_add_f64 v[45:46], v[51:52], -v[49:50]
	v_add_f64 v[39:40], v[39:40], v[43:44]
	v_add_f64 v[41:42], v[41:42], -v[45:46]
	v_add_f64 v[39:40], v[39:40], v[41:42]
	v_add_f64 v[39:40], v[51:52], v[39:40]
	v_cndmask_b32_e64 v39, 0, v39, s18
	v_cmp_neq_f64_e64 s18, -1.0, v[37:38]
	v_cndmask_b32_e64 v40, 0x7ff00000, v40, s19
	v_cndmask_b32_e64 v40, 0x7ff80000, v40, s20
	;; [unrolled: 1-line block ×3, first 2 shown]
	v_add_f64 v[61:62], v[35:36], v[39:40]
.LBB64_34:
	s_or_b32 exec_lo, exec_lo, s24
	v_max_f64 v[35:36], v[21:22], v[21:22]
	v_max_f64 v[37:38], v[61:62], v[61:62]
	v_cmp_u_f64_e64 s19, v[61:62], v[61:62]
	v_cmp_u_f64_e64 s18, v[21:22], v[21:22]
	v_min_f64 v[39:40], v[37:38], v[35:36]
	v_max_f64 v[37:38], v[37:38], v[35:36]
	v_cndmask_b32_e64 v39, v39, v61, s19
	v_cndmask_b32_e64 v40, v40, v62, s19
	;; [unrolled: 1-line block ×8, first 2 shown]
	v_cmp_class_f64_e64 s20, v[39:40], 0x1f8
	v_cmp_neq_f64_e64 s19, v[39:40], v[37:38]
	s_or_b32 s19, s19, s20
	s_and_saveexec_b32 s26, s19
	s_cbranch_execz .LBB64_36
; %bb.35:
	v_add_f64 v[39:40], v[39:40], -v[37:38]
	s_mov_b32 s20, 0x652b82fe
	s_mov_b32 s21, 0x3ff71547
	;; [unrolled: 1-line block ×10, first 2 shown]
	v_mul_f64 v[41:42], v[39:40], s[20:21]
	s_mov_b32 s20, 0xfca7ab0c
	s_mov_b32 s21, 0x3e928af3
	v_cmp_nlt_f64_e64 s19, 0x40900000, v[39:40]
	v_rndne_f64_e32 v[41:42], v[41:42]
	v_fma_f64 v[43:44], v[41:42], s[22:23], v[39:40]
	v_cvt_i32_f64_e32 v47, v[41:42]
	s_mov_b32 s23, 0x3fe62e42
	v_fma_f64 v[43:44], v[41:42], s[24:25], v[43:44]
	s_mov_b32 s25, 0x3c7abc9e
	v_fma_f64 v[45:46], v[43:44], s[30:31], s[20:21]
	s_mov_b32 s20, 0x623fde64
	s_mov_b32 s21, 0x3ec71dee
	s_mov_b32 s30, 0x6b47b09a
	s_mov_b32 s31, 0x3fc38538
	v_fma_f64 v[45:46], v[43:44], v[45:46], s[20:21]
	s_mov_b32 s20, 0x7c89e6b0
	s_mov_b32 s21, 0x3efa0199
	v_fma_f64 v[45:46], v[43:44], v[45:46], s[20:21]
	s_mov_b32 s20, 0x14761f6e
	s_mov_b32 s21, 0x3f2a01a0
	;; [unrolled: 3-line block ×7, first 2 shown]
	v_fma_f64 v[45:46], v[43:44], v[45:46], s[20:21]
	v_cmp_ngt_f64_e64 s20, 0xc090cc00, v[39:40]
	s_mov_b32 s21, 0x3fe55555
	v_fma_f64 v[45:46], v[43:44], v[45:46], 1.0
	v_fma_f64 v[41:42], v[43:44], v[45:46], 1.0
	v_ldexp_f64 v[41:42], v[41:42], v47
	v_cndmask_b32_e64 v42, 0x7ff00000, v42, s19
	s_and_b32 s19, s20, s19
	v_cndmask_b32_e64 v39, 0, v41, s19
	v_cndmask_b32_e64 v40, 0, v42, s20
	s_mov_b32 s20, 0x55555555
	v_add_f64 v[41:42], v[39:40], 1.0
	v_frexp_mant_f64_e32 v[43:44], v[41:42]
	v_frexp_exp_i32_f64_e32 v47, v[41:42]
	v_add_f64 v[45:46], v[41:42], -1.0
	v_cmp_gt_f64_e64 s19, s[20:21], v[43:44]
	s_mov_b32 s20, 0x55555780
	v_add_f64 v[43:44], v[45:46], -v[41:42]
	v_add_f64 v[45:46], v[39:40], -v[45:46]
	v_subrev_co_ci_u32_e64 v70, null, 0, v47, s19
	v_add_f64 v[43:44], v[43:44], 1.0
	v_cmp_nge_f64_e64 s19, -1.0, v[39:40]
	v_sub_nc_u32_e32 v49, 0, v70
	v_ldexp_f64 v[41:42], v[41:42], v49
	v_add_f64 v[43:44], v[45:46], v[43:44]
	v_add_f64 v[47:48], v[41:42], 1.0
	v_add_f64 v[53:54], v[41:42], -1.0
	v_ldexp_f64 v[43:44], v[43:44], v49
	v_add_f64 v[45:46], v[47:48], -1.0
	v_add_f64 v[61:62], v[53:54], 1.0
	v_add_f64 v[45:46], v[41:42], -v[45:46]
	v_add_f64 v[41:42], v[41:42], -v[61:62]
	v_add_f64 v[45:46], v[43:44], v[45:46]
	v_add_f64 v[41:42], v[43:44], v[41:42]
	;; [unrolled: 1-line block ×4, first 2 shown]
	v_rcp_f64_e32 v[51:52], v[49:50]
	v_add_f64 v[47:48], v[49:50], -v[47:48]
	v_add_f64 v[53:54], v[61:62], -v[53:54]
	;; [unrolled: 1-line block ×3, first 2 shown]
	v_fma_f64 v[63:64], -v[49:50], v[51:52], 1.0
	v_add_f64 v[41:42], v[41:42], -v[53:54]
	v_fma_f64 v[51:52], v[63:64], v[51:52], v[51:52]
	v_fma_f64 v[43:44], -v[49:50], v[51:52], 1.0
	v_fma_f64 v[43:44], v[43:44], v[51:52], v[51:52]
	v_mul_f64 v[51:52], v[61:62], v[43:44]
	v_mul_f64 v[63:64], v[49:50], v[51:52]
	v_fma_f64 v[47:48], v[51:52], v[49:50], -v[63:64]
	v_fma_f64 v[47:48], v[51:52], v[45:46], v[47:48]
	v_add_f64 v[65:66], v[63:64], v[47:48]
	v_add_f64 v[67:68], v[61:62], -v[65:66]
	v_add_f64 v[53:54], v[65:66], -v[63:64]
	;; [unrolled: 1-line block ×5, first 2 shown]
	v_add_f64 v[41:42], v[41:42], v[61:62]
	v_add_f64 v[41:42], v[47:48], v[41:42]
	;; [unrolled: 1-line block ×3, first 2 shown]
	v_mul_f64 v[53:54], v[43:44], v[47:48]
	v_add_f64 v[65:66], v[67:68], -v[47:48]
	v_mul_f64 v[61:62], v[49:50], v[53:54]
	v_add_f64 v[41:42], v[41:42], v[65:66]
	v_fma_f64 v[49:50], v[53:54], v[49:50], -v[61:62]
	v_fma_f64 v[45:46], v[53:54], v[45:46], v[49:50]
	v_add_f64 v[49:50], v[61:62], v[45:46]
	v_add_f64 v[63:64], v[47:48], -v[49:50]
	v_add_f64 v[61:62], v[49:50], -v[61:62]
	;; [unrolled: 1-line block ×5, first 2 shown]
	v_add_f64 v[41:42], v[41:42], v[47:48]
	v_add_f64 v[47:48], v[51:52], v[53:54]
	;; [unrolled: 1-line block ×3, first 2 shown]
	v_add_f64 v[45:46], v[47:48], -v[51:52]
	v_add_f64 v[41:42], v[63:64], v[41:42]
	v_add_f64 v[45:46], v[53:54], -v[45:46]
	v_mul_f64 v[41:42], v[43:44], v[41:42]
	v_add_f64 v[41:42], v[45:46], v[41:42]
	v_add_f64 v[43:44], v[47:48], v[41:42]
	v_mul_f64 v[45:46], v[43:44], v[43:44]
	v_fma_f64 v[49:50], v[45:46], s[34:35], s[30:31]
	s_mov_b32 s30, 0xd7f4df2e
	s_mov_b32 s31, 0x3fc7474d
	v_mul_f64 v[51:52], v[43:44], v[45:46]
	v_fma_f64 v[49:50], v[45:46], v[49:50], s[30:31]
	s_mov_b32 s30, 0x16291751
	s_mov_b32 s31, 0x3fcc71c0
	v_fma_f64 v[49:50], v[45:46], v[49:50], s[30:31]
	s_mov_b32 s30, 0x9b27acf1
	s_mov_b32 s31, 0x3fd24924
	;; [unrolled: 3-line block ×3, first 2 shown]
	v_fma_f64 v[49:50], v[45:46], v[49:50], s[30:31]
	v_fma_f64 v[45:46], v[45:46], v[49:50], s[20:21]
	v_ldexp_f64 v[49:50], v[43:44], 1
	v_add_f64 v[43:44], v[43:44], -v[47:48]
	v_cmp_neq_f64_e64 s20, 0x7ff00000, v[39:40]
	v_cmp_ngt_f64_e64 s21, -1.0, v[39:40]
	v_mul_f64 v[45:46], v[51:52], v[45:46]
	v_cvt_f64_i32_e32 v[51:52], v70
	v_add_f64 v[41:42], v[41:42], -v[43:44]
	s_and_b32 s19, s19, s20
	v_add_f64 v[47:48], v[49:50], v[45:46]
	v_mul_f64 v[53:54], v[51:52], s[22:23]
	v_ldexp_f64 v[41:42], v[41:42], 1
	v_add_f64 v[43:44], v[47:48], -v[49:50]
	v_fma_f64 v[49:50], v[51:52], s[22:23], -v[53:54]
	v_add_f64 v[43:44], v[45:46], -v[43:44]
	v_fma_f64 v[45:46], v[51:52], s[24:25], v[49:50]
	v_add_f64 v[41:42], v[41:42], v[43:44]
	v_add_f64 v[43:44], v[53:54], v[45:46]
	;; [unrolled: 1-line block ×3, first 2 shown]
	v_add_f64 v[53:54], v[43:44], -v[53:54]
	v_add_f64 v[51:52], v[43:44], v[49:50]
	v_add_f64 v[47:48], v[49:50], -v[47:48]
	v_add_f64 v[45:46], v[45:46], -v[53:54]
	;; [unrolled: 1-line block ×6, first 2 shown]
	v_add_f64 v[49:50], v[45:46], v[41:42]
	v_add_f64 v[43:44], v[43:44], -v[63:64]
	v_add_f64 v[43:44], v[47:48], v[43:44]
	v_add_f64 v[47:48], v[49:50], -v[45:46]
	;; [unrolled: 2-line block ×3, first 2 shown]
	v_add_f64 v[41:42], v[41:42], -v[47:48]
	v_add_f64 v[53:54], v[51:52], v[43:44]
	v_add_f64 v[45:46], v[45:46], -v[49:50]
	v_add_f64 v[47:48], v[53:54], -v[51:52]
	v_add_f64 v[41:42], v[41:42], v[45:46]
	v_add_f64 v[43:44], v[43:44], -v[47:48]
	v_add_f64 v[41:42], v[41:42], v[43:44]
	v_add_f64 v[41:42], v[53:54], v[41:42]
	v_cndmask_b32_e64 v41, 0, v41, s19
	v_cmp_neq_f64_e64 s19, -1.0, v[39:40]
	v_cndmask_b32_e64 v42, 0x7ff00000, v42, s20
	v_cndmask_b32_e64 v42, 0x7ff80000, v42, s21
	;; [unrolled: 1-line block ×3, first 2 shown]
	v_add_f64 v[61:62], v[37:38], v[41:42]
.LBB64_36:
	s_or_b32 exec_lo, exec_lo, s26
	v_max_f64 v[37:38], v[23:24], v[23:24]
	v_max_f64 v[39:40], v[61:62], v[61:62]
	v_cmp_u_f64_e64 s20, v[61:62], v[61:62]
	v_cmp_u_f64_e64 s19, v[23:24], v[23:24]
	v_min_f64 v[41:42], v[39:40], v[37:38]
	v_max_f64 v[39:40], v[39:40], v[37:38]
	v_cndmask_b32_e64 v41, v41, v61, s20
	v_cndmask_b32_e64 v42, v42, v62, s20
	;; [unrolled: 1-line block ×8, first 2 shown]
	v_cmp_class_f64_e64 s21, v[41:42], 0x1f8
	v_cmp_neq_f64_e64 s20, v[41:42], v[39:40]
	s_or_b32 s20, s20, s21
	s_and_saveexec_b32 s26, s20
	s_cbranch_execz .LBB64_38
; %bb.37:
	v_add_f64 v[41:42], v[41:42], -v[39:40]
	s_mov_b32 s20, 0x652b82fe
	s_mov_b32 s21, 0x3ff71547
	;; [unrolled: 1-line block ×10, first 2 shown]
	v_mul_f64 v[43:44], v[41:42], s[20:21]
	s_mov_b32 s20, 0xfca7ab0c
	s_mov_b32 s21, 0x3e928af3
	v_rndne_f64_e32 v[43:44], v[43:44]
	v_fma_f64 v[45:46], v[43:44], s[22:23], v[41:42]
	v_cvt_i32_f64_e32 v49, v[43:44]
	s_mov_b32 s23, 0x3fe62e42
	v_fma_f64 v[45:46], v[43:44], s[24:25], v[45:46]
	s_mov_b32 s25, 0x3c7abc9e
	v_fma_f64 v[47:48], v[45:46], s[30:31], s[20:21]
	s_mov_b32 s20, 0x623fde64
	s_mov_b32 s21, 0x3ec71dee
	;; [unrolled: 1-line block ×4, first 2 shown]
	v_fma_f64 v[47:48], v[45:46], v[47:48], s[20:21]
	s_mov_b32 s20, 0x7c89e6b0
	s_mov_b32 s21, 0x3efa0199
	v_fma_f64 v[47:48], v[45:46], v[47:48], s[20:21]
	s_mov_b32 s20, 0x14761f6e
	s_mov_b32 s21, 0x3f2a01a0
	;; [unrolled: 3-line block ×7, first 2 shown]
	v_fma_f64 v[47:48], v[45:46], v[47:48], s[20:21]
	v_cmp_nlt_f64_e64 s20, 0x40900000, v[41:42]
	v_cmp_ngt_f64_e64 s21, 0xc090cc00, v[41:42]
	v_fma_f64 v[47:48], v[45:46], v[47:48], 1.0
	v_fma_f64 v[43:44], v[45:46], v[47:48], 1.0
	v_ldexp_f64 v[43:44], v[43:44], v49
	v_cndmask_b32_e64 v44, 0x7ff00000, v44, s20
	s_and_b32 s20, s21, s20
	v_cndmask_b32_e64 v41, 0, v43, s20
	s_mov_b32 s20, 0x55555555
	v_cndmask_b32_e64 v42, 0, v44, s21
	s_mov_b32 s21, 0x3fe55555
	v_add_f64 v[43:44], v[41:42], 1.0
	v_frexp_mant_f64_e32 v[45:46], v[43:44]
	v_frexp_exp_i32_f64_e32 v49, v[43:44]
	v_add_f64 v[47:48], v[43:44], -1.0
	v_cmp_gt_f64_e64 s20, s[20:21], v[45:46]
	v_add_f64 v[45:46], v[47:48], -v[43:44]
	v_add_f64 v[47:48], v[41:42], -v[47:48]
	v_subrev_co_ci_u32_e64 v72, null, 0, v49, s20
	v_add_f64 v[45:46], v[45:46], 1.0
	s_mov_b32 s20, 0x55555780
	v_sub_nc_u32_e32 v51, 0, v72
	v_ldexp_f64 v[43:44], v[43:44], v51
	v_add_f64 v[45:46], v[47:48], v[45:46]
	v_add_f64 v[49:50], v[43:44], 1.0
	v_add_f64 v[61:62], v[43:44], -1.0
	v_ldexp_f64 v[45:46], v[45:46], v51
	v_add_f64 v[47:48], v[49:50], -1.0
	v_add_f64 v[63:64], v[61:62], 1.0
	v_add_f64 v[47:48], v[43:44], -v[47:48]
	v_add_f64 v[43:44], v[43:44], -v[63:64]
	v_add_f64 v[47:48], v[45:46], v[47:48]
	v_add_f64 v[43:44], v[45:46], v[43:44]
	;; [unrolled: 1-line block ×4, first 2 shown]
	v_rcp_f64_e32 v[53:54], v[51:52]
	v_add_f64 v[49:50], v[51:52], -v[49:50]
	v_add_f64 v[61:62], v[63:64], -v[61:62]
	;; [unrolled: 1-line block ×3, first 2 shown]
	v_fma_f64 v[65:66], -v[51:52], v[53:54], 1.0
	v_add_f64 v[43:44], v[43:44], -v[61:62]
	v_fma_f64 v[53:54], v[65:66], v[53:54], v[53:54]
	v_fma_f64 v[45:46], -v[51:52], v[53:54], 1.0
	v_fma_f64 v[45:46], v[45:46], v[53:54], v[53:54]
	v_mul_f64 v[53:54], v[63:64], v[45:46]
	v_mul_f64 v[65:66], v[51:52], v[53:54]
	v_fma_f64 v[49:50], v[53:54], v[51:52], -v[65:66]
	v_fma_f64 v[49:50], v[53:54], v[47:48], v[49:50]
	v_add_f64 v[67:68], v[65:66], v[49:50]
	v_add_f64 v[70:71], v[63:64], -v[67:68]
	v_add_f64 v[61:62], v[67:68], -v[65:66]
	;; [unrolled: 1-line block ×5, first 2 shown]
	v_add_f64 v[43:44], v[43:44], v[63:64]
	v_add_f64 v[43:44], v[49:50], v[43:44]
	v_add_f64 v[49:50], v[70:71], v[43:44]
	v_mul_f64 v[61:62], v[45:46], v[49:50]
	v_add_f64 v[67:68], v[70:71], -v[49:50]
	v_mul_f64 v[63:64], v[51:52], v[61:62]
	v_add_f64 v[43:44], v[43:44], v[67:68]
	v_fma_f64 v[51:52], v[61:62], v[51:52], -v[63:64]
	v_fma_f64 v[47:48], v[61:62], v[47:48], v[51:52]
	v_add_f64 v[51:52], v[63:64], v[47:48]
	v_add_f64 v[65:66], v[49:50], -v[51:52]
	v_add_f64 v[63:64], v[51:52], -v[63:64]
	;; [unrolled: 1-line block ×5, first 2 shown]
	v_add_f64 v[43:44], v[43:44], v[49:50]
	v_add_f64 v[49:50], v[53:54], v[61:62]
	;; [unrolled: 1-line block ×3, first 2 shown]
	v_add_f64 v[47:48], v[49:50], -v[53:54]
	v_add_f64 v[43:44], v[65:66], v[43:44]
	v_add_f64 v[47:48], v[61:62], -v[47:48]
	v_mul_f64 v[43:44], v[45:46], v[43:44]
	v_add_f64 v[43:44], v[47:48], v[43:44]
	v_add_f64 v[45:46], v[49:50], v[43:44]
	v_mul_f64 v[47:48], v[45:46], v[45:46]
	v_fma_f64 v[51:52], v[47:48], s[34:35], s[30:31]
	s_mov_b32 s30, 0xd7f4df2e
	s_mov_b32 s31, 0x3fc7474d
	v_mul_f64 v[53:54], v[45:46], v[47:48]
	v_fma_f64 v[51:52], v[47:48], v[51:52], s[30:31]
	s_mov_b32 s30, 0x16291751
	s_mov_b32 s31, 0x3fcc71c0
	v_fma_f64 v[51:52], v[47:48], v[51:52], s[30:31]
	s_mov_b32 s30, 0x9b27acf1
	s_mov_b32 s31, 0x3fd24924
	;; [unrolled: 3-line block ×3, first 2 shown]
	v_fma_f64 v[51:52], v[47:48], v[51:52], s[30:31]
	v_fma_f64 v[47:48], v[47:48], v[51:52], s[20:21]
	v_ldexp_f64 v[51:52], v[45:46], 1
	v_add_f64 v[45:46], v[45:46], -v[49:50]
	v_cmp_nge_f64_e64 s20, -1.0, v[41:42]
	v_cmp_neq_f64_e64 s21, 0x7ff00000, v[41:42]
	v_mul_f64 v[47:48], v[53:54], v[47:48]
	v_cvt_f64_i32_e32 v[53:54], v72
	v_add_f64 v[43:44], v[43:44], -v[45:46]
	s_and_b32 s20, s20, s21
	v_add_f64 v[49:50], v[51:52], v[47:48]
	v_mul_f64 v[61:62], v[53:54], s[22:23]
	v_ldexp_f64 v[43:44], v[43:44], 1
	v_add_f64 v[45:46], v[49:50], -v[51:52]
	v_fma_f64 v[51:52], v[53:54], s[22:23], -v[61:62]
	v_cmp_ngt_f64_e64 s22, -1.0, v[41:42]
	v_add_f64 v[45:46], v[47:48], -v[45:46]
	v_fma_f64 v[47:48], v[53:54], s[24:25], v[51:52]
	v_add_f64 v[43:44], v[43:44], v[45:46]
	v_add_f64 v[45:46], v[61:62], v[47:48]
	;; [unrolled: 1-line block ×3, first 2 shown]
	v_add_f64 v[61:62], v[45:46], -v[61:62]
	v_add_f64 v[53:54], v[45:46], v[51:52]
	v_add_f64 v[49:50], v[51:52], -v[49:50]
	v_add_f64 v[47:48], v[47:48], -v[61:62]
	v_add_f64 v[63:64], v[53:54], -v[45:46]
	v_add_f64 v[43:44], v[43:44], -v[49:50]
	v_add_f64 v[65:66], v[53:54], -v[63:64]
	v_add_f64 v[49:50], v[51:52], -v[63:64]
	v_add_f64 v[51:52], v[47:48], v[43:44]
	v_add_f64 v[45:46], v[45:46], -v[65:66]
	v_add_f64 v[45:46], v[49:50], v[45:46]
	v_add_f64 v[49:50], v[51:52], -v[47:48]
	;; [unrolled: 2-line block ×3, first 2 shown]
	v_add_f64 v[43:44], v[43:44], -v[49:50]
	v_add_f64 v[61:62], v[53:54], v[45:46]
	v_add_f64 v[47:48], v[47:48], -v[51:52]
	v_add_f64 v[49:50], v[61:62], -v[53:54]
	v_add_f64 v[43:44], v[43:44], v[47:48]
	v_add_f64 v[45:46], v[45:46], -v[49:50]
	v_add_f64 v[43:44], v[43:44], v[45:46]
	v_add_f64 v[43:44], v[61:62], v[43:44]
	v_cndmask_b32_e64 v43, 0, v43, s20
	v_cmp_neq_f64_e64 s20, -1.0, v[41:42]
	v_cndmask_b32_e64 v44, 0x7ff00000, v44, s21
	v_cndmask_b32_e64 v44, 0x7ff80000, v44, s22
	;; [unrolled: 1-line block ×3, first 2 shown]
	v_add_f64 v[61:62], v[39:40], v[43:44]
.LBB64_38:
	s_or_b32 exec_lo, exec_lo, s26
	v_max_f64 v[39:40], v[17:18], v[17:18]
	v_max_f64 v[41:42], v[61:62], v[61:62]
	v_cmp_u_f64_e64 s21, v[61:62], v[61:62]
	v_cmp_u_f64_e64 s20, v[17:18], v[17:18]
	v_min_f64 v[43:44], v[41:42], v[39:40]
	v_max_f64 v[41:42], v[41:42], v[39:40]
	v_cndmask_b32_e64 v43, v43, v61, s21
	v_cndmask_b32_e64 v44, v44, v62, s21
	;; [unrolled: 1-line block ×8, first 2 shown]
	v_cmp_class_f64_e64 s22, v[43:44], 0x1f8
	v_cmp_neq_f64_e64 s21, v[43:44], v[41:42]
	s_or_b32 s21, s21, s22
	s_and_saveexec_b32 s29, s21
	s_cbranch_execz .LBB64_40
; %bb.39:
	v_add_f64 v[43:44], v[43:44], -v[41:42]
	s_mov_b32 s22, 0x652b82fe
	s_mov_b32 s23, 0x3ff71547
	s_mov_b32 s25, 0xbfe62e42
	s_mov_b32 s24, 0xfefa39ef
	s_mov_b32 s27, 0xbc7abc9e
	s_mov_b32 s26, 0x3b39803f
	s_mov_b32 s30, 0x6a5dcb37
	s_mov_b32 s31, 0x3e5ade15
	s_mov_b32 s34, 0xbf559e2b
	s_mov_b32 s35, 0x3fc3ab76
	v_mul_f64 v[45:46], v[43:44], s[22:23]
	s_mov_b32 s22, 0xfca7ab0c
	s_mov_b32 s23, 0x3e928af3
	v_cmp_nlt_f64_e64 s21, 0x40900000, v[43:44]
	v_rndne_f64_e32 v[45:46], v[45:46]
	v_fma_f64 v[47:48], v[45:46], s[24:25], v[43:44]
	v_cvt_i32_f64_e32 v51, v[45:46]
	s_mov_b32 s25, 0x3fe62e42
	v_fma_f64 v[47:48], v[45:46], s[26:27], v[47:48]
	s_mov_b32 s27, 0x3c7abc9e
	v_fma_f64 v[49:50], v[47:48], s[30:31], s[22:23]
	s_mov_b32 s22, 0x623fde64
	s_mov_b32 s23, 0x3ec71dee
	;; [unrolled: 1-line block ×4, first 2 shown]
	v_fma_f64 v[49:50], v[47:48], v[49:50], s[22:23]
	s_mov_b32 s22, 0x7c89e6b0
	s_mov_b32 s23, 0x3efa0199
	v_fma_f64 v[49:50], v[47:48], v[49:50], s[22:23]
	s_mov_b32 s22, 0x14761f6e
	s_mov_b32 s23, 0x3f2a01a0
	;; [unrolled: 3-line block ×7, first 2 shown]
	v_fma_f64 v[49:50], v[47:48], v[49:50], s[22:23]
	v_cmp_ngt_f64_e64 s22, 0xc090cc00, v[43:44]
	s_mov_b32 s23, 0x3fe55555
	v_fma_f64 v[49:50], v[47:48], v[49:50], 1.0
	v_fma_f64 v[45:46], v[47:48], v[49:50], 1.0
	v_ldexp_f64 v[45:46], v[45:46], v51
	v_cndmask_b32_e64 v46, 0x7ff00000, v46, s21
	s_and_b32 s21, s22, s21
	v_cndmask_b32_e64 v43, 0, v45, s21
	v_cndmask_b32_e64 v44, 0, v46, s22
	s_mov_b32 s22, 0x55555555
	v_add_f64 v[45:46], v[43:44], 1.0
	v_frexp_mant_f64_e32 v[47:48], v[45:46]
	v_frexp_exp_i32_f64_e32 v51, v[45:46]
	v_add_f64 v[49:50], v[45:46], -1.0
	v_cmp_gt_f64_e64 s21, s[22:23], v[47:48]
	s_mov_b32 s22, 0x55555780
	v_add_f64 v[47:48], v[49:50], -v[45:46]
	v_add_f64 v[49:50], v[43:44], -v[49:50]
	v_subrev_co_ci_u32_e64 v74, null, 0, v51, s21
	v_add_f64 v[47:48], v[47:48], 1.0
	v_cmp_nge_f64_e64 s21, -1.0, v[43:44]
	v_sub_nc_u32_e32 v53, 0, v74
	v_ldexp_f64 v[45:46], v[45:46], v53
	v_add_f64 v[47:48], v[49:50], v[47:48]
	v_add_f64 v[51:52], v[45:46], 1.0
	v_add_f64 v[63:64], v[45:46], -1.0
	v_ldexp_f64 v[47:48], v[47:48], v53
	v_add_f64 v[49:50], v[51:52], -1.0
	v_add_f64 v[65:66], v[63:64], 1.0
	v_add_f64 v[49:50], v[45:46], -v[49:50]
	v_add_f64 v[45:46], v[45:46], -v[65:66]
	v_add_f64 v[49:50], v[47:48], v[49:50]
	v_add_f64 v[45:46], v[47:48], v[45:46]
	;; [unrolled: 1-line block ×4, first 2 shown]
	v_rcp_f64_e32 v[61:62], v[53:54]
	v_add_f64 v[51:52], v[53:54], -v[51:52]
	v_add_f64 v[63:64], v[65:66], -v[63:64]
	;; [unrolled: 1-line block ×3, first 2 shown]
	v_fma_f64 v[67:68], -v[53:54], v[61:62], 1.0
	v_add_f64 v[45:46], v[45:46], -v[63:64]
	v_fma_f64 v[61:62], v[67:68], v[61:62], v[61:62]
	v_fma_f64 v[47:48], -v[53:54], v[61:62], 1.0
	v_fma_f64 v[47:48], v[47:48], v[61:62], v[61:62]
	v_mul_f64 v[61:62], v[65:66], v[47:48]
	v_mul_f64 v[67:68], v[53:54], v[61:62]
	v_fma_f64 v[51:52], v[61:62], v[53:54], -v[67:68]
	v_fma_f64 v[51:52], v[61:62], v[49:50], v[51:52]
	v_add_f64 v[70:71], v[67:68], v[51:52]
	v_add_f64 v[72:73], v[65:66], -v[70:71]
	v_add_f64 v[63:64], v[70:71], -v[67:68]
	v_add_f64 v[65:66], v[65:66], -v[72:73]
	v_add_f64 v[51:52], v[63:64], -v[51:52]
	v_add_f64 v[65:66], v[65:66], -v[70:71]
	v_add_f64 v[45:46], v[45:46], v[65:66]
	v_add_f64 v[45:46], v[51:52], v[45:46]
	;; [unrolled: 1-line block ×3, first 2 shown]
	v_mul_f64 v[63:64], v[47:48], v[51:52]
	v_add_f64 v[70:71], v[72:73], -v[51:52]
	v_mul_f64 v[65:66], v[53:54], v[63:64]
	v_add_f64 v[45:46], v[45:46], v[70:71]
	v_fma_f64 v[53:54], v[63:64], v[53:54], -v[65:66]
	v_fma_f64 v[49:50], v[63:64], v[49:50], v[53:54]
	v_add_f64 v[53:54], v[65:66], v[49:50]
	v_add_f64 v[67:68], v[51:52], -v[53:54]
	v_add_f64 v[65:66], v[53:54], -v[65:66]
	;; [unrolled: 1-line block ×5, first 2 shown]
	v_add_f64 v[45:46], v[45:46], v[51:52]
	v_add_f64 v[51:52], v[61:62], v[63:64]
	;; [unrolled: 1-line block ×3, first 2 shown]
	v_add_f64 v[49:50], v[51:52], -v[61:62]
	v_add_f64 v[45:46], v[67:68], v[45:46]
	v_add_f64 v[49:50], v[63:64], -v[49:50]
	v_mul_f64 v[45:46], v[47:48], v[45:46]
	v_add_f64 v[45:46], v[49:50], v[45:46]
	v_add_f64 v[47:48], v[51:52], v[45:46]
	v_mul_f64 v[49:50], v[47:48], v[47:48]
	v_fma_f64 v[53:54], v[49:50], s[34:35], s[30:31]
	s_mov_b32 s30, 0xd7f4df2e
	s_mov_b32 s31, 0x3fc7474d
	v_mul_f64 v[61:62], v[47:48], v[49:50]
	v_fma_f64 v[53:54], v[49:50], v[53:54], s[30:31]
	s_mov_b32 s30, 0x16291751
	s_mov_b32 s31, 0x3fcc71c0
	v_fma_f64 v[53:54], v[49:50], v[53:54], s[30:31]
	s_mov_b32 s30, 0x9b27acf1
	s_mov_b32 s31, 0x3fd24924
	;; [unrolled: 3-line block ×3, first 2 shown]
	v_fma_f64 v[53:54], v[49:50], v[53:54], s[30:31]
	v_fma_f64 v[49:50], v[49:50], v[53:54], s[22:23]
	v_ldexp_f64 v[53:54], v[47:48], 1
	v_add_f64 v[47:48], v[47:48], -v[51:52]
	v_cmp_neq_f64_e64 s22, 0x7ff00000, v[43:44]
	v_cmp_ngt_f64_e64 s23, -1.0, v[43:44]
	v_mul_f64 v[49:50], v[61:62], v[49:50]
	v_cvt_f64_i32_e32 v[61:62], v74
	v_add_f64 v[45:46], v[45:46], -v[47:48]
	s_and_b32 s21, s21, s22
	v_add_f64 v[51:52], v[53:54], v[49:50]
	v_mul_f64 v[63:64], v[61:62], s[24:25]
	v_ldexp_f64 v[45:46], v[45:46], 1
	v_add_f64 v[47:48], v[51:52], -v[53:54]
	v_fma_f64 v[53:54], v[61:62], s[24:25], -v[63:64]
	v_add_f64 v[47:48], v[49:50], -v[47:48]
	v_fma_f64 v[49:50], v[61:62], s[26:27], v[53:54]
	v_add_f64 v[45:46], v[45:46], v[47:48]
	v_add_f64 v[47:48], v[63:64], v[49:50]
	;; [unrolled: 1-line block ×3, first 2 shown]
	v_add_f64 v[63:64], v[47:48], -v[63:64]
	v_add_f64 v[61:62], v[47:48], v[53:54]
	v_add_f64 v[51:52], v[53:54], -v[51:52]
	v_add_f64 v[49:50], v[49:50], -v[63:64]
	;; [unrolled: 1-line block ×6, first 2 shown]
	v_add_f64 v[53:54], v[49:50], v[45:46]
	v_add_f64 v[47:48], v[47:48], -v[67:68]
	v_add_f64 v[47:48], v[51:52], v[47:48]
	v_add_f64 v[51:52], v[53:54], -v[49:50]
	;; [unrolled: 2-line block ×3, first 2 shown]
	v_add_f64 v[45:46], v[45:46], -v[51:52]
	v_add_f64 v[63:64], v[61:62], v[47:48]
	v_add_f64 v[49:50], v[49:50], -v[53:54]
	v_add_f64 v[51:52], v[63:64], -v[61:62]
	v_add_f64 v[45:46], v[45:46], v[49:50]
	v_add_f64 v[47:48], v[47:48], -v[51:52]
	v_add_f64 v[45:46], v[45:46], v[47:48]
	v_add_f64 v[45:46], v[63:64], v[45:46]
	v_cndmask_b32_e64 v45, 0, v45, s21
	v_cmp_neq_f64_e64 s21, -1.0, v[43:44]
	v_cndmask_b32_e64 v46, 0x7ff00000, v46, s22
	v_cndmask_b32_e64 v46, 0x7ff80000, v46, s23
	;; [unrolled: 1-line block ×3, first 2 shown]
	v_add_f64 v[61:62], v[41:42], v[45:46]
.LBB64_40:
	s_or_b32 exec_lo, exec_lo, s29
	v_max_f64 v[41:42], v[19:20], v[19:20]
	v_max_f64 v[43:44], v[61:62], v[61:62]
	v_cmp_u_f64_e64 s22, v[61:62], v[61:62]
	v_cmp_u_f64_e64 s21, v[19:20], v[19:20]
	v_min_f64 v[45:46], v[43:44], v[41:42]
	v_max_f64 v[43:44], v[43:44], v[41:42]
	v_cndmask_b32_e64 v45, v45, v61, s22
	v_cndmask_b32_e64 v46, v46, v62, s22
	;; [unrolled: 1-line block ×8, first 2 shown]
	v_cmp_class_f64_e64 s23, v[45:46], 0x1f8
	v_cmp_neq_f64_e64 s22, v[45:46], v[43:44]
	s_or_b32 s22, s22, s23
	s_and_saveexec_b32 s29, s22
	s_cbranch_execz .LBB64_42
; %bb.41:
	v_add_f64 v[45:46], v[45:46], -v[43:44]
	s_mov_b32 s22, 0x652b82fe
	s_mov_b32 s23, 0x3ff71547
	;; [unrolled: 1-line block ×10, first 2 shown]
	v_mul_f64 v[47:48], v[45:46], s[22:23]
	s_mov_b32 s22, 0xfca7ab0c
	s_mov_b32 s23, 0x3e928af3
	v_rndne_f64_e32 v[47:48], v[47:48]
	v_fma_f64 v[49:50], v[47:48], s[24:25], v[45:46]
	v_cvt_i32_f64_e32 v53, v[47:48]
	s_mov_b32 s25, 0x3fe62e42
	v_fma_f64 v[49:50], v[47:48], s[26:27], v[49:50]
	s_mov_b32 s27, 0x3c7abc9e
	v_fma_f64 v[51:52], v[49:50], s[30:31], s[22:23]
	s_mov_b32 s22, 0x623fde64
	s_mov_b32 s23, 0x3ec71dee
	;; [unrolled: 1-line block ×4, first 2 shown]
	v_fma_f64 v[51:52], v[49:50], v[51:52], s[22:23]
	s_mov_b32 s22, 0x7c89e6b0
	s_mov_b32 s23, 0x3efa0199
	v_fma_f64 v[51:52], v[49:50], v[51:52], s[22:23]
	s_mov_b32 s22, 0x14761f6e
	s_mov_b32 s23, 0x3f2a01a0
	;; [unrolled: 3-line block ×7, first 2 shown]
	v_fma_f64 v[51:52], v[49:50], v[51:52], s[22:23]
	v_cmp_nlt_f64_e64 s22, 0x40900000, v[45:46]
	v_cmp_ngt_f64_e64 s23, 0xc090cc00, v[45:46]
	v_fma_f64 v[51:52], v[49:50], v[51:52], 1.0
	v_fma_f64 v[47:48], v[49:50], v[51:52], 1.0
	v_ldexp_f64 v[47:48], v[47:48], v53
	v_cndmask_b32_e64 v48, 0x7ff00000, v48, s22
	s_and_b32 s22, s23, s22
	v_cndmask_b32_e64 v45, 0, v47, s22
	s_mov_b32 s22, 0x55555555
	v_cndmask_b32_e64 v46, 0, v48, s23
	s_mov_b32 s23, 0x3fe55555
	v_add_f64 v[47:48], v[45:46], 1.0
	v_frexp_mant_f64_e32 v[49:50], v[47:48]
	v_frexp_exp_i32_f64_e32 v53, v[47:48]
	v_add_f64 v[51:52], v[47:48], -1.0
	v_cmp_gt_f64_e64 s22, s[22:23], v[49:50]
	v_add_f64 v[49:50], v[51:52], -v[47:48]
	v_add_f64 v[51:52], v[45:46], -v[51:52]
	v_subrev_co_ci_u32_e64 v76, null, 0, v53, s22
	v_add_f64 v[49:50], v[49:50], 1.0
	s_mov_b32 s22, 0x55555780
	v_sub_nc_u32_e32 v61, 0, v76
	v_ldexp_f64 v[47:48], v[47:48], v61
	v_add_f64 v[49:50], v[51:52], v[49:50]
	v_add_f64 v[53:54], v[47:48], 1.0
	v_add_f64 v[65:66], v[47:48], -1.0
	v_ldexp_f64 v[49:50], v[49:50], v61
	v_add_f64 v[51:52], v[53:54], -1.0
	v_add_f64 v[67:68], v[65:66], 1.0
	v_add_f64 v[51:52], v[47:48], -v[51:52]
	v_add_f64 v[47:48], v[47:48], -v[67:68]
	v_add_f64 v[51:52], v[49:50], v[51:52]
	v_add_f64 v[47:48], v[49:50], v[47:48]
	;; [unrolled: 1-line block ×4, first 2 shown]
	v_rcp_f64_e32 v[63:64], v[61:62]
	v_add_f64 v[53:54], v[61:62], -v[53:54]
	v_add_f64 v[65:66], v[67:68], -v[65:66]
	v_add_f64 v[51:52], v[51:52], -v[53:54]
	v_fma_f64 v[70:71], -v[61:62], v[63:64], 1.0
	v_add_f64 v[47:48], v[47:48], -v[65:66]
	v_fma_f64 v[63:64], v[70:71], v[63:64], v[63:64]
	v_fma_f64 v[49:50], -v[61:62], v[63:64], 1.0
	v_fma_f64 v[49:50], v[49:50], v[63:64], v[63:64]
	v_mul_f64 v[63:64], v[67:68], v[49:50]
	v_mul_f64 v[70:71], v[61:62], v[63:64]
	v_fma_f64 v[53:54], v[63:64], v[61:62], -v[70:71]
	v_fma_f64 v[53:54], v[63:64], v[51:52], v[53:54]
	v_add_f64 v[72:73], v[70:71], v[53:54]
	v_add_f64 v[74:75], v[67:68], -v[72:73]
	v_add_f64 v[65:66], v[72:73], -v[70:71]
	;; [unrolled: 1-line block ×5, first 2 shown]
	v_add_f64 v[47:48], v[47:48], v[67:68]
	v_add_f64 v[47:48], v[53:54], v[47:48]
	;; [unrolled: 1-line block ×3, first 2 shown]
	v_mul_f64 v[65:66], v[49:50], v[53:54]
	v_add_f64 v[72:73], v[74:75], -v[53:54]
	v_mul_f64 v[67:68], v[61:62], v[65:66]
	v_add_f64 v[47:48], v[47:48], v[72:73]
	v_fma_f64 v[61:62], v[65:66], v[61:62], -v[67:68]
	v_fma_f64 v[51:52], v[65:66], v[51:52], v[61:62]
	v_add_f64 v[61:62], v[67:68], v[51:52]
	v_add_f64 v[70:71], v[53:54], -v[61:62]
	v_add_f64 v[67:68], v[61:62], -v[67:68]
	;; [unrolled: 1-line block ×5, first 2 shown]
	v_add_f64 v[47:48], v[47:48], v[53:54]
	v_add_f64 v[53:54], v[63:64], v[65:66]
	;; [unrolled: 1-line block ×3, first 2 shown]
	v_add_f64 v[51:52], v[53:54], -v[63:64]
	v_add_f64 v[47:48], v[70:71], v[47:48]
	v_add_f64 v[51:52], v[65:66], -v[51:52]
	v_mul_f64 v[47:48], v[49:50], v[47:48]
	v_add_f64 v[47:48], v[51:52], v[47:48]
	v_add_f64 v[49:50], v[53:54], v[47:48]
	v_mul_f64 v[51:52], v[49:50], v[49:50]
	v_fma_f64 v[61:62], v[51:52], s[34:35], s[30:31]
	s_mov_b32 s30, 0xd7f4df2e
	s_mov_b32 s31, 0x3fc7474d
	v_mul_f64 v[63:64], v[49:50], v[51:52]
	v_fma_f64 v[61:62], v[51:52], v[61:62], s[30:31]
	s_mov_b32 s30, 0x16291751
	s_mov_b32 s31, 0x3fcc71c0
	v_fma_f64 v[61:62], v[51:52], v[61:62], s[30:31]
	s_mov_b32 s30, 0x9b27acf1
	s_mov_b32 s31, 0x3fd24924
	;; [unrolled: 3-line block ×3, first 2 shown]
	v_fma_f64 v[61:62], v[51:52], v[61:62], s[30:31]
	v_fma_f64 v[51:52], v[51:52], v[61:62], s[22:23]
	v_ldexp_f64 v[61:62], v[49:50], 1
	v_add_f64 v[49:50], v[49:50], -v[53:54]
	v_cmp_nge_f64_e64 s22, -1.0, v[45:46]
	v_cmp_neq_f64_e64 s23, 0x7ff00000, v[45:46]
	v_mul_f64 v[51:52], v[63:64], v[51:52]
	v_cvt_f64_i32_e32 v[63:64], v76
	v_add_f64 v[47:48], v[47:48], -v[49:50]
	s_and_b32 s22, s22, s23
	v_add_f64 v[53:54], v[61:62], v[51:52]
	v_mul_f64 v[65:66], v[63:64], s[24:25]
	v_ldexp_f64 v[47:48], v[47:48], 1
	v_add_f64 v[49:50], v[53:54], -v[61:62]
	v_fma_f64 v[61:62], v[63:64], s[24:25], -v[65:66]
	v_cmp_ngt_f64_e64 s24, -1.0, v[45:46]
	v_add_f64 v[49:50], v[51:52], -v[49:50]
	v_fma_f64 v[51:52], v[63:64], s[26:27], v[61:62]
	v_add_f64 v[47:48], v[47:48], v[49:50]
	v_add_f64 v[49:50], v[65:66], v[51:52]
	;; [unrolled: 1-line block ×3, first 2 shown]
	v_add_f64 v[65:66], v[49:50], -v[65:66]
	v_add_f64 v[63:64], v[49:50], v[61:62]
	v_add_f64 v[53:54], v[61:62], -v[53:54]
	v_add_f64 v[51:52], v[51:52], -v[65:66]
	;; [unrolled: 1-line block ×6, first 2 shown]
	v_add_f64 v[61:62], v[51:52], v[47:48]
	v_add_f64 v[49:50], v[49:50], -v[70:71]
	v_add_f64 v[49:50], v[53:54], v[49:50]
	v_add_f64 v[53:54], v[61:62], -v[51:52]
	;; [unrolled: 2-line block ×3, first 2 shown]
	v_add_f64 v[47:48], v[47:48], -v[53:54]
	v_add_f64 v[65:66], v[63:64], v[49:50]
	v_add_f64 v[51:52], v[51:52], -v[61:62]
	v_add_f64 v[53:54], v[65:66], -v[63:64]
	v_add_f64 v[47:48], v[47:48], v[51:52]
	v_add_f64 v[49:50], v[49:50], -v[53:54]
	v_add_f64 v[47:48], v[47:48], v[49:50]
	v_add_f64 v[47:48], v[65:66], v[47:48]
	v_cndmask_b32_e64 v47, 0, v47, s22
	v_cmp_neq_f64_e64 s22, -1.0, v[45:46]
	v_cndmask_b32_e64 v48, 0x7ff00000, v48, s23
	v_cndmask_b32_e64 v48, 0x7ff80000, v48, s24
	;; [unrolled: 1-line block ×3, first 2 shown]
	v_add_f64 v[61:62], v[43:44], v[47:48]
.LBB64_42:
	s_or_b32 exec_lo, exec_lo, s29
	v_max_f64 v[43:44], v[13:14], v[13:14]
	v_max_f64 v[45:46], v[61:62], v[61:62]
	v_cmp_u_f64_e64 s23, v[61:62], v[61:62]
	v_cmp_u_f64_e64 s22, v[13:14], v[13:14]
	v_min_f64 v[47:48], v[45:46], v[43:44]
	v_max_f64 v[45:46], v[45:46], v[43:44]
	v_cndmask_b32_e64 v47, v47, v61, s23
	v_cndmask_b32_e64 v48, v48, v62, s23
	;; [unrolled: 1-line block ×8, first 2 shown]
	v_cmp_class_f64_e64 s24, v[47:48], 0x1f8
	v_cmp_neq_f64_e64 s23, v[47:48], v[45:46]
	s_or_b32 s23, s23, s24
	s_and_saveexec_b32 s29, s23
	s_cbranch_execz .LBB64_44
; %bb.43:
	v_add_f64 v[47:48], v[47:48], -v[45:46]
	s_mov_b32 s24, 0x652b82fe
	s_mov_b32 s25, 0x3ff71547
	;; [unrolled: 1-line block ×10, first 2 shown]
	v_mul_f64 v[49:50], v[47:48], s[24:25]
	s_mov_b32 s24, 0xfca7ab0c
	s_mov_b32 s25, 0x3e928af3
	v_cmp_nlt_f64_e64 s23, 0x40900000, v[47:48]
	v_rndne_f64_e32 v[49:50], v[49:50]
	v_fma_f64 v[51:52], v[49:50], s[26:27], v[47:48]
	v_cvt_i32_f64_e32 v61, v[49:50]
	s_mov_b32 s27, 0x3fe62e42
	v_fma_f64 v[51:52], v[49:50], s[30:31], v[51:52]
	s_mov_b32 s31, 0x3c7abc9e
	v_fma_f64 v[53:54], v[51:52], s[34:35], s[24:25]
	s_mov_b32 s24, 0x623fde64
	s_mov_b32 s25, 0x3ec71dee
	;; [unrolled: 1-line block ×4, first 2 shown]
	v_fma_f64 v[53:54], v[51:52], v[53:54], s[24:25]
	s_mov_b32 s24, 0x7c89e6b0
	s_mov_b32 s25, 0x3efa0199
	v_fma_f64 v[53:54], v[51:52], v[53:54], s[24:25]
	s_mov_b32 s24, 0x14761f6e
	s_mov_b32 s25, 0x3f2a01a0
	;; [unrolled: 3-line block ×7, first 2 shown]
	v_fma_f64 v[53:54], v[51:52], v[53:54], s[24:25]
	v_cmp_ngt_f64_e64 s24, 0xc090cc00, v[47:48]
	s_mov_b32 s25, 0x3fe55555
	v_fma_f64 v[53:54], v[51:52], v[53:54], 1.0
	v_fma_f64 v[49:50], v[51:52], v[53:54], 1.0
	v_ldexp_f64 v[49:50], v[49:50], v61
	v_cndmask_b32_e64 v50, 0x7ff00000, v50, s23
	s_and_b32 s23, s24, s23
	v_cndmask_b32_e64 v47, 0, v49, s23
	v_cndmask_b32_e64 v48, 0, v50, s24
	s_mov_b32 s24, 0x55555555
	v_add_f64 v[49:50], v[47:48], 1.0
	v_frexp_mant_f64_e32 v[51:52], v[49:50]
	v_frexp_exp_i32_f64_e32 v61, v[49:50]
	v_add_f64 v[53:54], v[49:50], -1.0
	v_cmp_gt_f64_e64 s23, s[24:25], v[51:52]
	s_mov_b32 s24, 0x55555780
	v_add_f64 v[51:52], v[53:54], -v[49:50]
	v_add_f64 v[53:54], v[47:48], -v[53:54]
	v_subrev_co_ci_u32_e64 v78, null, 0, v61, s23
	v_add_f64 v[51:52], v[51:52], 1.0
	v_cmp_nge_f64_e64 s23, -1.0, v[47:48]
	v_sub_nc_u32_e32 v63, 0, v78
	v_ldexp_f64 v[49:50], v[49:50], v63
	v_add_f64 v[51:52], v[53:54], v[51:52]
	v_add_f64 v[61:62], v[49:50], 1.0
	v_add_f64 v[67:68], v[49:50], -1.0
	v_ldexp_f64 v[51:52], v[51:52], v63
	v_add_f64 v[53:54], v[61:62], -1.0
	v_add_f64 v[70:71], v[67:68], 1.0
	v_add_f64 v[53:54], v[49:50], -v[53:54]
	v_add_f64 v[49:50], v[49:50], -v[70:71]
	v_add_f64 v[53:54], v[51:52], v[53:54]
	v_add_f64 v[49:50], v[51:52], v[49:50]
	;; [unrolled: 1-line block ×4, first 2 shown]
	v_rcp_f64_e32 v[65:66], v[63:64]
	v_add_f64 v[61:62], v[63:64], -v[61:62]
	v_add_f64 v[67:68], v[70:71], -v[67:68]
	;; [unrolled: 1-line block ×3, first 2 shown]
	v_fma_f64 v[72:73], -v[63:64], v[65:66], 1.0
	v_add_f64 v[49:50], v[49:50], -v[67:68]
	v_fma_f64 v[65:66], v[72:73], v[65:66], v[65:66]
	v_fma_f64 v[51:52], -v[63:64], v[65:66], 1.0
	v_fma_f64 v[51:52], v[51:52], v[65:66], v[65:66]
	v_mul_f64 v[65:66], v[70:71], v[51:52]
	v_mul_f64 v[72:73], v[63:64], v[65:66]
	v_fma_f64 v[61:62], v[65:66], v[63:64], -v[72:73]
	v_fma_f64 v[61:62], v[65:66], v[53:54], v[61:62]
	v_add_f64 v[74:75], v[72:73], v[61:62]
	v_add_f64 v[76:77], v[70:71], -v[74:75]
	v_add_f64 v[67:68], v[74:75], -v[72:73]
	;; [unrolled: 1-line block ×5, first 2 shown]
	v_add_f64 v[49:50], v[49:50], v[70:71]
	v_add_f64 v[49:50], v[61:62], v[49:50]
	;; [unrolled: 1-line block ×3, first 2 shown]
	v_mul_f64 v[67:68], v[51:52], v[61:62]
	v_add_f64 v[74:75], v[76:77], -v[61:62]
	v_mul_f64 v[70:71], v[63:64], v[67:68]
	v_add_f64 v[49:50], v[49:50], v[74:75]
	v_fma_f64 v[63:64], v[67:68], v[63:64], -v[70:71]
	v_fma_f64 v[53:54], v[67:68], v[53:54], v[63:64]
	v_add_f64 v[63:64], v[70:71], v[53:54]
	v_add_f64 v[72:73], v[61:62], -v[63:64]
	v_add_f64 v[70:71], v[63:64], -v[70:71]
	;; [unrolled: 1-line block ×5, first 2 shown]
	v_add_f64 v[49:50], v[49:50], v[61:62]
	v_add_f64 v[61:62], v[65:66], v[67:68]
	;; [unrolled: 1-line block ×3, first 2 shown]
	v_add_f64 v[53:54], v[61:62], -v[65:66]
	v_add_f64 v[49:50], v[72:73], v[49:50]
	v_add_f64 v[53:54], v[67:68], -v[53:54]
	v_mul_f64 v[49:50], v[51:52], v[49:50]
	v_add_f64 v[49:50], v[53:54], v[49:50]
	v_add_f64 v[51:52], v[61:62], v[49:50]
	v_mul_f64 v[53:54], v[51:52], v[51:52]
	v_fma_f64 v[63:64], v[53:54], s[36:37], s[34:35]
	s_mov_b32 s34, 0xd7f4df2e
	s_mov_b32 s35, 0x3fc7474d
	v_mul_f64 v[65:66], v[51:52], v[53:54]
	v_fma_f64 v[63:64], v[53:54], v[63:64], s[34:35]
	s_mov_b32 s34, 0x16291751
	s_mov_b32 s35, 0x3fcc71c0
	v_fma_f64 v[63:64], v[53:54], v[63:64], s[34:35]
	s_mov_b32 s34, 0x9b27acf1
	s_mov_b32 s35, 0x3fd24924
	;; [unrolled: 3-line block ×3, first 2 shown]
	v_fma_f64 v[63:64], v[53:54], v[63:64], s[34:35]
	v_fma_f64 v[53:54], v[53:54], v[63:64], s[24:25]
	v_ldexp_f64 v[63:64], v[51:52], 1
	v_add_f64 v[51:52], v[51:52], -v[61:62]
	v_cmp_neq_f64_e64 s24, 0x7ff00000, v[47:48]
	v_cmp_ngt_f64_e64 s25, -1.0, v[47:48]
	v_mul_f64 v[53:54], v[65:66], v[53:54]
	v_cvt_f64_i32_e32 v[65:66], v78
	v_add_f64 v[49:50], v[49:50], -v[51:52]
	s_and_b32 s23, s23, s24
	v_add_f64 v[61:62], v[63:64], v[53:54]
	v_mul_f64 v[67:68], v[65:66], s[26:27]
	v_ldexp_f64 v[49:50], v[49:50], 1
	v_add_f64 v[51:52], v[61:62], -v[63:64]
	v_fma_f64 v[63:64], v[65:66], s[26:27], -v[67:68]
	v_add_f64 v[51:52], v[53:54], -v[51:52]
	v_fma_f64 v[53:54], v[65:66], s[30:31], v[63:64]
	v_add_f64 v[49:50], v[49:50], v[51:52]
	v_add_f64 v[51:52], v[67:68], v[53:54]
	;; [unrolled: 1-line block ×3, first 2 shown]
	v_add_f64 v[67:68], v[51:52], -v[67:68]
	v_add_f64 v[65:66], v[51:52], v[63:64]
	v_add_f64 v[61:62], v[63:64], -v[61:62]
	v_add_f64 v[53:54], v[53:54], -v[67:68]
	;; [unrolled: 1-line block ×6, first 2 shown]
	v_add_f64 v[63:64], v[53:54], v[49:50]
	v_add_f64 v[51:52], v[51:52], -v[72:73]
	v_add_f64 v[51:52], v[61:62], v[51:52]
	v_add_f64 v[61:62], v[63:64], -v[53:54]
	v_add_f64 v[51:52], v[63:64], v[51:52]
	v_add_f64 v[63:64], v[63:64], -v[61:62]
	v_add_f64 v[49:50], v[49:50], -v[61:62]
	v_add_f64 v[67:68], v[65:66], v[51:52]
	v_add_f64 v[53:54], v[53:54], -v[63:64]
	v_add_f64 v[61:62], v[67:68], -v[65:66]
	v_add_f64 v[49:50], v[49:50], v[53:54]
	v_add_f64 v[51:52], v[51:52], -v[61:62]
	v_add_f64 v[49:50], v[49:50], v[51:52]
	v_add_f64 v[49:50], v[67:68], v[49:50]
	v_cndmask_b32_e64 v49, 0, v49, s23
	v_cmp_neq_f64_e64 s23, -1.0, v[47:48]
	v_cndmask_b32_e64 v50, 0x7ff00000, v50, s24
	v_cndmask_b32_e64 v50, 0x7ff80000, v50, s25
	;; [unrolled: 1-line block ×3, first 2 shown]
	v_add_f64 v[61:62], v[45:46], v[49:50]
.LBB64_44:
	s_or_b32 exec_lo, exec_lo, s29
	v_max_f64 v[45:46], v[15:16], v[15:16]
	v_max_f64 v[47:48], v[61:62], v[61:62]
	v_cmp_u_f64_e64 s24, v[61:62], v[61:62]
	v_cmp_u_f64_e64 s23, v[15:16], v[15:16]
	v_min_f64 v[49:50], v[47:48], v[45:46]
	v_max_f64 v[47:48], v[47:48], v[45:46]
	v_cndmask_b32_e64 v49, v49, v61, s24
	v_cndmask_b32_e64 v50, v50, v62, s24
	;; [unrolled: 1-line block ×8, first 2 shown]
	v_cmp_class_f64_e64 s25, v[49:50], 0x1f8
	v_cmp_neq_f64_e64 s24, v[49:50], v[47:48]
	s_or_b32 s24, s24, s25
	s_and_saveexec_b32 s29, s24
	s_cbranch_execz .LBB64_46
; %bb.45:
	v_add_f64 v[49:50], v[49:50], -v[47:48]
	s_mov_b32 s24, 0x652b82fe
	s_mov_b32 s25, 0x3ff71547
	;; [unrolled: 1-line block ×10, first 2 shown]
	v_mul_f64 v[51:52], v[49:50], s[24:25]
	s_mov_b32 s24, 0xfca7ab0c
	s_mov_b32 s25, 0x3e928af3
	v_rndne_f64_e32 v[51:52], v[51:52]
	v_fma_f64 v[53:54], v[51:52], s[26:27], v[49:50]
	v_cvt_i32_f64_e32 v63, v[51:52]
	s_mov_b32 s27, 0x3fe62e42
	v_fma_f64 v[53:54], v[51:52], s[30:31], v[53:54]
	s_mov_b32 s31, 0x3c7abc9e
	v_fma_f64 v[61:62], v[53:54], s[34:35], s[24:25]
	s_mov_b32 s24, 0x623fde64
	s_mov_b32 s25, 0x3ec71dee
	;; [unrolled: 1-line block ×4, first 2 shown]
	v_fma_f64 v[61:62], v[53:54], v[61:62], s[24:25]
	s_mov_b32 s24, 0x7c89e6b0
	s_mov_b32 s25, 0x3efa0199
	v_fma_f64 v[61:62], v[53:54], v[61:62], s[24:25]
	s_mov_b32 s24, 0x14761f6e
	s_mov_b32 s25, 0x3f2a01a0
	;; [unrolled: 3-line block ×7, first 2 shown]
	v_fma_f64 v[61:62], v[53:54], v[61:62], s[24:25]
	v_cmp_nlt_f64_e64 s24, 0x40900000, v[49:50]
	v_cmp_ngt_f64_e64 s25, 0xc090cc00, v[49:50]
	v_fma_f64 v[61:62], v[53:54], v[61:62], 1.0
	v_fma_f64 v[51:52], v[53:54], v[61:62], 1.0
	v_ldexp_f64 v[51:52], v[51:52], v63
	v_cndmask_b32_e64 v52, 0x7ff00000, v52, s24
	s_and_b32 s24, s25, s24
	v_cndmask_b32_e64 v49, 0, v51, s24
	s_mov_b32 s24, 0x55555555
	v_cndmask_b32_e64 v50, 0, v52, s25
	s_mov_b32 s25, 0x3fe55555
	v_add_f64 v[51:52], v[49:50], 1.0
	v_frexp_mant_f64_e32 v[53:54], v[51:52]
	v_frexp_exp_i32_f64_e32 v63, v[51:52]
	v_add_f64 v[61:62], v[51:52], -1.0
	v_cmp_gt_f64_e64 s24, s[24:25], v[53:54]
	v_add_f64 v[53:54], v[61:62], -v[51:52]
	v_add_f64 v[61:62], v[49:50], -v[61:62]
	v_subrev_co_ci_u32_e64 v80, null, 0, v63, s24
	v_add_f64 v[53:54], v[53:54], 1.0
	s_mov_b32 s24, 0x55555780
	v_sub_nc_u32_e32 v65, 0, v80
	v_ldexp_f64 v[51:52], v[51:52], v65
	v_add_f64 v[53:54], v[61:62], v[53:54]
	v_add_f64 v[63:64], v[51:52], 1.0
	v_add_f64 v[70:71], v[51:52], -1.0
	v_ldexp_f64 v[53:54], v[53:54], v65
	v_add_f64 v[61:62], v[63:64], -1.0
	v_add_f64 v[72:73], v[70:71], 1.0
	v_add_f64 v[61:62], v[51:52], -v[61:62]
	v_add_f64 v[51:52], v[51:52], -v[72:73]
	v_add_f64 v[61:62], v[53:54], v[61:62]
	v_add_f64 v[51:52], v[53:54], v[51:52]
	;; [unrolled: 1-line block ×4, first 2 shown]
	v_rcp_f64_e32 v[67:68], v[65:66]
	v_add_f64 v[63:64], v[65:66], -v[63:64]
	v_add_f64 v[70:71], v[72:73], -v[70:71]
	;; [unrolled: 1-line block ×3, first 2 shown]
	v_fma_f64 v[74:75], -v[65:66], v[67:68], 1.0
	v_add_f64 v[51:52], v[51:52], -v[70:71]
	v_fma_f64 v[67:68], v[74:75], v[67:68], v[67:68]
	v_fma_f64 v[53:54], -v[65:66], v[67:68], 1.0
	v_fma_f64 v[53:54], v[53:54], v[67:68], v[67:68]
	v_mul_f64 v[67:68], v[72:73], v[53:54]
	v_mul_f64 v[74:75], v[65:66], v[67:68]
	v_fma_f64 v[63:64], v[67:68], v[65:66], -v[74:75]
	v_fma_f64 v[63:64], v[67:68], v[61:62], v[63:64]
	v_add_f64 v[76:77], v[74:75], v[63:64]
	v_add_f64 v[78:79], v[72:73], -v[76:77]
	v_add_f64 v[70:71], v[76:77], -v[74:75]
	;; [unrolled: 1-line block ×5, first 2 shown]
	v_add_f64 v[51:52], v[51:52], v[72:73]
	v_add_f64 v[51:52], v[63:64], v[51:52]
	;; [unrolled: 1-line block ×3, first 2 shown]
	v_mul_f64 v[70:71], v[53:54], v[63:64]
	v_add_f64 v[76:77], v[78:79], -v[63:64]
	v_mul_f64 v[72:73], v[65:66], v[70:71]
	v_add_f64 v[51:52], v[51:52], v[76:77]
	v_fma_f64 v[65:66], v[70:71], v[65:66], -v[72:73]
	v_fma_f64 v[61:62], v[70:71], v[61:62], v[65:66]
	v_add_f64 v[65:66], v[72:73], v[61:62]
	v_add_f64 v[74:75], v[63:64], -v[65:66]
	v_add_f64 v[72:73], v[65:66], -v[72:73]
	;; [unrolled: 1-line block ×5, first 2 shown]
	v_add_f64 v[51:52], v[51:52], v[63:64]
	v_add_f64 v[63:64], v[67:68], v[70:71]
	;; [unrolled: 1-line block ×3, first 2 shown]
	v_add_f64 v[61:62], v[63:64], -v[67:68]
	v_add_f64 v[51:52], v[74:75], v[51:52]
	v_add_f64 v[61:62], v[70:71], -v[61:62]
	v_mul_f64 v[51:52], v[53:54], v[51:52]
	v_add_f64 v[51:52], v[61:62], v[51:52]
	v_add_f64 v[53:54], v[63:64], v[51:52]
	v_mul_f64 v[61:62], v[53:54], v[53:54]
	v_fma_f64 v[65:66], v[61:62], s[36:37], s[34:35]
	s_mov_b32 s34, 0xd7f4df2e
	s_mov_b32 s35, 0x3fc7474d
	v_mul_f64 v[67:68], v[53:54], v[61:62]
	v_fma_f64 v[65:66], v[61:62], v[65:66], s[34:35]
	s_mov_b32 s34, 0x16291751
	s_mov_b32 s35, 0x3fcc71c0
	v_fma_f64 v[65:66], v[61:62], v[65:66], s[34:35]
	s_mov_b32 s34, 0x9b27acf1
	s_mov_b32 s35, 0x3fd24924
	;; [unrolled: 3-line block ×3, first 2 shown]
	v_fma_f64 v[65:66], v[61:62], v[65:66], s[34:35]
	v_fma_f64 v[61:62], v[61:62], v[65:66], s[24:25]
	v_ldexp_f64 v[65:66], v[53:54], 1
	v_add_f64 v[53:54], v[53:54], -v[63:64]
	v_cmp_nge_f64_e64 s24, -1.0, v[49:50]
	v_cmp_neq_f64_e64 s25, 0x7ff00000, v[49:50]
	v_mul_f64 v[61:62], v[67:68], v[61:62]
	v_cvt_f64_i32_e32 v[67:68], v80
	v_add_f64 v[51:52], v[51:52], -v[53:54]
	s_and_b32 s24, s24, s25
	v_add_f64 v[63:64], v[65:66], v[61:62]
	v_mul_f64 v[70:71], v[67:68], s[26:27]
	v_ldexp_f64 v[51:52], v[51:52], 1
	v_add_f64 v[53:54], v[63:64], -v[65:66]
	v_fma_f64 v[65:66], v[67:68], s[26:27], -v[70:71]
	v_cmp_ngt_f64_e64 s26, -1.0, v[49:50]
	v_add_f64 v[53:54], v[61:62], -v[53:54]
	v_fma_f64 v[61:62], v[67:68], s[30:31], v[65:66]
	v_add_f64 v[51:52], v[51:52], v[53:54]
	v_add_f64 v[53:54], v[70:71], v[61:62]
	;; [unrolled: 1-line block ×3, first 2 shown]
	v_add_f64 v[70:71], v[53:54], -v[70:71]
	v_add_f64 v[67:68], v[53:54], v[65:66]
	v_add_f64 v[63:64], v[65:66], -v[63:64]
	v_add_f64 v[61:62], v[61:62], -v[70:71]
	;; [unrolled: 1-line block ×6, first 2 shown]
	v_add_f64 v[65:66], v[61:62], v[51:52]
	v_add_f64 v[53:54], v[53:54], -v[74:75]
	v_add_f64 v[53:54], v[63:64], v[53:54]
	v_add_f64 v[63:64], v[65:66], -v[61:62]
	;; [unrolled: 2-line block ×3, first 2 shown]
	v_add_f64 v[51:52], v[51:52], -v[63:64]
	v_add_f64 v[70:71], v[67:68], v[53:54]
	v_add_f64 v[61:62], v[61:62], -v[65:66]
	v_add_f64 v[63:64], v[70:71], -v[67:68]
	v_add_f64 v[51:52], v[51:52], v[61:62]
	v_add_f64 v[53:54], v[53:54], -v[63:64]
	v_add_f64 v[51:52], v[51:52], v[53:54]
	v_add_f64 v[51:52], v[70:71], v[51:52]
	v_cndmask_b32_e64 v51, 0, v51, s24
	v_cmp_neq_f64_e64 s24, -1.0, v[49:50]
	v_cndmask_b32_e64 v52, 0x7ff00000, v52, s25
	v_cndmask_b32_e64 v52, 0x7ff80000, v52, s26
	;; [unrolled: 1-line block ×3, first 2 shown]
	v_add_f64 v[61:62], v[47:48], v[51:52]
.LBB64_46:
	s_or_b32 exec_lo, exec_lo, s29
	v_max_f64 v[47:48], v[9:10], v[9:10]
	v_max_f64 v[49:50], v[61:62], v[61:62]
	v_cmp_u_f64_e64 s25, v[61:62], v[61:62]
	v_cmp_u_f64_e64 s24, v[9:10], v[9:10]
	v_min_f64 v[51:52], v[49:50], v[47:48]
	v_max_f64 v[49:50], v[49:50], v[47:48]
	v_cndmask_b32_e64 v51, v51, v61, s25
	v_cndmask_b32_e64 v52, v52, v62, s25
	;; [unrolled: 1-line block ×8, first 2 shown]
	v_cmp_class_f64_e64 s26, v[51:52], 0x1f8
	v_cmp_neq_f64_e64 s25, v[51:52], v[49:50]
	s_or_b32 s25, s25, s26
	s_and_saveexec_b32 s29, s25
	s_cbranch_execz .LBB64_48
; %bb.47:
	v_add_f64 v[51:52], v[51:52], -v[49:50]
	s_mov_b32 s26, 0x652b82fe
	s_mov_b32 s27, 0x3ff71547
	;; [unrolled: 1-line block ×10, first 2 shown]
	v_mul_f64 v[53:54], v[51:52], s[26:27]
	s_mov_b32 s26, 0xfca7ab0c
	s_mov_b32 s27, 0x3e928af3
	v_cmp_nlt_f64_e64 s25, 0x40900000, v[51:52]
	v_rndne_f64_e32 v[53:54], v[53:54]
	v_fma_f64 v[61:62], v[53:54], s[30:31], v[51:52]
	v_cvt_i32_f64_e32 v65, v[53:54]
	s_mov_b32 s31, 0x3fe62e42
	v_fma_f64 v[61:62], v[53:54], s[34:35], v[61:62]
	s_mov_b32 s35, 0x3c7abc9e
	v_fma_f64 v[63:64], v[61:62], s[36:37], s[26:27]
	s_mov_b32 s26, 0x623fde64
	s_mov_b32 s27, 0x3ec71dee
	;; [unrolled: 1-line block ×4, first 2 shown]
	v_fma_f64 v[63:64], v[61:62], v[63:64], s[26:27]
	s_mov_b32 s26, 0x7c89e6b0
	s_mov_b32 s27, 0x3efa0199
	v_fma_f64 v[63:64], v[61:62], v[63:64], s[26:27]
	s_mov_b32 s26, 0x14761f6e
	s_mov_b32 s27, 0x3f2a01a0
	v_fma_f64 v[63:64], v[61:62], v[63:64], s[26:27]
	s_mov_b32 s26, 0x1852b7b0
	s_mov_b32 s27, 0x3f56c16c
	v_fma_f64 v[63:64], v[61:62], v[63:64], s[26:27]
	s_mov_b32 s26, 0x11122322
	s_mov_b32 s27, 0x3f811111
	v_fma_f64 v[63:64], v[61:62], v[63:64], s[26:27]
	s_mov_b32 s26, 0x555502a1
	s_mov_b32 s27, 0x3fa55555
	v_fma_f64 v[63:64], v[61:62], v[63:64], s[26:27]
	s_mov_b32 s26, 0x55555511
	s_mov_b32 s27, 0x3fc55555
	v_fma_f64 v[63:64], v[61:62], v[63:64], s[26:27]
	s_mov_b32 s26, 11
	s_mov_b32 s27, 0x3fe00000
	v_fma_f64 v[63:64], v[61:62], v[63:64], s[26:27]
	v_cmp_ngt_f64_e64 s26, 0xc090cc00, v[51:52]
	s_mov_b32 s27, 0x3fe55555
	v_fma_f64 v[63:64], v[61:62], v[63:64], 1.0
	v_fma_f64 v[53:54], v[61:62], v[63:64], 1.0
	v_ldexp_f64 v[53:54], v[53:54], v65
	v_cndmask_b32_e64 v54, 0x7ff00000, v54, s25
	s_and_b32 s25, s26, s25
	v_cndmask_b32_e64 v51, 0, v53, s25
	v_cndmask_b32_e64 v52, 0, v54, s26
	s_mov_b32 s26, 0x55555555
	v_add_f64 v[53:54], v[51:52], 1.0
	v_frexp_mant_f64_e32 v[61:62], v[53:54]
	v_frexp_exp_i32_f64_e32 v65, v[53:54]
	v_add_f64 v[63:64], v[53:54], -1.0
	v_cmp_gt_f64_e64 s25, s[26:27], v[61:62]
	s_mov_b32 s26, 0x55555780
	v_add_f64 v[61:62], v[63:64], -v[53:54]
	v_add_f64 v[63:64], v[51:52], -v[63:64]
	v_subrev_co_ci_u32_e64 v82, null, 0, v65, s25
	v_add_f64 v[61:62], v[61:62], 1.0
	v_cmp_nge_f64_e64 s25, -1.0, v[51:52]
	v_sub_nc_u32_e32 v67, 0, v82
	v_ldexp_f64 v[53:54], v[53:54], v67
	v_add_f64 v[61:62], v[63:64], v[61:62]
	v_add_f64 v[65:66], v[53:54], 1.0
	v_add_f64 v[72:73], v[53:54], -1.0
	v_ldexp_f64 v[61:62], v[61:62], v67
	v_add_f64 v[63:64], v[65:66], -1.0
	v_add_f64 v[74:75], v[72:73], 1.0
	v_add_f64 v[63:64], v[53:54], -v[63:64]
	v_add_f64 v[53:54], v[53:54], -v[74:75]
	v_add_f64 v[63:64], v[61:62], v[63:64]
	v_add_f64 v[53:54], v[61:62], v[53:54]
	;; [unrolled: 1-line block ×4, first 2 shown]
	v_rcp_f64_e32 v[70:71], v[67:68]
	v_add_f64 v[65:66], v[67:68], -v[65:66]
	v_add_f64 v[72:73], v[74:75], -v[72:73]
	;; [unrolled: 1-line block ×3, first 2 shown]
	v_fma_f64 v[76:77], -v[67:68], v[70:71], 1.0
	v_add_f64 v[53:54], v[53:54], -v[72:73]
	v_fma_f64 v[70:71], v[76:77], v[70:71], v[70:71]
	v_fma_f64 v[61:62], -v[67:68], v[70:71], 1.0
	v_fma_f64 v[61:62], v[61:62], v[70:71], v[70:71]
	v_mul_f64 v[70:71], v[74:75], v[61:62]
	v_mul_f64 v[76:77], v[67:68], v[70:71]
	v_fma_f64 v[65:66], v[70:71], v[67:68], -v[76:77]
	v_fma_f64 v[65:66], v[70:71], v[63:64], v[65:66]
	v_add_f64 v[78:79], v[76:77], v[65:66]
	v_add_f64 v[80:81], v[74:75], -v[78:79]
	v_add_f64 v[72:73], v[78:79], -v[76:77]
	;; [unrolled: 1-line block ×5, first 2 shown]
	v_add_f64 v[53:54], v[53:54], v[74:75]
	v_add_f64 v[53:54], v[65:66], v[53:54]
	;; [unrolled: 1-line block ×3, first 2 shown]
	v_mul_f64 v[72:73], v[61:62], v[65:66]
	v_add_f64 v[78:79], v[80:81], -v[65:66]
	v_mul_f64 v[74:75], v[67:68], v[72:73]
	v_add_f64 v[53:54], v[53:54], v[78:79]
	v_fma_f64 v[67:68], v[72:73], v[67:68], -v[74:75]
	v_fma_f64 v[63:64], v[72:73], v[63:64], v[67:68]
	v_add_f64 v[67:68], v[74:75], v[63:64]
	v_add_f64 v[76:77], v[65:66], -v[67:68]
	v_add_f64 v[74:75], v[67:68], -v[74:75]
	;; [unrolled: 1-line block ×5, first 2 shown]
	v_add_f64 v[53:54], v[53:54], v[65:66]
	v_add_f64 v[65:66], v[70:71], v[72:73]
	;; [unrolled: 1-line block ×3, first 2 shown]
	v_add_f64 v[63:64], v[65:66], -v[70:71]
	v_add_f64 v[53:54], v[76:77], v[53:54]
	v_add_f64 v[63:64], v[72:73], -v[63:64]
	v_mul_f64 v[53:54], v[61:62], v[53:54]
	v_add_f64 v[53:54], v[63:64], v[53:54]
	v_add_f64 v[61:62], v[65:66], v[53:54]
	v_mul_f64 v[63:64], v[61:62], v[61:62]
	v_fma_f64 v[67:68], v[63:64], s[38:39], s[36:37]
	s_mov_b32 s36, 0xd7f4df2e
	s_mov_b32 s37, 0x3fc7474d
	v_mul_f64 v[70:71], v[61:62], v[63:64]
	v_fma_f64 v[67:68], v[63:64], v[67:68], s[36:37]
	s_mov_b32 s36, 0x16291751
	s_mov_b32 s37, 0x3fcc71c0
	v_fma_f64 v[67:68], v[63:64], v[67:68], s[36:37]
	s_mov_b32 s36, 0x9b27acf1
	s_mov_b32 s37, 0x3fd24924
	;; [unrolled: 3-line block ×3, first 2 shown]
	v_fma_f64 v[67:68], v[63:64], v[67:68], s[36:37]
	v_fma_f64 v[63:64], v[63:64], v[67:68], s[26:27]
	v_ldexp_f64 v[67:68], v[61:62], 1
	v_add_f64 v[61:62], v[61:62], -v[65:66]
	v_cmp_neq_f64_e64 s26, 0x7ff00000, v[51:52]
	v_cmp_ngt_f64_e64 s27, -1.0, v[51:52]
	v_mul_f64 v[63:64], v[70:71], v[63:64]
	v_cvt_f64_i32_e32 v[70:71], v82
	v_add_f64 v[53:54], v[53:54], -v[61:62]
	s_and_b32 s25, s25, s26
	v_add_f64 v[65:66], v[67:68], v[63:64]
	v_mul_f64 v[72:73], v[70:71], s[30:31]
	v_ldexp_f64 v[53:54], v[53:54], 1
	v_add_f64 v[61:62], v[65:66], -v[67:68]
	v_fma_f64 v[67:68], v[70:71], s[30:31], -v[72:73]
	v_add_f64 v[61:62], v[63:64], -v[61:62]
	v_fma_f64 v[63:64], v[70:71], s[34:35], v[67:68]
	v_add_f64 v[53:54], v[53:54], v[61:62]
	v_add_f64 v[61:62], v[72:73], v[63:64]
	;; [unrolled: 1-line block ×3, first 2 shown]
	v_add_f64 v[72:73], v[61:62], -v[72:73]
	v_add_f64 v[70:71], v[61:62], v[67:68]
	v_add_f64 v[65:66], v[67:68], -v[65:66]
	v_add_f64 v[63:64], v[63:64], -v[72:73]
	;; [unrolled: 1-line block ×6, first 2 shown]
	v_add_f64 v[67:68], v[63:64], v[53:54]
	v_add_f64 v[61:62], v[61:62], -v[76:77]
	v_add_f64 v[61:62], v[65:66], v[61:62]
	v_add_f64 v[65:66], v[67:68], -v[63:64]
	;; [unrolled: 2-line block ×3, first 2 shown]
	v_add_f64 v[53:54], v[53:54], -v[65:66]
	v_add_f64 v[72:73], v[70:71], v[61:62]
	v_add_f64 v[63:64], v[63:64], -v[67:68]
	v_add_f64 v[65:66], v[72:73], -v[70:71]
	v_add_f64 v[53:54], v[53:54], v[63:64]
	v_add_f64 v[61:62], v[61:62], -v[65:66]
	v_add_f64 v[53:54], v[53:54], v[61:62]
	v_add_f64 v[53:54], v[72:73], v[53:54]
	v_cndmask_b32_e64 v53, 0, v53, s25
	v_cmp_neq_f64_e64 s25, -1.0, v[51:52]
	v_cndmask_b32_e64 v54, 0x7ff00000, v54, s26
	v_cndmask_b32_e64 v54, 0x7ff80000, v54, s27
	;; [unrolled: 1-line block ×3, first 2 shown]
	v_add_f64 v[61:62], v[49:50], v[53:54]
.LBB64_48:
	s_or_b32 exec_lo, exec_lo, s29
	v_max_f64 v[49:50], v[11:12], v[11:12]
	v_max_f64 v[51:52], v[61:62], v[61:62]
	v_cmp_u_f64_e64 s26, v[61:62], v[61:62]
	v_cmp_u_f64_e64 s25, v[11:12], v[11:12]
	v_min_f64 v[53:54], v[51:52], v[49:50]
	v_max_f64 v[51:52], v[51:52], v[49:50]
	v_cndmask_b32_e64 v53, v53, v61, s26
	v_cndmask_b32_e64 v54, v54, v62, s26
	;; [unrolled: 1-line block ×8, first 2 shown]
	v_cmp_class_f64_e64 s27, v[53:54], 0x1f8
	v_cmp_neq_f64_e64 s26, v[53:54], v[51:52]
	s_or_b32 s26, s26, s27
	s_and_saveexec_b32 s33, s26
	s_cbranch_execz .LBB64_50
; %bb.49:
	v_add_f64 v[53:54], v[53:54], -v[51:52]
	s_mov_b32 s26, 0x652b82fe
	s_mov_b32 s27, 0x3ff71547
	;; [unrolled: 1-line block ×10, first 2 shown]
	v_mul_f64 v[61:62], v[53:54], s[26:27]
	s_mov_b32 s26, 0xfca7ab0c
	s_mov_b32 s27, 0x3e928af3
	v_rndne_f64_e32 v[61:62], v[61:62]
	v_fma_f64 v[63:64], v[61:62], s[30:31], v[53:54]
	v_cvt_i32_f64_e32 v67, v[61:62]
	s_mov_b32 s31, 0x3fe62e42
	v_fma_f64 v[63:64], v[61:62], s[34:35], v[63:64]
	s_mov_b32 s35, 0x3c7abc9e
	v_fma_f64 v[65:66], v[63:64], s[36:37], s[26:27]
	s_mov_b32 s26, 0x623fde64
	s_mov_b32 s27, 0x3ec71dee
	;; [unrolled: 1-line block ×4, first 2 shown]
	v_fma_f64 v[65:66], v[63:64], v[65:66], s[26:27]
	s_mov_b32 s26, 0x7c89e6b0
	s_mov_b32 s27, 0x3efa0199
	v_fma_f64 v[65:66], v[63:64], v[65:66], s[26:27]
	s_mov_b32 s26, 0x14761f6e
	s_mov_b32 s27, 0x3f2a01a0
	;; [unrolled: 3-line block ×7, first 2 shown]
	v_fma_f64 v[65:66], v[63:64], v[65:66], s[26:27]
	v_cmp_nlt_f64_e64 s26, 0x40900000, v[53:54]
	v_cmp_ngt_f64_e64 s27, 0xc090cc00, v[53:54]
	v_fma_f64 v[65:66], v[63:64], v[65:66], 1.0
	v_fma_f64 v[61:62], v[63:64], v[65:66], 1.0
	v_ldexp_f64 v[61:62], v[61:62], v67
	v_cndmask_b32_e64 v62, 0x7ff00000, v62, s26
	s_and_b32 s26, s27, s26
	v_cndmask_b32_e64 v53, 0, v61, s26
	s_mov_b32 s26, 0x55555555
	v_cndmask_b32_e64 v54, 0, v62, s27
	s_mov_b32 s27, 0x3fe55555
	v_add_f64 v[61:62], v[53:54], 1.0
	v_cmp_ngt_f64_e64 s29, -1.0, v[53:54]
	v_frexp_mant_f64_e32 v[63:64], v[61:62]
	v_frexp_exp_i32_f64_e32 v67, v[61:62]
	v_add_f64 v[65:66], v[61:62], -1.0
	v_cmp_gt_f64_e64 s26, s[26:27], v[63:64]
	v_add_f64 v[63:64], v[65:66], -v[61:62]
	v_add_f64 v[65:66], v[53:54], -v[65:66]
	v_subrev_co_ci_u32_e64 v84, null, 0, v67, s26
	v_add_f64 v[63:64], v[63:64], 1.0
	s_mov_b32 s26, 0x55555780
	v_sub_nc_u32_e32 v70, 0, v84
	v_ldexp_f64 v[61:62], v[61:62], v70
	v_add_f64 v[63:64], v[65:66], v[63:64]
	v_add_f64 v[67:68], v[61:62], 1.0
	v_add_f64 v[74:75], v[61:62], -1.0
	v_ldexp_f64 v[63:64], v[63:64], v70
	v_add_f64 v[65:66], v[67:68], -1.0
	v_add_f64 v[76:77], v[74:75], 1.0
	v_add_f64 v[65:66], v[61:62], -v[65:66]
	v_add_f64 v[61:62], v[61:62], -v[76:77]
	v_add_f64 v[65:66], v[63:64], v[65:66]
	v_add_f64 v[61:62], v[63:64], v[61:62]
	v_add_f64 v[70:71], v[67:68], v[65:66]
	v_add_f64 v[76:77], v[74:75], v[61:62]
	v_rcp_f64_e32 v[72:73], v[70:71]
	v_add_f64 v[67:68], v[70:71], -v[67:68]
	v_add_f64 v[74:75], v[76:77], -v[74:75]
	v_add_f64 v[65:66], v[65:66], -v[67:68]
	v_fma_f64 v[78:79], -v[70:71], v[72:73], 1.0
	v_add_f64 v[61:62], v[61:62], -v[74:75]
	v_fma_f64 v[72:73], v[78:79], v[72:73], v[72:73]
	v_fma_f64 v[63:64], -v[70:71], v[72:73], 1.0
	v_fma_f64 v[63:64], v[63:64], v[72:73], v[72:73]
	v_mul_f64 v[72:73], v[76:77], v[63:64]
	v_mul_f64 v[78:79], v[70:71], v[72:73]
	v_fma_f64 v[67:68], v[72:73], v[70:71], -v[78:79]
	v_fma_f64 v[67:68], v[72:73], v[65:66], v[67:68]
	v_add_f64 v[80:81], v[78:79], v[67:68]
	v_add_f64 v[82:83], v[76:77], -v[80:81]
	v_add_f64 v[74:75], v[80:81], -v[78:79]
	;; [unrolled: 1-line block ×5, first 2 shown]
	v_add_f64 v[61:62], v[61:62], v[76:77]
	v_add_f64 v[61:62], v[67:68], v[61:62]
	;; [unrolled: 1-line block ×3, first 2 shown]
	v_mul_f64 v[74:75], v[63:64], v[67:68]
	v_add_f64 v[80:81], v[82:83], -v[67:68]
	v_mul_f64 v[76:77], v[70:71], v[74:75]
	v_add_f64 v[61:62], v[61:62], v[80:81]
	v_fma_f64 v[70:71], v[74:75], v[70:71], -v[76:77]
	v_fma_f64 v[65:66], v[74:75], v[65:66], v[70:71]
	v_add_f64 v[70:71], v[76:77], v[65:66]
	v_add_f64 v[78:79], v[67:68], -v[70:71]
	v_add_f64 v[76:77], v[70:71], -v[76:77]
	;; [unrolled: 1-line block ×5, first 2 shown]
	v_add_f64 v[61:62], v[61:62], v[67:68]
	v_add_f64 v[67:68], v[72:73], v[74:75]
	v_add_f64 v[61:62], v[65:66], v[61:62]
	v_add_f64 v[65:66], v[67:68], -v[72:73]
	v_add_f64 v[61:62], v[78:79], v[61:62]
	v_add_f64 v[65:66], v[74:75], -v[65:66]
	v_mul_f64 v[61:62], v[63:64], v[61:62]
	v_add_f64 v[61:62], v[65:66], v[61:62]
	v_add_f64 v[63:64], v[67:68], v[61:62]
	v_mul_f64 v[65:66], v[63:64], v[63:64]
	v_fma_f64 v[70:71], v[65:66], s[38:39], s[36:37]
	s_mov_b32 s36, 0xd7f4df2e
	s_mov_b32 s37, 0x3fc7474d
	v_mul_f64 v[72:73], v[63:64], v[65:66]
	v_fma_f64 v[70:71], v[65:66], v[70:71], s[36:37]
	s_mov_b32 s36, 0x16291751
	s_mov_b32 s37, 0x3fcc71c0
	v_fma_f64 v[70:71], v[65:66], v[70:71], s[36:37]
	s_mov_b32 s36, 0x9b27acf1
	s_mov_b32 s37, 0x3fd24924
	;; [unrolled: 3-line block ×3, first 2 shown]
	v_fma_f64 v[70:71], v[65:66], v[70:71], s[36:37]
	v_fma_f64 v[65:66], v[65:66], v[70:71], s[26:27]
	v_ldexp_f64 v[70:71], v[63:64], 1
	v_add_f64 v[63:64], v[63:64], -v[67:68]
	v_cmp_nge_f64_e64 s26, -1.0, v[53:54]
	v_cmp_neq_f64_e64 s27, 0x7ff00000, v[53:54]
	v_mul_f64 v[65:66], v[72:73], v[65:66]
	v_cvt_f64_i32_e32 v[72:73], v84
	v_add_f64 v[61:62], v[61:62], -v[63:64]
	s_and_b32 s26, s26, s27
	v_add_f64 v[67:68], v[70:71], v[65:66]
	v_mul_f64 v[74:75], v[72:73], s[30:31]
	v_ldexp_f64 v[61:62], v[61:62], 1
	v_add_f64 v[63:64], v[67:68], -v[70:71]
	v_fma_f64 v[70:71], v[72:73], s[30:31], -v[74:75]
	v_add_f64 v[63:64], v[65:66], -v[63:64]
	v_fma_f64 v[65:66], v[72:73], s[34:35], v[70:71]
	v_add_f64 v[61:62], v[61:62], v[63:64]
	v_add_f64 v[63:64], v[74:75], v[65:66]
	;; [unrolled: 1-line block ×3, first 2 shown]
	v_add_f64 v[74:75], v[63:64], -v[74:75]
	v_add_f64 v[72:73], v[63:64], v[70:71]
	v_add_f64 v[67:68], v[70:71], -v[67:68]
	v_add_f64 v[65:66], v[65:66], -v[74:75]
	;; [unrolled: 1-line block ×6, first 2 shown]
	v_add_f64 v[70:71], v[65:66], v[61:62]
	v_add_f64 v[63:64], v[63:64], -v[78:79]
	v_add_f64 v[63:64], v[67:68], v[63:64]
	v_add_f64 v[67:68], v[70:71], -v[65:66]
	;; [unrolled: 2-line block ×3, first 2 shown]
	v_add_f64 v[61:62], v[61:62], -v[67:68]
	v_add_f64 v[74:75], v[72:73], v[63:64]
	v_add_f64 v[65:66], v[65:66], -v[70:71]
	v_add_f64 v[67:68], v[74:75], -v[72:73]
	v_add_f64 v[61:62], v[61:62], v[65:66]
	v_add_f64 v[63:64], v[63:64], -v[67:68]
	v_add_f64 v[61:62], v[61:62], v[63:64]
	v_add_f64 v[61:62], v[74:75], v[61:62]
	v_cndmask_b32_e64 v61, 0, v61, s26
	v_cmp_neq_f64_e64 s26, -1.0, v[53:54]
	v_cndmask_b32_e64 v62, 0x7ff00000, v62, s27
	v_cndmask_b32_e64 v62, 0x7ff80000, v62, s29
	v_cndmask_b32_e64 v62, 0xfff00000, v62, s26
	v_add_f64 v[61:62], v[51:52], v[61:62]
.LBB64_50:
	s_or_b32 exec_lo, exec_lo, s33
	v_max_f64 v[51:52], v[5:6], v[5:6]
	v_max_f64 v[53:54], v[61:62], v[61:62]
	v_cmp_u_f64_e64 s27, v[61:62], v[61:62]
	v_cmp_u_f64_e64 s26, v[5:6], v[5:6]
	v_min_f64 v[63:64], v[53:54], v[51:52]
	v_max_f64 v[53:54], v[53:54], v[51:52]
	v_cndmask_b32_e64 v63, v63, v61, s27
	v_cndmask_b32_e64 v64, v64, v62, s27
	;; [unrolled: 1-line block ×8, first 2 shown]
	v_cmp_class_f64_e64 s29, v[63:64], 0x1f8
	v_cmp_neq_f64_e64 s27, v[63:64], v[53:54]
	s_or_b32 s27, s27, s29
	s_and_saveexec_b32 s33, s27
	s_cbranch_execz .LBB64_52
; %bb.51:
	v_add_f64 v[61:62], v[63:64], -v[53:54]
	s_mov_b32 s30, 0x652b82fe
	s_mov_b32 s31, 0x3ff71547
	;; [unrolled: 1-line block ×10, first 2 shown]
	v_mul_f64 v[63:64], v[61:62], s[30:31]
	s_mov_b32 s31, 0xbfe62e42
	s_mov_b32 s30, 0xfefa39ef
	v_cmp_nlt_f64_e64 s27, 0x40900000, v[61:62]
	v_cmp_ngt_f64_e64 s29, 0xc090cc00, v[61:62]
	v_rndne_f64_e32 v[63:64], v[63:64]
	v_fma_f64 v[65:66], v[63:64], s[30:31], v[61:62]
	v_cvt_i32_f64_e32 v70, v[63:64]
	s_mov_b32 s31, 0x3fe62e42
	v_fma_f64 v[65:66], v[63:64], s[34:35], v[65:66]
	s_mov_b32 s35, 0x3c7abc9e
	v_fma_f64 v[67:68], v[65:66], s[38:39], s[36:37]
	s_mov_b32 s36, 0x623fde64
	s_mov_b32 s37, 0x3ec71dee
	;; [unrolled: 1-line block ×4, first 2 shown]
	v_fma_f64 v[67:68], v[65:66], v[67:68], s[36:37]
	s_mov_b32 s36, 0x7c89e6b0
	s_mov_b32 s37, 0x3efa0199
	v_fma_f64 v[67:68], v[65:66], v[67:68], s[36:37]
	s_mov_b32 s36, 0x14761f6e
	s_mov_b32 s37, 0x3f2a01a0
	;; [unrolled: 3-line block ×8, first 2 shown]
	v_fma_f64 v[67:68], v[65:66], v[67:68], 1.0
	v_fma_f64 v[63:64], v[65:66], v[67:68], 1.0
	v_ldexp_f64 v[63:64], v[63:64], v70
	v_cndmask_b32_e64 v64, 0x7ff00000, v64, s27
	s_and_b32 s27, s29, s27
	v_cndmask_b32_e64 v61, 0, v63, s27
	v_cndmask_b32_e64 v62, 0, v64, s29
	v_add_f64 v[63:64], v[61:62], 1.0
	v_cmp_neq_f64_e64 s29, 0x7ff00000, v[61:62]
	v_frexp_mant_f64_e32 v[65:66], v[63:64]
	v_frexp_exp_i32_f64_e32 v70, v[63:64]
	v_add_f64 v[67:68], v[63:64], -1.0
	v_cmp_gt_f64_e64 s27, s[36:37], v[65:66]
	s_mov_b32 s36, 0x55555780
	v_add_f64 v[65:66], v[67:68], -v[63:64]
	v_add_f64 v[67:68], v[61:62], -v[67:68]
	v_subrev_co_ci_u32_e64 v86, null, 0, v70, s27
	v_add_f64 v[65:66], v[65:66], 1.0
	v_cmp_nge_f64_e64 s27, -1.0, v[61:62]
	v_sub_nc_u32_e32 v72, 0, v86
	v_ldexp_f64 v[63:64], v[63:64], v72
	v_add_f64 v[65:66], v[67:68], v[65:66]
	s_and_b32 s27, s27, s29
	v_add_f64 v[70:71], v[63:64], 1.0
	v_add_f64 v[76:77], v[63:64], -1.0
	v_ldexp_f64 v[65:66], v[65:66], v72
	v_add_f64 v[67:68], v[70:71], -1.0
	v_add_f64 v[78:79], v[76:77], 1.0
	v_add_f64 v[67:68], v[63:64], -v[67:68]
	v_add_f64 v[63:64], v[63:64], -v[78:79]
	v_add_f64 v[67:68], v[65:66], v[67:68]
	v_add_f64 v[63:64], v[65:66], v[63:64]
	;; [unrolled: 1-line block ×4, first 2 shown]
	v_rcp_f64_e32 v[74:75], v[72:73]
	v_add_f64 v[70:71], v[72:73], -v[70:71]
	v_add_f64 v[76:77], v[78:79], -v[76:77]
	;; [unrolled: 1-line block ×3, first 2 shown]
	v_fma_f64 v[80:81], -v[72:73], v[74:75], 1.0
	v_add_f64 v[63:64], v[63:64], -v[76:77]
	v_fma_f64 v[74:75], v[80:81], v[74:75], v[74:75]
	v_fma_f64 v[65:66], -v[72:73], v[74:75], 1.0
	v_fma_f64 v[65:66], v[65:66], v[74:75], v[74:75]
	v_mul_f64 v[74:75], v[78:79], v[65:66]
	v_mul_f64 v[80:81], v[72:73], v[74:75]
	v_fma_f64 v[70:71], v[74:75], v[72:73], -v[80:81]
	v_fma_f64 v[70:71], v[74:75], v[67:68], v[70:71]
	v_add_f64 v[82:83], v[80:81], v[70:71]
	v_add_f64 v[84:85], v[78:79], -v[82:83]
	v_add_f64 v[76:77], v[82:83], -v[80:81]
	;; [unrolled: 1-line block ×5, first 2 shown]
	v_add_f64 v[63:64], v[63:64], v[78:79]
	v_add_f64 v[63:64], v[70:71], v[63:64]
	;; [unrolled: 1-line block ×3, first 2 shown]
	v_mul_f64 v[76:77], v[65:66], v[70:71]
	v_add_f64 v[82:83], v[84:85], -v[70:71]
	v_mul_f64 v[78:79], v[72:73], v[76:77]
	v_add_f64 v[63:64], v[63:64], v[82:83]
	v_fma_f64 v[72:73], v[76:77], v[72:73], -v[78:79]
	v_fma_f64 v[67:68], v[76:77], v[67:68], v[72:73]
	v_add_f64 v[72:73], v[78:79], v[67:68]
	v_add_f64 v[80:81], v[70:71], -v[72:73]
	v_add_f64 v[78:79], v[72:73], -v[78:79]
	;; [unrolled: 1-line block ×5, first 2 shown]
	v_add_f64 v[63:64], v[63:64], v[70:71]
	v_add_f64 v[70:71], v[74:75], v[76:77]
	;; [unrolled: 1-line block ×3, first 2 shown]
	v_add_f64 v[67:68], v[70:71], -v[74:75]
	v_add_f64 v[63:64], v[80:81], v[63:64]
	v_add_f64 v[67:68], v[76:77], -v[67:68]
	v_mul_f64 v[63:64], v[65:66], v[63:64]
	v_add_f64 v[63:64], v[67:68], v[63:64]
	v_add_f64 v[65:66], v[70:71], v[63:64]
	v_mul_f64 v[67:68], v[65:66], v[65:66]
	v_fma_f64 v[72:73], v[67:68], s[40:41], s[38:39]
	s_mov_b32 s38, 0xd7f4df2e
	s_mov_b32 s39, 0x3fc7474d
	v_mul_f64 v[74:75], v[65:66], v[67:68]
	v_fma_f64 v[72:73], v[67:68], v[72:73], s[38:39]
	s_mov_b32 s38, 0x16291751
	s_mov_b32 s39, 0x3fcc71c0
	v_fma_f64 v[72:73], v[67:68], v[72:73], s[38:39]
	s_mov_b32 s38, 0x9b27acf1
	s_mov_b32 s39, 0x3fd24924
	;; [unrolled: 3-line block ×3, first 2 shown]
	v_fma_f64 v[72:73], v[67:68], v[72:73], s[38:39]
	v_fma_f64 v[67:68], v[67:68], v[72:73], s[36:37]
	v_ldexp_f64 v[72:73], v[65:66], 1
	v_add_f64 v[65:66], v[65:66], -v[70:71]
	v_mul_f64 v[67:68], v[74:75], v[67:68]
	v_cvt_f64_i32_e32 v[74:75], v86
	v_add_f64 v[63:64], v[63:64], -v[65:66]
	v_add_f64 v[70:71], v[72:73], v[67:68]
	v_mul_f64 v[76:77], v[74:75], s[30:31]
	v_ldexp_f64 v[63:64], v[63:64], 1
	v_add_f64 v[65:66], v[70:71], -v[72:73]
	v_fma_f64 v[72:73], v[74:75], s[30:31], -v[76:77]
	v_cmp_ngt_f64_e64 s30, -1.0, v[61:62]
	v_add_f64 v[65:66], v[67:68], -v[65:66]
	v_fma_f64 v[67:68], v[74:75], s[34:35], v[72:73]
	v_add_f64 v[63:64], v[63:64], v[65:66]
	v_add_f64 v[65:66], v[76:77], v[67:68]
	;; [unrolled: 1-line block ×3, first 2 shown]
	v_add_f64 v[76:77], v[65:66], -v[76:77]
	v_add_f64 v[74:75], v[65:66], v[72:73]
	v_add_f64 v[70:71], v[72:73], -v[70:71]
	v_add_f64 v[67:68], v[67:68], -v[76:77]
	;; [unrolled: 1-line block ×6, first 2 shown]
	v_add_f64 v[72:73], v[67:68], v[63:64]
	v_add_f64 v[65:66], v[65:66], -v[80:81]
	v_add_f64 v[65:66], v[70:71], v[65:66]
	v_add_f64 v[70:71], v[72:73], -v[67:68]
	;; [unrolled: 2-line block ×3, first 2 shown]
	v_add_f64 v[63:64], v[63:64], -v[70:71]
	v_add_f64 v[76:77], v[74:75], v[65:66]
	v_add_f64 v[67:68], v[67:68], -v[72:73]
	v_add_f64 v[70:71], v[76:77], -v[74:75]
	v_add_f64 v[63:64], v[63:64], v[67:68]
	v_add_f64 v[65:66], v[65:66], -v[70:71]
	v_add_f64 v[63:64], v[63:64], v[65:66]
	v_add_f64 v[63:64], v[76:77], v[63:64]
	v_cndmask_b32_e64 v63, 0, v63, s27
	v_cmp_neq_f64_e64 s27, -1.0, v[61:62]
	v_cndmask_b32_e64 v64, 0x7ff00000, v64, s29
	v_cndmask_b32_e64 v64, 0x7ff80000, v64, s30
	;; [unrolled: 1-line block ×3, first 2 shown]
	v_add_f64 v[61:62], v[53:54], v[63:64]
.LBB64_52:
	s_or_b32 exec_lo, exec_lo, s33
	v_max_f64 v[53:54], v[7:8], v[7:8]
	v_max_f64 v[63:64], v[61:62], v[61:62]
	v_cmp_u_f64_e64 s29, v[61:62], v[61:62]
	v_cmp_u_f64_e64 s27, v[7:8], v[7:8]
	v_min_f64 v[65:66], v[63:64], v[53:54]
	v_max_f64 v[63:64], v[63:64], v[53:54]
	v_cndmask_b32_e64 v65, v65, v61, s29
	v_cndmask_b32_e64 v66, v66, v62, s29
	;; [unrolled: 1-line block ×8, first 2 shown]
	v_cmp_class_f64_e64 s30, v[65:66], 0x1f8
	v_cmp_neq_f64_e64 s29, v[65:66], v[63:64]
	s_or_b32 s29, s29, s30
	s_and_saveexec_b32 s33, s29
	s_cbranch_execz .LBB64_54
; %bb.53:
	v_add_f64 v[61:62], v[65:66], -v[63:64]
	s_mov_b32 s30, 0x652b82fe
	s_mov_b32 s31, 0x3ff71547
	;; [unrolled: 1-line block ×10, first 2 shown]
	v_mul_f64 v[65:66], v[61:62], s[30:31]
	s_mov_b32 s30, 0xfca7ab0c
	s_mov_b32 s31, 0x3e928af3
	v_cmp_nlt_f64_e64 s29, 0x40900000, v[61:62]
	v_rndne_f64_e32 v[65:66], v[65:66]
	v_fma_f64 v[67:68], v[65:66], s[34:35], v[61:62]
	v_cvt_i32_f64_e32 v72, v[65:66]
	s_mov_b32 s35, 0x3fe62e42
	v_fma_f64 v[67:68], v[65:66], s[36:37], v[67:68]
	s_mov_b32 s37, 0x3c7abc9e
	v_fma_f64 v[70:71], v[67:68], s[38:39], s[30:31]
	s_mov_b32 s30, 0x623fde64
	s_mov_b32 s31, 0x3ec71dee
	;; [unrolled: 1-line block ×4, first 2 shown]
	v_fma_f64 v[70:71], v[67:68], v[70:71], s[30:31]
	s_mov_b32 s30, 0x7c89e6b0
	s_mov_b32 s31, 0x3efa0199
	v_fma_f64 v[70:71], v[67:68], v[70:71], s[30:31]
	s_mov_b32 s30, 0x14761f6e
	s_mov_b32 s31, 0x3f2a01a0
	;; [unrolled: 3-line block ×7, first 2 shown]
	v_fma_f64 v[70:71], v[67:68], v[70:71], s[30:31]
	v_cmp_ngt_f64_e64 s30, 0xc090cc00, v[61:62]
	s_mov_b32 s31, 0x3fe55555
	v_fma_f64 v[70:71], v[67:68], v[70:71], 1.0
	v_fma_f64 v[65:66], v[67:68], v[70:71], 1.0
	v_ldexp_f64 v[65:66], v[65:66], v72
	v_cndmask_b32_e64 v66, 0x7ff00000, v66, s29
	s_and_b32 s29, s30, s29
	v_cndmask_b32_e64 v61, 0, v65, s29
	v_cndmask_b32_e64 v62, 0, v66, s30
	s_mov_b32 s30, 0x55555555
	v_add_f64 v[65:66], v[61:62], 1.0
	v_frexp_mant_f64_e32 v[67:68], v[65:66]
	v_frexp_exp_i32_f64_e32 v72, v[65:66]
	v_add_f64 v[70:71], v[65:66], -1.0
	v_cmp_gt_f64_e64 s29, s[30:31], v[67:68]
	s_mov_b32 s30, 0x55555780
	v_add_f64 v[67:68], v[70:71], -v[65:66]
	v_add_f64 v[70:71], v[61:62], -v[70:71]
	v_subrev_co_ci_u32_e64 v88, null, 0, v72, s29
	v_add_f64 v[67:68], v[67:68], 1.0
	v_cmp_nge_f64_e64 s29, -1.0, v[61:62]
	v_sub_nc_u32_e32 v74, 0, v88
	v_ldexp_f64 v[65:66], v[65:66], v74
	v_add_f64 v[67:68], v[70:71], v[67:68]
	v_add_f64 v[72:73], v[65:66], 1.0
	v_add_f64 v[78:79], v[65:66], -1.0
	v_ldexp_f64 v[67:68], v[67:68], v74
	v_add_f64 v[70:71], v[72:73], -1.0
	v_add_f64 v[80:81], v[78:79], 1.0
	v_add_f64 v[70:71], v[65:66], -v[70:71]
	v_add_f64 v[65:66], v[65:66], -v[80:81]
	v_add_f64 v[70:71], v[67:68], v[70:71]
	v_add_f64 v[65:66], v[67:68], v[65:66]
	;; [unrolled: 1-line block ×4, first 2 shown]
	v_rcp_f64_e32 v[76:77], v[74:75]
	v_add_f64 v[72:73], v[74:75], -v[72:73]
	v_add_f64 v[78:79], v[80:81], -v[78:79]
	;; [unrolled: 1-line block ×3, first 2 shown]
	v_fma_f64 v[82:83], -v[74:75], v[76:77], 1.0
	v_add_f64 v[65:66], v[65:66], -v[78:79]
	v_fma_f64 v[76:77], v[82:83], v[76:77], v[76:77]
	v_fma_f64 v[67:68], -v[74:75], v[76:77], 1.0
	v_fma_f64 v[67:68], v[67:68], v[76:77], v[76:77]
	v_mul_f64 v[76:77], v[80:81], v[67:68]
	v_mul_f64 v[82:83], v[74:75], v[76:77]
	v_fma_f64 v[72:73], v[76:77], v[74:75], -v[82:83]
	v_fma_f64 v[72:73], v[76:77], v[70:71], v[72:73]
	v_add_f64 v[84:85], v[82:83], v[72:73]
	v_add_f64 v[86:87], v[80:81], -v[84:85]
	v_add_f64 v[78:79], v[84:85], -v[82:83]
	;; [unrolled: 1-line block ×5, first 2 shown]
	v_add_f64 v[65:66], v[65:66], v[80:81]
	v_add_f64 v[65:66], v[72:73], v[65:66]
	;; [unrolled: 1-line block ×3, first 2 shown]
	v_mul_f64 v[78:79], v[67:68], v[72:73]
	v_add_f64 v[84:85], v[86:87], -v[72:73]
	v_mul_f64 v[80:81], v[74:75], v[78:79]
	v_add_f64 v[65:66], v[65:66], v[84:85]
	v_fma_f64 v[74:75], v[78:79], v[74:75], -v[80:81]
	v_fma_f64 v[70:71], v[78:79], v[70:71], v[74:75]
	v_add_f64 v[74:75], v[80:81], v[70:71]
	v_add_f64 v[82:83], v[72:73], -v[74:75]
	v_add_f64 v[80:81], v[74:75], -v[80:81]
	;; [unrolled: 1-line block ×5, first 2 shown]
	v_add_f64 v[65:66], v[65:66], v[72:73]
	v_add_f64 v[72:73], v[76:77], v[78:79]
	;; [unrolled: 1-line block ×3, first 2 shown]
	v_add_f64 v[70:71], v[72:73], -v[76:77]
	v_add_f64 v[65:66], v[82:83], v[65:66]
	v_add_f64 v[70:71], v[78:79], -v[70:71]
	v_mul_f64 v[65:66], v[67:68], v[65:66]
	v_add_f64 v[65:66], v[70:71], v[65:66]
	v_add_f64 v[67:68], v[72:73], v[65:66]
	v_mul_f64 v[70:71], v[67:68], v[67:68]
	v_fma_f64 v[74:75], v[70:71], s[40:41], s[38:39]
	s_mov_b32 s38, 0xd7f4df2e
	s_mov_b32 s39, 0x3fc7474d
	v_mul_f64 v[76:77], v[67:68], v[70:71]
	v_fma_f64 v[74:75], v[70:71], v[74:75], s[38:39]
	s_mov_b32 s38, 0x16291751
	s_mov_b32 s39, 0x3fcc71c0
	v_fma_f64 v[74:75], v[70:71], v[74:75], s[38:39]
	s_mov_b32 s38, 0x9b27acf1
	s_mov_b32 s39, 0x3fd24924
	;; [unrolled: 3-line block ×3, first 2 shown]
	v_fma_f64 v[74:75], v[70:71], v[74:75], s[38:39]
	v_fma_f64 v[70:71], v[70:71], v[74:75], s[30:31]
	v_ldexp_f64 v[74:75], v[67:68], 1
	v_add_f64 v[67:68], v[67:68], -v[72:73]
	v_cmp_neq_f64_e64 s30, 0x7ff00000, v[61:62]
	v_cmp_ngt_f64_e64 s31, -1.0, v[61:62]
	v_mul_f64 v[70:71], v[76:77], v[70:71]
	v_cvt_f64_i32_e32 v[76:77], v88
	v_add_f64 v[65:66], v[65:66], -v[67:68]
	s_and_b32 s29, s29, s30
	v_add_f64 v[72:73], v[74:75], v[70:71]
	v_mul_f64 v[78:79], v[76:77], s[34:35]
	v_ldexp_f64 v[65:66], v[65:66], 1
	v_add_f64 v[67:68], v[72:73], -v[74:75]
	v_fma_f64 v[74:75], v[76:77], s[34:35], -v[78:79]
	v_add_f64 v[67:68], v[70:71], -v[67:68]
	v_fma_f64 v[70:71], v[76:77], s[36:37], v[74:75]
	v_add_f64 v[65:66], v[65:66], v[67:68]
	v_add_f64 v[67:68], v[78:79], v[70:71]
	;; [unrolled: 1-line block ×3, first 2 shown]
	v_add_f64 v[78:79], v[67:68], -v[78:79]
	v_add_f64 v[76:77], v[67:68], v[74:75]
	v_add_f64 v[72:73], v[74:75], -v[72:73]
	v_add_f64 v[70:71], v[70:71], -v[78:79]
	;; [unrolled: 1-line block ×6, first 2 shown]
	v_add_f64 v[74:75], v[70:71], v[65:66]
	v_add_f64 v[67:68], v[67:68], -v[82:83]
	v_add_f64 v[67:68], v[72:73], v[67:68]
	v_add_f64 v[72:73], v[74:75], -v[70:71]
	;; [unrolled: 2-line block ×3, first 2 shown]
	v_add_f64 v[65:66], v[65:66], -v[72:73]
	v_add_f64 v[78:79], v[76:77], v[67:68]
	v_add_f64 v[70:71], v[70:71], -v[74:75]
	v_add_f64 v[72:73], v[78:79], -v[76:77]
	v_add_f64 v[65:66], v[65:66], v[70:71]
	v_add_f64 v[67:68], v[67:68], -v[72:73]
	v_add_f64 v[65:66], v[65:66], v[67:68]
	v_add_f64 v[65:66], v[78:79], v[65:66]
	v_cndmask_b32_e64 v65, 0, v65, s29
	v_cmp_neq_f64_e64 s29, -1.0, v[61:62]
	v_cndmask_b32_e64 v66, 0x7ff00000, v66, s30
	v_cndmask_b32_e64 v66, 0x7ff80000, v66, s31
	;; [unrolled: 1-line block ×3, first 2 shown]
	v_add_f64 v[61:62], v[63:64], v[65:66]
.LBB64_54:
	s_or_b32 exec_lo, exec_lo, s33
	s_load_dwordx2 s[30:31], s[4:5], 0x20
	v_mbcnt_lo_u32_b32 v71, -1, 0
	v_mov_b32_dpp v63, v61 row_shr:1 row_mask:0xf bank_mask:0xf
	v_mov_b32_dpp v64, v62 row_shr:1 row_mask:0xf bank_mask:0xf
	v_mov_b32_e32 v65, v61
	v_mov_b32_e32 v66, v62
	v_and_b32_e32 v67, 15, v71
	s_mov_b32 s33, exec_lo
	v_cmpx_ne_u32_e32 0, v67
	s_cbranch_execz .LBB64_58
; %bb.55:
	v_max_f64 v[65:66], v[63:64], v[63:64]
	v_max_f64 v[72:73], v[61:62], v[61:62]
	v_cmp_u_f64_e64 s4, v[63:64], v[63:64]
	v_cmp_u_f64_e64 s5, v[61:62], v[61:62]
	v_min_f64 v[74:75], v[65:66], v[72:73]
	v_max_f64 v[65:66], v[65:66], v[72:73]
	v_cndmask_b32_e64 v68, v75, v64, s4
	v_cndmask_b32_e64 v70, v74, v63, s4
	;; [unrolled: 1-line block ×8, first 2 shown]
	v_cmp_class_f64_e64 s5, v[65:66], 0x1f8
	v_cmp_neq_f64_e64 s4, v[65:66], v[61:62]
	s_or_b32 s4, s4, s5
	s_and_saveexec_b32 s38, s4
	s_cbranch_execz .LBB64_57
; %bb.56:
	v_add_f64 v[63:64], v[65:66], -v[61:62]
	s_mov_b32 s4, 0x652b82fe
	s_mov_b32 s5, 0x3ff71547
	;; [unrolled: 1-line block ×10, first 2 shown]
	v_mul_f64 v[65:66], v[63:64], s[4:5]
	s_mov_b32 s4, 0xfca7ab0c
	s_mov_b32 s5, 0x3e928af3
	v_rndne_f64_e32 v[65:66], v[65:66]
	v_fma_f64 v[72:73], v[65:66], s[34:35], v[63:64]
	v_cvt_i32_f64_e32 v68, v[65:66]
	s_mov_b32 s35, 0x3fe62e42
	v_fma_f64 v[72:73], v[65:66], s[36:37], v[72:73]
	s_mov_b32 s37, 0x3c7abc9e
	v_fma_f64 v[74:75], v[72:73], s[40:41], s[4:5]
	s_mov_b32 s4, 0x623fde64
	s_mov_b32 s5, 0x3ec71dee
	;; [unrolled: 1-line block ×4, first 2 shown]
	v_fma_f64 v[74:75], v[72:73], v[74:75], s[4:5]
	s_mov_b32 s4, 0x7c89e6b0
	s_mov_b32 s5, 0x3efa0199
	v_fma_f64 v[74:75], v[72:73], v[74:75], s[4:5]
	s_mov_b32 s4, 0x14761f6e
	s_mov_b32 s5, 0x3f2a01a0
	;; [unrolled: 3-line block ×7, first 2 shown]
	v_fma_f64 v[74:75], v[72:73], v[74:75], s[4:5]
	v_cmp_nlt_f64_e64 s4, 0x40900000, v[63:64]
	v_cmp_ngt_f64_e64 s5, 0xc090cc00, v[63:64]
	v_fma_f64 v[74:75], v[72:73], v[74:75], 1.0
	v_fma_f64 v[65:66], v[72:73], v[74:75], 1.0
	v_ldexp_f64 v[65:66], v[65:66], v68
	v_cndmask_b32_e64 v66, 0x7ff00000, v66, s4
	s_and_b32 s4, s5, s4
	v_cndmask_b32_e64 v63, 0, v65, s4
	s_mov_b32 s4, 0x55555555
	v_cndmask_b32_e64 v64, 0, v66, s5
	s_mov_b32 s5, 0x3fe55555
	v_add_f64 v[65:66], v[63:64], 1.0
	v_cmp_ngt_f64_e64 s29, -1.0, v[63:64]
	v_frexp_mant_f64_e32 v[72:73], v[65:66]
	v_frexp_exp_i32_f64_e32 v68, v[65:66]
	v_add_f64 v[74:75], v[65:66], -1.0
	v_cmp_gt_f64_e64 s4, s[4:5], v[72:73]
	v_add_f64 v[72:73], v[74:75], -v[65:66]
	v_add_f64 v[74:75], v[63:64], -v[74:75]
	v_subrev_co_ci_u32_e64 v68, null, 0, v68, s4
	v_add_f64 v[72:73], v[72:73], 1.0
	s_mov_b32 s4, 0x55555780
	v_sub_nc_u32_e32 v70, 0, v68
	v_ldexp_f64 v[65:66], v[65:66], v70
	v_add_f64 v[72:73], v[74:75], v[72:73]
	v_add_f64 v[76:77], v[65:66], 1.0
	v_add_f64 v[82:83], v[65:66], -1.0
	v_ldexp_f64 v[72:73], v[72:73], v70
	v_add_f64 v[74:75], v[76:77], -1.0
	v_add_f64 v[84:85], v[82:83], 1.0
	v_add_f64 v[74:75], v[65:66], -v[74:75]
	v_add_f64 v[65:66], v[65:66], -v[84:85]
	v_add_f64 v[74:75], v[72:73], v[74:75]
	v_add_f64 v[65:66], v[72:73], v[65:66]
	;; [unrolled: 1-line block ×4, first 2 shown]
	v_rcp_f64_e32 v[80:81], v[78:79]
	v_add_f64 v[76:77], v[78:79], -v[76:77]
	v_add_f64 v[82:83], v[84:85], -v[82:83]
	;; [unrolled: 1-line block ×3, first 2 shown]
	v_fma_f64 v[86:87], -v[78:79], v[80:81], 1.0
	v_add_f64 v[65:66], v[65:66], -v[82:83]
	v_fma_f64 v[80:81], v[86:87], v[80:81], v[80:81]
	v_fma_f64 v[72:73], -v[78:79], v[80:81], 1.0
	v_fma_f64 v[72:73], v[72:73], v[80:81], v[80:81]
	v_mul_f64 v[80:81], v[84:85], v[72:73]
	v_mul_f64 v[86:87], v[78:79], v[80:81]
	v_fma_f64 v[76:77], v[80:81], v[78:79], -v[86:87]
	v_fma_f64 v[76:77], v[80:81], v[74:75], v[76:77]
	v_add_f64 v[88:89], v[86:87], v[76:77]
	v_add_f64 v[90:91], v[84:85], -v[88:89]
	v_add_f64 v[82:83], v[88:89], -v[86:87]
	;; [unrolled: 1-line block ×5, first 2 shown]
	v_add_f64 v[65:66], v[65:66], v[84:85]
	v_add_f64 v[65:66], v[76:77], v[65:66]
	;; [unrolled: 1-line block ×3, first 2 shown]
	v_mul_f64 v[82:83], v[72:73], v[76:77]
	v_add_f64 v[88:89], v[90:91], -v[76:77]
	v_mul_f64 v[84:85], v[78:79], v[82:83]
	v_add_f64 v[65:66], v[65:66], v[88:89]
	v_fma_f64 v[78:79], v[82:83], v[78:79], -v[84:85]
	v_fma_f64 v[74:75], v[82:83], v[74:75], v[78:79]
	v_add_f64 v[78:79], v[84:85], v[74:75]
	v_add_f64 v[86:87], v[76:77], -v[78:79]
	v_add_f64 v[84:85], v[78:79], -v[84:85]
	;; [unrolled: 1-line block ×5, first 2 shown]
	v_add_f64 v[65:66], v[65:66], v[76:77]
	v_add_f64 v[76:77], v[80:81], v[82:83]
	;; [unrolled: 1-line block ×3, first 2 shown]
	v_add_f64 v[74:75], v[76:77], -v[80:81]
	v_add_f64 v[65:66], v[86:87], v[65:66]
	v_add_f64 v[74:75], v[82:83], -v[74:75]
	v_mul_f64 v[65:66], v[72:73], v[65:66]
	v_add_f64 v[65:66], v[74:75], v[65:66]
	v_add_f64 v[72:73], v[76:77], v[65:66]
	v_mul_f64 v[74:75], v[72:73], v[72:73]
	v_fma_f64 v[78:79], v[74:75], s[42:43], s[40:41]
	s_mov_b32 s40, 0xd7f4df2e
	s_mov_b32 s41, 0x3fc7474d
	v_mul_f64 v[80:81], v[72:73], v[74:75]
	v_fma_f64 v[78:79], v[74:75], v[78:79], s[40:41]
	s_mov_b32 s40, 0x16291751
	s_mov_b32 s41, 0x3fcc71c0
	v_fma_f64 v[78:79], v[74:75], v[78:79], s[40:41]
	s_mov_b32 s40, 0x9b27acf1
	s_mov_b32 s41, 0x3fd24924
	;; [unrolled: 3-line block ×3, first 2 shown]
	v_fma_f64 v[78:79], v[74:75], v[78:79], s[40:41]
	v_fma_f64 v[74:75], v[74:75], v[78:79], s[4:5]
	v_ldexp_f64 v[78:79], v[72:73], 1
	v_add_f64 v[72:73], v[72:73], -v[76:77]
	v_cmp_nge_f64_e64 s4, -1.0, v[63:64]
	v_cmp_neq_f64_e64 s5, 0x7ff00000, v[63:64]
	v_mul_f64 v[74:75], v[80:81], v[74:75]
	v_cvt_f64_i32_e32 v[80:81], v68
	v_add_f64 v[65:66], v[65:66], -v[72:73]
	s_and_b32 s4, s4, s5
	v_add_f64 v[76:77], v[78:79], v[74:75]
	v_mul_f64 v[82:83], v[80:81], s[34:35]
	v_ldexp_f64 v[65:66], v[65:66], 1
	v_add_f64 v[72:73], v[76:77], -v[78:79]
	v_fma_f64 v[78:79], v[80:81], s[34:35], -v[82:83]
	v_add_f64 v[72:73], v[74:75], -v[72:73]
	v_fma_f64 v[74:75], v[80:81], s[36:37], v[78:79]
	v_add_f64 v[65:66], v[65:66], v[72:73]
	v_add_f64 v[72:73], v[82:83], v[74:75]
	;; [unrolled: 1-line block ×3, first 2 shown]
	v_add_f64 v[82:83], v[72:73], -v[82:83]
	v_add_f64 v[80:81], v[72:73], v[78:79]
	v_add_f64 v[76:77], v[78:79], -v[76:77]
	v_add_f64 v[74:75], v[74:75], -v[82:83]
	;; [unrolled: 1-line block ×6, first 2 shown]
	v_add_f64 v[78:79], v[74:75], v[65:66]
	v_add_f64 v[72:73], v[72:73], -v[86:87]
	v_add_f64 v[72:73], v[76:77], v[72:73]
	v_add_f64 v[76:77], v[78:79], -v[74:75]
	;; [unrolled: 2-line block ×3, first 2 shown]
	v_add_f64 v[65:66], v[65:66], -v[76:77]
	v_add_f64 v[82:83], v[80:81], v[72:73]
	v_add_f64 v[74:75], v[74:75], -v[78:79]
	v_add_f64 v[76:77], v[82:83], -v[80:81]
	v_add_f64 v[65:66], v[65:66], v[74:75]
	v_add_f64 v[72:73], v[72:73], -v[76:77]
	v_add_f64 v[65:66], v[65:66], v[72:73]
	v_add_f64 v[65:66], v[82:83], v[65:66]
	v_cndmask_b32_e64 v65, 0, v65, s4
	v_cmp_neq_f64_e64 s4, -1.0, v[63:64]
	v_cndmask_b32_e64 v66, 0x7ff00000, v66, s5
	v_cndmask_b32_e64 v66, 0x7ff80000, v66, s29
	;; [unrolled: 1-line block ×3, first 2 shown]
	v_add_f64 v[63:64], v[61:62], v[65:66]
.LBB64_57:
	s_or_b32 exec_lo, exec_lo, s38
	v_mov_b32_e32 v61, v63
	v_mov_b32_e32 v65, v63
	v_mov_b32_e32 v66, v64
	v_mov_b32_e32 v62, v64
.LBB64_58:
	s_or_b32 exec_lo, exec_lo, s33
	v_mul_u32_u24_e32 v70, 0x68, v0
	v_mov_b32_dpp v63, v65 row_shr:2 row_mask:0xf bank_mask:0xf
	v_mov_b32_dpp v64, v66 row_shr:2 row_mask:0xf bank_mask:0xf
	s_mov_b32 s33, exec_lo
	v_cmpx_lt_u32_e32 1, v67
	s_cbranch_execz .LBB64_62
; %bb.59:
	v_max_f64 v[65:66], v[63:64], v[63:64]
	v_max_f64 v[72:73], v[61:62], v[61:62]
	v_cmp_u_f64_e64 s4, v[63:64], v[63:64]
	v_cmp_u_f64_e64 s5, v[61:62], v[61:62]
	v_min_f64 v[74:75], v[65:66], v[72:73]
	v_max_f64 v[65:66], v[65:66], v[72:73]
	v_cndmask_b32_e64 v68, v75, v64, s4
	v_cndmask_b32_e64 v72, v74, v63, s4
	;; [unrolled: 1-line block ×8, first 2 shown]
	v_cmp_class_f64_e64 s5, v[65:66], 0x1f8
	v_cmp_neq_f64_e64 s4, v[65:66], v[61:62]
	s_or_b32 s4, s4, s5
	s_and_saveexec_b32 s38, s4
	s_cbranch_execz .LBB64_61
; %bb.60:
	v_add_f64 v[63:64], v[65:66], -v[61:62]
	s_mov_b32 s4, 0x652b82fe
	s_mov_b32 s5, 0x3ff71547
	;; [unrolled: 1-line block ×10, first 2 shown]
	v_mul_f64 v[65:66], v[63:64], s[4:5]
	s_mov_b32 s4, 0xfca7ab0c
	s_mov_b32 s5, 0x3e928af3
	v_rndne_f64_e32 v[65:66], v[65:66]
	v_fma_f64 v[72:73], v[65:66], s[34:35], v[63:64]
	v_cvt_i32_f64_e32 v68, v[65:66]
	s_mov_b32 s35, 0x3fe62e42
	v_fma_f64 v[72:73], v[65:66], s[36:37], v[72:73]
	s_mov_b32 s37, 0x3c7abc9e
	v_fma_f64 v[74:75], v[72:73], s[40:41], s[4:5]
	s_mov_b32 s4, 0x623fde64
	s_mov_b32 s5, 0x3ec71dee
	;; [unrolled: 1-line block ×4, first 2 shown]
	v_fma_f64 v[74:75], v[72:73], v[74:75], s[4:5]
	s_mov_b32 s4, 0x7c89e6b0
	s_mov_b32 s5, 0x3efa0199
	v_fma_f64 v[74:75], v[72:73], v[74:75], s[4:5]
	s_mov_b32 s4, 0x14761f6e
	s_mov_b32 s5, 0x3f2a01a0
	v_fma_f64 v[74:75], v[72:73], v[74:75], s[4:5]
	s_mov_b32 s4, 0x1852b7b0
	s_mov_b32 s5, 0x3f56c16c
	v_fma_f64 v[74:75], v[72:73], v[74:75], s[4:5]
	s_mov_b32 s4, 0x11122322
	s_mov_b32 s5, 0x3f811111
	v_fma_f64 v[74:75], v[72:73], v[74:75], s[4:5]
	s_mov_b32 s4, 0x555502a1
	s_mov_b32 s5, 0x3fa55555
	v_fma_f64 v[74:75], v[72:73], v[74:75], s[4:5]
	s_mov_b32 s4, 0x55555511
	s_mov_b32 s5, 0x3fc55555
	v_fma_f64 v[74:75], v[72:73], v[74:75], s[4:5]
	s_mov_b32 s4, 11
	s_mov_b32 s5, 0x3fe00000
	v_fma_f64 v[74:75], v[72:73], v[74:75], s[4:5]
	v_cmp_nlt_f64_e64 s4, 0x40900000, v[63:64]
	v_cmp_ngt_f64_e64 s5, 0xc090cc00, v[63:64]
	v_fma_f64 v[74:75], v[72:73], v[74:75], 1.0
	v_fma_f64 v[65:66], v[72:73], v[74:75], 1.0
	v_ldexp_f64 v[65:66], v[65:66], v68
	v_cndmask_b32_e64 v66, 0x7ff00000, v66, s4
	s_and_b32 s4, s5, s4
	v_cndmask_b32_e64 v63, 0, v65, s4
	s_mov_b32 s4, 0x55555555
	v_cndmask_b32_e64 v64, 0, v66, s5
	s_mov_b32 s5, 0x3fe55555
	v_add_f64 v[65:66], v[63:64], 1.0
	v_cmp_ngt_f64_e64 s29, -1.0, v[63:64]
	v_frexp_mant_f64_e32 v[72:73], v[65:66]
	v_frexp_exp_i32_f64_e32 v68, v[65:66]
	v_add_f64 v[74:75], v[65:66], -1.0
	v_cmp_gt_f64_e64 s4, s[4:5], v[72:73]
	v_add_f64 v[72:73], v[74:75], -v[65:66]
	v_add_f64 v[74:75], v[63:64], -v[74:75]
	v_subrev_co_ci_u32_e64 v68, null, 0, v68, s4
	v_add_f64 v[72:73], v[72:73], 1.0
	s_mov_b32 s4, 0x55555780
	v_sub_nc_u32_e32 v78, 0, v68
	v_ldexp_f64 v[65:66], v[65:66], v78
	v_add_f64 v[72:73], v[74:75], v[72:73]
	v_add_f64 v[76:77], v[65:66], 1.0
	v_add_f64 v[82:83], v[65:66], -1.0
	v_ldexp_f64 v[72:73], v[72:73], v78
	v_add_f64 v[74:75], v[76:77], -1.0
	v_add_f64 v[84:85], v[82:83], 1.0
	v_add_f64 v[74:75], v[65:66], -v[74:75]
	v_add_f64 v[65:66], v[65:66], -v[84:85]
	v_add_f64 v[74:75], v[72:73], v[74:75]
	v_add_f64 v[65:66], v[72:73], v[65:66]
	;; [unrolled: 1-line block ×4, first 2 shown]
	v_rcp_f64_e32 v[80:81], v[78:79]
	v_add_f64 v[76:77], v[78:79], -v[76:77]
	v_add_f64 v[82:83], v[84:85], -v[82:83]
	;; [unrolled: 1-line block ×3, first 2 shown]
	v_fma_f64 v[86:87], -v[78:79], v[80:81], 1.0
	v_add_f64 v[65:66], v[65:66], -v[82:83]
	v_fma_f64 v[80:81], v[86:87], v[80:81], v[80:81]
	v_fma_f64 v[72:73], -v[78:79], v[80:81], 1.0
	v_fma_f64 v[72:73], v[72:73], v[80:81], v[80:81]
	v_mul_f64 v[80:81], v[84:85], v[72:73]
	v_mul_f64 v[86:87], v[78:79], v[80:81]
	v_fma_f64 v[76:77], v[80:81], v[78:79], -v[86:87]
	v_fma_f64 v[76:77], v[80:81], v[74:75], v[76:77]
	v_add_f64 v[88:89], v[86:87], v[76:77]
	v_add_f64 v[90:91], v[84:85], -v[88:89]
	v_add_f64 v[82:83], v[88:89], -v[86:87]
	;; [unrolled: 1-line block ×5, first 2 shown]
	v_add_f64 v[65:66], v[65:66], v[84:85]
	v_add_f64 v[65:66], v[76:77], v[65:66]
	;; [unrolled: 1-line block ×3, first 2 shown]
	v_mul_f64 v[82:83], v[72:73], v[76:77]
	v_add_f64 v[88:89], v[90:91], -v[76:77]
	v_mul_f64 v[84:85], v[78:79], v[82:83]
	v_add_f64 v[65:66], v[65:66], v[88:89]
	v_fma_f64 v[78:79], v[82:83], v[78:79], -v[84:85]
	v_fma_f64 v[74:75], v[82:83], v[74:75], v[78:79]
	v_add_f64 v[78:79], v[84:85], v[74:75]
	v_add_f64 v[86:87], v[76:77], -v[78:79]
	v_add_f64 v[84:85], v[78:79], -v[84:85]
	;; [unrolled: 1-line block ×5, first 2 shown]
	v_add_f64 v[65:66], v[65:66], v[76:77]
	v_add_f64 v[76:77], v[80:81], v[82:83]
	;; [unrolled: 1-line block ×3, first 2 shown]
	v_add_f64 v[74:75], v[76:77], -v[80:81]
	v_add_f64 v[65:66], v[86:87], v[65:66]
	v_add_f64 v[74:75], v[82:83], -v[74:75]
	v_mul_f64 v[65:66], v[72:73], v[65:66]
	v_add_f64 v[65:66], v[74:75], v[65:66]
	v_add_f64 v[72:73], v[76:77], v[65:66]
	v_mul_f64 v[74:75], v[72:73], v[72:73]
	v_fma_f64 v[78:79], v[74:75], s[42:43], s[40:41]
	s_mov_b32 s40, 0xd7f4df2e
	s_mov_b32 s41, 0x3fc7474d
	v_mul_f64 v[80:81], v[72:73], v[74:75]
	v_fma_f64 v[78:79], v[74:75], v[78:79], s[40:41]
	s_mov_b32 s40, 0x16291751
	s_mov_b32 s41, 0x3fcc71c0
	v_fma_f64 v[78:79], v[74:75], v[78:79], s[40:41]
	s_mov_b32 s40, 0x9b27acf1
	s_mov_b32 s41, 0x3fd24924
	;; [unrolled: 3-line block ×3, first 2 shown]
	v_fma_f64 v[78:79], v[74:75], v[78:79], s[40:41]
	v_fma_f64 v[74:75], v[74:75], v[78:79], s[4:5]
	v_ldexp_f64 v[78:79], v[72:73], 1
	v_add_f64 v[72:73], v[72:73], -v[76:77]
	v_cmp_nge_f64_e64 s4, -1.0, v[63:64]
	v_cmp_neq_f64_e64 s5, 0x7ff00000, v[63:64]
	v_mul_f64 v[74:75], v[80:81], v[74:75]
	v_cvt_f64_i32_e32 v[80:81], v68
	v_add_f64 v[65:66], v[65:66], -v[72:73]
	s_and_b32 s4, s4, s5
	v_add_f64 v[76:77], v[78:79], v[74:75]
	v_mul_f64 v[82:83], v[80:81], s[34:35]
	v_ldexp_f64 v[65:66], v[65:66], 1
	v_add_f64 v[72:73], v[76:77], -v[78:79]
	v_fma_f64 v[78:79], v[80:81], s[34:35], -v[82:83]
	v_add_f64 v[72:73], v[74:75], -v[72:73]
	v_fma_f64 v[74:75], v[80:81], s[36:37], v[78:79]
	v_add_f64 v[65:66], v[65:66], v[72:73]
	v_add_f64 v[72:73], v[82:83], v[74:75]
	;; [unrolled: 1-line block ×3, first 2 shown]
	v_add_f64 v[82:83], v[72:73], -v[82:83]
	v_add_f64 v[80:81], v[72:73], v[78:79]
	v_add_f64 v[76:77], v[78:79], -v[76:77]
	v_add_f64 v[74:75], v[74:75], -v[82:83]
	;; [unrolled: 1-line block ×6, first 2 shown]
	v_add_f64 v[78:79], v[74:75], v[65:66]
	v_add_f64 v[72:73], v[72:73], -v[86:87]
	v_add_f64 v[72:73], v[76:77], v[72:73]
	v_add_f64 v[76:77], v[78:79], -v[74:75]
	;; [unrolled: 2-line block ×3, first 2 shown]
	v_add_f64 v[65:66], v[65:66], -v[76:77]
	v_add_f64 v[82:83], v[80:81], v[72:73]
	v_add_f64 v[74:75], v[74:75], -v[78:79]
	v_add_f64 v[76:77], v[82:83], -v[80:81]
	v_add_f64 v[65:66], v[65:66], v[74:75]
	v_add_f64 v[72:73], v[72:73], -v[76:77]
	v_add_f64 v[65:66], v[65:66], v[72:73]
	v_add_f64 v[65:66], v[82:83], v[65:66]
	v_cndmask_b32_e64 v65, 0, v65, s4
	v_cmp_neq_f64_e64 s4, -1.0, v[63:64]
	v_cndmask_b32_e64 v66, 0x7ff00000, v66, s5
	v_cndmask_b32_e64 v66, 0x7ff80000, v66, s29
	;; [unrolled: 1-line block ×3, first 2 shown]
	v_add_f64 v[63:64], v[61:62], v[65:66]
.LBB64_61:
	s_or_b32 exec_lo, exec_lo, s38
	v_mov_b32_e32 v61, v63
	v_mov_b32_e32 v62, v64
	;; [unrolled: 1-line block ×4, first 2 shown]
.LBB64_62:
	s_or_b32 exec_lo, exec_lo, s33
	v_mov_b32_dpp v63, v65 row_shr:4 row_mask:0xf bank_mask:0xf
	v_mov_b32_dpp v64, v66 row_shr:4 row_mask:0xf bank_mask:0xf
	s_mov_b32 s33, exec_lo
	v_cmpx_lt_u32_e32 3, v67
	s_cbranch_execz .LBB64_66
; %bb.63:
	v_max_f64 v[65:66], v[63:64], v[63:64]
	v_max_f64 v[72:73], v[61:62], v[61:62]
	v_cmp_u_f64_e64 s4, v[63:64], v[63:64]
	v_cmp_u_f64_e64 s5, v[61:62], v[61:62]
	v_min_f64 v[74:75], v[65:66], v[72:73]
	v_max_f64 v[65:66], v[65:66], v[72:73]
	v_cndmask_b32_e64 v68, v75, v64, s4
	v_cndmask_b32_e64 v72, v74, v63, s4
	;; [unrolled: 1-line block ×8, first 2 shown]
	v_cmp_class_f64_e64 s5, v[65:66], 0x1f8
	v_cmp_neq_f64_e64 s4, v[65:66], v[61:62]
	s_or_b32 s4, s4, s5
	s_and_saveexec_b32 s38, s4
	s_cbranch_execz .LBB64_65
; %bb.64:
	v_add_f64 v[63:64], v[65:66], -v[61:62]
	s_mov_b32 s4, 0x652b82fe
	s_mov_b32 s5, 0x3ff71547
	s_mov_b32 s35, 0xbfe62e42
	s_mov_b32 s34, 0xfefa39ef
	s_mov_b32 s37, 0xbc7abc9e
	s_mov_b32 s36, 0x3b39803f
	s_mov_b32 s40, 0x6a5dcb37
	s_mov_b32 s41, 0x3e5ade15
	s_mov_b32 s42, 0xbf559e2b
	s_mov_b32 s43, 0x3fc3ab76
	v_mul_f64 v[65:66], v[63:64], s[4:5]
	s_mov_b32 s4, 0xfca7ab0c
	s_mov_b32 s5, 0x3e928af3
	v_rndne_f64_e32 v[65:66], v[65:66]
	v_fma_f64 v[72:73], v[65:66], s[34:35], v[63:64]
	v_cvt_i32_f64_e32 v68, v[65:66]
	s_mov_b32 s35, 0x3fe62e42
	v_fma_f64 v[72:73], v[65:66], s[36:37], v[72:73]
	s_mov_b32 s37, 0x3c7abc9e
	v_fma_f64 v[74:75], v[72:73], s[40:41], s[4:5]
	s_mov_b32 s4, 0x623fde64
	s_mov_b32 s5, 0x3ec71dee
	;; [unrolled: 1-line block ×4, first 2 shown]
	v_fma_f64 v[74:75], v[72:73], v[74:75], s[4:5]
	s_mov_b32 s4, 0x7c89e6b0
	s_mov_b32 s5, 0x3efa0199
	v_fma_f64 v[74:75], v[72:73], v[74:75], s[4:5]
	s_mov_b32 s4, 0x14761f6e
	s_mov_b32 s5, 0x3f2a01a0
	;; [unrolled: 3-line block ×7, first 2 shown]
	v_fma_f64 v[74:75], v[72:73], v[74:75], s[4:5]
	v_cmp_nlt_f64_e64 s4, 0x40900000, v[63:64]
	v_cmp_ngt_f64_e64 s5, 0xc090cc00, v[63:64]
	v_fma_f64 v[74:75], v[72:73], v[74:75], 1.0
	v_fma_f64 v[65:66], v[72:73], v[74:75], 1.0
	v_ldexp_f64 v[65:66], v[65:66], v68
	v_cndmask_b32_e64 v66, 0x7ff00000, v66, s4
	s_and_b32 s4, s5, s4
	v_cndmask_b32_e64 v63, 0, v65, s4
	s_mov_b32 s4, 0x55555555
	v_cndmask_b32_e64 v64, 0, v66, s5
	s_mov_b32 s5, 0x3fe55555
	v_add_f64 v[65:66], v[63:64], 1.0
	v_cmp_ngt_f64_e64 s29, -1.0, v[63:64]
	v_frexp_mant_f64_e32 v[72:73], v[65:66]
	v_frexp_exp_i32_f64_e32 v68, v[65:66]
	v_add_f64 v[74:75], v[65:66], -1.0
	v_cmp_gt_f64_e64 s4, s[4:5], v[72:73]
	v_add_f64 v[72:73], v[74:75], -v[65:66]
	v_add_f64 v[74:75], v[63:64], -v[74:75]
	v_subrev_co_ci_u32_e64 v68, null, 0, v68, s4
	v_add_f64 v[72:73], v[72:73], 1.0
	s_mov_b32 s4, 0x55555780
	v_sub_nc_u32_e32 v78, 0, v68
	v_ldexp_f64 v[65:66], v[65:66], v78
	v_add_f64 v[72:73], v[74:75], v[72:73]
	v_add_f64 v[76:77], v[65:66], 1.0
	v_add_f64 v[82:83], v[65:66], -1.0
	v_ldexp_f64 v[72:73], v[72:73], v78
	v_add_f64 v[74:75], v[76:77], -1.0
	v_add_f64 v[84:85], v[82:83], 1.0
	v_add_f64 v[74:75], v[65:66], -v[74:75]
	v_add_f64 v[65:66], v[65:66], -v[84:85]
	v_add_f64 v[74:75], v[72:73], v[74:75]
	v_add_f64 v[65:66], v[72:73], v[65:66]
	;; [unrolled: 1-line block ×4, first 2 shown]
	v_rcp_f64_e32 v[80:81], v[78:79]
	v_add_f64 v[76:77], v[78:79], -v[76:77]
	v_add_f64 v[82:83], v[84:85], -v[82:83]
	v_add_f64 v[74:75], v[74:75], -v[76:77]
	v_fma_f64 v[86:87], -v[78:79], v[80:81], 1.0
	v_add_f64 v[65:66], v[65:66], -v[82:83]
	v_fma_f64 v[80:81], v[86:87], v[80:81], v[80:81]
	v_fma_f64 v[72:73], -v[78:79], v[80:81], 1.0
	v_fma_f64 v[72:73], v[72:73], v[80:81], v[80:81]
	v_mul_f64 v[80:81], v[84:85], v[72:73]
	v_mul_f64 v[86:87], v[78:79], v[80:81]
	v_fma_f64 v[76:77], v[80:81], v[78:79], -v[86:87]
	v_fma_f64 v[76:77], v[80:81], v[74:75], v[76:77]
	v_add_f64 v[88:89], v[86:87], v[76:77]
	v_add_f64 v[90:91], v[84:85], -v[88:89]
	v_add_f64 v[82:83], v[88:89], -v[86:87]
	;; [unrolled: 1-line block ×5, first 2 shown]
	v_add_f64 v[65:66], v[65:66], v[84:85]
	v_add_f64 v[65:66], v[76:77], v[65:66]
	;; [unrolled: 1-line block ×3, first 2 shown]
	v_mul_f64 v[82:83], v[72:73], v[76:77]
	v_add_f64 v[88:89], v[90:91], -v[76:77]
	v_mul_f64 v[84:85], v[78:79], v[82:83]
	v_add_f64 v[65:66], v[65:66], v[88:89]
	v_fma_f64 v[78:79], v[82:83], v[78:79], -v[84:85]
	v_fma_f64 v[74:75], v[82:83], v[74:75], v[78:79]
	v_add_f64 v[78:79], v[84:85], v[74:75]
	v_add_f64 v[86:87], v[76:77], -v[78:79]
	v_add_f64 v[84:85], v[78:79], -v[84:85]
	v_add_f64 v[76:77], v[76:77], -v[86:87]
	v_add_f64 v[74:75], v[84:85], -v[74:75]
	v_add_f64 v[76:77], v[76:77], -v[78:79]
	v_add_f64 v[65:66], v[65:66], v[76:77]
	v_add_f64 v[76:77], v[80:81], v[82:83]
	;; [unrolled: 1-line block ×3, first 2 shown]
	v_add_f64 v[74:75], v[76:77], -v[80:81]
	v_add_f64 v[65:66], v[86:87], v[65:66]
	v_add_f64 v[74:75], v[82:83], -v[74:75]
	v_mul_f64 v[65:66], v[72:73], v[65:66]
	v_add_f64 v[65:66], v[74:75], v[65:66]
	v_add_f64 v[72:73], v[76:77], v[65:66]
	v_mul_f64 v[74:75], v[72:73], v[72:73]
	v_fma_f64 v[78:79], v[74:75], s[42:43], s[40:41]
	s_mov_b32 s40, 0xd7f4df2e
	s_mov_b32 s41, 0x3fc7474d
	v_mul_f64 v[80:81], v[72:73], v[74:75]
	v_fma_f64 v[78:79], v[74:75], v[78:79], s[40:41]
	s_mov_b32 s40, 0x16291751
	s_mov_b32 s41, 0x3fcc71c0
	v_fma_f64 v[78:79], v[74:75], v[78:79], s[40:41]
	s_mov_b32 s40, 0x9b27acf1
	s_mov_b32 s41, 0x3fd24924
	;; [unrolled: 3-line block ×3, first 2 shown]
	v_fma_f64 v[78:79], v[74:75], v[78:79], s[40:41]
	v_fma_f64 v[74:75], v[74:75], v[78:79], s[4:5]
	v_ldexp_f64 v[78:79], v[72:73], 1
	v_add_f64 v[72:73], v[72:73], -v[76:77]
	v_cmp_nge_f64_e64 s4, -1.0, v[63:64]
	v_cmp_neq_f64_e64 s5, 0x7ff00000, v[63:64]
	v_mul_f64 v[74:75], v[80:81], v[74:75]
	v_cvt_f64_i32_e32 v[80:81], v68
	v_add_f64 v[65:66], v[65:66], -v[72:73]
	s_and_b32 s4, s4, s5
	v_add_f64 v[76:77], v[78:79], v[74:75]
	v_mul_f64 v[82:83], v[80:81], s[34:35]
	v_ldexp_f64 v[65:66], v[65:66], 1
	v_add_f64 v[72:73], v[76:77], -v[78:79]
	v_fma_f64 v[78:79], v[80:81], s[34:35], -v[82:83]
	v_add_f64 v[72:73], v[74:75], -v[72:73]
	v_fma_f64 v[74:75], v[80:81], s[36:37], v[78:79]
	v_add_f64 v[65:66], v[65:66], v[72:73]
	v_add_f64 v[72:73], v[82:83], v[74:75]
	;; [unrolled: 1-line block ×3, first 2 shown]
	v_add_f64 v[82:83], v[72:73], -v[82:83]
	v_add_f64 v[80:81], v[72:73], v[78:79]
	v_add_f64 v[76:77], v[78:79], -v[76:77]
	v_add_f64 v[74:75], v[74:75], -v[82:83]
	;; [unrolled: 1-line block ×6, first 2 shown]
	v_add_f64 v[78:79], v[74:75], v[65:66]
	v_add_f64 v[72:73], v[72:73], -v[86:87]
	v_add_f64 v[72:73], v[76:77], v[72:73]
	v_add_f64 v[76:77], v[78:79], -v[74:75]
	;; [unrolled: 2-line block ×3, first 2 shown]
	v_add_f64 v[65:66], v[65:66], -v[76:77]
	v_add_f64 v[82:83], v[80:81], v[72:73]
	v_add_f64 v[74:75], v[74:75], -v[78:79]
	v_add_f64 v[76:77], v[82:83], -v[80:81]
	v_add_f64 v[65:66], v[65:66], v[74:75]
	v_add_f64 v[72:73], v[72:73], -v[76:77]
	v_add_f64 v[65:66], v[65:66], v[72:73]
	v_add_f64 v[65:66], v[82:83], v[65:66]
	v_cndmask_b32_e64 v65, 0, v65, s4
	v_cmp_neq_f64_e64 s4, -1.0, v[63:64]
	v_cndmask_b32_e64 v66, 0x7ff00000, v66, s5
	v_cndmask_b32_e64 v66, 0x7ff80000, v66, s29
	;; [unrolled: 1-line block ×3, first 2 shown]
	v_add_f64 v[63:64], v[61:62], v[65:66]
.LBB64_65:
	s_or_b32 exec_lo, exec_lo, s38
	v_mov_b32_e32 v61, v63
	v_mov_b32_e32 v62, v64
	;; [unrolled: 1-line block ×4, first 2 shown]
.LBB64_66:
	s_or_b32 exec_lo, exec_lo, s33
	v_mov_b32_dpp v63, v65 row_shr:8 row_mask:0xf bank_mask:0xf
	v_mov_b32_dpp v64, v66 row_shr:8 row_mask:0xf bank_mask:0xf
	s_mov_b32 s33, exec_lo
	v_cmpx_lt_u32_e32 7, v67
	s_cbranch_execz .LBB64_70
; %bb.67:
	v_max_f64 v[65:66], v[63:64], v[63:64]
	v_max_f64 v[67:68], v[61:62], v[61:62]
	v_cmp_u_f64_e64 s4, v[63:64], v[63:64]
	v_cmp_u_f64_e64 s5, v[61:62], v[61:62]
	v_min_f64 v[72:73], v[65:66], v[67:68]
	v_max_f64 v[65:66], v[65:66], v[67:68]
	v_cndmask_b32_e64 v67, v73, v64, s4
	v_cndmask_b32_e64 v68, v72, v63, s4
	;; [unrolled: 1-line block ×8, first 2 shown]
	v_cmp_class_f64_e64 s5, v[65:66], 0x1f8
	v_cmp_neq_f64_e64 s4, v[65:66], v[61:62]
	s_or_b32 s4, s4, s5
	s_and_saveexec_b32 s38, s4
	s_cbranch_execz .LBB64_69
; %bb.68:
	v_add_f64 v[63:64], v[65:66], -v[61:62]
	s_mov_b32 s4, 0x652b82fe
	s_mov_b32 s5, 0x3ff71547
	;; [unrolled: 1-line block ×10, first 2 shown]
	v_mul_f64 v[65:66], v[63:64], s[4:5]
	s_mov_b32 s4, 0xfca7ab0c
	s_mov_b32 s5, 0x3e928af3
	v_rndne_f64_e32 v[65:66], v[65:66]
	v_fma_f64 v[67:68], v[65:66], s[34:35], v[63:64]
	v_cvt_i32_f64_e32 v74, v[65:66]
	s_mov_b32 s35, 0x3fe62e42
	v_fma_f64 v[67:68], v[65:66], s[36:37], v[67:68]
	s_mov_b32 s37, 0x3c7abc9e
	v_fma_f64 v[72:73], v[67:68], s[40:41], s[4:5]
	s_mov_b32 s4, 0x623fde64
	s_mov_b32 s5, 0x3ec71dee
	;; [unrolled: 1-line block ×4, first 2 shown]
	v_fma_f64 v[72:73], v[67:68], v[72:73], s[4:5]
	s_mov_b32 s4, 0x7c89e6b0
	s_mov_b32 s5, 0x3efa0199
	v_fma_f64 v[72:73], v[67:68], v[72:73], s[4:5]
	s_mov_b32 s4, 0x14761f6e
	s_mov_b32 s5, 0x3f2a01a0
	;; [unrolled: 3-line block ×7, first 2 shown]
	v_fma_f64 v[72:73], v[67:68], v[72:73], s[4:5]
	v_cmp_nlt_f64_e64 s4, 0x40900000, v[63:64]
	v_cmp_ngt_f64_e64 s5, 0xc090cc00, v[63:64]
	v_fma_f64 v[72:73], v[67:68], v[72:73], 1.0
	v_fma_f64 v[65:66], v[67:68], v[72:73], 1.0
	v_ldexp_f64 v[65:66], v[65:66], v74
	v_cndmask_b32_e64 v66, 0x7ff00000, v66, s4
	s_and_b32 s4, s5, s4
	v_cndmask_b32_e64 v63, 0, v65, s4
	s_mov_b32 s4, 0x55555555
	v_cndmask_b32_e64 v64, 0, v66, s5
	s_mov_b32 s5, 0x3fe55555
	v_add_f64 v[65:66], v[63:64], 1.0
	v_cmp_ngt_f64_e64 s29, -1.0, v[63:64]
	v_frexp_mant_f64_e32 v[67:68], v[65:66]
	v_frexp_exp_i32_f64_e32 v74, v[65:66]
	v_add_f64 v[72:73], v[65:66], -1.0
	v_cmp_gt_f64_e64 s4, s[4:5], v[67:68]
	v_add_f64 v[67:68], v[72:73], -v[65:66]
	v_add_f64 v[72:73], v[63:64], -v[72:73]
	v_subrev_co_ci_u32_e64 v90, null, 0, v74, s4
	v_add_f64 v[67:68], v[67:68], 1.0
	s_mov_b32 s4, 0x55555780
	v_sub_nc_u32_e32 v76, 0, v90
	v_ldexp_f64 v[65:66], v[65:66], v76
	v_add_f64 v[67:68], v[72:73], v[67:68]
	v_add_f64 v[74:75], v[65:66], 1.0
	v_add_f64 v[80:81], v[65:66], -1.0
	v_ldexp_f64 v[67:68], v[67:68], v76
	v_add_f64 v[72:73], v[74:75], -1.0
	v_add_f64 v[82:83], v[80:81], 1.0
	v_add_f64 v[72:73], v[65:66], -v[72:73]
	v_add_f64 v[65:66], v[65:66], -v[82:83]
	v_add_f64 v[72:73], v[67:68], v[72:73]
	v_add_f64 v[65:66], v[67:68], v[65:66]
	;; [unrolled: 1-line block ×4, first 2 shown]
	v_rcp_f64_e32 v[78:79], v[76:77]
	v_add_f64 v[74:75], v[76:77], -v[74:75]
	v_add_f64 v[80:81], v[82:83], -v[80:81]
	v_add_f64 v[72:73], v[72:73], -v[74:75]
	v_fma_f64 v[84:85], -v[76:77], v[78:79], 1.0
	v_add_f64 v[65:66], v[65:66], -v[80:81]
	v_fma_f64 v[78:79], v[84:85], v[78:79], v[78:79]
	v_fma_f64 v[67:68], -v[76:77], v[78:79], 1.0
	v_fma_f64 v[67:68], v[67:68], v[78:79], v[78:79]
	v_mul_f64 v[78:79], v[82:83], v[67:68]
	v_mul_f64 v[84:85], v[76:77], v[78:79]
	v_fma_f64 v[74:75], v[78:79], v[76:77], -v[84:85]
	v_fma_f64 v[74:75], v[78:79], v[72:73], v[74:75]
	v_add_f64 v[86:87], v[84:85], v[74:75]
	v_add_f64 v[88:89], v[82:83], -v[86:87]
	v_add_f64 v[80:81], v[86:87], -v[84:85]
	;; [unrolled: 1-line block ×5, first 2 shown]
	v_add_f64 v[65:66], v[65:66], v[82:83]
	v_add_f64 v[65:66], v[74:75], v[65:66]
	;; [unrolled: 1-line block ×3, first 2 shown]
	v_mul_f64 v[80:81], v[67:68], v[74:75]
	v_add_f64 v[86:87], v[88:89], -v[74:75]
	v_mul_f64 v[82:83], v[76:77], v[80:81]
	v_add_f64 v[65:66], v[65:66], v[86:87]
	v_fma_f64 v[76:77], v[80:81], v[76:77], -v[82:83]
	v_fma_f64 v[72:73], v[80:81], v[72:73], v[76:77]
	v_add_f64 v[76:77], v[82:83], v[72:73]
	v_add_f64 v[84:85], v[74:75], -v[76:77]
	v_add_f64 v[82:83], v[76:77], -v[82:83]
	;; [unrolled: 1-line block ×5, first 2 shown]
	v_add_f64 v[65:66], v[65:66], v[74:75]
	v_add_f64 v[74:75], v[78:79], v[80:81]
	;; [unrolled: 1-line block ×3, first 2 shown]
	v_add_f64 v[72:73], v[74:75], -v[78:79]
	v_add_f64 v[65:66], v[84:85], v[65:66]
	v_add_f64 v[72:73], v[80:81], -v[72:73]
	v_mul_f64 v[65:66], v[67:68], v[65:66]
	v_add_f64 v[65:66], v[72:73], v[65:66]
	v_add_f64 v[67:68], v[74:75], v[65:66]
	v_mul_f64 v[72:73], v[67:68], v[67:68]
	v_fma_f64 v[76:77], v[72:73], s[42:43], s[40:41]
	s_mov_b32 s40, 0xd7f4df2e
	s_mov_b32 s41, 0x3fc7474d
	v_mul_f64 v[78:79], v[67:68], v[72:73]
	v_fma_f64 v[76:77], v[72:73], v[76:77], s[40:41]
	s_mov_b32 s40, 0x16291751
	s_mov_b32 s41, 0x3fcc71c0
	v_fma_f64 v[76:77], v[72:73], v[76:77], s[40:41]
	s_mov_b32 s40, 0x9b27acf1
	s_mov_b32 s41, 0x3fd24924
	;; [unrolled: 3-line block ×3, first 2 shown]
	v_fma_f64 v[76:77], v[72:73], v[76:77], s[40:41]
	v_fma_f64 v[72:73], v[72:73], v[76:77], s[4:5]
	v_ldexp_f64 v[76:77], v[67:68], 1
	v_add_f64 v[67:68], v[67:68], -v[74:75]
	v_cmp_nge_f64_e64 s4, -1.0, v[63:64]
	v_cmp_neq_f64_e64 s5, 0x7ff00000, v[63:64]
	v_mul_f64 v[72:73], v[78:79], v[72:73]
	v_cvt_f64_i32_e32 v[78:79], v90
	v_add_f64 v[65:66], v[65:66], -v[67:68]
	s_and_b32 s4, s4, s5
	v_add_f64 v[74:75], v[76:77], v[72:73]
	v_mul_f64 v[80:81], v[78:79], s[34:35]
	v_ldexp_f64 v[65:66], v[65:66], 1
	v_add_f64 v[67:68], v[74:75], -v[76:77]
	v_fma_f64 v[76:77], v[78:79], s[34:35], -v[80:81]
	v_add_f64 v[67:68], v[72:73], -v[67:68]
	v_fma_f64 v[72:73], v[78:79], s[36:37], v[76:77]
	v_add_f64 v[65:66], v[65:66], v[67:68]
	v_add_f64 v[67:68], v[80:81], v[72:73]
	;; [unrolled: 1-line block ×3, first 2 shown]
	v_add_f64 v[80:81], v[67:68], -v[80:81]
	v_add_f64 v[78:79], v[67:68], v[76:77]
	v_add_f64 v[74:75], v[76:77], -v[74:75]
	v_add_f64 v[72:73], v[72:73], -v[80:81]
	v_add_f64 v[82:83], v[78:79], -v[67:68]
	v_add_f64 v[65:66], v[65:66], -v[74:75]
	v_add_f64 v[84:85], v[78:79], -v[82:83]
	v_add_f64 v[74:75], v[76:77], -v[82:83]
	v_add_f64 v[76:77], v[72:73], v[65:66]
	v_add_f64 v[67:68], v[67:68], -v[84:85]
	v_add_f64 v[67:68], v[74:75], v[67:68]
	v_add_f64 v[74:75], v[76:77], -v[72:73]
	;; [unrolled: 2-line block ×3, first 2 shown]
	v_add_f64 v[65:66], v[65:66], -v[74:75]
	v_add_f64 v[80:81], v[78:79], v[67:68]
	v_add_f64 v[72:73], v[72:73], -v[76:77]
	v_add_f64 v[74:75], v[80:81], -v[78:79]
	v_add_f64 v[65:66], v[65:66], v[72:73]
	v_add_f64 v[67:68], v[67:68], -v[74:75]
	v_add_f64 v[65:66], v[65:66], v[67:68]
	v_add_f64 v[65:66], v[80:81], v[65:66]
	v_cndmask_b32_e64 v65, 0, v65, s4
	v_cmp_neq_f64_e64 s4, -1.0, v[63:64]
	v_cndmask_b32_e64 v66, 0x7ff00000, v66, s5
	v_cndmask_b32_e64 v66, 0x7ff80000, v66, s29
	;; [unrolled: 1-line block ×3, first 2 shown]
	v_add_f64 v[63:64], v[61:62], v[65:66]
.LBB64_69:
	s_or_b32 exec_lo, exec_lo, s38
	v_mov_b32_e32 v61, v63
	v_mov_b32_e32 v65, v63
	;; [unrolled: 1-line block ×4, first 2 shown]
.LBB64_70:
	s_or_b32 exec_lo, exec_lo, s33
	ds_swizzle_b32 v63, v65 offset:swizzle(BROADCAST,32,15)
	ds_swizzle_b32 v64, v66 offset:swizzle(BROADCAST,32,15)
	v_and_b32_e32 v65, 16, v71
	s_mov_b32 s33, exec_lo
	v_cmpx_ne_u32_e32 0, v65
	s_cbranch_execz .LBB64_74
; %bb.71:
	s_waitcnt lgkmcnt(0)
	v_max_f64 v[65:66], v[63:64], v[63:64]
	v_max_f64 v[67:68], v[61:62], v[61:62]
	v_cmp_u_f64_e64 s4, v[63:64], v[63:64]
	v_cmp_u_f64_e64 s5, v[61:62], v[61:62]
	v_min_f64 v[72:73], v[65:66], v[67:68]
	v_max_f64 v[65:66], v[65:66], v[67:68]
	v_cndmask_b32_e64 v67, v73, v64, s4
	v_cndmask_b32_e64 v68, v72, v63, s4
	;; [unrolled: 1-line block ×8, first 2 shown]
	v_cmp_class_f64_e64 s5, v[65:66], 0x1f8
	v_cmp_neq_f64_e64 s4, v[65:66], v[61:62]
	s_or_b32 s4, s4, s5
	s_and_saveexec_b32 s38, s4
	s_cbranch_execz .LBB64_73
; %bb.72:
	v_add_f64 v[63:64], v[65:66], -v[61:62]
	s_mov_b32 s4, 0x652b82fe
	s_mov_b32 s5, 0x3ff71547
	s_mov_b32 s35, 0xbfe62e42
	s_mov_b32 s34, 0xfefa39ef
	s_mov_b32 s37, 0xbc7abc9e
	s_mov_b32 s36, 0x3b39803f
	s_mov_b32 s40, 0x6a5dcb37
	s_mov_b32 s41, 0x3e5ade15
	s_mov_b32 s42, 0xbf559e2b
	s_mov_b32 s43, 0x3fc3ab76
	v_mul_f64 v[65:66], v[63:64], s[4:5]
	s_mov_b32 s4, 0xfca7ab0c
	s_mov_b32 s5, 0x3e928af3
	v_rndne_f64_e32 v[65:66], v[65:66]
	v_fma_f64 v[67:68], v[65:66], s[34:35], v[63:64]
	v_cvt_i32_f64_e32 v74, v[65:66]
	s_mov_b32 s35, 0x3fe62e42
	v_fma_f64 v[67:68], v[65:66], s[36:37], v[67:68]
	s_mov_b32 s37, 0x3c7abc9e
	v_fma_f64 v[72:73], v[67:68], s[40:41], s[4:5]
	s_mov_b32 s4, 0x623fde64
	s_mov_b32 s5, 0x3ec71dee
	;; [unrolled: 1-line block ×4, first 2 shown]
	v_fma_f64 v[72:73], v[67:68], v[72:73], s[4:5]
	s_mov_b32 s4, 0x7c89e6b0
	s_mov_b32 s5, 0x3efa0199
	v_fma_f64 v[72:73], v[67:68], v[72:73], s[4:5]
	s_mov_b32 s4, 0x14761f6e
	s_mov_b32 s5, 0x3f2a01a0
	;; [unrolled: 3-line block ×7, first 2 shown]
	v_fma_f64 v[72:73], v[67:68], v[72:73], s[4:5]
	v_cmp_nlt_f64_e64 s4, 0x40900000, v[63:64]
	v_cmp_ngt_f64_e64 s5, 0xc090cc00, v[63:64]
	v_fma_f64 v[72:73], v[67:68], v[72:73], 1.0
	v_fma_f64 v[65:66], v[67:68], v[72:73], 1.0
	v_ldexp_f64 v[65:66], v[65:66], v74
	v_cndmask_b32_e64 v66, 0x7ff00000, v66, s4
	s_and_b32 s4, s5, s4
	v_cndmask_b32_e64 v63, 0, v65, s4
	s_mov_b32 s4, 0x55555555
	v_cndmask_b32_e64 v64, 0, v66, s5
	s_mov_b32 s5, 0x3fe55555
	v_add_f64 v[65:66], v[63:64], 1.0
	v_cmp_ngt_f64_e64 s29, -1.0, v[63:64]
	v_frexp_mant_f64_e32 v[67:68], v[65:66]
	v_frexp_exp_i32_f64_e32 v74, v[65:66]
	v_add_f64 v[72:73], v[65:66], -1.0
	v_cmp_gt_f64_e64 s4, s[4:5], v[67:68]
	v_add_f64 v[67:68], v[72:73], -v[65:66]
	v_add_f64 v[72:73], v[63:64], -v[72:73]
	v_subrev_co_ci_u32_e64 v90, null, 0, v74, s4
	v_add_f64 v[67:68], v[67:68], 1.0
	s_mov_b32 s4, 0x55555780
	v_sub_nc_u32_e32 v76, 0, v90
	v_ldexp_f64 v[65:66], v[65:66], v76
	v_add_f64 v[67:68], v[72:73], v[67:68]
	v_add_f64 v[74:75], v[65:66], 1.0
	v_add_f64 v[80:81], v[65:66], -1.0
	v_ldexp_f64 v[67:68], v[67:68], v76
	v_add_f64 v[72:73], v[74:75], -1.0
	v_add_f64 v[82:83], v[80:81], 1.0
	v_add_f64 v[72:73], v[65:66], -v[72:73]
	v_add_f64 v[65:66], v[65:66], -v[82:83]
	v_add_f64 v[72:73], v[67:68], v[72:73]
	v_add_f64 v[65:66], v[67:68], v[65:66]
	;; [unrolled: 1-line block ×4, first 2 shown]
	v_rcp_f64_e32 v[78:79], v[76:77]
	v_add_f64 v[74:75], v[76:77], -v[74:75]
	v_add_f64 v[80:81], v[82:83], -v[80:81]
	;; [unrolled: 1-line block ×3, first 2 shown]
	v_fma_f64 v[84:85], -v[76:77], v[78:79], 1.0
	v_add_f64 v[65:66], v[65:66], -v[80:81]
	v_fma_f64 v[78:79], v[84:85], v[78:79], v[78:79]
	v_fma_f64 v[67:68], -v[76:77], v[78:79], 1.0
	v_fma_f64 v[67:68], v[67:68], v[78:79], v[78:79]
	v_mul_f64 v[78:79], v[82:83], v[67:68]
	v_mul_f64 v[84:85], v[76:77], v[78:79]
	v_fma_f64 v[74:75], v[78:79], v[76:77], -v[84:85]
	v_fma_f64 v[74:75], v[78:79], v[72:73], v[74:75]
	v_add_f64 v[86:87], v[84:85], v[74:75]
	v_add_f64 v[88:89], v[82:83], -v[86:87]
	v_add_f64 v[80:81], v[86:87], -v[84:85]
	;; [unrolled: 1-line block ×5, first 2 shown]
	v_add_f64 v[65:66], v[65:66], v[82:83]
	v_add_f64 v[65:66], v[74:75], v[65:66]
	;; [unrolled: 1-line block ×3, first 2 shown]
	v_mul_f64 v[80:81], v[67:68], v[74:75]
	v_add_f64 v[86:87], v[88:89], -v[74:75]
	v_mul_f64 v[82:83], v[76:77], v[80:81]
	v_add_f64 v[65:66], v[65:66], v[86:87]
	v_fma_f64 v[76:77], v[80:81], v[76:77], -v[82:83]
	v_fma_f64 v[72:73], v[80:81], v[72:73], v[76:77]
	v_add_f64 v[76:77], v[82:83], v[72:73]
	v_add_f64 v[84:85], v[74:75], -v[76:77]
	v_add_f64 v[82:83], v[76:77], -v[82:83]
	v_add_f64 v[74:75], v[74:75], -v[84:85]
	v_add_f64 v[72:73], v[82:83], -v[72:73]
	v_add_f64 v[74:75], v[74:75], -v[76:77]
	v_add_f64 v[65:66], v[65:66], v[74:75]
	v_add_f64 v[74:75], v[78:79], v[80:81]
	;; [unrolled: 1-line block ×3, first 2 shown]
	v_add_f64 v[72:73], v[74:75], -v[78:79]
	v_add_f64 v[65:66], v[84:85], v[65:66]
	v_add_f64 v[72:73], v[80:81], -v[72:73]
	v_mul_f64 v[65:66], v[67:68], v[65:66]
	v_add_f64 v[65:66], v[72:73], v[65:66]
	v_add_f64 v[67:68], v[74:75], v[65:66]
	v_mul_f64 v[72:73], v[67:68], v[67:68]
	v_fma_f64 v[76:77], v[72:73], s[42:43], s[40:41]
	s_mov_b32 s40, 0xd7f4df2e
	s_mov_b32 s41, 0x3fc7474d
	v_mul_f64 v[78:79], v[67:68], v[72:73]
	v_fma_f64 v[76:77], v[72:73], v[76:77], s[40:41]
	s_mov_b32 s40, 0x16291751
	s_mov_b32 s41, 0x3fcc71c0
	v_fma_f64 v[76:77], v[72:73], v[76:77], s[40:41]
	s_mov_b32 s40, 0x9b27acf1
	s_mov_b32 s41, 0x3fd24924
	;; [unrolled: 3-line block ×3, first 2 shown]
	v_fma_f64 v[76:77], v[72:73], v[76:77], s[40:41]
	v_fma_f64 v[72:73], v[72:73], v[76:77], s[4:5]
	v_ldexp_f64 v[76:77], v[67:68], 1
	v_add_f64 v[67:68], v[67:68], -v[74:75]
	v_cmp_nge_f64_e64 s4, -1.0, v[63:64]
	v_cmp_neq_f64_e64 s5, 0x7ff00000, v[63:64]
	v_mul_f64 v[72:73], v[78:79], v[72:73]
	v_cvt_f64_i32_e32 v[78:79], v90
	v_add_f64 v[65:66], v[65:66], -v[67:68]
	s_and_b32 s4, s4, s5
	v_add_f64 v[74:75], v[76:77], v[72:73]
	v_mul_f64 v[80:81], v[78:79], s[34:35]
	v_ldexp_f64 v[65:66], v[65:66], 1
	v_add_f64 v[67:68], v[74:75], -v[76:77]
	v_fma_f64 v[76:77], v[78:79], s[34:35], -v[80:81]
	v_add_f64 v[67:68], v[72:73], -v[67:68]
	v_fma_f64 v[72:73], v[78:79], s[36:37], v[76:77]
	v_add_f64 v[65:66], v[65:66], v[67:68]
	v_add_f64 v[67:68], v[80:81], v[72:73]
	;; [unrolled: 1-line block ×3, first 2 shown]
	v_add_f64 v[80:81], v[67:68], -v[80:81]
	v_add_f64 v[78:79], v[67:68], v[76:77]
	v_add_f64 v[74:75], v[76:77], -v[74:75]
	v_add_f64 v[72:73], v[72:73], -v[80:81]
	;; [unrolled: 1-line block ×6, first 2 shown]
	v_add_f64 v[76:77], v[72:73], v[65:66]
	v_add_f64 v[67:68], v[67:68], -v[84:85]
	v_add_f64 v[67:68], v[74:75], v[67:68]
	v_add_f64 v[74:75], v[76:77], -v[72:73]
	;; [unrolled: 2-line block ×3, first 2 shown]
	v_add_f64 v[65:66], v[65:66], -v[74:75]
	v_add_f64 v[80:81], v[78:79], v[67:68]
	v_add_f64 v[72:73], v[72:73], -v[76:77]
	v_add_f64 v[74:75], v[80:81], -v[78:79]
	v_add_f64 v[65:66], v[65:66], v[72:73]
	v_add_f64 v[67:68], v[67:68], -v[74:75]
	v_add_f64 v[65:66], v[65:66], v[67:68]
	v_add_f64 v[65:66], v[80:81], v[65:66]
	v_cndmask_b32_e64 v65, 0, v65, s4
	v_cmp_neq_f64_e64 s4, -1.0, v[63:64]
	v_cndmask_b32_e64 v66, 0x7ff00000, v66, s5
	v_cndmask_b32_e64 v66, 0x7ff80000, v66, s29
	;; [unrolled: 1-line block ×3, first 2 shown]
	v_add_f64 v[63:64], v[61:62], v[65:66]
.LBB64_73:
	s_or_b32 exec_lo, exec_lo, s38
	v_mov_b32_e32 v61, v63
	v_mov_b32_e32 v62, v64
.LBB64_74:
	s_or_b32 exec_lo, exec_lo, s33
	s_waitcnt lgkmcnt(0)
	v_or_b32_e32 v63, 31, v0
	v_lshrrev_b32_e32 v72, 5, v0
	s_mov_b32 s5, exec_lo
	v_cmpx_eq_u32_e64 v0, v63
; %bb.75:
	v_lshlrev_b32_e32 v63, 3, v72
	ds_write_b64 v63, v[61:62]
; %bb.76:
	s_or_b32 exec_lo, exec_lo, s5
	s_mov_b32 s33, exec_lo
	s_waitcnt lgkmcnt(0)
	s_barrier
	buffer_gl0_inv
	v_cmpx_gt_u32_e32 4, v0
	s_cbranch_execz .LBB64_86
; %bb.77:
	ds_read_b64 v[63:64], v69
	v_and_b32_e32 v73, 3, v71
	s_mov_b32 s38, exec_lo
	s_waitcnt lgkmcnt(0)
	v_mov_b32_dpp v65, v63 row_shr:1 row_mask:0xf bank_mask:0xf
	v_mov_b32_dpp v66, v64 row_shr:1 row_mask:0xf bank_mask:0xf
	v_mov_b32_e32 v67, v63
	v_mov_b32_e32 v68, v64
	v_cmpx_ne_u32_e32 0, v73
	s_cbranch_execz .LBB64_81
; %bb.78:
	v_max_f64 v[67:68], v[65:66], v[65:66]
	v_max_f64 v[74:75], v[63:64], v[63:64]
	v_cmp_u_f64_e64 s4, v[65:66], v[65:66]
	v_cmp_u_f64_e64 s5, v[63:64], v[63:64]
	v_min_f64 v[76:77], v[67:68], v[74:75]
	v_max_f64 v[67:68], v[67:68], v[74:75]
	v_cndmask_b32_e64 v74, v77, v66, s4
	v_cndmask_b32_e64 v75, v76, v65, s4
	;; [unrolled: 1-line block ×8, first 2 shown]
	v_cmp_class_f64_e64 s5, v[67:68], 0x1f8
	v_cmp_neq_f64_e64 s4, v[67:68], v[63:64]
	s_or_b32 s4, s4, s5
	s_and_saveexec_b32 s39, s4
	s_cbranch_execz .LBB64_80
; %bb.79:
	v_add_f64 v[65:66], v[67:68], -v[63:64]
	s_mov_b32 s4, 0x652b82fe
	s_mov_b32 s5, 0x3ff71547
	;; [unrolled: 1-line block ×10, first 2 shown]
	v_mul_f64 v[67:68], v[65:66], s[4:5]
	s_mov_b32 s4, 0xfca7ab0c
	s_mov_b32 s5, 0x3e928af3
	v_rndne_f64_e32 v[67:68], v[67:68]
	v_fma_f64 v[74:75], v[67:68], s[34:35], v[65:66]
	v_cvt_i32_f64_e32 v78, v[67:68]
	s_mov_b32 s35, 0x3fe62e42
	v_fma_f64 v[74:75], v[67:68], s[36:37], v[74:75]
	s_mov_b32 s37, 0x3c7abc9e
	v_fma_f64 v[76:77], v[74:75], s[40:41], s[4:5]
	s_mov_b32 s4, 0x623fde64
	s_mov_b32 s5, 0x3ec71dee
	;; [unrolled: 1-line block ×4, first 2 shown]
	v_fma_f64 v[76:77], v[74:75], v[76:77], s[4:5]
	s_mov_b32 s4, 0x7c89e6b0
	s_mov_b32 s5, 0x3efa0199
	v_fma_f64 v[76:77], v[74:75], v[76:77], s[4:5]
	s_mov_b32 s4, 0x14761f6e
	s_mov_b32 s5, 0x3f2a01a0
	v_fma_f64 v[76:77], v[74:75], v[76:77], s[4:5]
	s_mov_b32 s4, 0x1852b7b0
	s_mov_b32 s5, 0x3f56c16c
	v_fma_f64 v[76:77], v[74:75], v[76:77], s[4:5]
	s_mov_b32 s4, 0x11122322
	s_mov_b32 s5, 0x3f811111
	v_fma_f64 v[76:77], v[74:75], v[76:77], s[4:5]
	s_mov_b32 s4, 0x555502a1
	s_mov_b32 s5, 0x3fa55555
	v_fma_f64 v[76:77], v[74:75], v[76:77], s[4:5]
	s_mov_b32 s4, 0x55555511
	s_mov_b32 s5, 0x3fc55555
	v_fma_f64 v[76:77], v[74:75], v[76:77], s[4:5]
	s_mov_b32 s4, 11
	s_mov_b32 s5, 0x3fe00000
	v_fma_f64 v[76:77], v[74:75], v[76:77], s[4:5]
	v_cmp_nlt_f64_e64 s4, 0x40900000, v[65:66]
	v_cmp_ngt_f64_e64 s5, 0xc090cc00, v[65:66]
	v_fma_f64 v[76:77], v[74:75], v[76:77], 1.0
	v_fma_f64 v[67:68], v[74:75], v[76:77], 1.0
	v_ldexp_f64 v[67:68], v[67:68], v78
	v_cndmask_b32_e64 v68, 0x7ff00000, v68, s4
	s_and_b32 s4, s5, s4
	v_cndmask_b32_e64 v65, 0, v67, s4
	s_mov_b32 s4, 0x55555555
	v_cndmask_b32_e64 v66, 0, v68, s5
	s_mov_b32 s5, 0x3fe55555
	v_add_f64 v[67:68], v[65:66], 1.0
	v_cmp_ngt_f64_e64 s29, -1.0, v[65:66]
	v_frexp_mant_f64_e32 v[74:75], v[67:68]
	v_frexp_exp_i32_f64_e32 v78, v[67:68]
	v_add_f64 v[76:77], v[67:68], -1.0
	v_cmp_gt_f64_e64 s4, s[4:5], v[74:75]
	v_add_f64 v[74:75], v[76:77], -v[67:68]
	v_add_f64 v[76:77], v[65:66], -v[76:77]
	v_subrev_co_ci_u32_e64 v94, null, 0, v78, s4
	v_add_f64 v[74:75], v[74:75], 1.0
	s_mov_b32 s4, 0x55555780
	v_sub_nc_u32_e32 v80, 0, v94
	v_ldexp_f64 v[67:68], v[67:68], v80
	v_add_f64 v[74:75], v[76:77], v[74:75]
	v_add_f64 v[78:79], v[67:68], 1.0
	v_add_f64 v[84:85], v[67:68], -1.0
	v_ldexp_f64 v[74:75], v[74:75], v80
	v_add_f64 v[76:77], v[78:79], -1.0
	v_add_f64 v[86:87], v[84:85], 1.0
	v_add_f64 v[76:77], v[67:68], -v[76:77]
	v_add_f64 v[67:68], v[67:68], -v[86:87]
	v_add_f64 v[76:77], v[74:75], v[76:77]
	v_add_f64 v[67:68], v[74:75], v[67:68]
	;; [unrolled: 1-line block ×4, first 2 shown]
	v_rcp_f64_e32 v[82:83], v[80:81]
	v_add_f64 v[78:79], v[80:81], -v[78:79]
	v_add_f64 v[84:85], v[86:87], -v[84:85]
	;; [unrolled: 1-line block ×3, first 2 shown]
	v_fma_f64 v[88:89], -v[80:81], v[82:83], 1.0
	v_add_f64 v[67:68], v[67:68], -v[84:85]
	v_fma_f64 v[82:83], v[88:89], v[82:83], v[82:83]
	v_fma_f64 v[74:75], -v[80:81], v[82:83], 1.0
	v_fma_f64 v[74:75], v[74:75], v[82:83], v[82:83]
	v_mul_f64 v[82:83], v[86:87], v[74:75]
	v_mul_f64 v[88:89], v[80:81], v[82:83]
	v_fma_f64 v[78:79], v[82:83], v[80:81], -v[88:89]
	v_fma_f64 v[78:79], v[82:83], v[76:77], v[78:79]
	v_add_f64 v[90:91], v[88:89], v[78:79]
	v_add_f64 v[92:93], v[86:87], -v[90:91]
	v_add_f64 v[84:85], v[90:91], -v[88:89]
	;; [unrolled: 1-line block ×5, first 2 shown]
	v_add_f64 v[67:68], v[67:68], v[86:87]
	v_add_f64 v[67:68], v[78:79], v[67:68]
	;; [unrolled: 1-line block ×3, first 2 shown]
	v_mul_f64 v[84:85], v[74:75], v[78:79]
	v_add_f64 v[90:91], v[92:93], -v[78:79]
	v_mul_f64 v[86:87], v[80:81], v[84:85]
	v_add_f64 v[67:68], v[67:68], v[90:91]
	v_fma_f64 v[80:81], v[84:85], v[80:81], -v[86:87]
	v_fma_f64 v[76:77], v[84:85], v[76:77], v[80:81]
	v_add_f64 v[80:81], v[86:87], v[76:77]
	v_add_f64 v[88:89], v[78:79], -v[80:81]
	v_add_f64 v[86:87], v[80:81], -v[86:87]
	;; [unrolled: 1-line block ×5, first 2 shown]
	v_add_f64 v[67:68], v[67:68], v[78:79]
	v_add_f64 v[78:79], v[82:83], v[84:85]
	;; [unrolled: 1-line block ×3, first 2 shown]
	v_add_f64 v[76:77], v[78:79], -v[82:83]
	v_add_f64 v[67:68], v[88:89], v[67:68]
	v_add_f64 v[76:77], v[84:85], -v[76:77]
	v_mul_f64 v[67:68], v[74:75], v[67:68]
	v_add_f64 v[67:68], v[76:77], v[67:68]
	v_add_f64 v[74:75], v[78:79], v[67:68]
	v_mul_f64 v[76:77], v[74:75], v[74:75]
	v_fma_f64 v[80:81], v[76:77], s[42:43], s[40:41]
	s_mov_b32 s40, 0xd7f4df2e
	s_mov_b32 s41, 0x3fc7474d
	v_mul_f64 v[82:83], v[74:75], v[76:77]
	v_fma_f64 v[80:81], v[76:77], v[80:81], s[40:41]
	s_mov_b32 s40, 0x16291751
	s_mov_b32 s41, 0x3fcc71c0
	v_fma_f64 v[80:81], v[76:77], v[80:81], s[40:41]
	s_mov_b32 s40, 0x9b27acf1
	s_mov_b32 s41, 0x3fd24924
	;; [unrolled: 3-line block ×3, first 2 shown]
	v_fma_f64 v[80:81], v[76:77], v[80:81], s[40:41]
	v_fma_f64 v[76:77], v[76:77], v[80:81], s[4:5]
	v_ldexp_f64 v[80:81], v[74:75], 1
	v_add_f64 v[74:75], v[74:75], -v[78:79]
	v_cmp_nge_f64_e64 s4, -1.0, v[65:66]
	v_cmp_neq_f64_e64 s5, 0x7ff00000, v[65:66]
	v_mul_f64 v[76:77], v[82:83], v[76:77]
	v_cvt_f64_i32_e32 v[82:83], v94
	v_add_f64 v[67:68], v[67:68], -v[74:75]
	s_and_b32 s4, s4, s5
	v_add_f64 v[78:79], v[80:81], v[76:77]
	v_mul_f64 v[84:85], v[82:83], s[34:35]
	v_ldexp_f64 v[67:68], v[67:68], 1
	v_add_f64 v[74:75], v[78:79], -v[80:81]
	v_fma_f64 v[80:81], v[82:83], s[34:35], -v[84:85]
	v_add_f64 v[74:75], v[76:77], -v[74:75]
	v_fma_f64 v[76:77], v[82:83], s[36:37], v[80:81]
	v_add_f64 v[67:68], v[67:68], v[74:75]
	v_add_f64 v[74:75], v[84:85], v[76:77]
	;; [unrolled: 1-line block ×3, first 2 shown]
	v_add_f64 v[84:85], v[74:75], -v[84:85]
	v_add_f64 v[82:83], v[74:75], v[80:81]
	v_add_f64 v[78:79], v[80:81], -v[78:79]
	v_add_f64 v[76:77], v[76:77], -v[84:85]
	;; [unrolled: 1-line block ×6, first 2 shown]
	v_add_f64 v[80:81], v[76:77], v[67:68]
	v_add_f64 v[74:75], v[74:75], -v[88:89]
	v_add_f64 v[74:75], v[78:79], v[74:75]
	v_add_f64 v[78:79], v[80:81], -v[76:77]
	;; [unrolled: 2-line block ×3, first 2 shown]
	v_add_f64 v[67:68], v[67:68], -v[78:79]
	v_add_f64 v[84:85], v[82:83], v[74:75]
	v_add_f64 v[76:77], v[76:77], -v[80:81]
	v_add_f64 v[78:79], v[84:85], -v[82:83]
	v_add_f64 v[67:68], v[67:68], v[76:77]
	v_add_f64 v[74:75], v[74:75], -v[78:79]
	v_add_f64 v[67:68], v[67:68], v[74:75]
	v_add_f64 v[67:68], v[84:85], v[67:68]
	v_cndmask_b32_e64 v67, 0, v67, s4
	v_cmp_neq_f64_e64 s4, -1.0, v[65:66]
	v_cndmask_b32_e64 v68, 0x7ff00000, v68, s5
	v_cndmask_b32_e64 v68, 0x7ff80000, v68, s29
	;; [unrolled: 1-line block ×3, first 2 shown]
	v_add_f64 v[65:66], v[63:64], v[67:68]
.LBB64_80:
	s_or_b32 exec_lo, exec_lo, s39
	v_mov_b32_e32 v63, v65
	v_mov_b32_e32 v67, v65
	v_mov_b32_e32 v68, v66
	v_mov_b32_e32 v64, v66
.LBB64_81:
	s_or_b32 exec_lo, exec_lo, s38
	v_mov_b32_dpp v65, v67 row_shr:2 row_mask:0xf bank_mask:0xf
	v_mov_b32_dpp v66, v68 row_shr:2 row_mask:0xf bank_mask:0xf
	s_mov_b32 s38, exec_lo
	v_cmpx_lt_u32_e32 1, v73
	s_cbranch_execz .LBB64_85
; %bb.82:
	v_max_f64 v[67:68], v[65:66], v[65:66]
	v_max_f64 v[73:74], v[63:64], v[63:64]
	v_cmp_u_f64_e64 s4, v[65:66], v[65:66]
	v_cmp_u_f64_e64 s5, v[63:64], v[63:64]
	v_min_f64 v[75:76], v[67:68], v[73:74]
	v_max_f64 v[67:68], v[67:68], v[73:74]
	v_cndmask_b32_e64 v73, v76, v66, s4
	v_cndmask_b32_e64 v74, v75, v65, s4
	;; [unrolled: 1-line block ×8, first 2 shown]
	v_cmp_class_f64_e64 s5, v[67:68], 0x1f8
	v_cmp_neq_f64_e64 s4, v[67:68], v[63:64]
	s_or_b32 s4, s4, s5
	s_and_saveexec_b32 s39, s4
	s_cbranch_execz .LBB64_84
; %bb.83:
	v_add_f64 v[65:66], v[67:68], -v[63:64]
	s_mov_b32 s4, 0x652b82fe
	s_mov_b32 s5, 0x3ff71547
	;; [unrolled: 1-line block ×10, first 2 shown]
	v_mul_f64 v[67:68], v[65:66], s[4:5]
	s_mov_b32 s4, 0xfca7ab0c
	s_mov_b32 s5, 0x3e928af3
	v_rndne_f64_e32 v[67:68], v[67:68]
	v_fma_f64 v[73:74], v[67:68], s[34:35], v[65:66]
	v_cvt_i32_f64_e32 v77, v[67:68]
	s_mov_b32 s35, 0x3fe62e42
	v_fma_f64 v[73:74], v[67:68], s[36:37], v[73:74]
	s_mov_b32 s37, 0x3c7abc9e
	v_fma_f64 v[75:76], v[73:74], s[40:41], s[4:5]
	s_mov_b32 s4, 0x623fde64
	s_mov_b32 s5, 0x3ec71dee
	;; [unrolled: 1-line block ×4, first 2 shown]
	v_fma_f64 v[75:76], v[73:74], v[75:76], s[4:5]
	s_mov_b32 s4, 0x7c89e6b0
	s_mov_b32 s5, 0x3efa0199
	v_fma_f64 v[75:76], v[73:74], v[75:76], s[4:5]
	s_mov_b32 s4, 0x14761f6e
	s_mov_b32 s5, 0x3f2a01a0
	;; [unrolled: 3-line block ×7, first 2 shown]
	v_fma_f64 v[75:76], v[73:74], v[75:76], s[4:5]
	v_cmp_nlt_f64_e64 s4, 0x40900000, v[65:66]
	v_cmp_ngt_f64_e64 s5, 0xc090cc00, v[65:66]
	v_fma_f64 v[75:76], v[73:74], v[75:76], 1.0
	v_fma_f64 v[67:68], v[73:74], v[75:76], 1.0
	v_ldexp_f64 v[67:68], v[67:68], v77
	v_cndmask_b32_e64 v68, 0x7ff00000, v68, s4
	s_and_b32 s4, s5, s4
	v_cndmask_b32_e64 v65, 0, v67, s4
	s_mov_b32 s4, 0x55555555
	v_cndmask_b32_e64 v66, 0, v68, s5
	s_mov_b32 s5, 0x3fe55555
	v_add_f64 v[67:68], v[65:66], 1.0
	v_cmp_ngt_f64_e64 s29, -1.0, v[65:66]
	v_frexp_mant_f64_e32 v[73:74], v[67:68]
	v_frexp_exp_i32_f64_e32 v77, v[67:68]
	v_add_f64 v[75:76], v[67:68], -1.0
	v_cmp_gt_f64_e64 s4, s[4:5], v[73:74]
	v_add_f64 v[73:74], v[75:76], -v[67:68]
	v_add_f64 v[75:76], v[65:66], -v[75:76]
	v_subrev_co_ci_u32_e64 v93, null, 0, v77, s4
	v_add_f64 v[73:74], v[73:74], 1.0
	s_mov_b32 s4, 0x55555780
	v_sub_nc_u32_e32 v79, 0, v93
	v_ldexp_f64 v[67:68], v[67:68], v79
	v_add_f64 v[73:74], v[75:76], v[73:74]
	v_add_f64 v[77:78], v[67:68], 1.0
	v_add_f64 v[83:84], v[67:68], -1.0
	v_ldexp_f64 v[73:74], v[73:74], v79
	v_add_f64 v[75:76], v[77:78], -1.0
	v_add_f64 v[85:86], v[83:84], 1.0
	v_add_f64 v[75:76], v[67:68], -v[75:76]
	v_add_f64 v[67:68], v[67:68], -v[85:86]
	v_add_f64 v[75:76], v[73:74], v[75:76]
	v_add_f64 v[67:68], v[73:74], v[67:68]
	;; [unrolled: 1-line block ×4, first 2 shown]
	v_rcp_f64_e32 v[81:82], v[79:80]
	v_add_f64 v[77:78], v[79:80], -v[77:78]
	v_add_f64 v[83:84], v[85:86], -v[83:84]
	;; [unrolled: 1-line block ×3, first 2 shown]
	v_fma_f64 v[87:88], -v[79:80], v[81:82], 1.0
	v_add_f64 v[67:68], v[67:68], -v[83:84]
	v_fma_f64 v[81:82], v[87:88], v[81:82], v[81:82]
	v_fma_f64 v[73:74], -v[79:80], v[81:82], 1.0
	v_fma_f64 v[73:74], v[73:74], v[81:82], v[81:82]
	v_mul_f64 v[81:82], v[85:86], v[73:74]
	v_mul_f64 v[87:88], v[79:80], v[81:82]
	v_fma_f64 v[77:78], v[81:82], v[79:80], -v[87:88]
	v_fma_f64 v[77:78], v[81:82], v[75:76], v[77:78]
	v_add_f64 v[89:90], v[87:88], v[77:78]
	v_add_f64 v[91:92], v[85:86], -v[89:90]
	v_add_f64 v[83:84], v[89:90], -v[87:88]
	v_add_f64 v[85:86], v[85:86], -v[91:92]
	v_add_f64 v[77:78], v[83:84], -v[77:78]
	v_add_f64 v[85:86], v[85:86], -v[89:90]
	v_add_f64 v[67:68], v[67:68], v[85:86]
	v_add_f64 v[67:68], v[77:78], v[67:68]
	;; [unrolled: 1-line block ×3, first 2 shown]
	v_mul_f64 v[83:84], v[73:74], v[77:78]
	v_add_f64 v[89:90], v[91:92], -v[77:78]
	v_mul_f64 v[85:86], v[79:80], v[83:84]
	v_add_f64 v[67:68], v[67:68], v[89:90]
	v_fma_f64 v[79:80], v[83:84], v[79:80], -v[85:86]
	v_fma_f64 v[75:76], v[83:84], v[75:76], v[79:80]
	v_add_f64 v[79:80], v[85:86], v[75:76]
	v_add_f64 v[87:88], v[77:78], -v[79:80]
	v_add_f64 v[85:86], v[79:80], -v[85:86]
	;; [unrolled: 1-line block ×5, first 2 shown]
	v_add_f64 v[67:68], v[67:68], v[77:78]
	v_add_f64 v[77:78], v[81:82], v[83:84]
	;; [unrolled: 1-line block ×3, first 2 shown]
	v_add_f64 v[75:76], v[77:78], -v[81:82]
	v_add_f64 v[67:68], v[87:88], v[67:68]
	v_add_f64 v[75:76], v[83:84], -v[75:76]
	v_mul_f64 v[67:68], v[73:74], v[67:68]
	v_add_f64 v[67:68], v[75:76], v[67:68]
	v_add_f64 v[73:74], v[77:78], v[67:68]
	v_mul_f64 v[75:76], v[73:74], v[73:74]
	v_fma_f64 v[79:80], v[75:76], s[42:43], s[40:41]
	s_mov_b32 s40, 0xd7f4df2e
	s_mov_b32 s41, 0x3fc7474d
	v_mul_f64 v[81:82], v[73:74], v[75:76]
	v_fma_f64 v[79:80], v[75:76], v[79:80], s[40:41]
	s_mov_b32 s40, 0x16291751
	s_mov_b32 s41, 0x3fcc71c0
	v_fma_f64 v[79:80], v[75:76], v[79:80], s[40:41]
	s_mov_b32 s40, 0x9b27acf1
	s_mov_b32 s41, 0x3fd24924
	;; [unrolled: 3-line block ×3, first 2 shown]
	v_fma_f64 v[79:80], v[75:76], v[79:80], s[40:41]
	v_fma_f64 v[75:76], v[75:76], v[79:80], s[4:5]
	v_ldexp_f64 v[79:80], v[73:74], 1
	v_add_f64 v[73:74], v[73:74], -v[77:78]
	v_cmp_nge_f64_e64 s4, -1.0, v[65:66]
	v_cmp_neq_f64_e64 s5, 0x7ff00000, v[65:66]
	v_mul_f64 v[75:76], v[81:82], v[75:76]
	v_cvt_f64_i32_e32 v[81:82], v93
	v_add_f64 v[67:68], v[67:68], -v[73:74]
	s_and_b32 s4, s4, s5
	v_add_f64 v[77:78], v[79:80], v[75:76]
	v_mul_f64 v[83:84], v[81:82], s[34:35]
	v_ldexp_f64 v[67:68], v[67:68], 1
	v_add_f64 v[73:74], v[77:78], -v[79:80]
	v_fma_f64 v[79:80], v[81:82], s[34:35], -v[83:84]
	v_add_f64 v[73:74], v[75:76], -v[73:74]
	v_fma_f64 v[75:76], v[81:82], s[36:37], v[79:80]
	v_add_f64 v[67:68], v[67:68], v[73:74]
	v_add_f64 v[73:74], v[83:84], v[75:76]
	;; [unrolled: 1-line block ×3, first 2 shown]
	v_add_f64 v[83:84], v[73:74], -v[83:84]
	v_add_f64 v[81:82], v[73:74], v[79:80]
	v_add_f64 v[77:78], v[79:80], -v[77:78]
	v_add_f64 v[75:76], v[75:76], -v[83:84]
	;; [unrolled: 1-line block ×6, first 2 shown]
	v_add_f64 v[79:80], v[75:76], v[67:68]
	v_add_f64 v[73:74], v[73:74], -v[87:88]
	v_add_f64 v[73:74], v[77:78], v[73:74]
	v_add_f64 v[77:78], v[79:80], -v[75:76]
	;; [unrolled: 2-line block ×3, first 2 shown]
	v_add_f64 v[67:68], v[67:68], -v[77:78]
	v_add_f64 v[83:84], v[81:82], v[73:74]
	v_add_f64 v[75:76], v[75:76], -v[79:80]
	v_add_f64 v[77:78], v[83:84], -v[81:82]
	v_add_f64 v[67:68], v[67:68], v[75:76]
	v_add_f64 v[73:74], v[73:74], -v[77:78]
	v_add_f64 v[67:68], v[67:68], v[73:74]
	v_add_f64 v[67:68], v[83:84], v[67:68]
	v_cndmask_b32_e64 v67, 0, v67, s4
	v_cmp_neq_f64_e64 s4, -1.0, v[65:66]
	v_cndmask_b32_e64 v68, 0x7ff00000, v68, s5
	v_cndmask_b32_e64 v68, 0x7ff80000, v68, s29
	;; [unrolled: 1-line block ×3, first 2 shown]
	v_add_f64 v[65:66], v[63:64], v[67:68]
.LBB64_84:
	s_or_b32 exec_lo, exec_lo, s39
	v_mov_b32_e32 v63, v65
	v_mov_b32_e32 v64, v66
.LBB64_85:
	s_or_b32 exec_lo, exec_lo, s38
	ds_write_b64 v69, v[63:64]
.LBB64_86:
	s_or_b32 exec_lo, exec_lo, s33
	s_mov_b32 s33, exec_lo
	s_waitcnt lgkmcnt(0)
	s_barrier
	buffer_gl0_inv
                                        ; implicit-def: $vgpr63_vgpr64
	v_cmpx_lt_u32_e32 31, v0
	s_cbranch_execz .LBB64_90
; %bb.87:
	v_lshl_add_u32 v63, v72, 3, -8
	v_max_f64 v[65:66], v[61:62], v[61:62]
	v_cmp_u_f64_e64 s5, v[61:62], v[61:62]
	ds_read_b64 v[63:64], v63
	s_waitcnt lgkmcnt(0)
	v_max_f64 v[67:68], v[63:64], v[63:64]
	v_cmp_u_f64_e64 s4, v[63:64], v[63:64]
	v_min_f64 v[72:73], v[67:68], v[65:66]
	v_max_f64 v[65:66], v[67:68], v[65:66]
	v_cndmask_b32_e64 v67, v72, v63, s4
	v_cndmask_b32_e64 v68, v73, v64, s4
	;; [unrolled: 1-line block ×8, first 2 shown]
	v_mov_b32_e32 v61, v63
	v_mov_b32_e32 v62, v64
	v_cmp_class_f64_e64 s5, v[67:68], 0x1f8
	v_cmp_neq_f64_e64 s4, v[67:68], v[65:66]
	s_or_b32 s4, s4, s5
	s_and_saveexec_b32 s38, s4
	s_cbranch_execz .LBB64_89
; %bb.88:
	v_add_f64 v[61:62], v[67:68], -v[65:66]
	s_mov_b32 s4, 0x652b82fe
	s_mov_b32 s5, 0x3ff71547
	s_mov_b32 s35, 0xbfe62e42
	s_mov_b32 s34, 0xfefa39ef
	s_mov_b32 s37, 0xbc7abc9e
	s_mov_b32 s36, 0x3b39803f
	s_mov_b32 s40, 0x6a5dcb37
	s_mov_b32 s41, 0x3e5ade15
	s_mov_b32 s42, 0xbf559e2b
	s_mov_b32 s43, 0x3fc3ab76
	v_mul_f64 v[67:68], v[61:62], s[4:5]
	s_mov_b32 s4, 0xfca7ab0c
	s_mov_b32 s5, 0x3e928af3
	v_rndne_f64_e32 v[67:68], v[67:68]
	v_fma_f64 v[72:73], v[67:68], s[34:35], v[61:62]
	v_cvt_i32_f64_e32 v76, v[67:68]
	s_mov_b32 s35, 0x3fe62e42
	v_fma_f64 v[72:73], v[67:68], s[36:37], v[72:73]
	s_mov_b32 s37, 0x3c7abc9e
	v_fma_f64 v[74:75], v[72:73], s[40:41], s[4:5]
	s_mov_b32 s4, 0x623fde64
	s_mov_b32 s5, 0x3ec71dee
	;; [unrolled: 1-line block ×4, first 2 shown]
	v_fma_f64 v[74:75], v[72:73], v[74:75], s[4:5]
	s_mov_b32 s4, 0x7c89e6b0
	s_mov_b32 s5, 0x3efa0199
	v_fma_f64 v[74:75], v[72:73], v[74:75], s[4:5]
	s_mov_b32 s4, 0x14761f6e
	s_mov_b32 s5, 0x3f2a01a0
	;; [unrolled: 3-line block ×7, first 2 shown]
	v_fma_f64 v[74:75], v[72:73], v[74:75], s[4:5]
	v_cmp_nlt_f64_e64 s4, 0x40900000, v[61:62]
	v_cmp_ngt_f64_e64 s5, 0xc090cc00, v[61:62]
	v_fma_f64 v[74:75], v[72:73], v[74:75], 1.0
	v_fma_f64 v[67:68], v[72:73], v[74:75], 1.0
	v_ldexp_f64 v[67:68], v[67:68], v76
	v_cndmask_b32_e64 v68, 0x7ff00000, v68, s4
	s_and_b32 s4, s5, s4
	v_cndmask_b32_e64 v61, 0, v67, s4
	s_mov_b32 s4, 0x55555555
	v_cndmask_b32_e64 v62, 0, v68, s5
	s_mov_b32 s5, 0x3fe55555
	v_add_f64 v[67:68], v[61:62], 1.0
	v_cmp_ngt_f64_e64 s29, -1.0, v[61:62]
	v_frexp_mant_f64_e32 v[72:73], v[67:68]
	v_frexp_exp_i32_f64_e32 v76, v[67:68]
	v_add_f64 v[74:75], v[67:68], -1.0
	v_cmp_gt_f64_e64 s4, s[4:5], v[72:73]
	v_add_f64 v[72:73], v[74:75], -v[67:68]
	v_add_f64 v[74:75], v[61:62], -v[74:75]
	v_subrev_co_ci_u32_e64 v92, null, 0, v76, s4
	v_add_f64 v[72:73], v[72:73], 1.0
	s_mov_b32 s4, 0x55555780
	v_sub_nc_u32_e32 v78, 0, v92
	v_ldexp_f64 v[67:68], v[67:68], v78
	v_add_f64 v[72:73], v[74:75], v[72:73]
	v_add_f64 v[76:77], v[67:68], 1.0
	v_add_f64 v[82:83], v[67:68], -1.0
	v_ldexp_f64 v[72:73], v[72:73], v78
	v_add_f64 v[74:75], v[76:77], -1.0
	v_add_f64 v[84:85], v[82:83], 1.0
	v_add_f64 v[74:75], v[67:68], -v[74:75]
	v_add_f64 v[67:68], v[67:68], -v[84:85]
	v_add_f64 v[74:75], v[72:73], v[74:75]
	v_add_f64 v[67:68], v[72:73], v[67:68]
	;; [unrolled: 1-line block ×4, first 2 shown]
	v_rcp_f64_e32 v[80:81], v[78:79]
	v_add_f64 v[76:77], v[78:79], -v[76:77]
	v_add_f64 v[82:83], v[84:85], -v[82:83]
	;; [unrolled: 1-line block ×3, first 2 shown]
	v_fma_f64 v[86:87], -v[78:79], v[80:81], 1.0
	v_add_f64 v[67:68], v[67:68], -v[82:83]
	v_fma_f64 v[80:81], v[86:87], v[80:81], v[80:81]
	v_fma_f64 v[72:73], -v[78:79], v[80:81], 1.0
	v_fma_f64 v[72:73], v[72:73], v[80:81], v[80:81]
	v_mul_f64 v[80:81], v[84:85], v[72:73]
	v_mul_f64 v[86:87], v[78:79], v[80:81]
	v_fma_f64 v[76:77], v[80:81], v[78:79], -v[86:87]
	v_fma_f64 v[76:77], v[80:81], v[74:75], v[76:77]
	v_add_f64 v[88:89], v[86:87], v[76:77]
	v_add_f64 v[90:91], v[84:85], -v[88:89]
	v_add_f64 v[82:83], v[88:89], -v[86:87]
	;; [unrolled: 1-line block ×5, first 2 shown]
	v_add_f64 v[67:68], v[67:68], v[84:85]
	v_add_f64 v[67:68], v[76:77], v[67:68]
	;; [unrolled: 1-line block ×3, first 2 shown]
	v_mul_f64 v[82:83], v[72:73], v[76:77]
	v_add_f64 v[88:89], v[90:91], -v[76:77]
	v_mul_f64 v[84:85], v[78:79], v[82:83]
	v_add_f64 v[67:68], v[67:68], v[88:89]
	v_fma_f64 v[78:79], v[82:83], v[78:79], -v[84:85]
	v_fma_f64 v[74:75], v[82:83], v[74:75], v[78:79]
	v_add_f64 v[78:79], v[84:85], v[74:75]
	v_add_f64 v[86:87], v[76:77], -v[78:79]
	v_add_f64 v[84:85], v[78:79], -v[84:85]
	;; [unrolled: 1-line block ×5, first 2 shown]
	v_add_f64 v[67:68], v[67:68], v[76:77]
	v_add_f64 v[76:77], v[80:81], v[82:83]
	;; [unrolled: 1-line block ×3, first 2 shown]
	v_add_f64 v[74:75], v[76:77], -v[80:81]
	v_add_f64 v[67:68], v[86:87], v[67:68]
	v_add_f64 v[74:75], v[82:83], -v[74:75]
	v_mul_f64 v[67:68], v[72:73], v[67:68]
	v_add_f64 v[67:68], v[74:75], v[67:68]
	v_add_f64 v[72:73], v[76:77], v[67:68]
	v_mul_f64 v[74:75], v[72:73], v[72:73]
	v_fma_f64 v[78:79], v[74:75], s[42:43], s[40:41]
	s_mov_b32 s40, 0xd7f4df2e
	s_mov_b32 s41, 0x3fc7474d
	v_mul_f64 v[80:81], v[72:73], v[74:75]
	v_fma_f64 v[78:79], v[74:75], v[78:79], s[40:41]
	s_mov_b32 s40, 0x16291751
	s_mov_b32 s41, 0x3fcc71c0
	v_fma_f64 v[78:79], v[74:75], v[78:79], s[40:41]
	s_mov_b32 s40, 0x9b27acf1
	s_mov_b32 s41, 0x3fd24924
	;; [unrolled: 3-line block ×3, first 2 shown]
	v_fma_f64 v[78:79], v[74:75], v[78:79], s[40:41]
	v_fma_f64 v[74:75], v[74:75], v[78:79], s[4:5]
	v_ldexp_f64 v[78:79], v[72:73], 1
	v_add_f64 v[72:73], v[72:73], -v[76:77]
	v_cmp_nge_f64_e64 s4, -1.0, v[61:62]
	v_cmp_neq_f64_e64 s5, 0x7ff00000, v[61:62]
	v_mul_f64 v[74:75], v[80:81], v[74:75]
	v_cvt_f64_i32_e32 v[80:81], v92
	v_add_f64 v[67:68], v[67:68], -v[72:73]
	s_and_b32 s4, s4, s5
	v_add_f64 v[76:77], v[78:79], v[74:75]
	v_mul_f64 v[82:83], v[80:81], s[34:35]
	v_ldexp_f64 v[67:68], v[67:68], 1
	v_add_f64 v[72:73], v[76:77], -v[78:79]
	v_fma_f64 v[78:79], v[80:81], s[34:35], -v[82:83]
	v_add_f64 v[72:73], v[74:75], -v[72:73]
	v_fma_f64 v[74:75], v[80:81], s[36:37], v[78:79]
	v_add_f64 v[67:68], v[67:68], v[72:73]
	v_add_f64 v[72:73], v[82:83], v[74:75]
	;; [unrolled: 1-line block ×3, first 2 shown]
	v_add_f64 v[82:83], v[72:73], -v[82:83]
	v_add_f64 v[80:81], v[72:73], v[78:79]
	v_add_f64 v[76:77], v[78:79], -v[76:77]
	v_add_f64 v[74:75], v[74:75], -v[82:83]
	;; [unrolled: 1-line block ×6, first 2 shown]
	v_add_f64 v[78:79], v[74:75], v[67:68]
	v_add_f64 v[72:73], v[72:73], -v[86:87]
	v_add_f64 v[72:73], v[76:77], v[72:73]
	v_add_f64 v[76:77], v[78:79], -v[74:75]
	;; [unrolled: 2-line block ×3, first 2 shown]
	v_add_f64 v[67:68], v[67:68], -v[76:77]
	v_add_f64 v[82:83], v[80:81], v[72:73]
	v_add_f64 v[74:75], v[74:75], -v[78:79]
	v_add_f64 v[76:77], v[82:83], -v[80:81]
	v_add_f64 v[67:68], v[67:68], v[74:75]
	v_add_f64 v[72:73], v[72:73], -v[76:77]
	v_add_f64 v[67:68], v[67:68], v[72:73]
	v_add_f64 v[67:68], v[82:83], v[67:68]
	v_cndmask_b32_e64 v67, 0, v67, s4
	v_cmp_neq_f64_e64 s4, -1.0, v[61:62]
	v_cndmask_b32_e64 v68, 0x7ff00000, v68, s5
	v_cndmask_b32_e64 v68, 0x7ff80000, v68, s29
	;; [unrolled: 1-line block ×3, first 2 shown]
	v_add_f64 v[61:62], v[65:66], v[67:68]
.LBB64_89:
	s_or_b32 exec_lo, exec_lo, s38
.LBB64_90:
	s_or_b32 exec_lo, exec_lo, s33
	v_add_nc_u32_e32 v65, -1, v71
	s_mov_b32 s33, exec_lo
	v_cmp_gt_i32_e64 s4, 0, v65
	v_cndmask_b32_e64 v65, v65, v71, s4
	v_lshlrev_b32_e32 v65, 2, v65
	ds_bpermute_b32 v61, v65, v61
	ds_bpermute_b32 v62, v65, v62
	v_cmpx_ne_u32_e32 0, v0
	s_cbranch_execz .LBB64_94
; %bb.91:
	v_cmp_eq_u32_e64 s4, 0, v71
	s_waitcnt lgkmcnt(0)
	v_cndmask_b32_e64 v62, v62, v64, s4
	v_cndmask_b32_e64 v61, v61, v63, s4
	v_max_f64 v[57:58], v[61:62], v[61:62]
	v_cmp_u_f64_e64 s4, v[61:62], v[61:62]
	v_min_f64 v[59:60], v[57:58], v[55:56]
	v_max_f64 v[55:56], v[57:58], v[55:56]
	v_cndmask_b32_e64 v0, v60, v62, s4
	v_cndmask_b32_e64 v57, v59, v61, s4
	;; [unrolled: 1-line block ×8, first 2 shown]
	v_cmp_class_f64_e64 s5, v[55:56], 0x1f8
	v_cmp_neq_f64_e64 s4, v[55:56], v[1:2]
	s_or_b32 s4, s4, s5
	s_and_saveexec_b32 s36, s4
	s_cbranch_execz .LBB64_93
; %bb.92:
	v_add_f64 v[55:56], v[55:56], -v[1:2]
	s_mov_b32 s4, 0x652b82fe
	s_mov_b32 s5, 0x3ff71547
	;; [unrolled: 1-line block ×10, first 2 shown]
	v_mul_f64 v[57:58], v[55:56], s[4:5]
	s_mov_b32 s4, 0xfca7ab0c
	s_mov_b32 s5, 0x3e928af3
	v_rndne_f64_e32 v[57:58], v[57:58]
	v_fma_f64 v[59:60], v[57:58], s[28:29], v[55:56]
	v_cvt_i32_f64_e32 v0, v[57:58]
	s_mov_b32 s29, 0x3fe62e42
	v_fma_f64 v[59:60], v[57:58], s[34:35], v[59:60]
	s_mov_b32 s35, 0x3c7abc9e
	v_fma_f64 v[61:62], v[59:60], s[38:39], s[4:5]
	s_mov_b32 s4, 0x623fde64
	s_mov_b32 s5, 0x3ec71dee
	;; [unrolled: 1-line block ×4, first 2 shown]
	v_fma_f64 v[61:62], v[59:60], v[61:62], s[4:5]
	s_mov_b32 s4, 0x7c89e6b0
	s_mov_b32 s5, 0x3efa0199
	v_fma_f64 v[61:62], v[59:60], v[61:62], s[4:5]
	s_mov_b32 s4, 0x14761f6e
	s_mov_b32 s5, 0x3f2a01a0
	;; [unrolled: 3-line block ×7, first 2 shown]
	v_fma_f64 v[61:62], v[59:60], v[61:62], s[4:5]
	v_cmp_nlt_f64_e64 s4, 0x40900000, v[55:56]
	v_cmp_ngt_f64_e64 s5, 0xc090cc00, v[55:56]
	v_fma_f64 v[61:62], v[59:60], v[61:62], 1.0
	v_fma_f64 v[57:58], v[59:60], v[61:62], 1.0
	v_ldexp_f64 v[57:58], v[57:58], v0
	v_cndmask_b32_e64 v0, 0x7ff00000, v58, s4
	s_and_b32 s4, s5, s4
	v_cndmask_b32_e64 v55, 0, v57, s4
	s_mov_b32 s4, 0x55555555
	v_cndmask_b32_e64 v56, 0, v0, s5
	s_mov_b32 s5, 0x3fe55555
	v_add_f64 v[57:58], v[55:56], 1.0
	v_frexp_mant_f64_e32 v[59:60], v[57:58]
	v_frexp_exp_i32_f64_e32 v0, v[57:58]
	v_add_f64 v[61:62], v[57:58], -1.0
	v_cmp_gt_f64_e64 s4, s[4:5], v[59:60]
	v_add_f64 v[59:60], v[61:62], -v[57:58]
	v_add_f64 v[61:62], v[55:56], -v[61:62]
	v_subrev_co_ci_u32_e64 v0, null, 0, v0, s4
	v_add_f64 v[59:60], v[59:60], 1.0
	s_mov_b32 s4, 0x55555780
	v_sub_nc_u32_e32 v65, 0, v0
	v_ldexp_f64 v[57:58], v[57:58], v65
	v_add_f64 v[59:60], v[61:62], v[59:60]
	v_add_f64 v[63:64], v[57:58], 1.0
	v_add_f64 v[71:72], v[57:58], -1.0
	v_ldexp_f64 v[59:60], v[59:60], v65
	v_add_f64 v[61:62], v[63:64], -1.0
	v_add_f64 v[73:74], v[71:72], 1.0
	v_add_f64 v[61:62], v[57:58], -v[61:62]
	v_add_f64 v[57:58], v[57:58], -v[73:74]
	v_add_f64 v[61:62], v[59:60], v[61:62]
	v_add_f64 v[57:58], v[59:60], v[57:58]
	;; [unrolled: 1-line block ×4, first 2 shown]
	v_rcp_f64_e32 v[67:68], v[65:66]
	v_add_f64 v[63:64], v[65:66], -v[63:64]
	v_add_f64 v[71:72], v[73:74], -v[71:72]
	;; [unrolled: 1-line block ×3, first 2 shown]
	v_fma_f64 v[75:76], -v[65:66], v[67:68], 1.0
	v_add_f64 v[57:58], v[57:58], -v[71:72]
	v_fma_f64 v[67:68], v[75:76], v[67:68], v[67:68]
	v_fma_f64 v[59:60], -v[65:66], v[67:68], 1.0
	v_fma_f64 v[59:60], v[59:60], v[67:68], v[67:68]
	v_mul_f64 v[67:68], v[73:74], v[59:60]
	v_mul_f64 v[75:76], v[65:66], v[67:68]
	v_fma_f64 v[63:64], v[67:68], v[65:66], -v[75:76]
	v_fma_f64 v[63:64], v[67:68], v[61:62], v[63:64]
	v_add_f64 v[77:78], v[75:76], v[63:64]
	v_add_f64 v[79:80], v[73:74], -v[77:78]
	v_add_f64 v[71:72], v[77:78], -v[75:76]
	;; [unrolled: 1-line block ×5, first 2 shown]
	v_add_f64 v[57:58], v[57:58], v[73:74]
	v_add_f64 v[57:58], v[63:64], v[57:58]
	;; [unrolled: 1-line block ×3, first 2 shown]
	v_mul_f64 v[71:72], v[59:60], v[63:64]
	v_add_f64 v[77:78], v[79:80], -v[63:64]
	v_mul_f64 v[73:74], v[65:66], v[71:72]
	v_add_f64 v[57:58], v[57:58], v[77:78]
	v_fma_f64 v[65:66], v[71:72], v[65:66], -v[73:74]
	v_fma_f64 v[61:62], v[71:72], v[61:62], v[65:66]
	v_add_f64 v[65:66], v[73:74], v[61:62]
	v_add_f64 v[75:76], v[63:64], -v[65:66]
	v_add_f64 v[73:74], v[65:66], -v[73:74]
	;; [unrolled: 1-line block ×5, first 2 shown]
	v_add_f64 v[57:58], v[57:58], v[63:64]
	v_add_f64 v[63:64], v[67:68], v[71:72]
	;; [unrolled: 1-line block ×3, first 2 shown]
	v_add_f64 v[61:62], v[63:64], -v[67:68]
	v_add_f64 v[57:58], v[75:76], v[57:58]
	v_add_f64 v[61:62], v[71:72], -v[61:62]
	v_mul_f64 v[57:58], v[59:60], v[57:58]
	v_add_f64 v[57:58], v[61:62], v[57:58]
	v_add_f64 v[59:60], v[63:64], v[57:58]
	v_mul_f64 v[61:62], v[59:60], v[59:60]
	v_fma_f64 v[65:66], v[61:62], s[40:41], s[38:39]
	s_mov_b32 s38, 0xd7f4df2e
	s_mov_b32 s39, 0x3fc7474d
	v_mul_f64 v[67:68], v[59:60], v[61:62]
	v_fma_f64 v[65:66], v[61:62], v[65:66], s[38:39]
	s_mov_b32 s38, 0x16291751
	s_mov_b32 s39, 0x3fcc71c0
	v_fma_f64 v[65:66], v[61:62], v[65:66], s[38:39]
	s_mov_b32 s38, 0x9b27acf1
	s_mov_b32 s39, 0x3fd24924
	;; [unrolled: 3-line block ×3, first 2 shown]
	v_fma_f64 v[65:66], v[61:62], v[65:66], s[38:39]
	v_fma_f64 v[61:62], v[61:62], v[65:66], s[4:5]
	v_ldexp_f64 v[65:66], v[59:60], 1
	v_add_f64 v[59:60], v[59:60], -v[63:64]
	v_cmp_nge_f64_e64 s4, -1.0, v[55:56]
	v_cmp_neq_f64_e64 s5, 0x7ff00000, v[55:56]
	v_mul_f64 v[61:62], v[67:68], v[61:62]
	v_cvt_f64_i32_e32 v[67:68], v0
	v_add_f64 v[57:58], v[57:58], -v[59:60]
	s_and_b32 s4, s4, s5
	v_add_f64 v[63:64], v[65:66], v[61:62]
	v_mul_f64 v[71:72], v[67:68], s[28:29]
	v_ldexp_f64 v[57:58], v[57:58], 1
	v_add_f64 v[59:60], v[63:64], -v[65:66]
	v_fma_f64 v[65:66], v[67:68], s[28:29], -v[71:72]
	v_cmp_ngt_f64_e64 s28, -1.0, v[55:56]
	v_add_f64 v[59:60], v[61:62], -v[59:60]
	v_fma_f64 v[61:62], v[67:68], s[34:35], v[65:66]
	v_add_f64 v[57:58], v[57:58], v[59:60]
	v_add_f64 v[59:60], v[71:72], v[61:62]
	;; [unrolled: 1-line block ×3, first 2 shown]
	v_add_f64 v[71:72], v[59:60], -v[71:72]
	v_add_f64 v[67:68], v[59:60], v[65:66]
	v_add_f64 v[63:64], v[65:66], -v[63:64]
	v_add_f64 v[61:62], v[61:62], -v[71:72]
	v_add_f64 v[73:74], v[67:68], -v[59:60]
	v_add_f64 v[57:58], v[57:58], -v[63:64]
	v_add_f64 v[75:76], v[67:68], -v[73:74]
	v_add_f64 v[63:64], v[65:66], -v[73:74]
	v_add_f64 v[65:66], v[61:62], v[57:58]
	v_add_f64 v[59:60], v[59:60], -v[75:76]
	v_add_f64 v[59:60], v[63:64], v[59:60]
	v_add_f64 v[63:64], v[65:66], -v[61:62]
	;; [unrolled: 2-line block ×3, first 2 shown]
	v_add_f64 v[57:58], v[57:58], -v[63:64]
	v_add_f64 v[71:72], v[67:68], v[59:60]
	v_add_f64 v[61:62], v[61:62], -v[65:66]
	v_add_f64 v[63:64], v[71:72], -v[67:68]
	v_add_f64 v[57:58], v[57:58], v[61:62]
	v_add_f64 v[59:60], v[59:60], -v[63:64]
	v_add_f64 v[57:58], v[57:58], v[59:60]
	v_add_f64 v[57:58], v[71:72], v[57:58]
	v_cndmask_b32_e64 v57, 0, v57, s4
	v_cmp_neq_f64_e64 s4, -1.0, v[55:56]
	v_cndmask_b32_e64 v0, 0x7ff00000, v58, s5
	v_cndmask_b32_e64 v0, 0x7ff80000, v0, s28
	;; [unrolled: 1-line block ×3, first 2 shown]
	v_add_f64 v[61:62], v[1:2], v[57:58]
.LBB64_93:
	s_or_b32 exec_lo, exec_lo, s36
	v_max_f64 v[0:1], v[61:62], v[61:62]
	;;#ASMSTART
	;;#ASMEND
	v_min_f64 v[57:58], v[0:1], v[33:34]
	v_max_f64 v[59:60], v[0:1], v[33:34]
	v_mov_b32_e32 v1, v61
	v_mov_b32_e32 v2, v62
.LBB64_94:
	s_or_b32 exec_lo, exec_lo, s33
	v_cmp_u_f64_e64 s4, v[1:2], v[1:2]
	v_cndmask_b32_e64 v0, v57, v1, s4
	v_cndmask_b32_e64 v33, v58, v2, s4
	;; [unrolled: 1-line block ×8, first 2 shown]
	v_mov_b32_e32 v4, v2
	v_mov_b32_e32 v3, v1
	v_cmp_class_f64_e64 s5, v[55:56], 0x1f8
	v_cmp_neq_f64_e64 s4, v[55:56], v[33:34]
	s_or_b32 s4, s4, s5
	s_and_saveexec_b32 s33, s4
	s_cbranch_execz .LBB64_96
; %bb.95:
	v_add_f64 v[3:4], v[55:56], -v[33:34]
	s_mov_b32 s4, 0x652b82fe
	s_mov_b32 s5, 0x3ff71547
	;; [unrolled: 1-line block ×10, first 2 shown]
	v_mul_f64 v[55:56], v[3:4], s[4:5]
	s_mov_b32 s4, 0xfca7ab0c
	s_mov_b32 s5, 0x3e928af3
	v_rndne_f64_e32 v[55:56], v[55:56]
	v_fma_f64 v[57:58], v[55:56], s[28:29], v[3:4]
	v_cvt_i32_f64_e32 v0, v[55:56]
	s_mov_b32 s29, 0x3fe62e42
	v_fma_f64 v[57:58], v[55:56], s[34:35], v[57:58]
	s_mov_b32 s35, 0x3c7abc9e
	v_fma_f64 v[59:60], v[57:58], s[36:37], s[4:5]
	s_mov_b32 s4, 0x623fde64
	s_mov_b32 s5, 0x3ec71dee
	;; [unrolled: 1-line block ×4, first 2 shown]
	v_fma_f64 v[59:60], v[57:58], v[59:60], s[4:5]
	s_mov_b32 s4, 0x7c89e6b0
	s_mov_b32 s5, 0x3efa0199
	v_fma_f64 v[59:60], v[57:58], v[59:60], s[4:5]
	s_mov_b32 s4, 0x14761f6e
	s_mov_b32 s5, 0x3f2a01a0
	;; [unrolled: 3-line block ×7, first 2 shown]
	v_fma_f64 v[59:60], v[57:58], v[59:60], s[4:5]
	v_cmp_nlt_f64_e64 s4, 0x40900000, v[3:4]
	v_cmp_ngt_f64_e64 s5, 0xc090cc00, v[3:4]
	v_fma_f64 v[59:60], v[57:58], v[59:60], 1.0
	v_fma_f64 v[55:56], v[57:58], v[59:60], 1.0
	v_ldexp_f64 v[55:56], v[55:56], v0
	v_cndmask_b32_e64 v0, 0x7ff00000, v56, s4
	s_and_b32 s4, s5, s4
	v_cndmask_b32_e64 v3, 0, v55, s4
	s_mov_b32 s4, 0x55555555
	v_cndmask_b32_e64 v4, 0, v0, s5
	s_mov_b32 s5, 0x3fe55555
	v_add_f64 v[55:56], v[3:4], 1.0
	v_cmp_ngt_f64_e64 s15, -1.0, v[3:4]
	v_frexp_mant_f64_e32 v[57:58], v[55:56]
	v_frexp_exp_i32_f64_e32 v0, v[55:56]
	v_add_f64 v[59:60], v[55:56], -1.0
	v_cmp_gt_f64_e64 s4, s[4:5], v[57:58]
	v_add_f64 v[57:58], v[59:60], -v[55:56]
	v_add_f64 v[59:60], v[3:4], -v[59:60]
	v_subrev_co_ci_u32_e64 v0, null, 0, v0, s4
	v_add_f64 v[57:58], v[57:58], 1.0
	s_mov_b32 s4, 0x55555780
	v_sub_nc_u32_e32 v63, 0, v0
	v_ldexp_f64 v[55:56], v[55:56], v63
	v_add_f64 v[57:58], v[59:60], v[57:58]
	s_waitcnt lgkmcnt(0)
	v_add_f64 v[61:62], v[55:56], 1.0
	v_add_f64 v[67:68], v[55:56], -1.0
	v_ldexp_f64 v[57:58], v[57:58], v63
	v_add_f64 v[59:60], v[61:62], -1.0
	v_add_f64 v[71:72], v[67:68], 1.0
	v_add_f64 v[59:60], v[55:56], -v[59:60]
	v_add_f64 v[55:56], v[55:56], -v[71:72]
	v_add_f64 v[59:60], v[57:58], v[59:60]
	v_add_f64 v[55:56], v[57:58], v[55:56]
	;; [unrolled: 1-line block ×4, first 2 shown]
	v_rcp_f64_e32 v[65:66], v[63:64]
	v_add_f64 v[61:62], v[63:64], -v[61:62]
	v_add_f64 v[67:68], v[71:72], -v[67:68]
	;; [unrolled: 1-line block ×3, first 2 shown]
	v_fma_f64 v[73:74], -v[63:64], v[65:66], 1.0
	v_add_f64 v[55:56], v[55:56], -v[67:68]
	v_fma_f64 v[65:66], v[73:74], v[65:66], v[65:66]
	v_fma_f64 v[57:58], -v[63:64], v[65:66], 1.0
	v_fma_f64 v[57:58], v[57:58], v[65:66], v[65:66]
	v_mul_f64 v[65:66], v[71:72], v[57:58]
	v_mul_f64 v[73:74], v[63:64], v[65:66]
	v_fma_f64 v[61:62], v[65:66], v[63:64], -v[73:74]
	v_fma_f64 v[61:62], v[65:66], v[59:60], v[61:62]
	v_add_f64 v[75:76], v[73:74], v[61:62]
	v_add_f64 v[77:78], v[71:72], -v[75:76]
	v_add_f64 v[67:68], v[75:76], -v[73:74]
	;; [unrolled: 1-line block ×5, first 2 shown]
	v_add_f64 v[55:56], v[55:56], v[71:72]
	v_add_f64 v[55:56], v[61:62], v[55:56]
	;; [unrolled: 1-line block ×3, first 2 shown]
	v_mul_f64 v[67:68], v[57:58], v[61:62]
	v_add_f64 v[75:76], v[77:78], -v[61:62]
	v_mul_f64 v[71:72], v[63:64], v[67:68]
	v_add_f64 v[55:56], v[55:56], v[75:76]
	v_fma_f64 v[63:64], v[67:68], v[63:64], -v[71:72]
	v_fma_f64 v[59:60], v[67:68], v[59:60], v[63:64]
	v_add_f64 v[63:64], v[71:72], v[59:60]
	v_add_f64 v[73:74], v[61:62], -v[63:64]
	v_add_f64 v[71:72], v[63:64], -v[71:72]
	;; [unrolled: 1-line block ×5, first 2 shown]
	v_add_f64 v[55:56], v[55:56], v[61:62]
	v_add_f64 v[61:62], v[65:66], v[67:68]
	;; [unrolled: 1-line block ×3, first 2 shown]
	v_add_f64 v[59:60], v[61:62], -v[65:66]
	v_add_f64 v[55:56], v[73:74], v[55:56]
	v_add_f64 v[59:60], v[67:68], -v[59:60]
	v_mul_f64 v[55:56], v[57:58], v[55:56]
	v_add_f64 v[55:56], v[59:60], v[55:56]
	v_add_f64 v[57:58], v[61:62], v[55:56]
	v_mul_f64 v[59:60], v[57:58], v[57:58]
	v_fma_f64 v[63:64], v[59:60], s[38:39], s[36:37]
	s_mov_b32 s36, 0xd7f4df2e
	s_mov_b32 s37, 0x3fc7474d
	v_mul_f64 v[65:66], v[57:58], v[59:60]
	v_fma_f64 v[63:64], v[59:60], v[63:64], s[36:37]
	s_mov_b32 s36, 0x16291751
	s_mov_b32 s37, 0x3fcc71c0
	v_fma_f64 v[63:64], v[59:60], v[63:64], s[36:37]
	s_mov_b32 s36, 0x9b27acf1
	s_mov_b32 s37, 0x3fd24924
	;; [unrolled: 3-line block ×3, first 2 shown]
	v_fma_f64 v[63:64], v[59:60], v[63:64], s[36:37]
	v_fma_f64 v[59:60], v[59:60], v[63:64], s[4:5]
	v_ldexp_f64 v[63:64], v[57:58], 1
	v_add_f64 v[57:58], v[57:58], -v[61:62]
	v_cmp_nge_f64_e64 s4, -1.0, v[3:4]
	v_cmp_neq_f64_e64 s5, 0x7ff00000, v[3:4]
	v_mul_f64 v[59:60], v[65:66], v[59:60]
	v_cvt_f64_i32_e32 v[65:66], v0
	v_add_f64 v[55:56], v[55:56], -v[57:58]
	s_and_b32 s4, s4, s5
	v_add_f64 v[61:62], v[63:64], v[59:60]
	v_mul_f64 v[67:68], v[65:66], s[28:29]
	v_ldexp_f64 v[55:56], v[55:56], 1
	v_add_f64 v[57:58], v[61:62], -v[63:64]
	v_fma_f64 v[63:64], v[65:66], s[28:29], -v[67:68]
	v_add_f64 v[57:58], v[59:60], -v[57:58]
	v_fma_f64 v[59:60], v[65:66], s[34:35], v[63:64]
	v_add_f64 v[55:56], v[55:56], v[57:58]
	v_add_f64 v[57:58], v[67:68], v[59:60]
	;; [unrolled: 1-line block ×3, first 2 shown]
	v_add_f64 v[67:68], v[57:58], -v[67:68]
	v_add_f64 v[65:66], v[57:58], v[63:64]
	v_add_f64 v[61:62], v[63:64], -v[61:62]
	v_add_f64 v[59:60], v[59:60], -v[67:68]
	;; [unrolled: 1-line block ×6, first 2 shown]
	v_add_f64 v[63:64], v[59:60], v[55:56]
	v_add_f64 v[57:58], v[57:58], -v[73:74]
	v_add_f64 v[57:58], v[61:62], v[57:58]
	v_add_f64 v[61:62], v[63:64], -v[59:60]
	;; [unrolled: 2-line block ×3, first 2 shown]
	v_add_f64 v[55:56], v[55:56], -v[61:62]
	v_add_f64 v[67:68], v[65:66], v[57:58]
	v_add_f64 v[59:60], v[59:60], -v[63:64]
	v_add_f64 v[61:62], v[67:68], -v[65:66]
	v_add_f64 v[55:56], v[55:56], v[59:60]
	v_add_f64 v[57:58], v[57:58], -v[61:62]
	v_add_f64 v[55:56], v[55:56], v[57:58]
	v_add_f64 v[55:56], v[67:68], v[55:56]
	v_cndmask_b32_e64 v55, 0, v55, s4
	v_cmp_neq_f64_e64 s4, -1.0, v[3:4]
	v_cndmask_b32_e64 v0, 0x7ff00000, v56, s5
	v_cndmask_b32_e64 v0, 0x7ff80000, v0, s15
	;; [unrolled: 1-line block ×3, first 2 shown]
	v_add_f64 v[3:4], v[33:34], v[55:56]
.LBB64_96:
	s_or_b32 exec_lo, exec_lo, s33
	v_max_f64 v[33:34], v[3:4], v[3:4]
	v_cmp_u_f64_e64 s4, v[3:4], v[3:4]
	v_min_f64 v[55:56], v[33:34], v[29:30]
	v_max_f64 v[29:30], v[33:34], v[29:30]
	v_cndmask_b32_e64 v0, v55, v3, s4
	v_cndmask_b32_e64 v33, v56, v4, s4
	;; [unrolled: 1-line block ×8, first 2 shown]
	v_mov_b32_e32 v26, v4
	v_mov_b32_e32 v25, v3
	v_cmp_class_f64_e64 s5, v[33:34], 0x1f8
	v_cmp_neq_f64_e64 s4, v[33:34], v[29:30]
	s_or_b32 s4, s4, s5
	s_and_saveexec_b32 s16, s4
	s_cbranch_execz .LBB64_98
; %bb.97:
	v_add_f64 v[25:26], v[33:34], -v[29:30]
	s_mov_b32 s4, 0x652b82fe
	s_mov_b32 s5, 0x3ff71547
	s_mov_b32 s29, 0xbfe62e42
	s_mov_b32 s28, 0xfefa39ef
	s_mov_b32 s35, 0xbc7abc9e
	s_mov_b32 s34, 0x3b39803f
	s_mov_b32 s36, 0x6a5dcb37
	s_mov_b32 s37, 0x3e5ade15
	s_mov_b32 s38, 0xbf559e2b
	s_mov_b32 s39, 0x3fc3ab76
	v_mul_f64 v[33:34], v[25:26], s[4:5]
	s_mov_b32 s4, 0xfca7ab0c
	s_mov_b32 s5, 0x3e928af3
	v_rndne_f64_e32 v[33:34], v[33:34]
	v_fma_f64 v[55:56], v[33:34], s[28:29], v[25:26]
	v_cvt_i32_f64_e32 v0, v[33:34]
	s_mov_b32 s29, 0x3fe62e42
	v_fma_f64 v[55:56], v[33:34], s[34:35], v[55:56]
	s_mov_b32 s35, 0x3c7abc9e
	v_fma_f64 v[57:58], v[55:56], s[36:37], s[4:5]
	s_mov_b32 s4, 0x623fde64
	s_mov_b32 s5, 0x3ec71dee
	;; [unrolled: 1-line block ×4, first 2 shown]
	v_fma_f64 v[57:58], v[55:56], v[57:58], s[4:5]
	s_mov_b32 s4, 0x7c89e6b0
	s_mov_b32 s5, 0x3efa0199
	v_fma_f64 v[57:58], v[55:56], v[57:58], s[4:5]
	s_mov_b32 s4, 0x14761f6e
	s_mov_b32 s5, 0x3f2a01a0
	;; [unrolled: 3-line block ×7, first 2 shown]
	v_fma_f64 v[57:58], v[55:56], v[57:58], s[4:5]
	v_cmp_nlt_f64_e64 s4, 0x40900000, v[25:26]
	v_cmp_ngt_f64_e64 s5, 0xc090cc00, v[25:26]
	v_fma_f64 v[57:58], v[55:56], v[57:58], 1.0
	v_fma_f64 v[33:34], v[55:56], v[57:58], 1.0
	v_ldexp_f64 v[33:34], v[33:34], v0
	v_cndmask_b32_e64 v0, 0x7ff00000, v34, s4
	s_and_b32 s4, s5, s4
	v_cndmask_b32_e64 v25, 0, v33, s4
	s_mov_b32 s4, 0x55555555
	v_cndmask_b32_e64 v26, 0, v0, s5
	s_mov_b32 s5, 0x3fe55555
	v_add_f64 v[33:34], v[25:26], 1.0
	v_cmp_ngt_f64_e64 s15, -1.0, v[25:26]
	v_frexp_mant_f64_e32 v[55:56], v[33:34]
	v_frexp_exp_i32_f64_e32 v0, v[33:34]
	v_add_f64 v[57:58], v[33:34], -1.0
	v_cmp_gt_f64_e64 s4, s[4:5], v[55:56]
	v_add_f64 v[55:56], v[57:58], -v[33:34]
	v_add_f64 v[57:58], v[25:26], -v[57:58]
	v_subrev_co_ci_u32_e64 v0, null, 0, v0, s4
	v_add_f64 v[55:56], v[55:56], 1.0
	s_mov_b32 s4, 0x55555780
	s_waitcnt lgkmcnt(1)
	v_sub_nc_u32_e32 v61, 0, v0
	v_ldexp_f64 v[33:34], v[33:34], v61
	v_add_f64 v[55:56], v[57:58], v[55:56]
	v_add_f64 v[59:60], v[33:34], 1.0
	v_add_f64 v[65:66], v[33:34], -1.0
	v_ldexp_f64 v[55:56], v[55:56], v61
	v_add_f64 v[57:58], v[59:60], -1.0
	v_add_f64 v[67:68], v[65:66], 1.0
	v_add_f64 v[57:58], v[33:34], -v[57:58]
	v_add_f64 v[33:34], v[33:34], -v[67:68]
	v_add_f64 v[57:58], v[55:56], v[57:58]
	v_add_f64 v[33:34], v[55:56], v[33:34]
	s_waitcnt lgkmcnt(0)
	v_add_f64 v[61:62], v[59:60], v[57:58]
	v_add_f64 v[67:68], v[65:66], v[33:34]
	v_rcp_f64_e32 v[63:64], v[61:62]
	v_add_f64 v[59:60], v[61:62], -v[59:60]
	v_add_f64 v[65:66], v[67:68], -v[65:66]
	;; [unrolled: 1-line block ×3, first 2 shown]
	v_fma_f64 v[71:72], -v[61:62], v[63:64], 1.0
	v_add_f64 v[33:34], v[33:34], -v[65:66]
	v_fma_f64 v[63:64], v[71:72], v[63:64], v[63:64]
	v_fma_f64 v[55:56], -v[61:62], v[63:64], 1.0
	v_fma_f64 v[55:56], v[55:56], v[63:64], v[63:64]
	v_mul_f64 v[63:64], v[67:68], v[55:56]
	v_mul_f64 v[71:72], v[61:62], v[63:64]
	v_fma_f64 v[59:60], v[63:64], v[61:62], -v[71:72]
	v_fma_f64 v[59:60], v[63:64], v[57:58], v[59:60]
	v_add_f64 v[73:74], v[71:72], v[59:60]
	v_add_f64 v[75:76], v[67:68], -v[73:74]
	v_add_f64 v[65:66], v[73:74], -v[71:72]
	;; [unrolled: 1-line block ×5, first 2 shown]
	v_add_f64 v[33:34], v[33:34], v[67:68]
	v_add_f64 v[33:34], v[59:60], v[33:34]
	;; [unrolled: 1-line block ×3, first 2 shown]
	v_mul_f64 v[65:66], v[55:56], v[59:60]
	v_add_f64 v[73:74], v[75:76], -v[59:60]
	v_mul_f64 v[67:68], v[61:62], v[65:66]
	v_add_f64 v[33:34], v[33:34], v[73:74]
	v_fma_f64 v[61:62], v[65:66], v[61:62], -v[67:68]
	v_fma_f64 v[57:58], v[65:66], v[57:58], v[61:62]
	v_add_f64 v[61:62], v[67:68], v[57:58]
	v_add_f64 v[71:72], v[59:60], -v[61:62]
	v_add_f64 v[67:68], v[61:62], -v[67:68]
	v_add_f64 v[59:60], v[59:60], -v[71:72]
	v_add_f64 v[57:58], v[67:68], -v[57:58]
	v_add_f64 v[59:60], v[59:60], -v[61:62]
	v_add_f64 v[33:34], v[33:34], v[59:60]
	v_add_f64 v[59:60], v[63:64], v[65:66]
	;; [unrolled: 1-line block ×3, first 2 shown]
	v_add_f64 v[57:58], v[59:60], -v[63:64]
	v_add_f64 v[33:34], v[71:72], v[33:34]
	v_add_f64 v[57:58], v[65:66], -v[57:58]
	v_mul_f64 v[33:34], v[55:56], v[33:34]
	v_add_f64 v[33:34], v[57:58], v[33:34]
	v_add_f64 v[55:56], v[59:60], v[33:34]
	v_mul_f64 v[57:58], v[55:56], v[55:56]
	v_fma_f64 v[61:62], v[57:58], s[38:39], s[36:37]
	s_mov_b32 s36, 0xd7f4df2e
	s_mov_b32 s37, 0x3fc7474d
	v_mul_f64 v[63:64], v[55:56], v[57:58]
	v_fma_f64 v[61:62], v[57:58], v[61:62], s[36:37]
	s_mov_b32 s36, 0x16291751
	s_mov_b32 s37, 0x3fcc71c0
	v_fma_f64 v[61:62], v[57:58], v[61:62], s[36:37]
	s_mov_b32 s36, 0x9b27acf1
	s_mov_b32 s37, 0x3fd24924
	;; [unrolled: 3-line block ×3, first 2 shown]
	v_fma_f64 v[61:62], v[57:58], v[61:62], s[36:37]
	v_fma_f64 v[57:58], v[57:58], v[61:62], s[4:5]
	v_ldexp_f64 v[61:62], v[55:56], 1
	v_add_f64 v[55:56], v[55:56], -v[59:60]
	v_cmp_nge_f64_e64 s4, -1.0, v[25:26]
	v_cmp_neq_f64_e64 s5, 0x7ff00000, v[25:26]
	v_mul_f64 v[57:58], v[63:64], v[57:58]
	v_cvt_f64_i32_e32 v[63:64], v0
	v_add_f64 v[33:34], v[33:34], -v[55:56]
	s_and_b32 s4, s4, s5
	v_add_f64 v[59:60], v[61:62], v[57:58]
	v_mul_f64 v[65:66], v[63:64], s[28:29]
	v_ldexp_f64 v[33:34], v[33:34], 1
	v_add_f64 v[55:56], v[59:60], -v[61:62]
	v_fma_f64 v[61:62], v[63:64], s[28:29], -v[65:66]
	v_add_f64 v[55:56], v[57:58], -v[55:56]
	v_fma_f64 v[57:58], v[63:64], s[34:35], v[61:62]
	v_add_f64 v[33:34], v[33:34], v[55:56]
	v_add_f64 v[55:56], v[65:66], v[57:58]
	;; [unrolled: 1-line block ×3, first 2 shown]
	v_add_f64 v[65:66], v[55:56], -v[65:66]
	v_add_f64 v[63:64], v[55:56], v[61:62]
	v_add_f64 v[59:60], v[61:62], -v[59:60]
	v_add_f64 v[57:58], v[57:58], -v[65:66]
	;; [unrolled: 1-line block ×6, first 2 shown]
	v_add_f64 v[61:62], v[57:58], v[33:34]
	v_add_f64 v[55:56], v[55:56], -v[71:72]
	v_add_f64 v[55:56], v[59:60], v[55:56]
	v_add_f64 v[59:60], v[61:62], -v[57:58]
	;; [unrolled: 2-line block ×3, first 2 shown]
	v_add_f64 v[33:34], v[33:34], -v[59:60]
	v_add_f64 v[65:66], v[63:64], v[55:56]
	v_add_f64 v[57:58], v[57:58], -v[61:62]
	v_add_f64 v[59:60], v[65:66], -v[63:64]
	v_add_f64 v[33:34], v[33:34], v[57:58]
	v_add_f64 v[55:56], v[55:56], -v[59:60]
	v_add_f64 v[33:34], v[33:34], v[55:56]
	v_add_f64 v[33:34], v[65:66], v[33:34]
	v_cndmask_b32_e64 v33, 0, v33, s4
	v_cmp_neq_f64_e64 s4, -1.0, v[25:26]
	v_cndmask_b32_e64 v0, 0x7ff00000, v34, s5
	v_cndmask_b32_e64 v0, 0x7ff80000, v0, s15
	;; [unrolled: 1-line block ×3, first 2 shown]
	v_add_f64 v[25:26], v[29:30], v[33:34]
.LBB64_98:
	s_or_b32 exec_lo, exec_lo, s16
	v_max_f64 v[29:30], v[25:26], v[25:26]
	v_cmp_u_f64_e64 s4, v[25:26], v[25:26]
	v_min_f64 v[33:34], v[29:30], v[31:32]
	v_max_f64 v[29:30], v[29:30], v[31:32]
	v_cndmask_b32_e64 v0, v33, v25, s4
	v_cndmask_b32_e64 v31, v34, v26, s4
	v_cndmask_b32_e64 v30, v30, v26, s4
	v_cndmask_b32_e64 v29, v29, v25, s4
	v_cndmask_b32_e64 v32, v31, v28, s17
	v_cndmask_b32_e64 v31, v0, v27, s17
	v_cndmask_b32_e64 v30, v30, v28, s17
	v_cndmask_b32_e64 v29, v29, v27, s17
	v_mov_b32_e32 v28, v26
	v_mov_b32_e32 v27, v25
	v_cmp_class_f64_e64 s5, v[31:32], 0x1f8
	v_cmp_neq_f64_e64 s4, v[31:32], v[29:30]
	s_or_b32 s4, s4, s5
	s_and_saveexec_b32 s33, s4
	s_cbranch_execz .LBB64_100
; %bb.99:
	v_add_f64 v[27:28], v[31:32], -v[29:30]
	s_mov_b32 s4, 0x652b82fe
	s_mov_b32 s5, 0x3ff71547
	;; [unrolled: 1-line block ×10, first 2 shown]
	v_mul_f64 v[31:32], v[27:28], s[4:5]
	s_mov_b32 s4, 0xfca7ab0c
	s_mov_b32 s5, 0x3e928af3
	v_rndne_f64_e32 v[31:32], v[31:32]
	v_fma_f64 v[33:34], v[31:32], s[16:17], v[27:28]
	v_cvt_i32_f64_e32 v0, v[31:32]
	s_mov_b32 s17, 0x3fe62e42
	v_fma_f64 v[33:34], v[31:32], s[28:29], v[33:34]
	s_mov_b32 s29, 0x3c7abc9e
	v_fma_f64 v[55:56], v[33:34], s[34:35], s[4:5]
	s_mov_b32 s4, 0x623fde64
	s_mov_b32 s5, 0x3ec71dee
	;; [unrolled: 1-line block ×4, first 2 shown]
	v_fma_f64 v[55:56], v[33:34], v[55:56], s[4:5]
	s_mov_b32 s4, 0x7c89e6b0
	s_mov_b32 s5, 0x3efa0199
	v_fma_f64 v[55:56], v[33:34], v[55:56], s[4:5]
	s_mov_b32 s4, 0x14761f6e
	s_mov_b32 s5, 0x3f2a01a0
	;; [unrolled: 3-line block ×7, first 2 shown]
	v_fma_f64 v[55:56], v[33:34], v[55:56], s[4:5]
	v_cmp_nlt_f64_e64 s4, 0x40900000, v[27:28]
	v_cmp_ngt_f64_e64 s5, 0xc090cc00, v[27:28]
	v_fma_f64 v[55:56], v[33:34], v[55:56], 1.0
	v_fma_f64 v[31:32], v[33:34], v[55:56], 1.0
	v_ldexp_f64 v[31:32], v[31:32], v0
	v_cndmask_b32_e64 v0, 0x7ff00000, v32, s4
	s_and_b32 s4, s5, s4
	v_cndmask_b32_e64 v27, 0, v31, s4
	s_mov_b32 s4, 0x55555555
	v_cndmask_b32_e64 v28, 0, v0, s5
	s_mov_b32 s5, 0x3fe55555
	v_add_f64 v[31:32], v[27:28], 1.0
	v_cmp_ngt_f64_e64 s15, -1.0, v[27:28]
	v_frexp_mant_f64_e32 v[33:34], v[31:32]
	v_frexp_exp_i32_f64_e32 v0, v[31:32]
	v_add_f64 v[55:56], v[31:32], -1.0
	v_cmp_gt_f64_e64 s4, s[4:5], v[33:34]
	v_add_f64 v[33:34], v[55:56], -v[31:32]
	v_add_f64 v[55:56], v[27:28], -v[55:56]
	v_subrev_co_ci_u32_e64 v0, null, 0, v0, s4
	v_add_f64 v[33:34], v[33:34], 1.0
	s_mov_b32 s4, 0x55555780
	v_sub_nc_u32_e32 v59, 0, v0
	v_ldexp_f64 v[31:32], v[31:32], v59
	v_add_f64 v[33:34], v[55:56], v[33:34]
	v_add_f64 v[57:58], v[31:32], 1.0
	v_add_f64 v[63:64], v[31:32], -1.0
	v_ldexp_f64 v[33:34], v[33:34], v59
	v_add_f64 v[55:56], v[57:58], -1.0
	v_add_f64 v[65:66], v[63:64], 1.0
	v_add_f64 v[55:56], v[31:32], -v[55:56]
	v_add_f64 v[31:32], v[31:32], -v[65:66]
	v_add_f64 v[55:56], v[33:34], v[55:56]
	v_add_f64 v[31:32], v[33:34], v[31:32]
	v_add_f64 v[59:60], v[57:58], v[55:56]
	v_add_f64 v[65:66], v[63:64], v[31:32]
	s_waitcnt lgkmcnt(0)
	v_rcp_f64_e32 v[61:62], v[59:60]
	v_add_f64 v[57:58], v[59:60], -v[57:58]
	v_add_f64 v[63:64], v[65:66], -v[63:64]
	;; [unrolled: 1-line block ×3, first 2 shown]
	v_fma_f64 v[67:68], -v[59:60], v[61:62], 1.0
	v_add_f64 v[31:32], v[31:32], -v[63:64]
	v_fma_f64 v[61:62], v[67:68], v[61:62], v[61:62]
	v_fma_f64 v[33:34], -v[59:60], v[61:62], 1.0
	v_fma_f64 v[33:34], v[33:34], v[61:62], v[61:62]
	v_mul_f64 v[61:62], v[65:66], v[33:34]
	v_mul_f64 v[67:68], v[59:60], v[61:62]
	v_fma_f64 v[57:58], v[61:62], v[59:60], -v[67:68]
	v_fma_f64 v[57:58], v[61:62], v[55:56], v[57:58]
	v_add_f64 v[71:72], v[67:68], v[57:58]
	v_add_f64 v[73:74], v[65:66], -v[71:72]
	v_add_f64 v[63:64], v[71:72], -v[67:68]
	v_add_f64 v[65:66], v[65:66], -v[73:74]
	v_add_f64 v[57:58], v[63:64], -v[57:58]
	v_add_f64 v[65:66], v[65:66], -v[71:72]
	v_add_f64 v[31:32], v[31:32], v[65:66]
	v_add_f64 v[31:32], v[57:58], v[31:32]
	;; [unrolled: 1-line block ×3, first 2 shown]
	v_mul_f64 v[63:64], v[33:34], v[57:58]
	v_add_f64 v[71:72], v[73:74], -v[57:58]
	v_mul_f64 v[65:66], v[59:60], v[63:64]
	v_add_f64 v[31:32], v[31:32], v[71:72]
	v_fma_f64 v[59:60], v[63:64], v[59:60], -v[65:66]
	v_fma_f64 v[55:56], v[63:64], v[55:56], v[59:60]
	v_add_f64 v[59:60], v[65:66], v[55:56]
	v_add_f64 v[67:68], v[57:58], -v[59:60]
	v_add_f64 v[65:66], v[59:60], -v[65:66]
	;; [unrolled: 1-line block ×5, first 2 shown]
	v_add_f64 v[31:32], v[31:32], v[57:58]
	v_add_f64 v[57:58], v[61:62], v[63:64]
	v_add_f64 v[31:32], v[55:56], v[31:32]
	v_add_f64 v[55:56], v[57:58], -v[61:62]
	v_add_f64 v[31:32], v[67:68], v[31:32]
	v_add_f64 v[55:56], v[63:64], -v[55:56]
	v_mul_f64 v[31:32], v[33:34], v[31:32]
	v_add_f64 v[31:32], v[55:56], v[31:32]
	v_add_f64 v[33:34], v[57:58], v[31:32]
	v_mul_f64 v[55:56], v[33:34], v[33:34]
	v_fma_f64 v[59:60], v[55:56], s[36:37], s[34:35]
	s_mov_b32 s34, 0xd7f4df2e
	s_mov_b32 s35, 0x3fc7474d
	v_mul_f64 v[61:62], v[33:34], v[55:56]
	v_fma_f64 v[59:60], v[55:56], v[59:60], s[34:35]
	s_mov_b32 s34, 0x16291751
	s_mov_b32 s35, 0x3fcc71c0
	v_fma_f64 v[59:60], v[55:56], v[59:60], s[34:35]
	s_mov_b32 s34, 0x9b27acf1
	s_mov_b32 s35, 0x3fd24924
	v_fma_f64 v[59:60], v[55:56], v[59:60], s[34:35]
	s_mov_b32 s34, 0x998ef7b6
	s_mov_b32 s35, 0x3fd99999
	v_fma_f64 v[59:60], v[55:56], v[59:60], s[34:35]
	v_fma_f64 v[55:56], v[55:56], v[59:60], s[4:5]
	v_ldexp_f64 v[59:60], v[33:34], 1
	v_add_f64 v[33:34], v[33:34], -v[57:58]
	v_cmp_nge_f64_e64 s4, -1.0, v[27:28]
	v_cmp_neq_f64_e64 s5, 0x7ff00000, v[27:28]
	v_mul_f64 v[55:56], v[61:62], v[55:56]
	v_cvt_f64_i32_e32 v[61:62], v0
	v_add_f64 v[31:32], v[31:32], -v[33:34]
	s_and_b32 s4, s4, s5
	v_add_f64 v[57:58], v[59:60], v[55:56]
	v_mul_f64 v[63:64], v[61:62], s[16:17]
	v_ldexp_f64 v[31:32], v[31:32], 1
	v_add_f64 v[33:34], v[57:58], -v[59:60]
	v_fma_f64 v[59:60], v[61:62], s[16:17], -v[63:64]
	v_add_f64 v[33:34], v[55:56], -v[33:34]
	v_fma_f64 v[55:56], v[61:62], s[28:29], v[59:60]
	v_add_f64 v[31:32], v[31:32], v[33:34]
	v_add_f64 v[33:34], v[63:64], v[55:56]
	;; [unrolled: 1-line block ×3, first 2 shown]
	v_add_f64 v[63:64], v[33:34], -v[63:64]
	v_add_f64 v[61:62], v[33:34], v[59:60]
	v_add_f64 v[57:58], v[59:60], -v[57:58]
	v_add_f64 v[55:56], v[55:56], -v[63:64]
	;; [unrolled: 1-line block ×6, first 2 shown]
	v_add_f64 v[59:60], v[55:56], v[31:32]
	v_add_f64 v[33:34], v[33:34], -v[67:68]
	v_add_f64 v[33:34], v[57:58], v[33:34]
	v_add_f64 v[57:58], v[59:60], -v[55:56]
	;; [unrolled: 2-line block ×3, first 2 shown]
	v_add_f64 v[31:32], v[31:32], -v[57:58]
	v_add_f64 v[63:64], v[61:62], v[33:34]
	v_add_f64 v[55:56], v[55:56], -v[59:60]
	v_add_f64 v[57:58], v[63:64], -v[61:62]
	v_add_f64 v[31:32], v[31:32], v[55:56]
	v_add_f64 v[33:34], v[33:34], -v[57:58]
	v_add_f64 v[31:32], v[31:32], v[33:34]
	v_add_f64 v[31:32], v[63:64], v[31:32]
	v_cndmask_b32_e64 v31, 0, v31, s4
	v_cmp_neq_f64_e64 s4, -1.0, v[27:28]
	v_cndmask_b32_e64 v0, 0x7ff00000, v32, s5
	v_cndmask_b32_e64 v0, 0x7ff80000, v0, s15
	;; [unrolled: 1-line block ×3, first 2 shown]
	v_add_f64 v[27:28], v[29:30], v[31:32]
.LBB64_100:
	s_or_b32 exec_lo, exec_lo, s33
	v_max_f64 v[29:30], v[27:28], v[27:28]
	v_cmp_u_f64_e64 s4, v[27:28], v[27:28]
	v_min_f64 v[31:32], v[29:30], v[35:36]
	v_max_f64 v[29:30], v[29:30], v[35:36]
	v_cndmask_b32_e64 v0, v31, v27, s4
	v_cndmask_b32_e64 v31, v32, v28, s4
	;; [unrolled: 1-line block ×8, first 2 shown]
	v_mov_b32_e32 v21, v27
	v_mov_b32_e32 v22, v28
	v_cmp_class_f64_e64 s5, v[31:32], 0x1f8
	v_cmp_neq_f64_e64 s4, v[31:32], v[29:30]
	s_or_b32 s4, s4, s5
	s_and_saveexec_b32 s18, s4
	s_cbranch_execz .LBB64_102
; %bb.101:
	v_add_f64 v[21:22], v[31:32], -v[29:30]
	s_mov_b32 s4, 0x652b82fe
	s_mov_b32 s5, 0x3ff71547
	;; [unrolled: 1-line block ×10, first 2 shown]
	v_mul_f64 v[31:32], v[21:22], s[4:5]
	s_mov_b32 s4, 0xfca7ab0c
	s_mov_b32 s5, 0x3e928af3
	v_rndne_f64_e32 v[31:32], v[31:32]
	v_fma_f64 v[33:34], v[31:32], s[16:17], v[21:22]
	v_cvt_i32_f64_e32 v0, v[31:32]
	s_mov_b32 s17, 0x3fe62e42
	v_fma_f64 v[33:34], v[31:32], s[28:29], v[33:34]
	s_mov_b32 s29, 0x3c7abc9e
	v_fma_f64 v[35:36], v[33:34], s[34:35], s[4:5]
	s_mov_b32 s4, 0x623fde64
	s_mov_b32 s5, 0x3ec71dee
	s_mov_b32 s34, 0x6b47b09a
	s_mov_b32 s35, 0x3fc38538
	v_fma_f64 v[35:36], v[33:34], v[35:36], s[4:5]
	s_mov_b32 s4, 0x7c89e6b0
	s_mov_b32 s5, 0x3efa0199
	v_fma_f64 v[35:36], v[33:34], v[35:36], s[4:5]
	s_mov_b32 s4, 0x14761f6e
	s_mov_b32 s5, 0x3f2a01a0
	v_fma_f64 v[35:36], v[33:34], v[35:36], s[4:5]
	s_mov_b32 s4, 0x1852b7b0
	s_mov_b32 s5, 0x3f56c16c
	v_fma_f64 v[35:36], v[33:34], v[35:36], s[4:5]
	s_mov_b32 s4, 0x11122322
	s_mov_b32 s5, 0x3f811111
	v_fma_f64 v[35:36], v[33:34], v[35:36], s[4:5]
	s_mov_b32 s4, 0x555502a1
	s_mov_b32 s5, 0x3fa55555
	v_fma_f64 v[35:36], v[33:34], v[35:36], s[4:5]
	s_mov_b32 s4, 0x55555511
	s_mov_b32 s5, 0x3fc55555
	v_fma_f64 v[35:36], v[33:34], v[35:36], s[4:5]
	s_mov_b32 s4, 11
	s_mov_b32 s5, 0x3fe00000
	v_fma_f64 v[35:36], v[33:34], v[35:36], s[4:5]
	v_cmp_nlt_f64_e64 s4, 0x40900000, v[21:22]
	v_cmp_ngt_f64_e64 s5, 0xc090cc00, v[21:22]
	v_fma_f64 v[35:36], v[33:34], v[35:36], 1.0
	v_fma_f64 v[31:32], v[33:34], v[35:36], 1.0
	v_ldexp_f64 v[31:32], v[31:32], v0
	v_cndmask_b32_e64 v0, 0x7ff00000, v32, s4
	s_and_b32 s4, s5, s4
	v_cndmask_b32_e64 v21, 0, v31, s4
	s_mov_b32 s4, 0x55555555
	v_cndmask_b32_e64 v22, 0, v0, s5
	s_mov_b32 s5, 0x3fe55555
	v_add_f64 v[31:32], v[21:22], 1.0
	v_cmp_ngt_f64_e64 s15, -1.0, v[21:22]
	v_frexp_mant_f64_e32 v[33:34], v[31:32]
	v_frexp_exp_i32_f64_e32 v0, v[31:32]
	v_add_f64 v[35:36], v[31:32], -1.0
	v_cmp_gt_f64_e64 s4, s[4:5], v[33:34]
	v_add_f64 v[33:34], v[35:36], -v[31:32]
	v_add_f64 v[35:36], v[21:22], -v[35:36]
	v_subrev_co_ci_u32_e64 v0, null, 0, v0, s4
	v_add_f64 v[33:34], v[33:34], 1.0
	s_mov_b32 s4, 0x55555780
	v_sub_nc_u32_e32 v57, 0, v0
	v_ldexp_f64 v[31:32], v[31:32], v57
	v_add_f64 v[33:34], v[35:36], v[33:34]
	v_add_f64 v[55:56], v[31:32], 1.0
	s_waitcnt lgkmcnt(0)
	v_add_f64 v[61:62], v[31:32], -1.0
	v_ldexp_f64 v[33:34], v[33:34], v57
	v_add_f64 v[35:36], v[55:56], -1.0
	v_add_f64 v[63:64], v[61:62], 1.0
	v_add_f64 v[35:36], v[31:32], -v[35:36]
	v_add_f64 v[31:32], v[31:32], -v[63:64]
	v_add_f64 v[35:36], v[33:34], v[35:36]
	v_add_f64 v[31:32], v[33:34], v[31:32]
	v_add_f64 v[57:58], v[55:56], v[35:36]
	v_add_f64 v[63:64], v[61:62], v[31:32]
	v_rcp_f64_e32 v[59:60], v[57:58]
	v_add_f64 v[55:56], v[57:58], -v[55:56]
	v_add_f64 v[61:62], v[63:64], -v[61:62]
	v_add_f64 v[35:36], v[35:36], -v[55:56]
	v_fma_f64 v[65:66], -v[57:58], v[59:60], 1.0
	v_add_f64 v[31:32], v[31:32], -v[61:62]
	v_fma_f64 v[59:60], v[65:66], v[59:60], v[59:60]
	v_fma_f64 v[33:34], -v[57:58], v[59:60], 1.0
	v_fma_f64 v[33:34], v[33:34], v[59:60], v[59:60]
	v_mul_f64 v[59:60], v[63:64], v[33:34]
	v_mul_f64 v[65:66], v[57:58], v[59:60]
	v_fma_f64 v[55:56], v[59:60], v[57:58], -v[65:66]
	v_fma_f64 v[55:56], v[59:60], v[35:36], v[55:56]
	v_add_f64 v[67:68], v[65:66], v[55:56]
	v_add_f64 v[71:72], v[63:64], -v[67:68]
	v_add_f64 v[61:62], v[67:68], -v[65:66]
	;; [unrolled: 1-line block ×5, first 2 shown]
	v_add_f64 v[31:32], v[31:32], v[63:64]
	v_add_f64 v[31:32], v[55:56], v[31:32]
	;; [unrolled: 1-line block ×3, first 2 shown]
	v_mul_f64 v[61:62], v[33:34], v[55:56]
	v_add_f64 v[67:68], v[71:72], -v[55:56]
	v_mul_f64 v[63:64], v[57:58], v[61:62]
	v_add_f64 v[31:32], v[31:32], v[67:68]
	v_fma_f64 v[57:58], v[61:62], v[57:58], -v[63:64]
	v_fma_f64 v[35:36], v[61:62], v[35:36], v[57:58]
	v_add_f64 v[57:58], v[63:64], v[35:36]
	v_add_f64 v[65:66], v[55:56], -v[57:58]
	v_add_f64 v[63:64], v[57:58], -v[63:64]
	;; [unrolled: 1-line block ×5, first 2 shown]
	v_add_f64 v[31:32], v[31:32], v[55:56]
	v_add_f64 v[55:56], v[59:60], v[61:62]
	;; [unrolled: 1-line block ×3, first 2 shown]
	v_add_f64 v[35:36], v[55:56], -v[59:60]
	v_add_f64 v[31:32], v[65:66], v[31:32]
	v_add_f64 v[35:36], v[61:62], -v[35:36]
	v_mul_f64 v[31:32], v[33:34], v[31:32]
	v_add_f64 v[31:32], v[35:36], v[31:32]
	v_add_f64 v[33:34], v[55:56], v[31:32]
	v_mul_f64 v[35:36], v[33:34], v[33:34]
	v_fma_f64 v[57:58], v[35:36], s[36:37], s[34:35]
	s_mov_b32 s34, 0xd7f4df2e
	s_mov_b32 s35, 0x3fc7474d
	v_mul_f64 v[59:60], v[33:34], v[35:36]
	v_fma_f64 v[57:58], v[35:36], v[57:58], s[34:35]
	s_mov_b32 s34, 0x16291751
	s_mov_b32 s35, 0x3fcc71c0
	v_fma_f64 v[57:58], v[35:36], v[57:58], s[34:35]
	s_mov_b32 s34, 0x9b27acf1
	s_mov_b32 s35, 0x3fd24924
	;; [unrolled: 3-line block ×3, first 2 shown]
	v_fma_f64 v[57:58], v[35:36], v[57:58], s[34:35]
	v_fma_f64 v[35:36], v[35:36], v[57:58], s[4:5]
	v_ldexp_f64 v[57:58], v[33:34], 1
	v_add_f64 v[33:34], v[33:34], -v[55:56]
	v_cmp_nge_f64_e64 s4, -1.0, v[21:22]
	v_cmp_neq_f64_e64 s5, 0x7ff00000, v[21:22]
	v_mul_f64 v[35:36], v[59:60], v[35:36]
	v_cvt_f64_i32_e32 v[59:60], v0
	v_add_f64 v[31:32], v[31:32], -v[33:34]
	s_and_b32 s4, s4, s5
	v_add_f64 v[55:56], v[57:58], v[35:36]
	v_mul_f64 v[61:62], v[59:60], s[16:17]
	v_ldexp_f64 v[31:32], v[31:32], 1
	v_add_f64 v[33:34], v[55:56], -v[57:58]
	v_fma_f64 v[57:58], v[59:60], s[16:17], -v[61:62]
	v_add_f64 v[33:34], v[35:36], -v[33:34]
	v_fma_f64 v[35:36], v[59:60], s[28:29], v[57:58]
	v_add_f64 v[31:32], v[31:32], v[33:34]
	v_add_f64 v[33:34], v[61:62], v[35:36]
	;; [unrolled: 1-line block ×3, first 2 shown]
	v_add_f64 v[61:62], v[33:34], -v[61:62]
	v_add_f64 v[59:60], v[33:34], v[57:58]
	v_add_f64 v[55:56], v[57:58], -v[55:56]
	v_add_f64 v[35:36], v[35:36], -v[61:62]
	v_add_f64 v[63:64], v[59:60], -v[33:34]
	v_add_f64 v[31:32], v[31:32], -v[55:56]
	v_add_f64 v[65:66], v[59:60], -v[63:64]
	v_add_f64 v[55:56], v[57:58], -v[63:64]
	v_add_f64 v[57:58], v[35:36], v[31:32]
	v_add_f64 v[33:34], v[33:34], -v[65:66]
	v_add_f64 v[33:34], v[55:56], v[33:34]
	v_add_f64 v[55:56], v[57:58], -v[35:36]
	v_add_f64 v[33:34], v[57:58], v[33:34]
	v_add_f64 v[57:58], v[57:58], -v[55:56]
	v_add_f64 v[31:32], v[31:32], -v[55:56]
	v_add_f64 v[61:62], v[59:60], v[33:34]
	v_add_f64 v[35:36], v[35:36], -v[57:58]
	v_add_f64 v[55:56], v[61:62], -v[59:60]
	v_add_f64 v[31:32], v[31:32], v[35:36]
	v_add_f64 v[33:34], v[33:34], -v[55:56]
	v_add_f64 v[31:32], v[31:32], v[33:34]
	v_add_f64 v[31:32], v[61:62], v[31:32]
	v_cndmask_b32_e64 v31, 0, v31, s4
	v_cmp_neq_f64_e64 s4, -1.0, v[21:22]
	v_cndmask_b32_e64 v0, 0x7ff00000, v32, s5
	v_cndmask_b32_e64 v0, 0x7ff80000, v0, s15
	;; [unrolled: 1-line block ×3, first 2 shown]
	v_add_f64 v[21:22], v[29:30], v[31:32]
.LBB64_102:
	s_or_b32 exec_lo, exec_lo, s18
	v_max_f64 v[29:30], v[21:22], v[21:22]
	v_cmp_u_f64_e64 s4, v[21:22], v[21:22]
	v_min_f64 v[31:32], v[29:30], v[37:38]
	v_max_f64 v[29:30], v[29:30], v[37:38]
	v_cndmask_b32_e64 v0, v31, v21, s4
	v_cndmask_b32_e64 v31, v32, v22, s4
	;; [unrolled: 1-line block ×8, first 2 shown]
	v_mov_b32_e32 v24, v22
	v_mov_b32_e32 v23, v21
	v_cmp_class_f64_e64 s5, v[31:32], 0x1f8
	v_cmp_neq_f64_e64 s4, v[31:32], v[29:30]
	s_or_b32 s4, s4, s5
	s_and_saveexec_b32 s28, s4
	s_cbranch_execz .LBB64_104
; %bb.103:
	v_add_f64 v[23:24], v[31:32], -v[29:30]
	s_mov_b32 s4, 0x652b82fe
	s_mov_b32 s5, 0x3ff71547
	;; [unrolled: 1-line block ×10, first 2 shown]
	v_mul_f64 v[31:32], v[23:24], s[4:5]
	s_mov_b32 s4, 0xfca7ab0c
	s_mov_b32 s5, 0x3e928af3
	v_rndne_f64_e32 v[31:32], v[31:32]
	v_fma_f64 v[33:34], v[31:32], s[16:17], v[23:24]
	v_cvt_i32_f64_e32 v0, v[31:32]
	s_mov_b32 s17, 0x3fe62e42
	v_fma_f64 v[33:34], v[31:32], s[18:19], v[33:34]
	s_mov_b32 s19, 0x3c7abc9e
	v_fma_f64 v[35:36], v[33:34], s[34:35], s[4:5]
	s_mov_b32 s4, 0x623fde64
	s_mov_b32 s5, 0x3ec71dee
	;; [unrolled: 1-line block ×4, first 2 shown]
	v_fma_f64 v[35:36], v[33:34], v[35:36], s[4:5]
	s_mov_b32 s4, 0x7c89e6b0
	s_mov_b32 s5, 0x3efa0199
	v_fma_f64 v[35:36], v[33:34], v[35:36], s[4:5]
	s_mov_b32 s4, 0x14761f6e
	s_mov_b32 s5, 0x3f2a01a0
	;; [unrolled: 3-line block ×7, first 2 shown]
	v_fma_f64 v[35:36], v[33:34], v[35:36], s[4:5]
	v_cmp_nlt_f64_e64 s4, 0x40900000, v[23:24]
	v_cmp_ngt_f64_e64 s5, 0xc090cc00, v[23:24]
	v_fma_f64 v[35:36], v[33:34], v[35:36], 1.0
	v_fma_f64 v[31:32], v[33:34], v[35:36], 1.0
	v_ldexp_f64 v[31:32], v[31:32], v0
	v_cndmask_b32_e64 v0, 0x7ff00000, v32, s4
	s_and_b32 s4, s5, s4
	v_cndmask_b32_e64 v23, 0, v31, s4
	s_mov_b32 s4, 0x55555555
	v_cndmask_b32_e64 v24, 0, v0, s5
	s_mov_b32 s5, 0x3fe55555
	v_add_f64 v[31:32], v[23:24], 1.0
	v_cmp_ngt_f64_e64 s15, -1.0, v[23:24]
	v_frexp_mant_f64_e32 v[33:34], v[31:32]
	v_frexp_exp_i32_f64_e32 v0, v[31:32]
	v_add_f64 v[35:36], v[31:32], -1.0
	v_cmp_gt_f64_e64 s4, s[4:5], v[33:34]
	v_add_f64 v[33:34], v[35:36], -v[31:32]
	v_add_f64 v[35:36], v[23:24], -v[35:36]
	v_subrev_co_ci_u32_e64 v0, null, 0, v0, s4
	v_add_f64 v[33:34], v[33:34], 1.0
	s_mov_b32 s4, 0x55555780
	v_sub_nc_u32_e32 v55, 0, v0
	v_ldexp_f64 v[31:32], v[31:32], v55
	v_add_f64 v[33:34], v[35:36], v[33:34]
	v_add_f64 v[37:38], v[31:32], 1.0
	v_add_f64 v[59:60], v[31:32], -1.0
	v_ldexp_f64 v[33:34], v[33:34], v55
	v_add_f64 v[35:36], v[37:38], -1.0
	s_waitcnt lgkmcnt(0)
	v_add_f64 v[61:62], v[59:60], 1.0
	v_add_f64 v[35:36], v[31:32], -v[35:36]
	v_add_f64 v[31:32], v[31:32], -v[61:62]
	v_add_f64 v[35:36], v[33:34], v[35:36]
	v_add_f64 v[31:32], v[33:34], v[31:32]
	;; [unrolled: 1-line block ×4, first 2 shown]
	v_rcp_f64_e32 v[57:58], v[55:56]
	v_add_f64 v[37:38], v[55:56], -v[37:38]
	v_add_f64 v[59:60], v[61:62], -v[59:60]
	;; [unrolled: 1-line block ×3, first 2 shown]
	v_fma_f64 v[63:64], -v[55:56], v[57:58], 1.0
	v_add_f64 v[31:32], v[31:32], -v[59:60]
	v_fma_f64 v[57:58], v[63:64], v[57:58], v[57:58]
	v_fma_f64 v[33:34], -v[55:56], v[57:58], 1.0
	v_fma_f64 v[33:34], v[33:34], v[57:58], v[57:58]
	v_mul_f64 v[57:58], v[61:62], v[33:34]
	v_mul_f64 v[63:64], v[55:56], v[57:58]
	v_fma_f64 v[37:38], v[57:58], v[55:56], -v[63:64]
	v_fma_f64 v[37:38], v[57:58], v[35:36], v[37:38]
	v_add_f64 v[65:66], v[63:64], v[37:38]
	v_add_f64 v[67:68], v[61:62], -v[65:66]
	v_add_f64 v[59:60], v[65:66], -v[63:64]
	;; [unrolled: 1-line block ×5, first 2 shown]
	v_add_f64 v[31:32], v[31:32], v[61:62]
	v_add_f64 v[31:32], v[37:38], v[31:32]
	;; [unrolled: 1-line block ×3, first 2 shown]
	v_mul_f64 v[59:60], v[33:34], v[37:38]
	v_add_f64 v[65:66], v[67:68], -v[37:38]
	v_mul_f64 v[61:62], v[55:56], v[59:60]
	v_add_f64 v[31:32], v[31:32], v[65:66]
	v_fma_f64 v[55:56], v[59:60], v[55:56], -v[61:62]
	v_fma_f64 v[35:36], v[59:60], v[35:36], v[55:56]
	v_add_f64 v[55:56], v[61:62], v[35:36]
	v_add_f64 v[63:64], v[37:38], -v[55:56]
	v_add_f64 v[61:62], v[55:56], -v[61:62]
	;; [unrolled: 1-line block ×5, first 2 shown]
	v_add_f64 v[31:32], v[31:32], v[37:38]
	v_add_f64 v[37:38], v[57:58], v[59:60]
	;; [unrolled: 1-line block ×3, first 2 shown]
	v_add_f64 v[35:36], v[37:38], -v[57:58]
	v_add_f64 v[31:32], v[63:64], v[31:32]
	v_add_f64 v[35:36], v[59:60], -v[35:36]
	v_mul_f64 v[31:32], v[33:34], v[31:32]
	v_add_f64 v[31:32], v[35:36], v[31:32]
	v_add_f64 v[33:34], v[37:38], v[31:32]
	v_mul_f64 v[35:36], v[33:34], v[33:34]
	v_fma_f64 v[55:56], v[35:36], s[36:37], s[34:35]
	s_mov_b32 s34, 0xd7f4df2e
	s_mov_b32 s35, 0x3fc7474d
	v_mul_f64 v[57:58], v[33:34], v[35:36]
	v_fma_f64 v[55:56], v[35:36], v[55:56], s[34:35]
	s_mov_b32 s34, 0x16291751
	s_mov_b32 s35, 0x3fcc71c0
	v_fma_f64 v[55:56], v[35:36], v[55:56], s[34:35]
	s_mov_b32 s34, 0x9b27acf1
	s_mov_b32 s35, 0x3fd24924
	;; [unrolled: 3-line block ×3, first 2 shown]
	v_fma_f64 v[55:56], v[35:36], v[55:56], s[34:35]
	v_fma_f64 v[35:36], v[35:36], v[55:56], s[4:5]
	v_ldexp_f64 v[55:56], v[33:34], 1
	v_add_f64 v[33:34], v[33:34], -v[37:38]
	v_cmp_nge_f64_e64 s4, -1.0, v[23:24]
	v_cmp_neq_f64_e64 s5, 0x7ff00000, v[23:24]
	v_mul_f64 v[35:36], v[57:58], v[35:36]
	v_cvt_f64_i32_e32 v[57:58], v0
	v_add_f64 v[31:32], v[31:32], -v[33:34]
	s_and_b32 s4, s4, s5
	v_add_f64 v[37:38], v[55:56], v[35:36]
	v_mul_f64 v[59:60], v[57:58], s[16:17]
	v_ldexp_f64 v[31:32], v[31:32], 1
	v_add_f64 v[33:34], v[37:38], -v[55:56]
	v_fma_f64 v[55:56], v[57:58], s[16:17], -v[59:60]
	v_add_f64 v[33:34], v[35:36], -v[33:34]
	v_fma_f64 v[35:36], v[57:58], s[18:19], v[55:56]
	v_add_f64 v[31:32], v[31:32], v[33:34]
	v_add_f64 v[33:34], v[59:60], v[35:36]
	;; [unrolled: 1-line block ×3, first 2 shown]
	v_add_f64 v[59:60], v[33:34], -v[59:60]
	v_add_f64 v[57:58], v[33:34], v[55:56]
	v_add_f64 v[37:38], v[55:56], -v[37:38]
	v_add_f64 v[35:36], v[35:36], -v[59:60]
	;; [unrolled: 1-line block ×6, first 2 shown]
	v_add_f64 v[55:56], v[35:36], v[31:32]
	v_add_f64 v[33:34], v[33:34], -v[63:64]
	v_add_f64 v[33:34], v[37:38], v[33:34]
	v_add_f64 v[37:38], v[55:56], -v[35:36]
	;; [unrolled: 2-line block ×3, first 2 shown]
	v_add_f64 v[31:32], v[31:32], -v[37:38]
	v_add_f64 v[59:60], v[57:58], v[33:34]
	v_add_f64 v[35:36], v[35:36], -v[55:56]
	v_add_f64 v[37:38], v[59:60], -v[57:58]
	v_add_f64 v[31:32], v[31:32], v[35:36]
	v_add_f64 v[33:34], v[33:34], -v[37:38]
	v_add_f64 v[31:32], v[31:32], v[33:34]
	v_add_f64 v[31:32], v[59:60], v[31:32]
	v_cndmask_b32_e64 v31, 0, v31, s4
	v_cmp_neq_f64_e64 s4, -1.0, v[23:24]
	v_cndmask_b32_e64 v0, 0x7ff00000, v32, s5
	v_cndmask_b32_e64 v0, 0x7ff80000, v0, s15
	;; [unrolled: 1-line block ×3, first 2 shown]
	v_add_f64 v[23:24], v[29:30], v[31:32]
.LBB64_104:
	s_or_b32 exec_lo, exec_lo, s28
	v_max_f64 v[29:30], v[23:24], v[23:24]
	v_cmp_u_f64_e64 s4, v[23:24], v[23:24]
	v_min_f64 v[31:32], v[29:30], v[39:40]
	v_max_f64 v[29:30], v[29:30], v[39:40]
	v_cndmask_b32_e64 v0, v31, v23, s4
	v_cndmask_b32_e64 v31, v32, v24, s4
	;; [unrolled: 1-line block ×8, first 2 shown]
	v_mov_b32_e32 v17, v23
	v_mov_b32_e32 v18, v24
	v_cmp_class_f64_e64 s5, v[31:32], 0x1f8
	v_cmp_neq_f64_e64 s4, v[31:32], v[29:30]
	s_or_b32 s4, s4, s5
	s_and_saveexec_b32 s20, s4
	s_cbranch_execz .LBB64_106
; %bb.105:
	v_add_f64 v[17:18], v[31:32], -v[29:30]
	s_mov_b32 s4, 0x652b82fe
	s_mov_b32 s5, 0x3ff71547
	;; [unrolled: 1-line block ×10, first 2 shown]
	v_mul_f64 v[31:32], v[17:18], s[4:5]
	s_mov_b32 s4, 0xfca7ab0c
	s_mov_b32 s5, 0x3e928af3
	v_rndne_f64_e32 v[31:32], v[31:32]
	v_fma_f64 v[33:34], v[31:32], s[16:17], v[17:18]
	v_cvt_i32_f64_e32 v0, v[31:32]
	s_mov_b32 s17, 0x3fe62e42
	v_fma_f64 v[33:34], v[31:32], s[18:19], v[33:34]
	s_mov_b32 s19, 0x3c7abc9e
	v_fma_f64 v[35:36], v[33:34], s[28:29], s[4:5]
	s_mov_b32 s4, 0x623fde64
	s_mov_b32 s5, 0x3ec71dee
	s_mov_b32 s28, 0x6b47b09a
	s_mov_b32 s29, 0x3fc38538
	v_fma_f64 v[35:36], v[33:34], v[35:36], s[4:5]
	s_mov_b32 s4, 0x7c89e6b0
	s_mov_b32 s5, 0x3efa0199
	v_fma_f64 v[35:36], v[33:34], v[35:36], s[4:5]
	s_mov_b32 s4, 0x14761f6e
	s_mov_b32 s5, 0x3f2a01a0
	;; [unrolled: 3-line block ×7, first 2 shown]
	v_fma_f64 v[35:36], v[33:34], v[35:36], s[4:5]
	v_cmp_nlt_f64_e64 s4, 0x40900000, v[17:18]
	v_cmp_ngt_f64_e64 s5, 0xc090cc00, v[17:18]
	v_fma_f64 v[35:36], v[33:34], v[35:36], 1.0
	v_fma_f64 v[31:32], v[33:34], v[35:36], 1.0
	v_ldexp_f64 v[31:32], v[31:32], v0
	v_cndmask_b32_e64 v0, 0x7ff00000, v32, s4
	s_and_b32 s4, s5, s4
	v_cndmask_b32_e64 v17, 0, v31, s4
	s_mov_b32 s4, 0x55555555
	v_cndmask_b32_e64 v18, 0, v0, s5
	s_mov_b32 s5, 0x3fe55555
	v_add_f64 v[31:32], v[17:18], 1.0
	v_cmp_ngt_f64_e64 s15, -1.0, v[17:18]
	v_frexp_mant_f64_e32 v[33:34], v[31:32]
	v_frexp_exp_i32_f64_e32 v0, v[31:32]
	v_add_f64 v[35:36], v[31:32], -1.0
	v_cmp_gt_f64_e64 s4, s[4:5], v[33:34]
	v_add_f64 v[33:34], v[35:36], -v[31:32]
	v_add_f64 v[35:36], v[17:18], -v[35:36]
	v_subrev_co_ci_u32_e64 v0, null, 0, v0, s4
	v_add_f64 v[33:34], v[33:34], 1.0
	s_mov_b32 s4, 0x55555780
	v_sub_nc_u32_e32 v39, 0, v0
	v_ldexp_f64 v[31:32], v[31:32], v39
	v_add_f64 v[33:34], v[35:36], v[33:34]
	v_add_f64 v[37:38], v[31:32], 1.0
	v_add_f64 v[57:58], v[31:32], -1.0
	v_ldexp_f64 v[33:34], v[33:34], v39
	v_add_f64 v[35:36], v[37:38], -1.0
	v_add_f64 v[59:60], v[57:58], 1.0
	v_add_f64 v[35:36], v[31:32], -v[35:36]
	v_add_f64 v[31:32], v[31:32], -v[59:60]
	v_add_f64 v[35:36], v[33:34], v[35:36]
	v_add_f64 v[31:32], v[33:34], v[31:32]
	;; [unrolled: 1-line block ×4, first 2 shown]
	v_rcp_f64_e32 v[55:56], v[39:40]
	v_add_f64 v[37:38], v[39:40], -v[37:38]
	v_add_f64 v[57:58], v[59:60], -v[57:58]
	;; [unrolled: 1-line block ×3, first 2 shown]
	s_waitcnt lgkmcnt(0)
	v_fma_f64 v[61:62], -v[39:40], v[55:56], 1.0
	v_add_f64 v[31:32], v[31:32], -v[57:58]
	v_fma_f64 v[55:56], v[61:62], v[55:56], v[55:56]
	v_fma_f64 v[33:34], -v[39:40], v[55:56], 1.0
	v_fma_f64 v[33:34], v[33:34], v[55:56], v[55:56]
	v_mul_f64 v[55:56], v[59:60], v[33:34]
	v_mul_f64 v[61:62], v[39:40], v[55:56]
	v_fma_f64 v[37:38], v[55:56], v[39:40], -v[61:62]
	v_fma_f64 v[37:38], v[55:56], v[35:36], v[37:38]
	v_add_f64 v[63:64], v[61:62], v[37:38]
	v_add_f64 v[65:66], v[59:60], -v[63:64]
	v_add_f64 v[57:58], v[63:64], -v[61:62]
	;; [unrolled: 1-line block ×5, first 2 shown]
	v_add_f64 v[31:32], v[31:32], v[59:60]
	v_add_f64 v[31:32], v[37:38], v[31:32]
	;; [unrolled: 1-line block ×3, first 2 shown]
	v_mul_f64 v[57:58], v[33:34], v[37:38]
	v_add_f64 v[63:64], v[65:66], -v[37:38]
	v_mul_f64 v[59:60], v[39:40], v[57:58]
	v_add_f64 v[31:32], v[31:32], v[63:64]
	v_fma_f64 v[39:40], v[57:58], v[39:40], -v[59:60]
	v_fma_f64 v[35:36], v[57:58], v[35:36], v[39:40]
	v_add_f64 v[39:40], v[59:60], v[35:36]
	v_add_f64 v[61:62], v[37:38], -v[39:40]
	v_add_f64 v[59:60], v[39:40], -v[59:60]
	;; [unrolled: 1-line block ×5, first 2 shown]
	v_add_f64 v[31:32], v[31:32], v[37:38]
	v_add_f64 v[37:38], v[55:56], v[57:58]
	;; [unrolled: 1-line block ×3, first 2 shown]
	v_add_f64 v[35:36], v[37:38], -v[55:56]
	v_add_f64 v[31:32], v[61:62], v[31:32]
	v_add_f64 v[35:36], v[57:58], -v[35:36]
	v_mul_f64 v[31:32], v[33:34], v[31:32]
	v_add_f64 v[31:32], v[35:36], v[31:32]
	v_add_f64 v[33:34], v[37:38], v[31:32]
	v_mul_f64 v[35:36], v[33:34], v[33:34]
	v_fma_f64 v[39:40], v[35:36], s[34:35], s[28:29]
	s_mov_b32 s28, 0xd7f4df2e
	s_mov_b32 s29, 0x3fc7474d
	v_mul_f64 v[55:56], v[33:34], v[35:36]
	v_fma_f64 v[39:40], v[35:36], v[39:40], s[28:29]
	s_mov_b32 s28, 0x16291751
	s_mov_b32 s29, 0x3fcc71c0
	v_fma_f64 v[39:40], v[35:36], v[39:40], s[28:29]
	s_mov_b32 s28, 0x9b27acf1
	s_mov_b32 s29, 0x3fd24924
	;; [unrolled: 3-line block ×3, first 2 shown]
	v_fma_f64 v[39:40], v[35:36], v[39:40], s[28:29]
	v_fma_f64 v[35:36], v[35:36], v[39:40], s[4:5]
	v_ldexp_f64 v[39:40], v[33:34], 1
	v_add_f64 v[33:34], v[33:34], -v[37:38]
	v_cmp_nge_f64_e64 s4, -1.0, v[17:18]
	v_cmp_neq_f64_e64 s5, 0x7ff00000, v[17:18]
	v_mul_f64 v[35:36], v[55:56], v[35:36]
	v_cvt_f64_i32_e32 v[55:56], v0
	v_add_f64 v[31:32], v[31:32], -v[33:34]
	s_and_b32 s4, s4, s5
	v_add_f64 v[37:38], v[39:40], v[35:36]
	v_mul_f64 v[57:58], v[55:56], s[16:17]
	v_ldexp_f64 v[31:32], v[31:32], 1
	v_add_f64 v[33:34], v[37:38], -v[39:40]
	v_fma_f64 v[39:40], v[55:56], s[16:17], -v[57:58]
	v_add_f64 v[33:34], v[35:36], -v[33:34]
	v_fma_f64 v[35:36], v[55:56], s[18:19], v[39:40]
	v_add_f64 v[31:32], v[31:32], v[33:34]
	v_add_f64 v[33:34], v[57:58], v[35:36]
	;; [unrolled: 1-line block ×3, first 2 shown]
	v_add_f64 v[57:58], v[33:34], -v[57:58]
	v_add_f64 v[55:56], v[33:34], v[39:40]
	v_add_f64 v[37:38], v[39:40], -v[37:38]
	v_add_f64 v[35:36], v[35:36], -v[57:58]
	;; [unrolled: 1-line block ×6, first 2 shown]
	v_add_f64 v[39:40], v[35:36], v[31:32]
	v_add_f64 v[33:34], v[33:34], -v[61:62]
	v_add_f64 v[33:34], v[37:38], v[33:34]
	v_add_f64 v[37:38], v[39:40], -v[35:36]
	;; [unrolled: 2-line block ×3, first 2 shown]
	v_add_f64 v[31:32], v[31:32], -v[37:38]
	v_add_f64 v[57:58], v[55:56], v[33:34]
	v_add_f64 v[35:36], v[35:36], -v[39:40]
	v_add_f64 v[37:38], v[57:58], -v[55:56]
	v_add_f64 v[31:32], v[31:32], v[35:36]
	v_add_f64 v[33:34], v[33:34], -v[37:38]
	v_add_f64 v[31:32], v[31:32], v[33:34]
	v_add_f64 v[31:32], v[57:58], v[31:32]
	v_cndmask_b32_e64 v31, 0, v31, s4
	v_cmp_neq_f64_e64 s4, -1.0, v[17:18]
	v_cndmask_b32_e64 v0, 0x7ff00000, v32, s5
	v_cndmask_b32_e64 v0, 0x7ff80000, v0, s15
	;; [unrolled: 1-line block ×3, first 2 shown]
	v_add_f64 v[17:18], v[29:30], v[31:32]
.LBB64_106:
	s_or_b32 exec_lo, exec_lo, s20
	v_max_f64 v[29:30], v[17:18], v[17:18]
	v_cmp_u_f64_e64 s4, v[17:18], v[17:18]
	v_min_f64 v[31:32], v[29:30], v[41:42]
	v_max_f64 v[29:30], v[29:30], v[41:42]
	v_cndmask_b32_e64 v0, v31, v17, s4
	v_cndmask_b32_e64 v31, v32, v18, s4
	v_cndmask_b32_e64 v30, v30, v18, s4
	v_cndmask_b32_e64 v29, v29, v17, s4
	v_cndmask_b32_e64 v32, v31, v20, s21
	v_cndmask_b32_e64 v31, v0, v19, s21
	v_cndmask_b32_e64 v30, v30, v20, s21
	v_cndmask_b32_e64 v29, v29, v19, s21
	v_mov_b32_e32 v20, v18
	v_mov_b32_e32 v19, v17
	v_cmp_class_f64_e64 s5, v[31:32], 0x1f8
	v_cmp_neq_f64_e64 s4, v[31:32], v[29:30]
	s_or_b32 s4, s4, s5
	s_and_saveexec_b32 s20, s4
	s_cbranch_execz .LBB64_108
; %bb.107:
	v_add_f64 v[19:20], v[31:32], -v[29:30]
	s_mov_b32 s4, 0x652b82fe
	s_mov_b32 s5, 0x3ff71547
	;; [unrolled: 1-line block ×10, first 2 shown]
	v_mul_f64 v[31:32], v[19:20], s[4:5]
	s_mov_b32 s4, 0xfca7ab0c
	s_mov_b32 s5, 0x3e928af3
	v_rndne_f64_e32 v[31:32], v[31:32]
	v_fma_f64 v[33:34], v[31:32], s[16:17], v[19:20]
	v_cvt_i32_f64_e32 v0, v[31:32]
	s_mov_b32 s17, 0x3fe62e42
	v_fma_f64 v[33:34], v[31:32], s[18:19], v[33:34]
	s_mov_b32 s19, 0x3c7abc9e
	v_fma_f64 v[35:36], v[33:34], s[28:29], s[4:5]
	s_mov_b32 s4, 0x623fde64
	s_mov_b32 s5, 0x3ec71dee
	;; [unrolled: 1-line block ×4, first 2 shown]
	v_fma_f64 v[35:36], v[33:34], v[35:36], s[4:5]
	s_mov_b32 s4, 0x7c89e6b0
	s_mov_b32 s5, 0x3efa0199
	v_fma_f64 v[35:36], v[33:34], v[35:36], s[4:5]
	s_mov_b32 s4, 0x14761f6e
	s_mov_b32 s5, 0x3f2a01a0
	v_fma_f64 v[35:36], v[33:34], v[35:36], s[4:5]
	s_mov_b32 s4, 0x1852b7b0
	s_mov_b32 s5, 0x3f56c16c
	v_fma_f64 v[35:36], v[33:34], v[35:36], s[4:5]
	s_mov_b32 s4, 0x11122322
	s_mov_b32 s5, 0x3f811111
	v_fma_f64 v[35:36], v[33:34], v[35:36], s[4:5]
	s_mov_b32 s4, 0x555502a1
	s_mov_b32 s5, 0x3fa55555
	v_fma_f64 v[35:36], v[33:34], v[35:36], s[4:5]
	s_mov_b32 s4, 0x55555511
	s_mov_b32 s5, 0x3fc55555
	v_fma_f64 v[35:36], v[33:34], v[35:36], s[4:5]
	s_mov_b32 s4, 11
	s_mov_b32 s5, 0x3fe00000
	v_fma_f64 v[35:36], v[33:34], v[35:36], s[4:5]
	v_cmp_nlt_f64_e64 s4, 0x40900000, v[19:20]
	v_cmp_ngt_f64_e64 s5, 0xc090cc00, v[19:20]
	v_fma_f64 v[35:36], v[33:34], v[35:36], 1.0
	v_fma_f64 v[31:32], v[33:34], v[35:36], 1.0
	v_ldexp_f64 v[31:32], v[31:32], v0
	v_cndmask_b32_e64 v0, 0x7ff00000, v32, s4
	s_and_b32 s4, s5, s4
	v_cndmask_b32_e64 v19, 0, v31, s4
	s_mov_b32 s4, 0x55555555
	v_cndmask_b32_e64 v20, 0, v0, s5
	s_mov_b32 s5, 0x3fe55555
	v_add_f64 v[31:32], v[19:20], 1.0
	v_cmp_ngt_f64_e64 s15, -1.0, v[19:20]
	v_frexp_mant_f64_e32 v[33:34], v[31:32]
	v_frexp_exp_i32_f64_e32 v0, v[31:32]
	v_add_f64 v[35:36], v[31:32], -1.0
	v_cmp_gt_f64_e64 s4, s[4:5], v[33:34]
	v_add_f64 v[33:34], v[35:36], -v[31:32]
	v_add_f64 v[35:36], v[19:20], -v[35:36]
	v_subrev_co_ci_u32_e64 v0, null, 0, v0, s4
	v_add_f64 v[33:34], v[33:34], 1.0
	s_mov_b32 s4, 0x55555780
	v_sub_nc_u32_e32 v39, 0, v0
	v_ldexp_f64 v[31:32], v[31:32], v39
	v_add_f64 v[33:34], v[35:36], v[33:34]
	v_add_f64 v[37:38], v[31:32], 1.0
	v_add_f64 v[55:56], v[31:32], -1.0
	v_ldexp_f64 v[33:34], v[33:34], v39
	v_add_f64 v[35:36], v[37:38], -1.0
	v_add_f64 v[57:58], v[55:56], 1.0
	v_add_f64 v[35:36], v[31:32], -v[35:36]
	v_add_f64 v[31:32], v[31:32], -v[57:58]
	v_add_f64 v[35:36], v[33:34], v[35:36]
	v_add_f64 v[31:32], v[33:34], v[31:32]
	;; [unrolled: 1-line block ×4, first 2 shown]
	v_rcp_f64_e32 v[41:42], v[39:40]
	v_add_f64 v[37:38], v[39:40], -v[37:38]
	v_add_f64 v[55:56], v[57:58], -v[55:56]
	;; [unrolled: 1-line block ×3, first 2 shown]
	v_fma_f64 v[59:60], -v[39:40], v[41:42], 1.0
	v_add_f64 v[31:32], v[31:32], -v[55:56]
	v_fma_f64 v[41:42], v[59:60], v[41:42], v[41:42]
	v_fma_f64 v[33:34], -v[39:40], v[41:42], 1.0
	v_fma_f64 v[33:34], v[33:34], v[41:42], v[41:42]
	v_mul_f64 v[41:42], v[57:58], v[33:34]
	v_mul_f64 v[59:60], v[39:40], v[41:42]
	v_fma_f64 v[37:38], v[41:42], v[39:40], -v[59:60]
	v_fma_f64 v[37:38], v[41:42], v[35:36], v[37:38]
	s_waitcnt lgkmcnt(0)
	v_add_f64 v[61:62], v[59:60], v[37:38]
	v_add_f64 v[63:64], v[57:58], -v[61:62]
	v_add_f64 v[55:56], v[61:62], -v[59:60]
	;; [unrolled: 1-line block ×5, first 2 shown]
	v_add_f64 v[31:32], v[31:32], v[57:58]
	v_add_f64 v[31:32], v[37:38], v[31:32]
	;; [unrolled: 1-line block ×3, first 2 shown]
	v_mul_f64 v[55:56], v[33:34], v[37:38]
	v_add_f64 v[61:62], v[63:64], -v[37:38]
	v_mul_f64 v[57:58], v[39:40], v[55:56]
	v_add_f64 v[31:32], v[31:32], v[61:62]
	v_fma_f64 v[39:40], v[55:56], v[39:40], -v[57:58]
	v_fma_f64 v[35:36], v[55:56], v[35:36], v[39:40]
	v_add_f64 v[39:40], v[57:58], v[35:36]
	v_add_f64 v[59:60], v[37:38], -v[39:40]
	v_add_f64 v[57:58], v[39:40], -v[57:58]
	;; [unrolled: 1-line block ×5, first 2 shown]
	v_add_f64 v[31:32], v[31:32], v[37:38]
	v_add_f64 v[37:38], v[41:42], v[55:56]
	;; [unrolled: 1-line block ×3, first 2 shown]
	v_add_f64 v[35:36], v[37:38], -v[41:42]
	v_add_f64 v[31:32], v[59:60], v[31:32]
	v_add_f64 v[35:36], v[55:56], -v[35:36]
	v_mul_f64 v[31:32], v[33:34], v[31:32]
	v_add_f64 v[31:32], v[35:36], v[31:32]
	v_add_f64 v[33:34], v[37:38], v[31:32]
	v_mul_f64 v[35:36], v[33:34], v[33:34]
	v_fma_f64 v[39:40], v[35:36], s[34:35], s[28:29]
	s_mov_b32 s28, 0xd7f4df2e
	s_mov_b32 s29, 0x3fc7474d
	v_mul_f64 v[41:42], v[33:34], v[35:36]
	v_fma_f64 v[39:40], v[35:36], v[39:40], s[28:29]
	s_mov_b32 s28, 0x16291751
	s_mov_b32 s29, 0x3fcc71c0
	v_fma_f64 v[39:40], v[35:36], v[39:40], s[28:29]
	s_mov_b32 s28, 0x9b27acf1
	s_mov_b32 s29, 0x3fd24924
	;; [unrolled: 3-line block ×3, first 2 shown]
	v_fma_f64 v[39:40], v[35:36], v[39:40], s[28:29]
	v_fma_f64 v[35:36], v[35:36], v[39:40], s[4:5]
	v_ldexp_f64 v[39:40], v[33:34], 1
	v_add_f64 v[33:34], v[33:34], -v[37:38]
	v_cmp_nge_f64_e64 s4, -1.0, v[19:20]
	v_cmp_neq_f64_e64 s5, 0x7ff00000, v[19:20]
	v_mul_f64 v[35:36], v[41:42], v[35:36]
	v_cvt_f64_i32_e32 v[41:42], v0
	v_add_f64 v[31:32], v[31:32], -v[33:34]
	s_and_b32 s4, s4, s5
	v_add_f64 v[37:38], v[39:40], v[35:36]
	v_mul_f64 v[55:56], v[41:42], s[16:17]
	v_ldexp_f64 v[31:32], v[31:32], 1
	v_add_f64 v[33:34], v[37:38], -v[39:40]
	v_fma_f64 v[39:40], v[41:42], s[16:17], -v[55:56]
	v_add_f64 v[33:34], v[35:36], -v[33:34]
	v_fma_f64 v[35:36], v[41:42], s[18:19], v[39:40]
	v_add_f64 v[31:32], v[31:32], v[33:34]
	v_add_f64 v[33:34], v[55:56], v[35:36]
	;; [unrolled: 1-line block ×3, first 2 shown]
	v_add_f64 v[55:56], v[33:34], -v[55:56]
	v_add_f64 v[41:42], v[33:34], v[39:40]
	v_add_f64 v[37:38], v[39:40], -v[37:38]
	v_add_f64 v[35:36], v[35:36], -v[55:56]
	;; [unrolled: 1-line block ×6, first 2 shown]
	v_add_f64 v[39:40], v[35:36], v[31:32]
	v_add_f64 v[33:34], v[33:34], -v[59:60]
	v_add_f64 v[33:34], v[37:38], v[33:34]
	v_add_f64 v[37:38], v[39:40], -v[35:36]
	;; [unrolled: 2-line block ×3, first 2 shown]
	v_add_f64 v[31:32], v[31:32], -v[37:38]
	v_add_f64 v[55:56], v[41:42], v[33:34]
	v_add_f64 v[35:36], v[35:36], -v[39:40]
	v_add_f64 v[37:38], v[55:56], -v[41:42]
	v_add_f64 v[31:32], v[31:32], v[35:36]
	v_add_f64 v[33:34], v[33:34], -v[37:38]
	v_add_f64 v[31:32], v[31:32], v[33:34]
	v_add_f64 v[31:32], v[55:56], v[31:32]
	v_cndmask_b32_e64 v31, 0, v31, s4
	v_cmp_neq_f64_e64 s4, -1.0, v[19:20]
	v_cndmask_b32_e64 v0, 0x7ff00000, v32, s5
	v_cndmask_b32_e64 v0, 0x7ff80000, v0, s15
	;; [unrolled: 1-line block ×3, first 2 shown]
	v_add_f64 v[19:20], v[29:30], v[31:32]
.LBB64_108:
	s_or_b32 exec_lo, exec_lo, s20
	v_max_f64 v[29:30], v[19:20], v[19:20]
	v_cmp_u_f64_e64 s4, v[19:20], v[19:20]
	v_min_f64 v[31:32], v[29:30], v[43:44]
	v_max_f64 v[29:30], v[29:30], v[43:44]
	v_cndmask_b32_e64 v0, v31, v19, s4
	v_cndmask_b32_e64 v31, v32, v20, s4
	;; [unrolled: 1-line block ×8, first 2 shown]
	v_mov_b32_e32 v13, v19
	v_mov_b32_e32 v14, v20
	v_cmp_class_f64_e64 s5, v[31:32], 0x1f8
	v_cmp_neq_f64_e64 s4, v[31:32], v[29:30]
	s_or_b32 s4, s4, s5
	s_and_saveexec_b32 s20, s4
	s_cbranch_execz .LBB64_110
; %bb.109:
	v_add_f64 v[13:14], v[31:32], -v[29:30]
	s_mov_b32 s4, 0x652b82fe
	s_mov_b32 s5, 0x3ff71547
	;; [unrolled: 1-line block ×10, first 2 shown]
	v_mul_f64 v[31:32], v[13:14], s[4:5]
	s_mov_b32 s4, 0xfca7ab0c
	s_mov_b32 s5, 0x3e928af3
	v_rndne_f64_e32 v[31:32], v[31:32]
	v_fma_f64 v[33:34], v[31:32], s[16:17], v[13:14]
	v_cvt_i32_f64_e32 v0, v[31:32]
	s_mov_b32 s17, 0x3fe62e42
	v_fma_f64 v[33:34], v[31:32], s[18:19], v[33:34]
	s_mov_b32 s19, 0x3c7abc9e
	v_fma_f64 v[35:36], v[33:34], s[28:29], s[4:5]
	s_mov_b32 s4, 0x623fde64
	s_mov_b32 s5, 0x3ec71dee
	;; [unrolled: 1-line block ×4, first 2 shown]
	v_fma_f64 v[35:36], v[33:34], v[35:36], s[4:5]
	s_mov_b32 s4, 0x7c89e6b0
	s_mov_b32 s5, 0x3efa0199
	v_fma_f64 v[35:36], v[33:34], v[35:36], s[4:5]
	s_mov_b32 s4, 0x14761f6e
	s_mov_b32 s5, 0x3f2a01a0
	;; [unrolled: 3-line block ×7, first 2 shown]
	v_fma_f64 v[35:36], v[33:34], v[35:36], s[4:5]
	v_cmp_nlt_f64_e64 s4, 0x40900000, v[13:14]
	v_cmp_ngt_f64_e64 s5, 0xc090cc00, v[13:14]
	v_fma_f64 v[35:36], v[33:34], v[35:36], 1.0
	v_fma_f64 v[31:32], v[33:34], v[35:36], 1.0
	v_ldexp_f64 v[31:32], v[31:32], v0
	v_cndmask_b32_e64 v0, 0x7ff00000, v32, s4
	s_and_b32 s4, s5, s4
	v_cndmask_b32_e64 v13, 0, v31, s4
	s_mov_b32 s4, 0x55555555
	v_cndmask_b32_e64 v14, 0, v0, s5
	s_mov_b32 s5, 0x3fe55555
	v_add_f64 v[31:32], v[13:14], 1.0
	v_cmp_ngt_f64_e64 s15, -1.0, v[13:14]
	v_frexp_mant_f64_e32 v[33:34], v[31:32]
	v_frexp_exp_i32_f64_e32 v0, v[31:32]
	v_add_f64 v[35:36], v[31:32], -1.0
	v_cmp_gt_f64_e64 s4, s[4:5], v[33:34]
	v_add_f64 v[33:34], v[35:36], -v[31:32]
	v_add_f64 v[35:36], v[13:14], -v[35:36]
	v_subrev_co_ci_u32_e64 v0, null, 0, v0, s4
	v_add_f64 v[33:34], v[33:34], 1.0
	s_mov_b32 s4, 0x55555780
	v_sub_nc_u32_e32 v39, 0, v0
	v_ldexp_f64 v[31:32], v[31:32], v39
	v_add_f64 v[33:34], v[35:36], v[33:34]
	v_add_f64 v[37:38], v[31:32], 1.0
	v_add_f64 v[43:44], v[31:32], -1.0
	v_ldexp_f64 v[33:34], v[33:34], v39
	v_add_f64 v[35:36], v[37:38], -1.0
	v_add_f64 v[55:56], v[43:44], 1.0
	v_add_f64 v[35:36], v[31:32], -v[35:36]
	v_add_f64 v[31:32], v[31:32], -v[55:56]
	v_add_f64 v[35:36], v[33:34], v[35:36]
	v_add_f64 v[31:32], v[33:34], v[31:32]
	;; [unrolled: 1-line block ×4, first 2 shown]
	v_rcp_f64_e32 v[41:42], v[39:40]
	v_add_f64 v[37:38], v[39:40], -v[37:38]
	v_add_f64 v[43:44], v[55:56], -v[43:44]
	;; [unrolled: 1-line block ×3, first 2 shown]
	v_fma_f64 v[57:58], -v[39:40], v[41:42], 1.0
	v_add_f64 v[31:32], v[31:32], -v[43:44]
	v_fma_f64 v[41:42], v[57:58], v[41:42], v[41:42]
	v_fma_f64 v[33:34], -v[39:40], v[41:42], 1.0
	v_fma_f64 v[33:34], v[33:34], v[41:42], v[41:42]
	v_mul_f64 v[41:42], v[55:56], v[33:34]
	v_mul_f64 v[57:58], v[39:40], v[41:42]
	v_fma_f64 v[37:38], v[41:42], v[39:40], -v[57:58]
	v_fma_f64 v[37:38], v[41:42], v[35:36], v[37:38]
	v_add_f64 v[59:60], v[57:58], v[37:38]
	s_waitcnt lgkmcnt(0)
	v_add_f64 v[61:62], v[55:56], -v[59:60]
	v_add_f64 v[43:44], v[59:60], -v[57:58]
	;; [unrolled: 1-line block ×5, first 2 shown]
	v_add_f64 v[31:32], v[31:32], v[55:56]
	v_add_f64 v[31:32], v[37:38], v[31:32]
	;; [unrolled: 1-line block ×3, first 2 shown]
	v_mul_f64 v[43:44], v[33:34], v[37:38]
	v_add_f64 v[59:60], v[61:62], -v[37:38]
	v_mul_f64 v[55:56], v[39:40], v[43:44]
	v_add_f64 v[31:32], v[31:32], v[59:60]
	v_fma_f64 v[39:40], v[43:44], v[39:40], -v[55:56]
	v_fma_f64 v[35:36], v[43:44], v[35:36], v[39:40]
	v_add_f64 v[39:40], v[55:56], v[35:36]
	v_add_f64 v[57:58], v[37:38], -v[39:40]
	v_add_f64 v[55:56], v[39:40], -v[55:56]
	;; [unrolled: 1-line block ×5, first 2 shown]
	v_add_f64 v[31:32], v[31:32], v[37:38]
	v_add_f64 v[37:38], v[41:42], v[43:44]
	;; [unrolled: 1-line block ×3, first 2 shown]
	v_add_f64 v[35:36], v[37:38], -v[41:42]
	v_add_f64 v[31:32], v[57:58], v[31:32]
	v_add_f64 v[35:36], v[43:44], -v[35:36]
	v_mul_f64 v[31:32], v[33:34], v[31:32]
	v_add_f64 v[31:32], v[35:36], v[31:32]
	v_add_f64 v[33:34], v[37:38], v[31:32]
	v_mul_f64 v[35:36], v[33:34], v[33:34]
	v_fma_f64 v[39:40], v[35:36], s[34:35], s[28:29]
	s_mov_b32 s28, 0xd7f4df2e
	s_mov_b32 s29, 0x3fc7474d
	v_mul_f64 v[41:42], v[33:34], v[35:36]
	v_fma_f64 v[39:40], v[35:36], v[39:40], s[28:29]
	s_mov_b32 s28, 0x16291751
	s_mov_b32 s29, 0x3fcc71c0
	v_fma_f64 v[39:40], v[35:36], v[39:40], s[28:29]
	s_mov_b32 s28, 0x9b27acf1
	s_mov_b32 s29, 0x3fd24924
	;; [unrolled: 3-line block ×3, first 2 shown]
	v_fma_f64 v[39:40], v[35:36], v[39:40], s[28:29]
	v_fma_f64 v[35:36], v[35:36], v[39:40], s[4:5]
	v_ldexp_f64 v[39:40], v[33:34], 1
	v_add_f64 v[33:34], v[33:34], -v[37:38]
	v_cmp_nge_f64_e64 s4, -1.0, v[13:14]
	v_cmp_neq_f64_e64 s5, 0x7ff00000, v[13:14]
	v_mul_f64 v[35:36], v[41:42], v[35:36]
	v_cvt_f64_i32_e32 v[41:42], v0
	v_add_f64 v[31:32], v[31:32], -v[33:34]
	s_and_b32 s4, s4, s5
	v_add_f64 v[37:38], v[39:40], v[35:36]
	v_mul_f64 v[43:44], v[41:42], s[16:17]
	v_ldexp_f64 v[31:32], v[31:32], 1
	v_add_f64 v[33:34], v[37:38], -v[39:40]
	v_fma_f64 v[39:40], v[41:42], s[16:17], -v[43:44]
	v_add_f64 v[33:34], v[35:36], -v[33:34]
	v_fma_f64 v[35:36], v[41:42], s[18:19], v[39:40]
	v_add_f64 v[31:32], v[31:32], v[33:34]
	v_add_f64 v[33:34], v[43:44], v[35:36]
	;; [unrolled: 1-line block ×3, first 2 shown]
	v_add_f64 v[43:44], v[33:34], -v[43:44]
	v_add_f64 v[41:42], v[33:34], v[39:40]
	v_add_f64 v[37:38], v[39:40], -v[37:38]
	v_add_f64 v[35:36], v[35:36], -v[43:44]
	;; [unrolled: 1-line block ×6, first 2 shown]
	v_add_f64 v[39:40], v[35:36], v[31:32]
	v_add_f64 v[33:34], v[33:34], -v[57:58]
	v_add_f64 v[33:34], v[37:38], v[33:34]
	v_add_f64 v[37:38], v[39:40], -v[35:36]
	;; [unrolled: 2-line block ×3, first 2 shown]
	v_add_f64 v[31:32], v[31:32], -v[37:38]
	v_add_f64 v[43:44], v[41:42], v[33:34]
	v_add_f64 v[35:36], v[35:36], -v[39:40]
	v_add_f64 v[37:38], v[43:44], -v[41:42]
	v_add_f64 v[31:32], v[31:32], v[35:36]
	v_add_f64 v[33:34], v[33:34], -v[37:38]
	v_add_f64 v[31:32], v[31:32], v[33:34]
	v_add_f64 v[31:32], v[43:44], v[31:32]
	v_cndmask_b32_e64 v31, 0, v31, s4
	v_cmp_neq_f64_e64 s4, -1.0, v[13:14]
	v_cndmask_b32_e64 v0, 0x7ff00000, v32, s5
	v_cndmask_b32_e64 v0, 0x7ff80000, v0, s15
	;; [unrolled: 1-line block ×3, first 2 shown]
	v_add_f64 v[13:14], v[29:30], v[31:32]
.LBB64_110:
	s_or_b32 exec_lo, exec_lo, s20
	v_max_f64 v[29:30], v[13:14], v[13:14]
	v_cmp_u_f64_e64 s4, v[13:14], v[13:14]
	v_min_f64 v[31:32], v[29:30], v[45:46]
	v_max_f64 v[29:30], v[29:30], v[45:46]
	v_cndmask_b32_e64 v0, v31, v13, s4
	v_cndmask_b32_e64 v31, v32, v14, s4
	;; [unrolled: 1-line block ×8, first 2 shown]
	v_mov_b32_e32 v16, v14
	v_mov_b32_e32 v15, v13
	v_cmp_class_f64_e64 s5, v[31:32], 0x1f8
	v_cmp_neq_f64_e64 s4, v[31:32], v[29:30]
	s_or_b32 s4, s4, s5
	s_and_saveexec_b32 s20, s4
	s_cbranch_execz .LBB64_112
; %bb.111:
	v_add_f64 v[15:16], v[31:32], -v[29:30]
	s_mov_b32 s4, 0x652b82fe
	s_mov_b32 s5, 0x3ff71547
	s_mov_b32 s17, 0xbfe62e42
	s_mov_b32 s16, 0xfefa39ef
	s_mov_b32 s19, 0xbc7abc9e
	s_mov_b32 s18, 0x3b39803f
	s_mov_b32 s22, 0x6a5dcb37
	s_mov_b32 s23, 0x3e5ade15
	s_mov_b32 s28, 0xbf559e2b
	s_mov_b32 s29, 0x3fc3ab76
	v_mul_f64 v[31:32], v[15:16], s[4:5]
	s_mov_b32 s4, 0xfca7ab0c
	s_mov_b32 s5, 0x3e928af3
	v_rndne_f64_e32 v[31:32], v[31:32]
	v_fma_f64 v[33:34], v[31:32], s[16:17], v[15:16]
	v_cvt_i32_f64_e32 v0, v[31:32]
	s_mov_b32 s17, 0x3fe62e42
	v_fma_f64 v[33:34], v[31:32], s[18:19], v[33:34]
	s_mov_b32 s19, 0x3c7abc9e
	v_fma_f64 v[35:36], v[33:34], s[22:23], s[4:5]
	s_mov_b32 s4, 0x623fde64
	s_mov_b32 s5, 0x3ec71dee
	s_mov_b32 s22, 0x6b47b09a
	s_mov_b32 s23, 0x3fc38538
	v_fma_f64 v[35:36], v[33:34], v[35:36], s[4:5]
	s_mov_b32 s4, 0x7c89e6b0
	s_mov_b32 s5, 0x3efa0199
	v_fma_f64 v[35:36], v[33:34], v[35:36], s[4:5]
	s_mov_b32 s4, 0x14761f6e
	s_mov_b32 s5, 0x3f2a01a0
	;; [unrolled: 3-line block ×7, first 2 shown]
	v_fma_f64 v[35:36], v[33:34], v[35:36], s[4:5]
	v_cmp_nlt_f64_e64 s4, 0x40900000, v[15:16]
	v_cmp_ngt_f64_e64 s5, 0xc090cc00, v[15:16]
	v_fma_f64 v[35:36], v[33:34], v[35:36], 1.0
	v_fma_f64 v[31:32], v[33:34], v[35:36], 1.0
	v_ldexp_f64 v[31:32], v[31:32], v0
	v_cndmask_b32_e64 v0, 0x7ff00000, v32, s4
	s_and_b32 s4, s5, s4
	v_cndmask_b32_e64 v15, 0, v31, s4
	s_mov_b32 s4, 0x55555555
	v_cndmask_b32_e64 v16, 0, v0, s5
	s_mov_b32 s5, 0x3fe55555
	v_add_f64 v[31:32], v[15:16], 1.0
	v_cmp_ngt_f64_e64 s15, -1.0, v[15:16]
	v_frexp_mant_f64_e32 v[33:34], v[31:32]
	v_frexp_exp_i32_f64_e32 v0, v[31:32]
	v_add_f64 v[35:36], v[31:32], -1.0
	v_cmp_gt_f64_e64 s4, s[4:5], v[33:34]
	v_add_f64 v[33:34], v[35:36], -v[31:32]
	v_add_f64 v[35:36], v[15:16], -v[35:36]
	v_subrev_co_ci_u32_e64 v0, null, 0, v0, s4
	v_add_f64 v[33:34], v[33:34], 1.0
	s_mov_b32 s4, 0x55555780
	v_sub_nc_u32_e32 v39, 0, v0
	v_ldexp_f64 v[31:32], v[31:32], v39
	v_add_f64 v[33:34], v[35:36], v[33:34]
	v_add_f64 v[37:38], v[31:32], 1.0
	v_add_f64 v[43:44], v[31:32], -1.0
	v_ldexp_f64 v[33:34], v[33:34], v39
	v_add_f64 v[35:36], v[37:38], -1.0
	v_add_f64 v[45:46], v[43:44], 1.0
	v_add_f64 v[35:36], v[31:32], -v[35:36]
	v_add_f64 v[31:32], v[31:32], -v[45:46]
	v_add_f64 v[35:36], v[33:34], v[35:36]
	v_add_f64 v[31:32], v[33:34], v[31:32]
	;; [unrolled: 1-line block ×4, first 2 shown]
	v_rcp_f64_e32 v[41:42], v[39:40]
	v_add_f64 v[37:38], v[39:40], -v[37:38]
	v_add_f64 v[43:44], v[45:46], -v[43:44]
	;; [unrolled: 1-line block ×3, first 2 shown]
	v_fma_f64 v[55:56], -v[39:40], v[41:42], 1.0
	v_add_f64 v[31:32], v[31:32], -v[43:44]
	v_fma_f64 v[41:42], v[55:56], v[41:42], v[41:42]
	v_fma_f64 v[33:34], -v[39:40], v[41:42], 1.0
	v_fma_f64 v[33:34], v[33:34], v[41:42], v[41:42]
	v_mul_f64 v[41:42], v[45:46], v[33:34]
	v_mul_f64 v[55:56], v[39:40], v[41:42]
	v_fma_f64 v[37:38], v[41:42], v[39:40], -v[55:56]
	v_fma_f64 v[37:38], v[41:42], v[35:36], v[37:38]
	v_add_f64 v[57:58], v[55:56], v[37:38]
	v_add_f64 v[59:60], v[45:46], -v[57:58]
	v_add_f64 v[43:44], v[57:58], -v[55:56]
	;; [unrolled: 1-line block ×5, first 2 shown]
	v_add_f64 v[31:32], v[31:32], v[45:46]
	v_add_f64 v[31:32], v[37:38], v[31:32]
	;; [unrolled: 1-line block ×3, first 2 shown]
	v_mul_f64 v[43:44], v[33:34], v[37:38]
	v_add_f64 v[57:58], v[59:60], -v[37:38]
	v_mul_f64 v[45:46], v[39:40], v[43:44]
	v_add_f64 v[31:32], v[31:32], v[57:58]
	v_fma_f64 v[39:40], v[43:44], v[39:40], -v[45:46]
	v_fma_f64 v[35:36], v[43:44], v[35:36], v[39:40]
	v_add_f64 v[39:40], v[45:46], v[35:36]
	v_add_f64 v[55:56], v[37:38], -v[39:40]
	v_add_f64 v[45:46], v[39:40], -v[45:46]
	;; [unrolled: 1-line block ×5, first 2 shown]
	v_add_f64 v[31:32], v[31:32], v[37:38]
	v_add_f64 v[37:38], v[41:42], v[43:44]
	;; [unrolled: 1-line block ×3, first 2 shown]
	v_add_f64 v[35:36], v[37:38], -v[41:42]
	v_add_f64 v[31:32], v[55:56], v[31:32]
	v_add_f64 v[35:36], v[43:44], -v[35:36]
	v_mul_f64 v[31:32], v[33:34], v[31:32]
	v_add_f64 v[31:32], v[35:36], v[31:32]
	v_add_f64 v[33:34], v[37:38], v[31:32]
	v_mul_f64 v[35:36], v[33:34], v[33:34]
	v_fma_f64 v[39:40], v[35:36], s[28:29], s[22:23]
	s_mov_b32 s22, 0xd7f4df2e
	s_mov_b32 s23, 0x3fc7474d
	v_mul_f64 v[41:42], v[33:34], v[35:36]
	v_fma_f64 v[39:40], v[35:36], v[39:40], s[22:23]
	s_mov_b32 s22, 0x16291751
	s_mov_b32 s23, 0x3fcc71c0
	v_fma_f64 v[39:40], v[35:36], v[39:40], s[22:23]
	s_mov_b32 s22, 0x9b27acf1
	s_mov_b32 s23, 0x3fd24924
	;; [unrolled: 3-line block ×3, first 2 shown]
	v_fma_f64 v[39:40], v[35:36], v[39:40], s[22:23]
	v_fma_f64 v[35:36], v[35:36], v[39:40], s[4:5]
	v_ldexp_f64 v[39:40], v[33:34], 1
	v_add_f64 v[33:34], v[33:34], -v[37:38]
	v_cmp_nge_f64_e64 s4, -1.0, v[15:16]
	v_cmp_neq_f64_e64 s5, 0x7ff00000, v[15:16]
	v_mul_f64 v[35:36], v[41:42], v[35:36]
	v_cvt_f64_i32_e32 v[41:42], v0
	v_add_f64 v[31:32], v[31:32], -v[33:34]
	s_and_b32 s4, s4, s5
	v_add_f64 v[37:38], v[39:40], v[35:36]
	v_mul_f64 v[43:44], v[41:42], s[16:17]
	v_ldexp_f64 v[31:32], v[31:32], 1
	v_add_f64 v[33:34], v[37:38], -v[39:40]
	v_fma_f64 v[39:40], v[41:42], s[16:17], -v[43:44]
	v_add_f64 v[33:34], v[35:36], -v[33:34]
	v_fma_f64 v[35:36], v[41:42], s[18:19], v[39:40]
	v_add_f64 v[31:32], v[31:32], v[33:34]
	v_add_f64 v[33:34], v[43:44], v[35:36]
	;; [unrolled: 1-line block ×3, first 2 shown]
	v_add_f64 v[43:44], v[33:34], -v[43:44]
	v_add_f64 v[41:42], v[33:34], v[39:40]
	v_add_f64 v[37:38], v[39:40], -v[37:38]
	v_add_f64 v[35:36], v[35:36], -v[43:44]
	;; [unrolled: 1-line block ×6, first 2 shown]
	v_add_f64 v[39:40], v[35:36], v[31:32]
	v_add_f64 v[33:34], v[33:34], -v[55:56]
	v_add_f64 v[33:34], v[37:38], v[33:34]
	v_add_f64 v[37:38], v[39:40], -v[35:36]
	;; [unrolled: 2-line block ×3, first 2 shown]
	v_add_f64 v[31:32], v[31:32], -v[37:38]
	v_add_f64 v[43:44], v[41:42], v[33:34]
	v_add_f64 v[35:36], v[35:36], -v[39:40]
	v_add_f64 v[37:38], v[43:44], -v[41:42]
	v_add_f64 v[31:32], v[31:32], v[35:36]
	v_add_f64 v[33:34], v[33:34], -v[37:38]
	v_add_f64 v[31:32], v[31:32], v[33:34]
	v_add_f64 v[31:32], v[43:44], v[31:32]
	v_cndmask_b32_e64 v31, 0, v31, s4
	v_cmp_neq_f64_e64 s4, -1.0, v[15:16]
	v_cndmask_b32_e64 v0, 0x7ff00000, v32, s5
	v_cndmask_b32_e64 v0, 0x7ff80000, v0, s15
	v_cndmask_b32_e64 v32, 0xfff00000, v0, s4
	v_add_f64 v[15:16], v[29:30], v[31:32]
.LBB64_112:
	s_or_b32 exec_lo, exec_lo, s20
	v_max_f64 v[29:30], v[15:16], v[15:16]
	v_cmp_u_f64_e64 s4, v[15:16], v[15:16]
	v_min_f64 v[31:32], v[29:30], v[47:48]
	v_max_f64 v[29:30], v[29:30], v[47:48]
	v_cndmask_b32_e64 v0, v31, v15, s4
	v_cndmask_b32_e64 v31, v32, v16, s4
	;; [unrolled: 1-line block ×8, first 2 shown]
	v_mov_b32_e32 v9, v15
	v_mov_b32_e32 v10, v16
	v_cmp_class_f64_e64 s5, v[31:32], 0x1f8
	v_cmp_neq_f64_e64 s4, v[31:32], v[29:30]
	s_or_b32 s4, s4, s5
	s_and_saveexec_b32 s20, s4
	s_cbranch_execz .LBB64_114
; %bb.113:
	v_add_f64 v[9:10], v[31:32], -v[29:30]
	s_mov_b32 s4, 0x652b82fe
	s_mov_b32 s5, 0x3ff71547
	;; [unrolled: 1-line block ×10, first 2 shown]
	v_mul_f64 v[31:32], v[9:10], s[4:5]
	s_mov_b32 s4, 0xfca7ab0c
	s_mov_b32 s5, 0x3e928af3
	v_rndne_f64_e32 v[31:32], v[31:32]
	v_fma_f64 v[33:34], v[31:32], s[16:17], v[9:10]
	v_cvt_i32_f64_e32 v0, v[31:32]
	s_mov_b32 s17, 0x3fe62e42
	v_fma_f64 v[33:34], v[31:32], s[18:19], v[33:34]
	s_mov_b32 s19, 0x3c7abc9e
	v_fma_f64 v[35:36], v[33:34], s[22:23], s[4:5]
	s_mov_b32 s4, 0x623fde64
	s_mov_b32 s5, 0x3ec71dee
	;; [unrolled: 1-line block ×4, first 2 shown]
	v_fma_f64 v[35:36], v[33:34], v[35:36], s[4:5]
	s_mov_b32 s4, 0x7c89e6b0
	s_mov_b32 s5, 0x3efa0199
	v_fma_f64 v[35:36], v[33:34], v[35:36], s[4:5]
	s_mov_b32 s4, 0x14761f6e
	s_mov_b32 s5, 0x3f2a01a0
	v_fma_f64 v[35:36], v[33:34], v[35:36], s[4:5]
	s_mov_b32 s4, 0x1852b7b0
	s_mov_b32 s5, 0x3f56c16c
	v_fma_f64 v[35:36], v[33:34], v[35:36], s[4:5]
	s_mov_b32 s4, 0x11122322
	s_mov_b32 s5, 0x3f811111
	v_fma_f64 v[35:36], v[33:34], v[35:36], s[4:5]
	s_mov_b32 s4, 0x555502a1
	s_mov_b32 s5, 0x3fa55555
	v_fma_f64 v[35:36], v[33:34], v[35:36], s[4:5]
	s_mov_b32 s4, 0x55555511
	s_mov_b32 s5, 0x3fc55555
	v_fma_f64 v[35:36], v[33:34], v[35:36], s[4:5]
	s_mov_b32 s4, 11
	s_mov_b32 s5, 0x3fe00000
	v_fma_f64 v[35:36], v[33:34], v[35:36], s[4:5]
	v_cmp_nlt_f64_e64 s4, 0x40900000, v[9:10]
	v_cmp_ngt_f64_e64 s5, 0xc090cc00, v[9:10]
	v_fma_f64 v[35:36], v[33:34], v[35:36], 1.0
	v_fma_f64 v[31:32], v[33:34], v[35:36], 1.0
	v_ldexp_f64 v[31:32], v[31:32], v0
	v_cndmask_b32_e64 v0, 0x7ff00000, v32, s4
	s_and_b32 s4, s5, s4
	v_cndmask_b32_e64 v9, 0, v31, s4
	s_mov_b32 s4, 0x55555555
	v_cndmask_b32_e64 v10, 0, v0, s5
	s_mov_b32 s5, 0x3fe55555
	v_add_f64 v[31:32], v[9:10], 1.0
	v_cmp_ngt_f64_e64 s15, -1.0, v[9:10]
	v_frexp_mant_f64_e32 v[33:34], v[31:32]
	v_frexp_exp_i32_f64_e32 v0, v[31:32]
	v_add_f64 v[35:36], v[31:32], -1.0
	v_cmp_gt_f64_e64 s4, s[4:5], v[33:34]
	v_add_f64 v[33:34], v[35:36], -v[31:32]
	v_add_f64 v[35:36], v[9:10], -v[35:36]
	v_subrev_co_ci_u32_e64 v0, null, 0, v0, s4
	v_add_f64 v[33:34], v[33:34], 1.0
	s_mov_b32 s4, 0x55555780
	v_sub_nc_u32_e32 v39, 0, v0
	v_ldexp_f64 v[31:32], v[31:32], v39
	v_add_f64 v[33:34], v[35:36], v[33:34]
	v_add_f64 v[37:38], v[31:32], 1.0
	v_add_f64 v[43:44], v[31:32], -1.0
	v_ldexp_f64 v[33:34], v[33:34], v39
	v_add_f64 v[35:36], v[37:38], -1.0
	v_add_f64 v[45:46], v[43:44], 1.0
	v_add_f64 v[35:36], v[31:32], -v[35:36]
	v_add_f64 v[31:32], v[31:32], -v[45:46]
	v_add_f64 v[35:36], v[33:34], v[35:36]
	v_add_f64 v[31:32], v[33:34], v[31:32]
	;; [unrolled: 1-line block ×4, first 2 shown]
	v_rcp_f64_e32 v[41:42], v[39:40]
	v_add_f64 v[37:38], v[39:40], -v[37:38]
	v_add_f64 v[43:44], v[45:46], -v[43:44]
	;; [unrolled: 1-line block ×3, first 2 shown]
	v_fma_f64 v[47:48], -v[39:40], v[41:42], 1.0
	v_add_f64 v[31:32], v[31:32], -v[43:44]
	v_fma_f64 v[41:42], v[47:48], v[41:42], v[41:42]
	v_fma_f64 v[33:34], -v[39:40], v[41:42], 1.0
	v_fma_f64 v[33:34], v[33:34], v[41:42], v[41:42]
	v_mul_f64 v[41:42], v[45:46], v[33:34]
	v_mul_f64 v[47:48], v[39:40], v[41:42]
	v_fma_f64 v[37:38], v[41:42], v[39:40], -v[47:48]
	v_fma_f64 v[37:38], v[41:42], v[35:36], v[37:38]
	v_add_f64 v[55:56], v[47:48], v[37:38]
	v_add_f64 v[57:58], v[45:46], -v[55:56]
	v_add_f64 v[43:44], v[55:56], -v[47:48]
	;; [unrolled: 1-line block ×5, first 2 shown]
	v_add_f64 v[31:32], v[31:32], v[45:46]
	v_add_f64 v[31:32], v[37:38], v[31:32]
	;; [unrolled: 1-line block ×3, first 2 shown]
	v_mul_f64 v[43:44], v[33:34], v[37:38]
	v_add_f64 v[55:56], v[57:58], -v[37:38]
	v_mul_f64 v[45:46], v[39:40], v[43:44]
	v_add_f64 v[31:32], v[31:32], v[55:56]
	v_fma_f64 v[39:40], v[43:44], v[39:40], -v[45:46]
	v_fma_f64 v[35:36], v[43:44], v[35:36], v[39:40]
	v_add_f64 v[39:40], v[45:46], v[35:36]
	v_add_f64 v[47:48], v[37:38], -v[39:40]
	v_add_f64 v[45:46], v[39:40], -v[45:46]
	;; [unrolled: 1-line block ×5, first 2 shown]
	v_add_f64 v[31:32], v[31:32], v[37:38]
	v_add_f64 v[37:38], v[41:42], v[43:44]
	v_add_f64 v[31:32], v[35:36], v[31:32]
	v_add_f64 v[35:36], v[37:38], -v[41:42]
	v_add_f64 v[31:32], v[47:48], v[31:32]
	v_add_f64 v[35:36], v[43:44], -v[35:36]
	v_mul_f64 v[31:32], v[33:34], v[31:32]
	v_add_f64 v[31:32], v[35:36], v[31:32]
	v_add_f64 v[33:34], v[37:38], v[31:32]
	v_mul_f64 v[35:36], v[33:34], v[33:34]
	v_fma_f64 v[39:40], v[35:36], s[28:29], s[22:23]
	s_mov_b32 s22, 0xd7f4df2e
	s_mov_b32 s23, 0x3fc7474d
	v_mul_f64 v[41:42], v[33:34], v[35:36]
	v_fma_f64 v[39:40], v[35:36], v[39:40], s[22:23]
	s_mov_b32 s22, 0x16291751
	s_mov_b32 s23, 0x3fcc71c0
	v_fma_f64 v[39:40], v[35:36], v[39:40], s[22:23]
	s_mov_b32 s22, 0x9b27acf1
	s_mov_b32 s23, 0x3fd24924
	;; [unrolled: 3-line block ×3, first 2 shown]
	v_fma_f64 v[39:40], v[35:36], v[39:40], s[22:23]
	v_fma_f64 v[35:36], v[35:36], v[39:40], s[4:5]
	v_ldexp_f64 v[39:40], v[33:34], 1
	v_add_f64 v[33:34], v[33:34], -v[37:38]
	v_cmp_nge_f64_e64 s4, -1.0, v[9:10]
	v_cmp_neq_f64_e64 s5, 0x7ff00000, v[9:10]
	v_mul_f64 v[35:36], v[41:42], v[35:36]
	v_cvt_f64_i32_e32 v[41:42], v0
	v_add_f64 v[31:32], v[31:32], -v[33:34]
	s_and_b32 s4, s4, s5
	v_add_f64 v[37:38], v[39:40], v[35:36]
	v_mul_f64 v[43:44], v[41:42], s[16:17]
	v_ldexp_f64 v[31:32], v[31:32], 1
	v_add_f64 v[33:34], v[37:38], -v[39:40]
	v_fma_f64 v[39:40], v[41:42], s[16:17], -v[43:44]
	v_add_f64 v[33:34], v[35:36], -v[33:34]
	v_fma_f64 v[35:36], v[41:42], s[18:19], v[39:40]
	v_add_f64 v[31:32], v[31:32], v[33:34]
	v_add_f64 v[33:34], v[43:44], v[35:36]
	;; [unrolled: 1-line block ×3, first 2 shown]
	v_add_f64 v[43:44], v[33:34], -v[43:44]
	v_add_f64 v[41:42], v[33:34], v[39:40]
	v_add_f64 v[37:38], v[39:40], -v[37:38]
	v_add_f64 v[35:36], v[35:36], -v[43:44]
	;; [unrolled: 1-line block ×6, first 2 shown]
	v_add_f64 v[39:40], v[35:36], v[31:32]
	v_add_f64 v[33:34], v[33:34], -v[47:48]
	v_add_f64 v[33:34], v[37:38], v[33:34]
	v_add_f64 v[37:38], v[39:40], -v[35:36]
	;; [unrolled: 2-line block ×3, first 2 shown]
	v_add_f64 v[31:32], v[31:32], -v[37:38]
	v_add_f64 v[43:44], v[41:42], v[33:34]
	v_add_f64 v[35:36], v[35:36], -v[39:40]
	v_add_f64 v[37:38], v[43:44], -v[41:42]
	v_add_f64 v[31:32], v[31:32], v[35:36]
	v_add_f64 v[33:34], v[33:34], -v[37:38]
	v_add_f64 v[31:32], v[31:32], v[33:34]
	v_add_f64 v[31:32], v[43:44], v[31:32]
	v_cndmask_b32_e64 v31, 0, v31, s4
	v_cmp_neq_f64_e64 s4, -1.0, v[9:10]
	v_cndmask_b32_e64 v0, 0x7ff00000, v32, s5
	v_cndmask_b32_e64 v0, 0x7ff80000, v0, s15
	v_cndmask_b32_e64 v32, 0xfff00000, v0, s4
	v_add_f64 v[9:10], v[29:30], v[31:32]
.LBB64_114:
	s_or_b32 exec_lo, exec_lo, s20
	v_max_f64 v[29:30], v[9:10], v[9:10]
	v_cmp_u_f64_e64 s4, v[9:10], v[9:10]
	v_min_f64 v[31:32], v[29:30], v[49:50]
	v_max_f64 v[29:30], v[29:30], v[49:50]
	v_cndmask_b32_e64 v0, v31, v9, s4
	v_cndmask_b32_e64 v31, v32, v10, s4
	;; [unrolled: 1-line block ×8, first 2 shown]
	v_mov_b32_e32 v12, v10
	v_mov_b32_e32 v11, v9
	v_cmp_class_f64_e64 s5, v[31:32], 0x1f8
	v_cmp_neq_f64_e64 s4, v[31:32], v[29:30]
	s_or_b32 s4, s4, s5
	s_and_saveexec_b32 s20, s4
	s_cbranch_execz .LBB64_116
; %bb.115:
	v_add_f64 v[11:12], v[31:32], -v[29:30]
	s_mov_b32 s4, 0x652b82fe
	s_mov_b32 s5, 0x3ff71547
	;; [unrolled: 1-line block ×10, first 2 shown]
	v_mul_f64 v[31:32], v[11:12], s[4:5]
	s_mov_b32 s4, 0xfca7ab0c
	s_mov_b32 s5, 0x3e928af3
	v_rndne_f64_e32 v[31:32], v[31:32]
	v_fma_f64 v[33:34], v[31:32], s[16:17], v[11:12]
	v_cvt_i32_f64_e32 v0, v[31:32]
	s_mov_b32 s17, 0x3fe62e42
	v_fma_f64 v[33:34], v[31:32], s[18:19], v[33:34]
	s_mov_b32 s19, 0x3c7abc9e
	v_fma_f64 v[35:36], v[33:34], s[22:23], s[4:5]
	s_mov_b32 s4, 0x623fde64
	s_mov_b32 s5, 0x3ec71dee
	;; [unrolled: 1-line block ×4, first 2 shown]
	v_fma_f64 v[35:36], v[33:34], v[35:36], s[4:5]
	s_mov_b32 s4, 0x7c89e6b0
	s_mov_b32 s5, 0x3efa0199
	v_fma_f64 v[35:36], v[33:34], v[35:36], s[4:5]
	s_mov_b32 s4, 0x14761f6e
	s_mov_b32 s5, 0x3f2a01a0
	;; [unrolled: 3-line block ×7, first 2 shown]
	v_fma_f64 v[35:36], v[33:34], v[35:36], s[4:5]
	v_cmp_nlt_f64_e64 s4, 0x40900000, v[11:12]
	v_cmp_ngt_f64_e64 s5, 0xc090cc00, v[11:12]
	v_fma_f64 v[35:36], v[33:34], v[35:36], 1.0
	v_fma_f64 v[31:32], v[33:34], v[35:36], 1.0
	v_ldexp_f64 v[31:32], v[31:32], v0
	v_cndmask_b32_e64 v0, 0x7ff00000, v32, s4
	s_and_b32 s4, s5, s4
	v_cndmask_b32_e64 v11, 0, v31, s4
	s_mov_b32 s4, 0x55555555
	v_cndmask_b32_e64 v12, 0, v0, s5
	s_mov_b32 s5, 0x3fe55555
	v_add_f64 v[31:32], v[11:12], 1.0
	v_cmp_ngt_f64_e64 s15, -1.0, v[11:12]
	v_frexp_mant_f64_e32 v[33:34], v[31:32]
	v_frexp_exp_i32_f64_e32 v0, v[31:32]
	v_add_f64 v[35:36], v[31:32], -1.0
	v_cmp_gt_f64_e64 s4, s[4:5], v[33:34]
	v_add_f64 v[33:34], v[35:36], -v[31:32]
	v_add_f64 v[35:36], v[11:12], -v[35:36]
	v_subrev_co_ci_u32_e64 v0, null, 0, v0, s4
	v_add_f64 v[33:34], v[33:34], 1.0
	s_mov_b32 s4, 0x55555780
	v_sub_nc_u32_e32 v39, 0, v0
	v_ldexp_f64 v[31:32], v[31:32], v39
	v_add_f64 v[33:34], v[35:36], v[33:34]
	v_add_f64 v[37:38], v[31:32], 1.0
	v_add_f64 v[43:44], v[31:32], -1.0
	v_ldexp_f64 v[33:34], v[33:34], v39
	v_add_f64 v[35:36], v[37:38], -1.0
	v_add_f64 v[45:46], v[43:44], 1.0
	v_add_f64 v[35:36], v[31:32], -v[35:36]
	v_add_f64 v[31:32], v[31:32], -v[45:46]
	v_add_f64 v[35:36], v[33:34], v[35:36]
	v_add_f64 v[31:32], v[33:34], v[31:32]
	;; [unrolled: 1-line block ×4, first 2 shown]
	v_rcp_f64_e32 v[41:42], v[39:40]
	v_add_f64 v[37:38], v[39:40], -v[37:38]
	v_add_f64 v[43:44], v[45:46], -v[43:44]
	;; [unrolled: 1-line block ×3, first 2 shown]
	v_fma_f64 v[47:48], -v[39:40], v[41:42], 1.0
	v_add_f64 v[31:32], v[31:32], -v[43:44]
	v_fma_f64 v[41:42], v[47:48], v[41:42], v[41:42]
	v_fma_f64 v[33:34], -v[39:40], v[41:42], 1.0
	v_fma_f64 v[33:34], v[33:34], v[41:42], v[41:42]
	v_mul_f64 v[41:42], v[45:46], v[33:34]
	v_mul_f64 v[47:48], v[39:40], v[41:42]
	v_fma_f64 v[37:38], v[41:42], v[39:40], -v[47:48]
	v_fma_f64 v[37:38], v[41:42], v[35:36], v[37:38]
	v_add_f64 v[49:50], v[47:48], v[37:38]
	v_add_f64 v[55:56], v[45:46], -v[49:50]
	v_add_f64 v[43:44], v[49:50], -v[47:48]
	;; [unrolled: 1-line block ×5, first 2 shown]
	v_add_f64 v[31:32], v[31:32], v[45:46]
	v_add_f64 v[31:32], v[37:38], v[31:32]
	;; [unrolled: 1-line block ×3, first 2 shown]
	v_mul_f64 v[43:44], v[33:34], v[37:38]
	v_add_f64 v[49:50], v[55:56], -v[37:38]
	v_mul_f64 v[45:46], v[39:40], v[43:44]
	v_add_f64 v[31:32], v[31:32], v[49:50]
	v_fma_f64 v[39:40], v[43:44], v[39:40], -v[45:46]
	v_fma_f64 v[35:36], v[43:44], v[35:36], v[39:40]
	v_add_f64 v[39:40], v[45:46], v[35:36]
	v_add_f64 v[47:48], v[37:38], -v[39:40]
	v_add_f64 v[45:46], v[39:40], -v[45:46]
	;; [unrolled: 1-line block ×5, first 2 shown]
	v_add_f64 v[31:32], v[31:32], v[37:38]
	v_add_f64 v[37:38], v[41:42], v[43:44]
	;; [unrolled: 1-line block ×3, first 2 shown]
	v_add_f64 v[35:36], v[37:38], -v[41:42]
	v_add_f64 v[31:32], v[47:48], v[31:32]
	v_add_f64 v[35:36], v[43:44], -v[35:36]
	v_mul_f64 v[31:32], v[33:34], v[31:32]
	v_add_f64 v[31:32], v[35:36], v[31:32]
	v_add_f64 v[33:34], v[37:38], v[31:32]
	v_mul_f64 v[35:36], v[33:34], v[33:34]
	v_fma_f64 v[39:40], v[35:36], s[24:25], s[22:23]
	s_mov_b32 s22, 0xd7f4df2e
	s_mov_b32 s23, 0x3fc7474d
	v_mul_f64 v[41:42], v[33:34], v[35:36]
	v_fma_f64 v[39:40], v[35:36], v[39:40], s[22:23]
	s_mov_b32 s22, 0x16291751
	s_mov_b32 s23, 0x3fcc71c0
	v_fma_f64 v[39:40], v[35:36], v[39:40], s[22:23]
	s_mov_b32 s22, 0x9b27acf1
	s_mov_b32 s23, 0x3fd24924
	;; [unrolled: 3-line block ×3, first 2 shown]
	v_fma_f64 v[39:40], v[35:36], v[39:40], s[22:23]
	v_fma_f64 v[35:36], v[35:36], v[39:40], s[4:5]
	v_ldexp_f64 v[39:40], v[33:34], 1
	v_add_f64 v[33:34], v[33:34], -v[37:38]
	v_cmp_nge_f64_e64 s4, -1.0, v[11:12]
	v_cmp_neq_f64_e64 s5, 0x7ff00000, v[11:12]
	v_mul_f64 v[35:36], v[41:42], v[35:36]
	v_cvt_f64_i32_e32 v[41:42], v0
	v_add_f64 v[31:32], v[31:32], -v[33:34]
	s_and_b32 s4, s4, s5
	v_add_f64 v[37:38], v[39:40], v[35:36]
	v_mul_f64 v[43:44], v[41:42], s[16:17]
	v_ldexp_f64 v[31:32], v[31:32], 1
	v_add_f64 v[33:34], v[37:38], -v[39:40]
	v_fma_f64 v[39:40], v[41:42], s[16:17], -v[43:44]
	v_add_f64 v[33:34], v[35:36], -v[33:34]
	v_fma_f64 v[35:36], v[41:42], s[18:19], v[39:40]
	v_add_f64 v[31:32], v[31:32], v[33:34]
	v_add_f64 v[33:34], v[43:44], v[35:36]
	;; [unrolled: 1-line block ×3, first 2 shown]
	v_add_f64 v[43:44], v[33:34], -v[43:44]
	v_add_f64 v[41:42], v[33:34], v[39:40]
	v_add_f64 v[37:38], v[39:40], -v[37:38]
	v_add_f64 v[35:36], v[35:36], -v[43:44]
	;; [unrolled: 1-line block ×6, first 2 shown]
	v_add_f64 v[39:40], v[35:36], v[31:32]
	v_add_f64 v[33:34], v[33:34], -v[47:48]
	v_add_f64 v[33:34], v[37:38], v[33:34]
	v_add_f64 v[37:38], v[39:40], -v[35:36]
	;; [unrolled: 2-line block ×3, first 2 shown]
	v_add_f64 v[31:32], v[31:32], -v[37:38]
	v_add_f64 v[43:44], v[41:42], v[33:34]
	v_add_f64 v[35:36], v[35:36], -v[39:40]
	v_add_f64 v[37:38], v[43:44], -v[41:42]
	v_add_f64 v[31:32], v[31:32], v[35:36]
	v_add_f64 v[33:34], v[33:34], -v[37:38]
	v_add_f64 v[31:32], v[31:32], v[33:34]
	v_add_f64 v[31:32], v[43:44], v[31:32]
	v_cndmask_b32_e64 v31, 0, v31, s4
	v_cmp_neq_f64_e64 s4, -1.0, v[11:12]
	v_cndmask_b32_e64 v0, 0x7ff00000, v32, s5
	v_cndmask_b32_e64 v0, 0x7ff80000, v0, s15
	;; [unrolled: 1-line block ×3, first 2 shown]
	v_add_f64 v[11:12], v[29:30], v[31:32]
.LBB64_116:
	s_or_b32 exec_lo, exec_lo, s20
	v_max_f64 v[29:30], v[11:12], v[11:12]
	v_cmp_u_f64_e64 s4, v[11:12], v[11:12]
	v_min_f64 v[31:32], v[29:30], v[51:52]
	v_max_f64 v[29:30], v[29:30], v[51:52]
	v_cndmask_b32_e64 v0, v31, v11, s4
	v_cndmask_b32_e64 v31, v32, v12, s4
	;; [unrolled: 1-line block ×8, first 2 shown]
	v_mov_b32_e32 v5, v11
	v_mov_b32_e32 v6, v12
	v_cmp_class_f64_e64 s5, v[31:32], 0x1f8
	v_cmp_neq_f64_e64 s4, v[31:32], v[29:30]
	s_or_b32 s4, s4, s5
	s_and_saveexec_b32 s20, s4
	s_cbranch_execz .LBB64_118
; %bb.117:
	v_add_f64 v[5:6], v[31:32], -v[29:30]
	s_mov_b32 s4, 0x652b82fe
	s_mov_b32 s5, 0x3ff71547
	;; [unrolled: 1-line block ×10, first 2 shown]
	v_mul_f64 v[31:32], v[5:6], s[4:5]
	s_mov_b32 s4, 0xfca7ab0c
	s_mov_b32 s5, 0x3e928af3
	v_rndne_f64_e32 v[31:32], v[31:32]
	v_fma_f64 v[33:34], v[31:32], s[16:17], v[5:6]
	v_cvt_i32_f64_e32 v0, v[31:32]
	s_mov_b32 s17, 0x3fe62e42
	v_fma_f64 v[33:34], v[31:32], s[18:19], v[33:34]
	s_mov_b32 s19, 0x3c7abc9e
	v_fma_f64 v[35:36], v[33:34], s[22:23], s[4:5]
	s_mov_b32 s4, 0x623fde64
	s_mov_b32 s5, 0x3ec71dee
	;; [unrolled: 1-line block ×4, first 2 shown]
	v_fma_f64 v[35:36], v[33:34], v[35:36], s[4:5]
	s_mov_b32 s4, 0x7c89e6b0
	s_mov_b32 s5, 0x3efa0199
	v_fma_f64 v[35:36], v[33:34], v[35:36], s[4:5]
	s_mov_b32 s4, 0x14761f6e
	s_mov_b32 s5, 0x3f2a01a0
	;; [unrolled: 3-line block ×7, first 2 shown]
	v_fma_f64 v[35:36], v[33:34], v[35:36], s[4:5]
	v_cmp_nlt_f64_e64 s4, 0x40900000, v[5:6]
	v_cmp_ngt_f64_e64 s5, 0xc090cc00, v[5:6]
	v_fma_f64 v[35:36], v[33:34], v[35:36], 1.0
	v_fma_f64 v[31:32], v[33:34], v[35:36], 1.0
	v_ldexp_f64 v[31:32], v[31:32], v0
	v_cndmask_b32_e64 v0, 0x7ff00000, v32, s4
	s_and_b32 s4, s5, s4
	v_cndmask_b32_e64 v5, 0, v31, s4
	s_mov_b32 s4, 0x55555555
	v_cndmask_b32_e64 v6, 0, v0, s5
	s_mov_b32 s5, 0x3fe55555
	v_add_f64 v[31:32], v[5:6], 1.0
	v_cmp_ngt_f64_e64 s15, -1.0, v[5:6]
	v_frexp_mant_f64_e32 v[33:34], v[31:32]
	v_frexp_exp_i32_f64_e32 v0, v[31:32]
	v_add_f64 v[35:36], v[31:32], -1.0
	v_cmp_gt_f64_e64 s4, s[4:5], v[33:34]
	v_add_f64 v[33:34], v[35:36], -v[31:32]
	v_add_f64 v[35:36], v[5:6], -v[35:36]
	v_subrev_co_ci_u32_e64 v0, null, 0, v0, s4
	v_add_f64 v[33:34], v[33:34], 1.0
	s_mov_b32 s4, 0x55555780
	v_sub_nc_u32_e32 v39, 0, v0
	v_ldexp_f64 v[31:32], v[31:32], v39
	v_add_f64 v[33:34], v[35:36], v[33:34]
	v_add_f64 v[37:38], v[31:32], 1.0
	v_add_f64 v[43:44], v[31:32], -1.0
	v_ldexp_f64 v[33:34], v[33:34], v39
	v_add_f64 v[35:36], v[37:38], -1.0
	v_add_f64 v[45:46], v[43:44], 1.0
	v_add_f64 v[35:36], v[31:32], -v[35:36]
	v_add_f64 v[31:32], v[31:32], -v[45:46]
	v_add_f64 v[35:36], v[33:34], v[35:36]
	v_add_f64 v[31:32], v[33:34], v[31:32]
	;; [unrolled: 1-line block ×4, first 2 shown]
	v_rcp_f64_e32 v[41:42], v[39:40]
	v_add_f64 v[37:38], v[39:40], -v[37:38]
	v_add_f64 v[43:44], v[45:46], -v[43:44]
	;; [unrolled: 1-line block ×3, first 2 shown]
	v_fma_f64 v[47:48], -v[39:40], v[41:42], 1.0
	v_add_f64 v[31:32], v[31:32], -v[43:44]
	v_fma_f64 v[41:42], v[47:48], v[41:42], v[41:42]
	v_fma_f64 v[33:34], -v[39:40], v[41:42], 1.0
	v_fma_f64 v[33:34], v[33:34], v[41:42], v[41:42]
	v_mul_f64 v[41:42], v[45:46], v[33:34]
	v_mul_f64 v[47:48], v[39:40], v[41:42]
	v_fma_f64 v[37:38], v[41:42], v[39:40], -v[47:48]
	v_fma_f64 v[37:38], v[41:42], v[35:36], v[37:38]
	v_add_f64 v[49:50], v[47:48], v[37:38]
	v_add_f64 v[51:52], v[45:46], -v[49:50]
	v_add_f64 v[43:44], v[49:50], -v[47:48]
	;; [unrolled: 1-line block ×5, first 2 shown]
	v_add_f64 v[31:32], v[31:32], v[45:46]
	v_add_f64 v[31:32], v[37:38], v[31:32]
	;; [unrolled: 1-line block ×3, first 2 shown]
	v_mul_f64 v[43:44], v[33:34], v[37:38]
	v_add_f64 v[49:50], v[51:52], -v[37:38]
	v_mul_f64 v[45:46], v[39:40], v[43:44]
	v_add_f64 v[31:32], v[31:32], v[49:50]
	v_fma_f64 v[39:40], v[43:44], v[39:40], -v[45:46]
	v_fma_f64 v[35:36], v[43:44], v[35:36], v[39:40]
	v_add_f64 v[39:40], v[45:46], v[35:36]
	v_add_f64 v[47:48], v[37:38], -v[39:40]
	v_add_f64 v[45:46], v[39:40], -v[45:46]
	;; [unrolled: 1-line block ×5, first 2 shown]
	v_add_f64 v[31:32], v[31:32], v[37:38]
	v_add_f64 v[37:38], v[41:42], v[43:44]
	;; [unrolled: 1-line block ×3, first 2 shown]
	v_add_f64 v[35:36], v[37:38], -v[41:42]
	v_add_f64 v[31:32], v[47:48], v[31:32]
	v_add_f64 v[35:36], v[43:44], -v[35:36]
	v_mul_f64 v[31:32], v[33:34], v[31:32]
	v_add_f64 v[31:32], v[35:36], v[31:32]
	v_add_f64 v[33:34], v[37:38], v[31:32]
	v_mul_f64 v[35:36], v[33:34], v[33:34]
	v_fma_f64 v[39:40], v[35:36], s[24:25], s[22:23]
	s_mov_b32 s22, 0xd7f4df2e
	s_mov_b32 s23, 0x3fc7474d
	v_mul_f64 v[41:42], v[33:34], v[35:36]
	v_fma_f64 v[39:40], v[35:36], v[39:40], s[22:23]
	s_mov_b32 s22, 0x16291751
	s_mov_b32 s23, 0x3fcc71c0
	v_fma_f64 v[39:40], v[35:36], v[39:40], s[22:23]
	s_mov_b32 s22, 0x9b27acf1
	s_mov_b32 s23, 0x3fd24924
	v_fma_f64 v[39:40], v[35:36], v[39:40], s[22:23]
	s_mov_b32 s22, 0x998ef7b6
	s_mov_b32 s23, 0x3fd99999
	v_fma_f64 v[39:40], v[35:36], v[39:40], s[22:23]
	v_fma_f64 v[35:36], v[35:36], v[39:40], s[4:5]
	v_ldexp_f64 v[39:40], v[33:34], 1
	v_add_f64 v[33:34], v[33:34], -v[37:38]
	v_cmp_nge_f64_e64 s4, -1.0, v[5:6]
	v_cmp_neq_f64_e64 s5, 0x7ff00000, v[5:6]
	v_mul_f64 v[35:36], v[41:42], v[35:36]
	v_cvt_f64_i32_e32 v[41:42], v0
	v_add_f64 v[31:32], v[31:32], -v[33:34]
	s_and_b32 s4, s4, s5
	v_add_f64 v[37:38], v[39:40], v[35:36]
	v_mul_f64 v[43:44], v[41:42], s[16:17]
	v_ldexp_f64 v[31:32], v[31:32], 1
	v_add_f64 v[33:34], v[37:38], -v[39:40]
	v_fma_f64 v[39:40], v[41:42], s[16:17], -v[43:44]
	v_add_f64 v[33:34], v[35:36], -v[33:34]
	v_fma_f64 v[35:36], v[41:42], s[18:19], v[39:40]
	v_add_f64 v[31:32], v[31:32], v[33:34]
	v_add_f64 v[33:34], v[43:44], v[35:36]
	;; [unrolled: 1-line block ×3, first 2 shown]
	v_add_f64 v[43:44], v[33:34], -v[43:44]
	v_add_f64 v[41:42], v[33:34], v[39:40]
	v_add_f64 v[37:38], v[39:40], -v[37:38]
	v_add_f64 v[35:36], v[35:36], -v[43:44]
	;; [unrolled: 1-line block ×6, first 2 shown]
	v_add_f64 v[39:40], v[35:36], v[31:32]
	v_add_f64 v[33:34], v[33:34], -v[47:48]
	v_add_f64 v[33:34], v[37:38], v[33:34]
	v_add_f64 v[37:38], v[39:40], -v[35:36]
	;; [unrolled: 2-line block ×3, first 2 shown]
	v_add_f64 v[31:32], v[31:32], -v[37:38]
	v_add_f64 v[43:44], v[41:42], v[33:34]
	v_add_f64 v[35:36], v[35:36], -v[39:40]
	v_add_f64 v[37:38], v[43:44], -v[41:42]
	v_add_f64 v[31:32], v[31:32], v[35:36]
	v_add_f64 v[33:34], v[33:34], -v[37:38]
	v_add_f64 v[31:32], v[31:32], v[33:34]
	v_add_f64 v[31:32], v[43:44], v[31:32]
	v_cndmask_b32_e64 v31, 0, v31, s4
	v_cmp_neq_f64_e64 s4, -1.0, v[5:6]
	v_cndmask_b32_e64 v0, 0x7ff00000, v32, s5
	v_cndmask_b32_e64 v0, 0x7ff80000, v0, s15
	;; [unrolled: 1-line block ×3, first 2 shown]
	v_add_f64 v[5:6], v[29:30], v[31:32]
.LBB64_118:
	s_or_b32 exec_lo, exec_lo, s20
	v_max_f64 v[29:30], v[5:6], v[5:6]
	v_cmp_u_f64_e64 s4, v[5:6], v[5:6]
	v_min_f64 v[31:32], v[29:30], v[53:54]
	v_max_f64 v[29:30], v[29:30], v[53:54]
	v_cndmask_b32_e64 v0, v31, v5, s4
	v_cndmask_b32_e64 v31, v32, v6, s4
	;; [unrolled: 1-line block ×8, first 2 shown]
	v_mov_b32_e32 v8, v6
	v_mov_b32_e32 v7, v5
	v_cmp_class_f64_e64 s5, v[31:32], 0x1f8
	v_cmp_neq_f64_e64 s4, v[31:32], v[29:30]
	s_or_b32 s4, s4, s5
	s_and_saveexec_b32 s20, s4
	s_cbranch_execz .LBB64_120
; %bb.119:
	v_add_f64 v[7:8], v[31:32], -v[29:30]
	s_mov_b32 s4, 0x652b82fe
	s_mov_b32 s5, 0x3ff71547
	;; [unrolled: 1-line block ×10, first 2 shown]
	v_mul_f64 v[31:32], v[7:8], s[4:5]
	s_mov_b32 s4, 0xfca7ab0c
	s_mov_b32 s5, 0x3e928af3
	v_rndne_f64_e32 v[31:32], v[31:32]
	v_fma_f64 v[33:34], v[31:32], s[16:17], v[7:8]
	v_cvt_i32_f64_e32 v0, v[31:32]
	s_mov_b32 s17, 0x3fe62e42
	v_fma_f64 v[33:34], v[31:32], s[18:19], v[33:34]
	s_mov_b32 s19, 0x3c7abc9e
	v_fma_f64 v[35:36], v[33:34], s[22:23], s[4:5]
	s_mov_b32 s4, 0x623fde64
	s_mov_b32 s5, 0x3ec71dee
	;; [unrolled: 1-line block ×4, first 2 shown]
	v_fma_f64 v[35:36], v[33:34], v[35:36], s[4:5]
	s_mov_b32 s4, 0x7c89e6b0
	s_mov_b32 s5, 0x3efa0199
	v_fma_f64 v[35:36], v[33:34], v[35:36], s[4:5]
	s_mov_b32 s4, 0x14761f6e
	s_mov_b32 s5, 0x3f2a01a0
	v_fma_f64 v[35:36], v[33:34], v[35:36], s[4:5]
	s_mov_b32 s4, 0x1852b7b0
	s_mov_b32 s5, 0x3f56c16c
	v_fma_f64 v[35:36], v[33:34], v[35:36], s[4:5]
	s_mov_b32 s4, 0x11122322
	s_mov_b32 s5, 0x3f811111
	v_fma_f64 v[35:36], v[33:34], v[35:36], s[4:5]
	s_mov_b32 s4, 0x555502a1
	s_mov_b32 s5, 0x3fa55555
	v_fma_f64 v[35:36], v[33:34], v[35:36], s[4:5]
	s_mov_b32 s4, 0x55555511
	s_mov_b32 s5, 0x3fc55555
	v_fma_f64 v[35:36], v[33:34], v[35:36], s[4:5]
	s_mov_b32 s4, 11
	s_mov_b32 s5, 0x3fe00000
	v_fma_f64 v[35:36], v[33:34], v[35:36], s[4:5]
	v_cmp_nlt_f64_e64 s4, 0x40900000, v[7:8]
	v_cmp_ngt_f64_e64 s5, 0xc090cc00, v[7:8]
	v_fma_f64 v[35:36], v[33:34], v[35:36], 1.0
	v_fma_f64 v[31:32], v[33:34], v[35:36], 1.0
	v_ldexp_f64 v[31:32], v[31:32], v0
	v_cndmask_b32_e64 v0, 0x7ff00000, v32, s4
	s_and_b32 s4, s5, s4
	v_cndmask_b32_e64 v7, 0, v31, s4
	s_mov_b32 s4, 0x55555555
	v_cndmask_b32_e64 v8, 0, v0, s5
	s_mov_b32 s5, 0x3fe55555
	v_add_f64 v[31:32], v[7:8], 1.0
	v_cmp_ngt_f64_e64 s15, -1.0, v[7:8]
	v_frexp_mant_f64_e32 v[33:34], v[31:32]
	v_frexp_exp_i32_f64_e32 v0, v[31:32]
	v_add_f64 v[35:36], v[31:32], -1.0
	v_cmp_gt_f64_e64 s4, s[4:5], v[33:34]
	v_add_f64 v[33:34], v[35:36], -v[31:32]
	v_add_f64 v[35:36], v[7:8], -v[35:36]
	v_subrev_co_ci_u32_e64 v0, null, 0, v0, s4
	v_add_f64 v[33:34], v[33:34], 1.0
	s_mov_b32 s4, 0x55555780
	v_sub_nc_u32_e32 v39, 0, v0
	v_ldexp_f64 v[31:32], v[31:32], v39
	v_add_f64 v[33:34], v[35:36], v[33:34]
	v_add_f64 v[37:38], v[31:32], 1.0
	v_add_f64 v[43:44], v[31:32], -1.0
	v_ldexp_f64 v[33:34], v[33:34], v39
	v_add_f64 v[35:36], v[37:38], -1.0
	v_add_f64 v[45:46], v[43:44], 1.0
	v_add_f64 v[35:36], v[31:32], -v[35:36]
	v_add_f64 v[31:32], v[31:32], -v[45:46]
	v_add_f64 v[35:36], v[33:34], v[35:36]
	v_add_f64 v[31:32], v[33:34], v[31:32]
	;; [unrolled: 1-line block ×4, first 2 shown]
	v_rcp_f64_e32 v[41:42], v[39:40]
	v_add_f64 v[37:38], v[39:40], -v[37:38]
	v_add_f64 v[43:44], v[45:46], -v[43:44]
	;; [unrolled: 1-line block ×3, first 2 shown]
	v_fma_f64 v[47:48], -v[39:40], v[41:42], 1.0
	v_add_f64 v[31:32], v[31:32], -v[43:44]
	v_fma_f64 v[41:42], v[47:48], v[41:42], v[41:42]
	v_fma_f64 v[33:34], -v[39:40], v[41:42], 1.0
	v_fma_f64 v[33:34], v[33:34], v[41:42], v[41:42]
	v_mul_f64 v[41:42], v[45:46], v[33:34]
	v_mul_f64 v[47:48], v[39:40], v[41:42]
	v_fma_f64 v[37:38], v[41:42], v[39:40], -v[47:48]
	v_fma_f64 v[37:38], v[41:42], v[35:36], v[37:38]
	v_add_f64 v[49:50], v[47:48], v[37:38]
	v_add_f64 v[51:52], v[45:46], -v[49:50]
	v_add_f64 v[43:44], v[49:50], -v[47:48]
	;; [unrolled: 1-line block ×5, first 2 shown]
	v_add_f64 v[31:32], v[31:32], v[45:46]
	v_add_f64 v[31:32], v[37:38], v[31:32]
	;; [unrolled: 1-line block ×3, first 2 shown]
	v_mul_f64 v[43:44], v[33:34], v[37:38]
	v_add_f64 v[49:50], v[51:52], -v[37:38]
	v_mul_f64 v[45:46], v[39:40], v[43:44]
	v_add_f64 v[31:32], v[31:32], v[49:50]
	v_fma_f64 v[39:40], v[43:44], v[39:40], -v[45:46]
	v_fma_f64 v[35:36], v[43:44], v[35:36], v[39:40]
	v_add_f64 v[39:40], v[45:46], v[35:36]
	v_add_f64 v[47:48], v[37:38], -v[39:40]
	v_add_f64 v[45:46], v[39:40], -v[45:46]
	;; [unrolled: 1-line block ×5, first 2 shown]
	v_add_f64 v[31:32], v[31:32], v[37:38]
	v_add_f64 v[37:38], v[41:42], v[43:44]
	;; [unrolled: 1-line block ×3, first 2 shown]
	v_add_f64 v[35:36], v[37:38], -v[41:42]
	v_add_f64 v[31:32], v[47:48], v[31:32]
	v_add_f64 v[35:36], v[43:44], -v[35:36]
	v_mul_f64 v[31:32], v[33:34], v[31:32]
	v_add_f64 v[31:32], v[35:36], v[31:32]
	v_add_f64 v[33:34], v[37:38], v[31:32]
	v_mul_f64 v[35:36], v[33:34], v[33:34]
	v_fma_f64 v[39:40], v[35:36], s[24:25], s[22:23]
	s_mov_b32 s22, 0xd7f4df2e
	s_mov_b32 s23, 0x3fc7474d
	v_mul_f64 v[41:42], v[33:34], v[35:36]
	v_fma_f64 v[39:40], v[35:36], v[39:40], s[22:23]
	s_mov_b32 s22, 0x16291751
	s_mov_b32 s23, 0x3fcc71c0
	v_fma_f64 v[39:40], v[35:36], v[39:40], s[22:23]
	s_mov_b32 s22, 0x9b27acf1
	s_mov_b32 s23, 0x3fd24924
	;; [unrolled: 3-line block ×3, first 2 shown]
	v_fma_f64 v[39:40], v[35:36], v[39:40], s[22:23]
	v_fma_f64 v[35:36], v[35:36], v[39:40], s[4:5]
	v_ldexp_f64 v[39:40], v[33:34], 1
	v_add_f64 v[33:34], v[33:34], -v[37:38]
	v_cmp_nge_f64_e64 s4, -1.0, v[7:8]
	v_cmp_neq_f64_e64 s5, 0x7ff00000, v[7:8]
	v_mul_f64 v[35:36], v[41:42], v[35:36]
	v_cvt_f64_i32_e32 v[41:42], v0
	v_add_f64 v[31:32], v[31:32], -v[33:34]
	s_and_b32 s4, s4, s5
	v_add_f64 v[37:38], v[39:40], v[35:36]
	v_mul_f64 v[43:44], v[41:42], s[16:17]
	v_ldexp_f64 v[31:32], v[31:32], 1
	v_add_f64 v[33:34], v[37:38], -v[39:40]
	v_fma_f64 v[39:40], v[41:42], s[16:17], -v[43:44]
	v_add_f64 v[33:34], v[35:36], -v[33:34]
	v_fma_f64 v[35:36], v[41:42], s[18:19], v[39:40]
	v_add_f64 v[31:32], v[31:32], v[33:34]
	v_add_f64 v[33:34], v[43:44], v[35:36]
	;; [unrolled: 1-line block ×3, first 2 shown]
	v_add_f64 v[43:44], v[33:34], -v[43:44]
	v_add_f64 v[41:42], v[33:34], v[39:40]
	v_add_f64 v[37:38], v[39:40], -v[37:38]
	v_add_f64 v[35:36], v[35:36], -v[43:44]
	;; [unrolled: 1-line block ×6, first 2 shown]
	v_add_f64 v[39:40], v[35:36], v[31:32]
	v_add_f64 v[33:34], v[33:34], -v[47:48]
	v_add_f64 v[33:34], v[37:38], v[33:34]
	v_add_f64 v[37:38], v[39:40], -v[35:36]
	;; [unrolled: 2-line block ×3, first 2 shown]
	v_add_f64 v[31:32], v[31:32], -v[37:38]
	v_add_f64 v[43:44], v[41:42], v[33:34]
	v_add_f64 v[35:36], v[35:36], -v[39:40]
	v_add_f64 v[37:38], v[43:44], -v[41:42]
	v_add_f64 v[31:32], v[31:32], v[35:36]
	v_add_f64 v[33:34], v[33:34], -v[37:38]
	v_add_f64 v[31:32], v[31:32], v[33:34]
	v_add_f64 v[31:32], v[43:44], v[31:32]
	v_cndmask_b32_e64 v31, 0, v31, s4
	v_cmp_neq_f64_e64 s4, -1.0, v[7:8]
	v_cndmask_b32_e64 v0, 0x7ff00000, v32, s5
	v_cndmask_b32_e64 v0, 0x7ff80000, v0, s15
	;; [unrolled: 1-line block ×3, first 2 shown]
	v_add_f64 v[7:8], v[29:30], v[31:32]
.LBB64_120:
	s_or_b32 exec_lo, exec_lo, s20
	v_add_nc_u32_e32 v0, v69, v70
	s_waitcnt lgkmcnt(0)
	s_barrier
	buffer_gl0_inv
	ds_write_b128 v0, v[1:4]
	ds_write_b128 v0, v[25:28] offset:16
	ds_write_b128 v0, v[21:24] offset:32
	;; [unrolled: 1-line block ×6, first 2 shown]
	s_waitcnt lgkmcnt(0)
	s_barrier
	buffer_gl0_inv
	ds_read2st64_b64 v[20:23], v69 offset0:2 offset1:4
	ds_read2st64_b64 v[16:19], v69 offset0:6 offset1:8
	;; [unrolled: 1-line block ×6, first 2 shown]
	ds_read_b64 v[24:25], v69 offset:13312
	v_add_co_u32 v26, s4, s30, v69
	v_add_co_ci_u32_e64 v27, null, s31, 0, s4
	s_and_saveexec_b32 s4, vcc_lo
	s_cbranch_execnz .LBB64_135
; %bb.121:
	s_or_b32 exec_lo, exec_lo, s4
	s_and_saveexec_b32 s4, s0
	s_cbranch_execnz .LBB64_136
.LBB64_122:
	s_or_b32 exec_lo, exec_lo, s4
	s_and_saveexec_b32 s0, s1
	s_cbranch_execnz .LBB64_137
.LBB64_123:
	s_or_b32 exec_lo, exec_lo, s0
	s_and_saveexec_b32 s0, s2
	s_cbranch_execnz .LBB64_138
.LBB64_124:
	s_or_b32 exec_lo, exec_lo, s0
	s_and_saveexec_b32 s0, s3
	s_cbranch_execnz .LBB64_139
.LBB64_125:
	s_or_b32 exec_lo, exec_lo, s0
	s_and_saveexec_b32 s0, s6
	s_cbranch_execnz .LBB64_140
.LBB64_126:
	s_or_b32 exec_lo, exec_lo, s0
	s_and_saveexec_b32 s0, s7
	s_cbranch_execnz .LBB64_141
.LBB64_127:
	s_or_b32 exec_lo, exec_lo, s0
	s_and_saveexec_b32 s0, s8
	s_cbranch_execnz .LBB64_142
.LBB64_128:
	s_or_b32 exec_lo, exec_lo, s0
	s_and_saveexec_b32 s0, s9
	s_cbranch_execnz .LBB64_143
.LBB64_129:
	s_or_b32 exec_lo, exec_lo, s0
	s_and_saveexec_b32 s0, s10
	s_cbranch_execnz .LBB64_144
.LBB64_130:
	s_or_b32 exec_lo, exec_lo, s0
	s_and_saveexec_b32 s0, s11
	s_cbranch_execnz .LBB64_145
.LBB64_131:
	s_or_b32 exec_lo, exec_lo, s0
	s_and_saveexec_b32 s0, s12
	s_cbranch_execnz .LBB64_146
.LBB64_132:
	s_or_b32 exec_lo, exec_lo, s0
	s_and_saveexec_b32 s0, s13
	s_cbranch_execnz .LBB64_147
.LBB64_133:
	s_or_b32 exec_lo, exec_lo, s0
	s_and_saveexec_b32 s0, s14
	s_cbranch_execnz .LBB64_148
.LBB64_134:
	s_endpgm
.LBB64_135:
	ds_read_b64 v[28:29], v69
	s_waitcnt lgkmcnt(0)
	global_store_dwordx2 v[26:27], v[28:29], off
	s_or_b32 exec_lo, exec_lo, s4
	s_and_saveexec_b32 s4, s0
	s_cbranch_execz .LBB64_122
.LBB64_136:
	s_waitcnt lgkmcnt(6)
	global_store_dwordx2 v[26:27], v[20:21], off offset:1024
	s_or_b32 exec_lo, exec_lo, s4
	s_and_saveexec_b32 s0, s1
	s_cbranch_execz .LBB64_123
.LBB64_137:
	s_waitcnt lgkmcnt(6)
	v_add_co_u32 v20, vcc_lo, 0x800, v26
	v_add_co_ci_u32_e64 v21, null, 0, v27, vcc_lo
	global_store_dwordx2 v[20:21], v[22:23], off
	s_or_b32 exec_lo, exec_lo, s0
	s_and_saveexec_b32 s0, s2
	s_cbranch_execz .LBB64_124
.LBB64_138:
	s_waitcnt lgkmcnt(6)
	v_add_co_u32 v20, vcc_lo, 0x800, v26
	v_add_co_ci_u32_e64 v21, null, 0, v27, vcc_lo
	s_waitcnt lgkmcnt(5)
	global_store_dwordx2 v[20:21], v[16:17], off offset:1024
	s_or_b32 exec_lo, exec_lo, s0
	s_and_saveexec_b32 s0, s3
	s_cbranch_execz .LBB64_125
.LBB64_139:
	s_waitcnt lgkmcnt(5)
	v_add_co_u32 v16, vcc_lo, 0x1000, v26
	v_add_co_ci_u32_e64 v17, null, 0, v27, vcc_lo
	global_store_dwordx2 v[16:17], v[18:19], off
	s_or_b32 exec_lo, exec_lo, s0
	s_and_saveexec_b32 s0, s6
	s_cbranch_execz .LBB64_126
.LBB64_140:
	s_waitcnt lgkmcnt(5)
	v_add_co_u32 v16, vcc_lo, 0x1000, v26
	v_add_co_ci_u32_e64 v17, null, 0, v27, vcc_lo
	s_waitcnt lgkmcnt(4)
	global_store_dwordx2 v[16:17], v[12:13], off offset:1024
	s_or_b32 exec_lo, exec_lo, s0
	s_and_saveexec_b32 s0, s7
	s_cbranch_execz .LBB64_127
.LBB64_141:
	s_waitcnt lgkmcnt(4)
	v_add_co_u32 v12, vcc_lo, 0x1800, v26
	v_add_co_ci_u32_e64 v13, null, 0, v27, vcc_lo
	global_store_dwordx2 v[12:13], v[14:15], off
	s_or_b32 exec_lo, exec_lo, s0
	s_and_saveexec_b32 s0, s8
	s_cbranch_execz .LBB64_128
.LBB64_142:
	s_waitcnt lgkmcnt(4)
	v_add_co_u32 v12, vcc_lo, 0x1800, v26
	v_add_co_ci_u32_e64 v13, null, 0, v27, vcc_lo
	s_waitcnt lgkmcnt(3)
	global_store_dwordx2 v[12:13], v[8:9], off offset:1024
	s_or_b32 exec_lo, exec_lo, s0
	s_and_saveexec_b32 s0, s9
	s_cbranch_execz .LBB64_129
.LBB64_143:
	s_waitcnt lgkmcnt(3)
	v_add_co_u32 v8, vcc_lo, 0x2000, v26
	v_add_co_ci_u32_e64 v9, null, 0, v27, vcc_lo
	global_store_dwordx2 v[8:9], v[10:11], off
	s_or_b32 exec_lo, exec_lo, s0
	s_and_saveexec_b32 s0, s10
	s_cbranch_execz .LBB64_130
.LBB64_144:
	s_waitcnt lgkmcnt(3)
	v_add_co_u32 v8, vcc_lo, 0x2000, v26
	v_add_co_ci_u32_e64 v9, null, 0, v27, vcc_lo
	s_waitcnt lgkmcnt(2)
	global_store_dwordx2 v[8:9], v[4:5], off offset:1024
	s_or_b32 exec_lo, exec_lo, s0
	s_and_saveexec_b32 s0, s11
	s_cbranch_execz .LBB64_131
.LBB64_145:
	s_waitcnt lgkmcnt(2)
	v_add_co_u32 v4, vcc_lo, 0x2800, v26
	v_add_co_ci_u32_e64 v5, null, 0, v27, vcc_lo
	global_store_dwordx2 v[4:5], v[6:7], off
	s_or_b32 exec_lo, exec_lo, s0
	s_and_saveexec_b32 s0, s12
	s_cbranch_execz .LBB64_132
.LBB64_146:
	s_waitcnt lgkmcnt(2)
	v_add_co_u32 v4, vcc_lo, 0x2800, v26
	v_add_co_ci_u32_e64 v5, null, 0, v27, vcc_lo
	s_waitcnt lgkmcnt(1)
	global_store_dwordx2 v[4:5], v[0:1], off offset:1024
	s_or_b32 exec_lo, exec_lo, s0
	s_and_saveexec_b32 s0, s13
	s_cbranch_execz .LBB64_133
.LBB64_147:
	s_waitcnt lgkmcnt(1)
	v_add_co_u32 v0, vcc_lo, 0x3000, v26
	v_add_co_ci_u32_e64 v1, null, 0, v27, vcc_lo
	global_store_dwordx2 v[0:1], v[2:3], off
	s_or_b32 exec_lo, exec_lo, s0
	s_and_saveexec_b32 s0, s14
	s_cbranch_execz .LBB64_134
.LBB64_148:
	s_waitcnt lgkmcnt(1)
	v_add_co_u32 v0, vcc_lo, 0x3000, v26
	v_add_co_ci_u32_e64 v1, null, 0, v27, vcc_lo
	s_waitcnt lgkmcnt(0)
	global_store_dwordx2 v[0:1], v[24:25], off offset:1024
	s_endpgm
	.section	.rodata,"a",@progbits
	.p2align	6, 0x0
	.amdhsa_kernel _ZN7rocprim17ROCPRIM_400000_NS6detail17trampoline_kernelINS0_14default_configENS1_20scan_config_selectorIdEEZZNS1_9scan_implILNS1_25lookback_scan_determinismE0ELb0ELb0ES3_PKdPddZZZN2at6native31launch_logcumsumexp_cuda_kernelERKNSB_10TensorBaseESF_lENKUlvE_clEvENKUlvE_clEvEUlddE_dEEDaPvRmT3_T4_T5_mT6_P12ihipStream_tbENKUlT_T0_E_clISt17integral_constantIbLb1EESV_IbLb0EEEEDaSR_SS_EUlSR_E0_NS1_11comp_targetILNS1_3genE8ELNS1_11target_archE1030ELNS1_3gpuE2ELNS1_3repE0EEENS1_30default_config_static_selectorELNS0_4arch9wavefront6targetE0EEEvT1_
		.amdhsa_group_segment_fixed_size 14336
		.amdhsa_private_segment_fixed_size 0
		.amdhsa_kernarg_size 40
		.amdhsa_user_sgpr_count 6
		.amdhsa_user_sgpr_private_segment_buffer 1
		.amdhsa_user_sgpr_dispatch_ptr 0
		.amdhsa_user_sgpr_queue_ptr 0
		.amdhsa_user_sgpr_kernarg_segment_ptr 1
		.amdhsa_user_sgpr_dispatch_id 0
		.amdhsa_user_sgpr_flat_scratch_init 0
		.amdhsa_user_sgpr_private_segment_size 0
		.amdhsa_wavefront_size32 1
		.amdhsa_uses_dynamic_stack 0
		.amdhsa_system_sgpr_private_segment_wavefront_offset 0
		.amdhsa_system_sgpr_workgroup_id_x 1
		.amdhsa_system_sgpr_workgroup_id_y 0
		.amdhsa_system_sgpr_workgroup_id_z 0
		.amdhsa_system_sgpr_workgroup_info 0
		.amdhsa_system_vgpr_workitem_id 0
		.amdhsa_next_free_vgpr 97
		.amdhsa_next_free_sgpr 44
		.amdhsa_reserve_vcc 1
		.amdhsa_reserve_flat_scratch 0
		.amdhsa_float_round_mode_32 0
		.amdhsa_float_round_mode_16_64 0
		.amdhsa_float_denorm_mode_32 3
		.amdhsa_float_denorm_mode_16_64 3
		.amdhsa_dx10_clamp 1
		.amdhsa_ieee_mode 1
		.amdhsa_fp16_overflow 0
		.amdhsa_workgroup_processor_mode 1
		.amdhsa_memory_ordered 1
		.amdhsa_forward_progress 1
		.amdhsa_shared_vgpr_count 0
		.amdhsa_exception_fp_ieee_invalid_op 0
		.amdhsa_exception_fp_denorm_src 0
		.amdhsa_exception_fp_ieee_div_zero 0
		.amdhsa_exception_fp_ieee_overflow 0
		.amdhsa_exception_fp_ieee_underflow 0
		.amdhsa_exception_fp_ieee_inexact 0
		.amdhsa_exception_int_div_zero 0
	.end_amdhsa_kernel
	.section	.text._ZN7rocprim17ROCPRIM_400000_NS6detail17trampoline_kernelINS0_14default_configENS1_20scan_config_selectorIdEEZZNS1_9scan_implILNS1_25lookback_scan_determinismE0ELb0ELb0ES3_PKdPddZZZN2at6native31launch_logcumsumexp_cuda_kernelERKNSB_10TensorBaseESF_lENKUlvE_clEvENKUlvE_clEvEUlddE_dEEDaPvRmT3_T4_T5_mT6_P12ihipStream_tbENKUlT_T0_E_clISt17integral_constantIbLb1EESV_IbLb0EEEEDaSR_SS_EUlSR_E0_NS1_11comp_targetILNS1_3genE8ELNS1_11target_archE1030ELNS1_3gpuE2ELNS1_3repE0EEENS1_30default_config_static_selectorELNS0_4arch9wavefront6targetE0EEEvT1_,"axG",@progbits,_ZN7rocprim17ROCPRIM_400000_NS6detail17trampoline_kernelINS0_14default_configENS1_20scan_config_selectorIdEEZZNS1_9scan_implILNS1_25lookback_scan_determinismE0ELb0ELb0ES3_PKdPddZZZN2at6native31launch_logcumsumexp_cuda_kernelERKNSB_10TensorBaseESF_lENKUlvE_clEvENKUlvE_clEvEUlddE_dEEDaPvRmT3_T4_T5_mT6_P12ihipStream_tbENKUlT_T0_E_clISt17integral_constantIbLb1EESV_IbLb0EEEEDaSR_SS_EUlSR_E0_NS1_11comp_targetILNS1_3genE8ELNS1_11target_archE1030ELNS1_3gpuE2ELNS1_3repE0EEENS1_30default_config_static_selectorELNS0_4arch9wavefront6targetE0EEEvT1_,comdat
.Lfunc_end64:
	.size	_ZN7rocprim17ROCPRIM_400000_NS6detail17trampoline_kernelINS0_14default_configENS1_20scan_config_selectorIdEEZZNS1_9scan_implILNS1_25lookback_scan_determinismE0ELb0ELb0ES3_PKdPddZZZN2at6native31launch_logcumsumexp_cuda_kernelERKNSB_10TensorBaseESF_lENKUlvE_clEvENKUlvE_clEvEUlddE_dEEDaPvRmT3_T4_T5_mT6_P12ihipStream_tbENKUlT_T0_E_clISt17integral_constantIbLb1EESV_IbLb0EEEEDaSR_SS_EUlSR_E0_NS1_11comp_targetILNS1_3genE8ELNS1_11target_archE1030ELNS1_3gpuE2ELNS1_3repE0EEENS1_30default_config_static_selectorELNS0_4arch9wavefront6targetE0EEEvT1_, .Lfunc_end64-_ZN7rocprim17ROCPRIM_400000_NS6detail17trampoline_kernelINS0_14default_configENS1_20scan_config_selectorIdEEZZNS1_9scan_implILNS1_25lookback_scan_determinismE0ELb0ELb0ES3_PKdPddZZZN2at6native31launch_logcumsumexp_cuda_kernelERKNSB_10TensorBaseESF_lENKUlvE_clEvENKUlvE_clEvEUlddE_dEEDaPvRmT3_T4_T5_mT6_P12ihipStream_tbENKUlT_T0_E_clISt17integral_constantIbLb1EESV_IbLb0EEEEDaSR_SS_EUlSR_E0_NS1_11comp_targetILNS1_3genE8ELNS1_11target_archE1030ELNS1_3gpuE2ELNS1_3repE0EEENS1_30default_config_static_selectorELNS0_4arch9wavefront6targetE0EEEvT1_
                                        ; -- End function
	.set _ZN7rocprim17ROCPRIM_400000_NS6detail17trampoline_kernelINS0_14default_configENS1_20scan_config_selectorIdEEZZNS1_9scan_implILNS1_25lookback_scan_determinismE0ELb0ELb0ES3_PKdPddZZZN2at6native31launch_logcumsumexp_cuda_kernelERKNSB_10TensorBaseESF_lENKUlvE_clEvENKUlvE_clEvEUlddE_dEEDaPvRmT3_T4_T5_mT6_P12ihipStream_tbENKUlT_T0_E_clISt17integral_constantIbLb1EESV_IbLb0EEEEDaSR_SS_EUlSR_E0_NS1_11comp_targetILNS1_3genE8ELNS1_11target_archE1030ELNS1_3gpuE2ELNS1_3repE0EEENS1_30default_config_static_selectorELNS0_4arch9wavefront6targetE0EEEvT1_.num_vgpr, 95
	.set _ZN7rocprim17ROCPRIM_400000_NS6detail17trampoline_kernelINS0_14default_configENS1_20scan_config_selectorIdEEZZNS1_9scan_implILNS1_25lookback_scan_determinismE0ELb0ELb0ES3_PKdPddZZZN2at6native31launch_logcumsumexp_cuda_kernelERKNSB_10TensorBaseESF_lENKUlvE_clEvENKUlvE_clEvEUlddE_dEEDaPvRmT3_T4_T5_mT6_P12ihipStream_tbENKUlT_T0_E_clISt17integral_constantIbLb1EESV_IbLb0EEEEDaSR_SS_EUlSR_E0_NS1_11comp_targetILNS1_3genE8ELNS1_11target_archE1030ELNS1_3gpuE2ELNS1_3repE0EEENS1_30default_config_static_selectorELNS0_4arch9wavefront6targetE0EEEvT1_.num_agpr, 0
	.set _ZN7rocprim17ROCPRIM_400000_NS6detail17trampoline_kernelINS0_14default_configENS1_20scan_config_selectorIdEEZZNS1_9scan_implILNS1_25lookback_scan_determinismE0ELb0ELb0ES3_PKdPddZZZN2at6native31launch_logcumsumexp_cuda_kernelERKNSB_10TensorBaseESF_lENKUlvE_clEvENKUlvE_clEvEUlddE_dEEDaPvRmT3_T4_T5_mT6_P12ihipStream_tbENKUlT_T0_E_clISt17integral_constantIbLb1EESV_IbLb0EEEEDaSR_SS_EUlSR_E0_NS1_11comp_targetILNS1_3genE8ELNS1_11target_archE1030ELNS1_3gpuE2ELNS1_3repE0EEENS1_30default_config_static_selectorELNS0_4arch9wavefront6targetE0EEEvT1_.numbered_sgpr, 44
	.set _ZN7rocprim17ROCPRIM_400000_NS6detail17trampoline_kernelINS0_14default_configENS1_20scan_config_selectorIdEEZZNS1_9scan_implILNS1_25lookback_scan_determinismE0ELb0ELb0ES3_PKdPddZZZN2at6native31launch_logcumsumexp_cuda_kernelERKNSB_10TensorBaseESF_lENKUlvE_clEvENKUlvE_clEvEUlddE_dEEDaPvRmT3_T4_T5_mT6_P12ihipStream_tbENKUlT_T0_E_clISt17integral_constantIbLb1EESV_IbLb0EEEEDaSR_SS_EUlSR_E0_NS1_11comp_targetILNS1_3genE8ELNS1_11target_archE1030ELNS1_3gpuE2ELNS1_3repE0EEENS1_30default_config_static_selectorELNS0_4arch9wavefront6targetE0EEEvT1_.num_named_barrier, 0
	.set _ZN7rocprim17ROCPRIM_400000_NS6detail17trampoline_kernelINS0_14default_configENS1_20scan_config_selectorIdEEZZNS1_9scan_implILNS1_25lookback_scan_determinismE0ELb0ELb0ES3_PKdPddZZZN2at6native31launch_logcumsumexp_cuda_kernelERKNSB_10TensorBaseESF_lENKUlvE_clEvENKUlvE_clEvEUlddE_dEEDaPvRmT3_T4_T5_mT6_P12ihipStream_tbENKUlT_T0_E_clISt17integral_constantIbLb1EESV_IbLb0EEEEDaSR_SS_EUlSR_E0_NS1_11comp_targetILNS1_3genE8ELNS1_11target_archE1030ELNS1_3gpuE2ELNS1_3repE0EEENS1_30default_config_static_selectorELNS0_4arch9wavefront6targetE0EEEvT1_.private_seg_size, 0
	.set _ZN7rocprim17ROCPRIM_400000_NS6detail17trampoline_kernelINS0_14default_configENS1_20scan_config_selectorIdEEZZNS1_9scan_implILNS1_25lookback_scan_determinismE0ELb0ELb0ES3_PKdPddZZZN2at6native31launch_logcumsumexp_cuda_kernelERKNSB_10TensorBaseESF_lENKUlvE_clEvENKUlvE_clEvEUlddE_dEEDaPvRmT3_T4_T5_mT6_P12ihipStream_tbENKUlT_T0_E_clISt17integral_constantIbLb1EESV_IbLb0EEEEDaSR_SS_EUlSR_E0_NS1_11comp_targetILNS1_3genE8ELNS1_11target_archE1030ELNS1_3gpuE2ELNS1_3repE0EEENS1_30default_config_static_selectorELNS0_4arch9wavefront6targetE0EEEvT1_.uses_vcc, 1
	.set _ZN7rocprim17ROCPRIM_400000_NS6detail17trampoline_kernelINS0_14default_configENS1_20scan_config_selectorIdEEZZNS1_9scan_implILNS1_25lookback_scan_determinismE0ELb0ELb0ES3_PKdPddZZZN2at6native31launch_logcumsumexp_cuda_kernelERKNSB_10TensorBaseESF_lENKUlvE_clEvENKUlvE_clEvEUlddE_dEEDaPvRmT3_T4_T5_mT6_P12ihipStream_tbENKUlT_T0_E_clISt17integral_constantIbLb1EESV_IbLb0EEEEDaSR_SS_EUlSR_E0_NS1_11comp_targetILNS1_3genE8ELNS1_11target_archE1030ELNS1_3gpuE2ELNS1_3repE0EEENS1_30default_config_static_selectorELNS0_4arch9wavefront6targetE0EEEvT1_.uses_flat_scratch, 0
	.set _ZN7rocprim17ROCPRIM_400000_NS6detail17trampoline_kernelINS0_14default_configENS1_20scan_config_selectorIdEEZZNS1_9scan_implILNS1_25lookback_scan_determinismE0ELb0ELb0ES3_PKdPddZZZN2at6native31launch_logcumsumexp_cuda_kernelERKNSB_10TensorBaseESF_lENKUlvE_clEvENKUlvE_clEvEUlddE_dEEDaPvRmT3_T4_T5_mT6_P12ihipStream_tbENKUlT_T0_E_clISt17integral_constantIbLb1EESV_IbLb0EEEEDaSR_SS_EUlSR_E0_NS1_11comp_targetILNS1_3genE8ELNS1_11target_archE1030ELNS1_3gpuE2ELNS1_3repE0EEENS1_30default_config_static_selectorELNS0_4arch9wavefront6targetE0EEEvT1_.has_dyn_sized_stack, 0
	.set _ZN7rocprim17ROCPRIM_400000_NS6detail17trampoline_kernelINS0_14default_configENS1_20scan_config_selectorIdEEZZNS1_9scan_implILNS1_25lookback_scan_determinismE0ELb0ELb0ES3_PKdPddZZZN2at6native31launch_logcumsumexp_cuda_kernelERKNSB_10TensorBaseESF_lENKUlvE_clEvENKUlvE_clEvEUlddE_dEEDaPvRmT3_T4_T5_mT6_P12ihipStream_tbENKUlT_T0_E_clISt17integral_constantIbLb1EESV_IbLb0EEEEDaSR_SS_EUlSR_E0_NS1_11comp_targetILNS1_3genE8ELNS1_11target_archE1030ELNS1_3gpuE2ELNS1_3repE0EEENS1_30default_config_static_selectorELNS0_4arch9wavefront6targetE0EEEvT1_.has_recursion, 0
	.set _ZN7rocprim17ROCPRIM_400000_NS6detail17trampoline_kernelINS0_14default_configENS1_20scan_config_selectorIdEEZZNS1_9scan_implILNS1_25lookback_scan_determinismE0ELb0ELb0ES3_PKdPddZZZN2at6native31launch_logcumsumexp_cuda_kernelERKNSB_10TensorBaseESF_lENKUlvE_clEvENKUlvE_clEvEUlddE_dEEDaPvRmT3_T4_T5_mT6_P12ihipStream_tbENKUlT_T0_E_clISt17integral_constantIbLb1EESV_IbLb0EEEEDaSR_SS_EUlSR_E0_NS1_11comp_targetILNS1_3genE8ELNS1_11target_archE1030ELNS1_3gpuE2ELNS1_3repE0EEENS1_30default_config_static_selectorELNS0_4arch9wavefront6targetE0EEEvT1_.has_indirect_call, 0
	.section	.AMDGPU.csdata,"",@progbits
; Kernel info:
; codeLenInByte = 59720
; TotalNumSgprs: 46
; NumVgprs: 95
; ScratchSize: 0
; MemoryBound: 0
; FloatMode: 240
; IeeeMode: 1
; LDSByteSize: 14336 bytes/workgroup (compile time only)
; SGPRBlocks: 0
; VGPRBlocks: 12
; NumSGPRsForWavesPerEU: 46
; NumVGPRsForWavesPerEU: 97
; Occupancy: 9
; WaveLimiterHint : 0
; COMPUTE_PGM_RSRC2:SCRATCH_EN: 0
; COMPUTE_PGM_RSRC2:USER_SGPR: 6
; COMPUTE_PGM_RSRC2:TRAP_HANDLER: 0
; COMPUTE_PGM_RSRC2:TGID_X_EN: 1
; COMPUTE_PGM_RSRC2:TGID_Y_EN: 0
; COMPUTE_PGM_RSRC2:TGID_Z_EN: 0
; COMPUTE_PGM_RSRC2:TIDIG_COMP_CNT: 0
	.section	.text._ZN7rocprim17ROCPRIM_400000_NS6detail31init_lookback_scan_state_kernelINS1_19lookback_scan_stateIdLb0ELb1EEENS1_16block_id_wrapperIjLb1EEEEEvT_jT0_jPNS7_10value_typeE,"axG",@progbits,_ZN7rocprim17ROCPRIM_400000_NS6detail31init_lookback_scan_state_kernelINS1_19lookback_scan_stateIdLb0ELb1EEENS1_16block_id_wrapperIjLb1EEEEEvT_jT0_jPNS7_10value_typeE,comdat
	.protected	_ZN7rocprim17ROCPRIM_400000_NS6detail31init_lookback_scan_state_kernelINS1_19lookback_scan_stateIdLb0ELb1EEENS1_16block_id_wrapperIjLb1EEEEEvT_jT0_jPNS7_10value_typeE ; -- Begin function _ZN7rocprim17ROCPRIM_400000_NS6detail31init_lookback_scan_state_kernelINS1_19lookback_scan_stateIdLb0ELb1EEENS1_16block_id_wrapperIjLb1EEEEEvT_jT0_jPNS7_10value_typeE
	.globl	_ZN7rocprim17ROCPRIM_400000_NS6detail31init_lookback_scan_state_kernelINS1_19lookback_scan_stateIdLb0ELb1EEENS1_16block_id_wrapperIjLb1EEEEEvT_jT0_jPNS7_10value_typeE
	.p2align	8
	.type	_ZN7rocprim17ROCPRIM_400000_NS6detail31init_lookback_scan_state_kernelINS1_19lookback_scan_stateIdLb0ELb1EEENS1_16block_id_wrapperIjLb1EEEEEvT_jT0_jPNS7_10value_typeE,@function
_ZN7rocprim17ROCPRIM_400000_NS6detail31init_lookback_scan_state_kernelINS1_19lookback_scan_stateIdLb0ELb1EEENS1_16block_id_wrapperIjLb1EEEEEvT_jT0_jPNS7_10value_typeE: ; @_ZN7rocprim17ROCPRIM_400000_NS6detail31init_lookback_scan_state_kernelINS1_19lookback_scan_stateIdLb0ELb1EEENS1_16block_id_wrapperIjLb1EEEEEvT_jT0_jPNS7_10value_typeE
; %bb.0:
	s_clause 0x3
	s_load_dword s7, s[4:5], 0x34
	s_load_dwordx2 s[2:3], s[4:5], 0x20
	s_load_dwordx2 s[0:1], s[4:5], 0x0
	s_load_dword s8, s[4:5], 0x8
	s_waitcnt lgkmcnt(0)
	s_and_b32 s7, s7, 0xffff
	s_cmp_eq_u64 s[2:3], 0
	v_mad_u64_u32 v[0:1], null, s6, s7, v[0:1]
	s_cbranch_scc1 .LBB65_8
; %bb.1:
	s_load_dword s6, s[4:5], 0x18
	s_waitcnt lgkmcnt(0)
	s_cmp_lt_u32 s6, s8
	s_cselect_b32 s7, s6, 0
	v_cmp_eq_u32_e32 vcc_lo, s7, v0
	s_mov_b32 s7, 0
	s_and_saveexec_b32 s9, vcc_lo
	s_cbranch_execz .LBB65_7
; %bb.2:
	s_add_i32 s6, s6, 32
	v_mov_b32_e32 v5, 0
	s_lshl_b64 s[6:7], s[6:7], 4
	s_mov_b32 s10, exec_lo
	s_add_u32 s6, s0, s6
	s_addc_u32 s7, s1, s7
	v_mov_b32_e32 v1, s6
	v_mov_b32_e32 v2, s7
	;;#ASMSTART
	global_load_dwordx4 v[1:4], v[1:2] off glc dlc	
s_waitcnt vmcnt(0)
	;;#ASMEND
	v_and_b32_e32 v4, 0xff, v3
	v_cmpx_eq_u64_e32 0, v[4:5]
	s_cbranch_execz .LBB65_6
; %bb.3:
	v_mov_b32_e32 v6, s6
	v_mov_b32_e32 v7, s7
	s_mov_b32 s6, 0
.LBB65_4:                               ; =>This Inner Loop Header: Depth=1
	;;#ASMSTART
	global_load_dwordx4 v[1:4], v[6:7] off glc dlc	
s_waitcnt vmcnt(0)
	;;#ASMEND
	v_and_b32_e32 v4, 0xff, v3
	v_cmp_ne_u64_e32 vcc_lo, 0, v[4:5]
	s_or_b32 s6, vcc_lo, s6
	s_andn2_b32 exec_lo, exec_lo, s6
	s_cbranch_execnz .LBB65_4
; %bb.5:
	s_or_b32 exec_lo, exec_lo, s6
.LBB65_6:
	s_or_b32 exec_lo, exec_lo, s10
	v_mov_b32_e32 v3, 0
	global_store_dwordx2 v3, v[1:2], s[2:3]
.LBB65_7:
	s_or_b32 exec_lo, exec_lo, s9
.LBB65_8:
	s_mov_b32 s2, exec_lo
	v_cmpx_eq_u32_e32 0, v0
	s_cbranch_execz .LBB65_10
; %bb.9:
	s_load_dwordx2 s[4:5], s[4:5], 0x10
	v_mov_b32_e32 v1, 0
	s_waitcnt lgkmcnt(0)
	global_store_dword v1, v1, s[4:5]
.LBB65_10:
	s_or_b32 exec_lo, exec_lo, s2
	s_mov_b32 s2, exec_lo
	v_cmpx_gt_u32_e64 s8, v0
	s_cbranch_execz .LBB65_12
; %bb.11:
	v_add_nc_u32_e32 v1, 32, v0
	v_mov_b32_e32 v2, 0
	v_lshlrev_b64 v[4:5], 4, v[1:2]
	v_mov_b32_e32 v1, v2
	v_mov_b32_e32 v3, v2
	v_add_co_u32 v6, vcc_lo, s0, v4
	v_add_co_ci_u32_e64 v7, null, s1, v5, vcc_lo
	v_mov_b32_e32 v4, v2
	global_store_dwordx4 v[6:7], v[1:4], off
.LBB65_12:
	s_or_b32 exec_lo, exec_lo, s2
	s_mov_b32 s2, exec_lo
	v_cmpx_gt_u32_e32 32, v0
	s_cbranch_execz .LBB65_14
; %bb.13:
	v_mov_b32_e32 v1, 0
	v_mov_b32_e32 v2, 0xff
	v_lshlrev_b64 v[3:4], 4, v[0:1]
	v_mov_b32_e32 v0, v1
	v_add_co_u32 v5, vcc_lo, s0, v3
	v_add_co_ci_u32_e64 v6, null, s1, v4, vcc_lo
	v_mov_b32_e32 v3, v1
	global_store_dwordx4 v[5:6], v[0:3], off
.LBB65_14:
	s_endpgm
	.section	.rodata,"a",@progbits
	.p2align	6, 0x0
	.amdhsa_kernel _ZN7rocprim17ROCPRIM_400000_NS6detail31init_lookback_scan_state_kernelINS1_19lookback_scan_stateIdLb0ELb1EEENS1_16block_id_wrapperIjLb1EEEEEvT_jT0_jPNS7_10value_typeE
		.amdhsa_group_segment_fixed_size 0
		.amdhsa_private_segment_fixed_size 0
		.amdhsa_kernarg_size 296
		.amdhsa_user_sgpr_count 6
		.amdhsa_user_sgpr_private_segment_buffer 1
		.amdhsa_user_sgpr_dispatch_ptr 0
		.amdhsa_user_sgpr_queue_ptr 0
		.amdhsa_user_sgpr_kernarg_segment_ptr 1
		.amdhsa_user_sgpr_dispatch_id 0
		.amdhsa_user_sgpr_flat_scratch_init 0
		.amdhsa_user_sgpr_private_segment_size 0
		.amdhsa_wavefront_size32 1
		.amdhsa_uses_dynamic_stack 0
		.amdhsa_system_sgpr_private_segment_wavefront_offset 0
		.amdhsa_system_sgpr_workgroup_id_x 1
		.amdhsa_system_sgpr_workgroup_id_y 0
		.amdhsa_system_sgpr_workgroup_id_z 0
		.amdhsa_system_sgpr_workgroup_info 0
		.amdhsa_system_vgpr_workitem_id 0
		.amdhsa_next_free_vgpr 8
		.amdhsa_next_free_sgpr 11
		.amdhsa_reserve_vcc 1
		.amdhsa_reserve_flat_scratch 0
		.amdhsa_float_round_mode_32 0
		.amdhsa_float_round_mode_16_64 0
		.amdhsa_float_denorm_mode_32 3
		.amdhsa_float_denorm_mode_16_64 3
		.amdhsa_dx10_clamp 1
		.amdhsa_ieee_mode 1
		.amdhsa_fp16_overflow 0
		.amdhsa_workgroup_processor_mode 1
		.amdhsa_memory_ordered 1
		.amdhsa_forward_progress 1
		.amdhsa_shared_vgpr_count 0
		.amdhsa_exception_fp_ieee_invalid_op 0
		.amdhsa_exception_fp_denorm_src 0
		.amdhsa_exception_fp_ieee_div_zero 0
		.amdhsa_exception_fp_ieee_overflow 0
		.amdhsa_exception_fp_ieee_underflow 0
		.amdhsa_exception_fp_ieee_inexact 0
		.amdhsa_exception_int_div_zero 0
	.end_amdhsa_kernel
	.section	.text._ZN7rocprim17ROCPRIM_400000_NS6detail31init_lookback_scan_state_kernelINS1_19lookback_scan_stateIdLb0ELb1EEENS1_16block_id_wrapperIjLb1EEEEEvT_jT0_jPNS7_10value_typeE,"axG",@progbits,_ZN7rocprim17ROCPRIM_400000_NS6detail31init_lookback_scan_state_kernelINS1_19lookback_scan_stateIdLb0ELb1EEENS1_16block_id_wrapperIjLb1EEEEEvT_jT0_jPNS7_10value_typeE,comdat
.Lfunc_end65:
	.size	_ZN7rocprim17ROCPRIM_400000_NS6detail31init_lookback_scan_state_kernelINS1_19lookback_scan_stateIdLb0ELb1EEENS1_16block_id_wrapperIjLb1EEEEEvT_jT0_jPNS7_10value_typeE, .Lfunc_end65-_ZN7rocprim17ROCPRIM_400000_NS6detail31init_lookback_scan_state_kernelINS1_19lookback_scan_stateIdLb0ELb1EEENS1_16block_id_wrapperIjLb1EEEEEvT_jT0_jPNS7_10value_typeE
                                        ; -- End function
	.set _ZN7rocprim17ROCPRIM_400000_NS6detail31init_lookback_scan_state_kernelINS1_19lookback_scan_stateIdLb0ELb1EEENS1_16block_id_wrapperIjLb1EEEEEvT_jT0_jPNS7_10value_typeE.num_vgpr, 8
	.set _ZN7rocprim17ROCPRIM_400000_NS6detail31init_lookback_scan_state_kernelINS1_19lookback_scan_stateIdLb0ELb1EEENS1_16block_id_wrapperIjLb1EEEEEvT_jT0_jPNS7_10value_typeE.num_agpr, 0
	.set _ZN7rocprim17ROCPRIM_400000_NS6detail31init_lookback_scan_state_kernelINS1_19lookback_scan_stateIdLb0ELb1EEENS1_16block_id_wrapperIjLb1EEEEEvT_jT0_jPNS7_10value_typeE.numbered_sgpr, 11
	.set _ZN7rocprim17ROCPRIM_400000_NS6detail31init_lookback_scan_state_kernelINS1_19lookback_scan_stateIdLb0ELb1EEENS1_16block_id_wrapperIjLb1EEEEEvT_jT0_jPNS7_10value_typeE.num_named_barrier, 0
	.set _ZN7rocprim17ROCPRIM_400000_NS6detail31init_lookback_scan_state_kernelINS1_19lookback_scan_stateIdLb0ELb1EEENS1_16block_id_wrapperIjLb1EEEEEvT_jT0_jPNS7_10value_typeE.private_seg_size, 0
	.set _ZN7rocprim17ROCPRIM_400000_NS6detail31init_lookback_scan_state_kernelINS1_19lookback_scan_stateIdLb0ELb1EEENS1_16block_id_wrapperIjLb1EEEEEvT_jT0_jPNS7_10value_typeE.uses_vcc, 1
	.set _ZN7rocprim17ROCPRIM_400000_NS6detail31init_lookback_scan_state_kernelINS1_19lookback_scan_stateIdLb0ELb1EEENS1_16block_id_wrapperIjLb1EEEEEvT_jT0_jPNS7_10value_typeE.uses_flat_scratch, 0
	.set _ZN7rocprim17ROCPRIM_400000_NS6detail31init_lookback_scan_state_kernelINS1_19lookback_scan_stateIdLb0ELb1EEENS1_16block_id_wrapperIjLb1EEEEEvT_jT0_jPNS7_10value_typeE.has_dyn_sized_stack, 0
	.set _ZN7rocprim17ROCPRIM_400000_NS6detail31init_lookback_scan_state_kernelINS1_19lookback_scan_stateIdLb0ELb1EEENS1_16block_id_wrapperIjLb1EEEEEvT_jT0_jPNS7_10value_typeE.has_recursion, 0
	.set _ZN7rocprim17ROCPRIM_400000_NS6detail31init_lookback_scan_state_kernelINS1_19lookback_scan_stateIdLb0ELb1EEENS1_16block_id_wrapperIjLb1EEEEEvT_jT0_jPNS7_10value_typeE.has_indirect_call, 0
	.section	.AMDGPU.csdata,"",@progbits
; Kernel info:
; codeLenInByte = 468
; TotalNumSgprs: 13
; NumVgprs: 8
; ScratchSize: 0
; MemoryBound: 0
; FloatMode: 240
; IeeeMode: 1
; LDSByteSize: 0 bytes/workgroup (compile time only)
; SGPRBlocks: 0
; VGPRBlocks: 0
; NumSGPRsForWavesPerEU: 13
; NumVGPRsForWavesPerEU: 8
; Occupancy: 16
; WaveLimiterHint : 0
; COMPUTE_PGM_RSRC2:SCRATCH_EN: 0
; COMPUTE_PGM_RSRC2:USER_SGPR: 6
; COMPUTE_PGM_RSRC2:TRAP_HANDLER: 0
; COMPUTE_PGM_RSRC2:TGID_X_EN: 1
; COMPUTE_PGM_RSRC2:TGID_Y_EN: 0
; COMPUTE_PGM_RSRC2:TGID_Z_EN: 0
; COMPUTE_PGM_RSRC2:TIDIG_COMP_CNT: 0
	.section	.text._ZN7rocprim17ROCPRIM_400000_NS6detail17trampoline_kernelINS0_14default_configENS1_20scan_config_selectorIdEEZZNS1_9scan_implILNS1_25lookback_scan_determinismE0ELb0ELb0ES3_PKdPddZZZN2at6native31launch_logcumsumexp_cuda_kernelERKNSB_10TensorBaseESF_lENKUlvE_clEvENKUlvE_clEvEUlddE_dEEDaPvRmT3_T4_T5_mT6_P12ihipStream_tbENKUlT_T0_E_clISt17integral_constantIbLb0EESV_IbLb1EEEEDaSR_SS_EUlSR_E_NS1_11comp_targetILNS1_3genE0ELNS1_11target_archE4294967295ELNS1_3gpuE0ELNS1_3repE0EEENS1_30default_config_static_selectorELNS0_4arch9wavefront6targetE0EEEvT1_,"axG",@progbits,_ZN7rocprim17ROCPRIM_400000_NS6detail17trampoline_kernelINS0_14default_configENS1_20scan_config_selectorIdEEZZNS1_9scan_implILNS1_25lookback_scan_determinismE0ELb0ELb0ES3_PKdPddZZZN2at6native31launch_logcumsumexp_cuda_kernelERKNSB_10TensorBaseESF_lENKUlvE_clEvENKUlvE_clEvEUlddE_dEEDaPvRmT3_T4_T5_mT6_P12ihipStream_tbENKUlT_T0_E_clISt17integral_constantIbLb0EESV_IbLb1EEEEDaSR_SS_EUlSR_E_NS1_11comp_targetILNS1_3genE0ELNS1_11target_archE4294967295ELNS1_3gpuE0ELNS1_3repE0EEENS1_30default_config_static_selectorELNS0_4arch9wavefront6targetE0EEEvT1_,comdat
	.globl	_ZN7rocprim17ROCPRIM_400000_NS6detail17trampoline_kernelINS0_14default_configENS1_20scan_config_selectorIdEEZZNS1_9scan_implILNS1_25lookback_scan_determinismE0ELb0ELb0ES3_PKdPddZZZN2at6native31launch_logcumsumexp_cuda_kernelERKNSB_10TensorBaseESF_lENKUlvE_clEvENKUlvE_clEvEUlddE_dEEDaPvRmT3_T4_T5_mT6_P12ihipStream_tbENKUlT_T0_E_clISt17integral_constantIbLb0EESV_IbLb1EEEEDaSR_SS_EUlSR_E_NS1_11comp_targetILNS1_3genE0ELNS1_11target_archE4294967295ELNS1_3gpuE0ELNS1_3repE0EEENS1_30default_config_static_selectorELNS0_4arch9wavefront6targetE0EEEvT1_ ; -- Begin function _ZN7rocprim17ROCPRIM_400000_NS6detail17trampoline_kernelINS0_14default_configENS1_20scan_config_selectorIdEEZZNS1_9scan_implILNS1_25lookback_scan_determinismE0ELb0ELb0ES3_PKdPddZZZN2at6native31launch_logcumsumexp_cuda_kernelERKNSB_10TensorBaseESF_lENKUlvE_clEvENKUlvE_clEvEUlddE_dEEDaPvRmT3_T4_T5_mT6_P12ihipStream_tbENKUlT_T0_E_clISt17integral_constantIbLb0EESV_IbLb1EEEEDaSR_SS_EUlSR_E_NS1_11comp_targetILNS1_3genE0ELNS1_11target_archE4294967295ELNS1_3gpuE0ELNS1_3repE0EEENS1_30default_config_static_selectorELNS0_4arch9wavefront6targetE0EEEvT1_
	.p2align	8
	.type	_ZN7rocprim17ROCPRIM_400000_NS6detail17trampoline_kernelINS0_14default_configENS1_20scan_config_selectorIdEEZZNS1_9scan_implILNS1_25lookback_scan_determinismE0ELb0ELb0ES3_PKdPddZZZN2at6native31launch_logcumsumexp_cuda_kernelERKNSB_10TensorBaseESF_lENKUlvE_clEvENKUlvE_clEvEUlddE_dEEDaPvRmT3_T4_T5_mT6_P12ihipStream_tbENKUlT_T0_E_clISt17integral_constantIbLb0EESV_IbLb1EEEEDaSR_SS_EUlSR_E_NS1_11comp_targetILNS1_3genE0ELNS1_11target_archE4294967295ELNS1_3gpuE0ELNS1_3repE0EEENS1_30default_config_static_selectorELNS0_4arch9wavefront6targetE0EEEvT1_,@function
_ZN7rocprim17ROCPRIM_400000_NS6detail17trampoline_kernelINS0_14default_configENS1_20scan_config_selectorIdEEZZNS1_9scan_implILNS1_25lookback_scan_determinismE0ELb0ELb0ES3_PKdPddZZZN2at6native31launch_logcumsumexp_cuda_kernelERKNSB_10TensorBaseESF_lENKUlvE_clEvENKUlvE_clEvEUlddE_dEEDaPvRmT3_T4_T5_mT6_P12ihipStream_tbENKUlT_T0_E_clISt17integral_constantIbLb0EESV_IbLb1EEEEDaSR_SS_EUlSR_E_NS1_11comp_targetILNS1_3genE0ELNS1_11target_archE4294967295ELNS1_3gpuE0ELNS1_3repE0EEENS1_30default_config_static_selectorELNS0_4arch9wavefront6targetE0EEEvT1_: ; @_ZN7rocprim17ROCPRIM_400000_NS6detail17trampoline_kernelINS0_14default_configENS1_20scan_config_selectorIdEEZZNS1_9scan_implILNS1_25lookback_scan_determinismE0ELb0ELb0ES3_PKdPddZZZN2at6native31launch_logcumsumexp_cuda_kernelERKNSB_10TensorBaseESF_lENKUlvE_clEvENKUlvE_clEvEUlddE_dEEDaPvRmT3_T4_T5_mT6_P12ihipStream_tbENKUlT_T0_E_clISt17integral_constantIbLb0EESV_IbLb1EEEEDaSR_SS_EUlSR_E_NS1_11comp_targetILNS1_3genE0ELNS1_11target_archE4294967295ELNS1_3gpuE0ELNS1_3repE0EEENS1_30default_config_static_selectorELNS0_4arch9wavefront6targetE0EEEvT1_
; %bb.0:
	.section	.rodata,"a",@progbits
	.p2align	6, 0x0
	.amdhsa_kernel _ZN7rocprim17ROCPRIM_400000_NS6detail17trampoline_kernelINS0_14default_configENS1_20scan_config_selectorIdEEZZNS1_9scan_implILNS1_25lookback_scan_determinismE0ELb0ELb0ES3_PKdPddZZZN2at6native31launch_logcumsumexp_cuda_kernelERKNSB_10TensorBaseESF_lENKUlvE_clEvENKUlvE_clEvEUlddE_dEEDaPvRmT3_T4_T5_mT6_P12ihipStream_tbENKUlT_T0_E_clISt17integral_constantIbLb0EESV_IbLb1EEEEDaSR_SS_EUlSR_E_NS1_11comp_targetILNS1_3genE0ELNS1_11target_archE4294967295ELNS1_3gpuE0ELNS1_3repE0EEENS1_30default_config_static_selectorELNS0_4arch9wavefront6targetE0EEEvT1_
		.amdhsa_group_segment_fixed_size 0
		.amdhsa_private_segment_fixed_size 0
		.amdhsa_kernarg_size 104
		.amdhsa_user_sgpr_count 6
		.amdhsa_user_sgpr_private_segment_buffer 1
		.amdhsa_user_sgpr_dispatch_ptr 0
		.amdhsa_user_sgpr_queue_ptr 0
		.amdhsa_user_sgpr_kernarg_segment_ptr 1
		.amdhsa_user_sgpr_dispatch_id 0
		.amdhsa_user_sgpr_flat_scratch_init 0
		.amdhsa_user_sgpr_private_segment_size 0
		.amdhsa_wavefront_size32 1
		.amdhsa_uses_dynamic_stack 0
		.amdhsa_system_sgpr_private_segment_wavefront_offset 0
		.amdhsa_system_sgpr_workgroup_id_x 1
		.amdhsa_system_sgpr_workgroup_id_y 0
		.amdhsa_system_sgpr_workgroup_id_z 0
		.amdhsa_system_sgpr_workgroup_info 0
		.amdhsa_system_vgpr_workitem_id 0
		.amdhsa_next_free_vgpr 1
		.amdhsa_next_free_sgpr 1
		.amdhsa_reserve_vcc 0
		.amdhsa_reserve_flat_scratch 0
		.amdhsa_float_round_mode_32 0
		.amdhsa_float_round_mode_16_64 0
		.amdhsa_float_denorm_mode_32 3
		.amdhsa_float_denorm_mode_16_64 3
		.amdhsa_dx10_clamp 1
		.amdhsa_ieee_mode 1
		.amdhsa_fp16_overflow 0
		.amdhsa_workgroup_processor_mode 1
		.amdhsa_memory_ordered 1
		.amdhsa_forward_progress 1
		.amdhsa_shared_vgpr_count 0
		.amdhsa_exception_fp_ieee_invalid_op 0
		.amdhsa_exception_fp_denorm_src 0
		.amdhsa_exception_fp_ieee_div_zero 0
		.amdhsa_exception_fp_ieee_overflow 0
		.amdhsa_exception_fp_ieee_underflow 0
		.amdhsa_exception_fp_ieee_inexact 0
		.amdhsa_exception_int_div_zero 0
	.end_amdhsa_kernel
	.section	.text._ZN7rocprim17ROCPRIM_400000_NS6detail17trampoline_kernelINS0_14default_configENS1_20scan_config_selectorIdEEZZNS1_9scan_implILNS1_25lookback_scan_determinismE0ELb0ELb0ES3_PKdPddZZZN2at6native31launch_logcumsumexp_cuda_kernelERKNSB_10TensorBaseESF_lENKUlvE_clEvENKUlvE_clEvEUlddE_dEEDaPvRmT3_T4_T5_mT6_P12ihipStream_tbENKUlT_T0_E_clISt17integral_constantIbLb0EESV_IbLb1EEEEDaSR_SS_EUlSR_E_NS1_11comp_targetILNS1_3genE0ELNS1_11target_archE4294967295ELNS1_3gpuE0ELNS1_3repE0EEENS1_30default_config_static_selectorELNS0_4arch9wavefront6targetE0EEEvT1_,"axG",@progbits,_ZN7rocprim17ROCPRIM_400000_NS6detail17trampoline_kernelINS0_14default_configENS1_20scan_config_selectorIdEEZZNS1_9scan_implILNS1_25lookback_scan_determinismE0ELb0ELb0ES3_PKdPddZZZN2at6native31launch_logcumsumexp_cuda_kernelERKNSB_10TensorBaseESF_lENKUlvE_clEvENKUlvE_clEvEUlddE_dEEDaPvRmT3_T4_T5_mT6_P12ihipStream_tbENKUlT_T0_E_clISt17integral_constantIbLb0EESV_IbLb1EEEEDaSR_SS_EUlSR_E_NS1_11comp_targetILNS1_3genE0ELNS1_11target_archE4294967295ELNS1_3gpuE0ELNS1_3repE0EEENS1_30default_config_static_selectorELNS0_4arch9wavefront6targetE0EEEvT1_,comdat
.Lfunc_end66:
	.size	_ZN7rocprim17ROCPRIM_400000_NS6detail17trampoline_kernelINS0_14default_configENS1_20scan_config_selectorIdEEZZNS1_9scan_implILNS1_25lookback_scan_determinismE0ELb0ELb0ES3_PKdPddZZZN2at6native31launch_logcumsumexp_cuda_kernelERKNSB_10TensorBaseESF_lENKUlvE_clEvENKUlvE_clEvEUlddE_dEEDaPvRmT3_T4_T5_mT6_P12ihipStream_tbENKUlT_T0_E_clISt17integral_constantIbLb0EESV_IbLb1EEEEDaSR_SS_EUlSR_E_NS1_11comp_targetILNS1_3genE0ELNS1_11target_archE4294967295ELNS1_3gpuE0ELNS1_3repE0EEENS1_30default_config_static_selectorELNS0_4arch9wavefront6targetE0EEEvT1_, .Lfunc_end66-_ZN7rocprim17ROCPRIM_400000_NS6detail17trampoline_kernelINS0_14default_configENS1_20scan_config_selectorIdEEZZNS1_9scan_implILNS1_25lookback_scan_determinismE0ELb0ELb0ES3_PKdPddZZZN2at6native31launch_logcumsumexp_cuda_kernelERKNSB_10TensorBaseESF_lENKUlvE_clEvENKUlvE_clEvEUlddE_dEEDaPvRmT3_T4_T5_mT6_P12ihipStream_tbENKUlT_T0_E_clISt17integral_constantIbLb0EESV_IbLb1EEEEDaSR_SS_EUlSR_E_NS1_11comp_targetILNS1_3genE0ELNS1_11target_archE4294967295ELNS1_3gpuE0ELNS1_3repE0EEENS1_30default_config_static_selectorELNS0_4arch9wavefront6targetE0EEEvT1_
                                        ; -- End function
	.set _ZN7rocprim17ROCPRIM_400000_NS6detail17trampoline_kernelINS0_14default_configENS1_20scan_config_selectorIdEEZZNS1_9scan_implILNS1_25lookback_scan_determinismE0ELb0ELb0ES3_PKdPddZZZN2at6native31launch_logcumsumexp_cuda_kernelERKNSB_10TensorBaseESF_lENKUlvE_clEvENKUlvE_clEvEUlddE_dEEDaPvRmT3_T4_T5_mT6_P12ihipStream_tbENKUlT_T0_E_clISt17integral_constantIbLb0EESV_IbLb1EEEEDaSR_SS_EUlSR_E_NS1_11comp_targetILNS1_3genE0ELNS1_11target_archE4294967295ELNS1_3gpuE0ELNS1_3repE0EEENS1_30default_config_static_selectorELNS0_4arch9wavefront6targetE0EEEvT1_.num_vgpr, 0
	.set _ZN7rocprim17ROCPRIM_400000_NS6detail17trampoline_kernelINS0_14default_configENS1_20scan_config_selectorIdEEZZNS1_9scan_implILNS1_25lookback_scan_determinismE0ELb0ELb0ES3_PKdPddZZZN2at6native31launch_logcumsumexp_cuda_kernelERKNSB_10TensorBaseESF_lENKUlvE_clEvENKUlvE_clEvEUlddE_dEEDaPvRmT3_T4_T5_mT6_P12ihipStream_tbENKUlT_T0_E_clISt17integral_constantIbLb0EESV_IbLb1EEEEDaSR_SS_EUlSR_E_NS1_11comp_targetILNS1_3genE0ELNS1_11target_archE4294967295ELNS1_3gpuE0ELNS1_3repE0EEENS1_30default_config_static_selectorELNS0_4arch9wavefront6targetE0EEEvT1_.num_agpr, 0
	.set _ZN7rocprim17ROCPRIM_400000_NS6detail17trampoline_kernelINS0_14default_configENS1_20scan_config_selectorIdEEZZNS1_9scan_implILNS1_25lookback_scan_determinismE0ELb0ELb0ES3_PKdPddZZZN2at6native31launch_logcumsumexp_cuda_kernelERKNSB_10TensorBaseESF_lENKUlvE_clEvENKUlvE_clEvEUlddE_dEEDaPvRmT3_T4_T5_mT6_P12ihipStream_tbENKUlT_T0_E_clISt17integral_constantIbLb0EESV_IbLb1EEEEDaSR_SS_EUlSR_E_NS1_11comp_targetILNS1_3genE0ELNS1_11target_archE4294967295ELNS1_3gpuE0ELNS1_3repE0EEENS1_30default_config_static_selectorELNS0_4arch9wavefront6targetE0EEEvT1_.numbered_sgpr, 0
	.set _ZN7rocprim17ROCPRIM_400000_NS6detail17trampoline_kernelINS0_14default_configENS1_20scan_config_selectorIdEEZZNS1_9scan_implILNS1_25lookback_scan_determinismE0ELb0ELb0ES3_PKdPddZZZN2at6native31launch_logcumsumexp_cuda_kernelERKNSB_10TensorBaseESF_lENKUlvE_clEvENKUlvE_clEvEUlddE_dEEDaPvRmT3_T4_T5_mT6_P12ihipStream_tbENKUlT_T0_E_clISt17integral_constantIbLb0EESV_IbLb1EEEEDaSR_SS_EUlSR_E_NS1_11comp_targetILNS1_3genE0ELNS1_11target_archE4294967295ELNS1_3gpuE0ELNS1_3repE0EEENS1_30default_config_static_selectorELNS0_4arch9wavefront6targetE0EEEvT1_.num_named_barrier, 0
	.set _ZN7rocprim17ROCPRIM_400000_NS6detail17trampoline_kernelINS0_14default_configENS1_20scan_config_selectorIdEEZZNS1_9scan_implILNS1_25lookback_scan_determinismE0ELb0ELb0ES3_PKdPddZZZN2at6native31launch_logcumsumexp_cuda_kernelERKNSB_10TensorBaseESF_lENKUlvE_clEvENKUlvE_clEvEUlddE_dEEDaPvRmT3_T4_T5_mT6_P12ihipStream_tbENKUlT_T0_E_clISt17integral_constantIbLb0EESV_IbLb1EEEEDaSR_SS_EUlSR_E_NS1_11comp_targetILNS1_3genE0ELNS1_11target_archE4294967295ELNS1_3gpuE0ELNS1_3repE0EEENS1_30default_config_static_selectorELNS0_4arch9wavefront6targetE0EEEvT1_.private_seg_size, 0
	.set _ZN7rocprim17ROCPRIM_400000_NS6detail17trampoline_kernelINS0_14default_configENS1_20scan_config_selectorIdEEZZNS1_9scan_implILNS1_25lookback_scan_determinismE0ELb0ELb0ES3_PKdPddZZZN2at6native31launch_logcumsumexp_cuda_kernelERKNSB_10TensorBaseESF_lENKUlvE_clEvENKUlvE_clEvEUlddE_dEEDaPvRmT3_T4_T5_mT6_P12ihipStream_tbENKUlT_T0_E_clISt17integral_constantIbLb0EESV_IbLb1EEEEDaSR_SS_EUlSR_E_NS1_11comp_targetILNS1_3genE0ELNS1_11target_archE4294967295ELNS1_3gpuE0ELNS1_3repE0EEENS1_30default_config_static_selectorELNS0_4arch9wavefront6targetE0EEEvT1_.uses_vcc, 0
	.set _ZN7rocprim17ROCPRIM_400000_NS6detail17trampoline_kernelINS0_14default_configENS1_20scan_config_selectorIdEEZZNS1_9scan_implILNS1_25lookback_scan_determinismE0ELb0ELb0ES3_PKdPddZZZN2at6native31launch_logcumsumexp_cuda_kernelERKNSB_10TensorBaseESF_lENKUlvE_clEvENKUlvE_clEvEUlddE_dEEDaPvRmT3_T4_T5_mT6_P12ihipStream_tbENKUlT_T0_E_clISt17integral_constantIbLb0EESV_IbLb1EEEEDaSR_SS_EUlSR_E_NS1_11comp_targetILNS1_3genE0ELNS1_11target_archE4294967295ELNS1_3gpuE0ELNS1_3repE0EEENS1_30default_config_static_selectorELNS0_4arch9wavefront6targetE0EEEvT1_.uses_flat_scratch, 0
	.set _ZN7rocprim17ROCPRIM_400000_NS6detail17trampoline_kernelINS0_14default_configENS1_20scan_config_selectorIdEEZZNS1_9scan_implILNS1_25lookback_scan_determinismE0ELb0ELb0ES3_PKdPddZZZN2at6native31launch_logcumsumexp_cuda_kernelERKNSB_10TensorBaseESF_lENKUlvE_clEvENKUlvE_clEvEUlddE_dEEDaPvRmT3_T4_T5_mT6_P12ihipStream_tbENKUlT_T0_E_clISt17integral_constantIbLb0EESV_IbLb1EEEEDaSR_SS_EUlSR_E_NS1_11comp_targetILNS1_3genE0ELNS1_11target_archE4294967295ELNS1_3gpuE0ELNS1_3repE0EEENS1_30default_config_static_selectorELNS0_4arch9wavefront6targetE0EEEvT1_.has_dyn_sized_stack, 0
	.set _ZN7rocprim17ROCPRIM_400000_NS6detail17trampoline_kernelINS0_14default_configENS1_20scan_config_selectorIdEEZZNS1_9scan_implILNS1_25lookback_scan_determinismE0ELb0ELb0ES3_PKdPddZZZN2at6native31launch_logcumsumexp_cuda_kernelERKNSB_10TensorBaseESF_lENKUlvE_clEvENKUlvE_clEvEUlddE_dEEDaPvRmT3_T4_T5_mT6_P12ihipStream_tbENKUlT_T0_E_clISt17integral_constantIbLb0EESV_IbLb1EEEEDaSR_SS_EUlSR_E_NS1_11comp_targetILNS1_3genE0ELNS1_11target_archE4294967295ELNS1_3gpuE0ELNS1_3repE0EEENS1_30default_config_static_selectorELNS0_4arch9wavefront6targetE0EEEvT1_.has_recursion, 0
	.set _ZN7rocprim17ROCPRIM_400000_NS6detail17trampoline_kernelINS0_14default_configENS1_20scan_config_selectorIdEEZZNS1_9scan_implILNS1_25lookback_scan_determinismE0ELb0ELb0ES3_PKdPddZZZN2at6native31launch_logcumsumexp_cuda_kernelERKNSB_10TensorBaseESF_lENKUlvE_clEvENKUlvE_clEvEUlddE_dEEDaPvRmT3_T4_T5_mT6_P12ihipStream_tbENKUlT_T0_E_clISt17integral_constantIbLb0EESV_IbLb1EEEEDaSR_SS_EUlSR_E_NS1_11comp_targetILNS1_3genE0ELNS1_11target_archE4294967295ELNS1_3gpuE0ELNS1_3repE0EEENS1_30default_config_static_selectorELNS0_4arch9wavefront6targetE0EEEvT1_.has_indirect_call, 0
	.section	.AMDGPU.csdata,"",@progbits
; Kernel info:
; codeLenInByte = 0
; TotalNumSgprs: 0
; NumVgprs: 0
; ScratchSize: 0
; MemoryBound: 0
; FloatMode: 240
; IeeeMode: 1
; LDSByteSize: 0 bytes/workgroup (compile time only)
; SGPRBlocks: 0
; VGPRBlocks: 0
; NumSGPRsForWavesPerEU: 1
; NumVGPRsForWavesPerEU: 1
; Occupancy: 16
; WaveLimiterHint : 0
; COMPUTE_PGM_RSRC2:SCRATCH_EN: 0
; COMPUTE_PGM_RSRC2:USER_SGPR: 6
; COMPUTE_PGM_RSRC2:TRAP_HANDLER: 0
; COMPUTE_PGM_RSRC2:TGID_X_EN: 1
; COMPUTE_PGM_RSRC2:TGID_Y_EN: 0
; COMPUTE_PGM_RSRC2:TGID_Z_EN: 0
; COMPUTE_PGM_RSRC2:TIDIG_COMP_CNT: 0
	.section	.text._ZN7rocprim17ROCPRIM_400000_NS6detail17trampoline_kernelINS0_14default_configENS1_20scan_config_selectorIdEEZZNS1_9scan_implILNS1_25lookback_scan_determinismE0ELb0ELb0ES3_PKdPddZZZN2at6native31launch_logcumsumexp_cuda_kernelERKNSB_10TensorBaseESF_lENKUlvE_clEvENKUlvE_clEvEUlddE_dEEDaPvRmT3_T4_T5_mT6_P12ihipStream_tbENKUlT_T0_E_clISt17integral_constantIbLb0EESV_IbLb1EEEEDaSR_SS_EUlSR_E_NS1_11comp_targetILNS1_3genE5ELNS1_11target_archE942ELNS1_3gpuE9ELNS1_3repE0EEENS1_30default_config_static_selectorELNS0_4arch9wavefront6targetE0EEEvT1_,"axG",@progbits,_ZN7rocprim17ROCPRIM_400000_NS6detail17trampoline_kernelINS0_14default_configENS1_20scan_config_selectorIdEEZZNS1_9scan_implILNS1_25lookback_scan_determinismE0ELb0ELb0ES3_PKdPddZZZN2at6native31launch_logcumsumexp_cuda_kernelERKNSB_10TensorBaseESF_lENKUlvE_clEvENKUlvE_clEvEUlddE_dEEDaPvRmT3_T4_T5_mT6_P12ihipStream_tbENKUlT_T0_E_clISt17integral_constantIbLb0EESV_IbLb1EEEEDaSR_SS_EUlSR_E_NS1_11comp_targetILNS1_3genE5ELNS1_11target_archE942ELNS1_3gpuE9ELNS1_3repE0EEENS1_30default_config_static_selectorELNS0_4arch9wavefront6targetE0EEEvT1_,comdat
	.globl	_ZN7rocprim17ROCPRIM_400000_NS6detail17trampoline_kernelINS0_14default_configENS1_20scan_config_selectorIdEEZZNS1_9scan_implILNS1_25lookback_scan_determinismE0ELb0ELb0ES3_PKdPddZZZN2at6native31launch_logcumsumexp_cuda_kernelERKNSB_10TensorBaseESF_lENKUlvE_clEvENKUlvE_clEvEUlddE_dEEDaPvRmT3_T4_T5_mT6_P12ihipStream_tbENKUlT_T0_E_clISt17integral_constantIbLb0EESV_IbLb1EEEEDaSR_SS_EUlSR_E_NS1_11comp_targetILNS1_3genE5ELNS1_11target_archE942ELNS1_3gpuE9ELNS1_3repE0EEENS1_30default_config_static_selectorELNS0_4arch9wavefront6targetE0EEEvT1_ ; -- Begin function _ZN7rocprim17ROCPRIM_400000_NS6detail17trampoline_kernelINS0_14default_configENS1_20scan_config_selectorIdEEZZNS1_9scan_implILNS1_25lookback_scan_determinismE0ELb0ELb0ES3_PKdPddZZZN2at6native31launch_logcumsumexp_cuda_kernelERKNSB_10TensorBaseESF_lENKUlvE_clEvENKUlvE_clEvEUlddE_dEEDaPvRmT3_T4_T5_mT6_P12ihipStream_tbENKUlT_T0_E_clISt17integral_constantIbLb0EESV_IbLb1EEEEDaSR_SS_EUlSR_E_NS1_11comp_targetILNS1_3genE5ELNS1_11target_archE942ELNS1_3gpuE9ELNS1_3repE0EEENS1_30default_config_static_selectorELNS0_4arch9wavefront6targetE0EEEvT1_
	.p2align	8
	.type	_ZN7rocprim17ROCPRIM_400000_NS6detail17trampoline_kernelINS0_14default_configENS1_20scan_config_selectorIdEEZZNS1_9scan_implILNS1_25lookback_scan_determinismE0ELb0ELb0ES3_PKdPddZZZN2at6native31launch_logcumsumexp_cuda_kernelERKNSB_10TensorBaseESF_lENKUlvE_clEvENKUlvE_clEvEUlddE_dEEDaPvRmT3_T4_T5_mT6_P12ihipStream_tbENKUlT_T0_E_clISt17integral_constantIbLb0EESV_IbLb1EEEEDaSR_SS_EUlSR_E_NS1_11comp_targetILNS1_3genE5ELNS1_11target_archE942ELNS1_3gpuE9ELNS1_3repE0EEENS1_30default_config_static_selectorELNS0_4arch9wavefront6targetE0EEEvT1_,@function
_ZN7rocprim17ROCPRIM_400000_NS6detail17trampoline_kernelINS0_14default_configENS1_20scan_config_selectorIdEEZZNS1_9scan_implILNS1_25lookback_scan_determinismE0ELb0ELb0ES3_PKdPddZZZN2at6native31launch_logcumsumexp_cuda_kernelERKNSB_10TensorBaseESF_lENKUlvE_clEvENKUlvE_clEvEUlddE_dEEDaPvRmT3_T4_T5_mT6_P12ihipStream_tbENKUlT_T0_E_clISt17integral_constantIbLb0EESV_IbLb1EEEEDaSR_SS_EUlSR_E_NS1_11comp_targetILNS1_3genE5ELNS1_11target_archE942ELNS1_3gpuE9ELNS1_3repE0EEENS1_30default_config_static_selectorELNS0_4arch9wavefront6targetE0EEEvT1_: ; @_ZN7rocprim17ROCPRIM_400000_NS6detail17trampoline_kernelINS0_14default_configENS1_20scan_config_selectorIdEEZZNS1_9scan_implILNS1_25lookback_scan_determinismE0ELb0ELb0ES3_PKdPddZZZN2at6native31launch_logcumsumexp_cuda_kernelERKNSB_10TensorBaseESF_lENKUlvE_clEvENKUlvE_clEvEUlddE_dEEDaPvRmT3_T4_T5_mT6_P12ihipStream_tbENKUlT_T0_E_clISt17integral_constantIbLb0EESV_IbLb1EEEEDaSR_SS_EUlSR_E_NS1_11comp_targetILNS1_3genE5ELNS1_11target_archE942ELNS1_3gpuE9ELNS1_3repE0EEENS1_30default_config_static_selectorELNS0_4arch9wavefront6targetE0EEEvT1_
; %bb.0:
	.section	.rodata,"a",@progbits
	.p2align	6, 0x0
	.amdhsa_kernel _ZN7rocprim17ROCPRIM_400000_NS6detail17trampoline_kernelINS0_14default_configENS1_20scan_config_selectorIdEEZZNS1_9scan_implILNS1_25lookback_scan_determinismE0ELb0ELb0ES3_PKdPddZZZN2at6native31launch_logcumsumexp_cuda_kernelERKNSB_10TensorBaseESF_lENKUlvE_clEvENKUlvE_clEvEUlddE_dEEDaPvRmT3_T4_T5_mT6_P12ihipStream_tbENKUlT_T0_E_clISt17integral_constantIbLb0EESV_IbLb1EEEEDaSR_SS_EUlSR_E_NS1_11comp_targetILNS1_3genE5ELNS1_11target_archE942ELNS1_3gpuE9ELNS1_3repE0EEENS1_30default_config_static_selectorELNS0_4arch9wavefront6targetE0EEEvT1_
		.amdhsa_group_segment_fixed_size 0
		.amdhsa_private_segment_fixed_size 0
		.amdhsa_kernarg_size 104
		.amdhsa_user_sgpr_count 6
		.amdhsa_user_sgpr_private_segment_buffer 1
		.amdhsa_user_sgpr_dispatch_ptr 0
		.amdhsa_user_sgpr_queue_ptr 0
		.amdhsa_user_sgpr_kernarg_segment_ptr 1
		.amdhsa_user_sgpr_dispatch_id 0
		.amdhsa_user_sgpr_flat_scratch_init 0
		.amdhsa_user_sgpr_private_segment_size 0
		.amdhsa_wavefront_size32 1
		.amdhsa_uses_dynamic_stack 0
		.amdhsa_system_sgpr_private_segment_wavefront_offset 0
		.amdhsa_system_sgpr_workgroup_id_x 1
		.amdhsa_system_sgpr_workgroup_id_y 0
		.amdhsa_system_sgpr_workgroup_id_z 0
		.amdhsa_system_sgpr_workgroup_info 0
		.amdhsa_system_vgpr_workitem_id 0
		.amdhsa_next_free_vgpr 1
		.amdhsa_next_free_sgpr 1
		.amdhsa_reserve_vcc 0
		.amdhsa_reserve_flat_scratch 0
		.amdhsa_float_round_mode_32 0
		.amdhsa_float_round_mode_16_64 0
		.amdhsa_float_denorm_mode_32 3
		.amdhsa_float_denorm_mode_16_64 3
		.amdhsa_dx10_clamp 1
		.amdhsa_ieee_mode 1
		.amdhsa_fp16_overflow 0
		.amdhsa_workgroup_processor_mode 1
		.amdhsa_memory_ordered 1
		.amdhsa_forward_progress 1
		.amdhsa_shared_vgpr_count 0
		.amdhsa_exception_fp_ieee_invalid_op 0
		.amdhsa_exception_fp_denorm_src 0
		.amdhsa_exception_fp_ieee_div_zero 0
		.amdhsa_exception_fp_ieee_overflow 0
		.amdhsa_exception_fp_ieee_underflow 0
		.amdhsa_exception_fp_ieee_inexact 0
		.amdhsa_exception_int_div_zero 0
	.end_amdhsa_kernel
	.section	.text._ZN7rocprim17ROCPRIM_400000_NS6detail17trampoline_kernelINS0_14default_configENS1_20scan_config_selectorIdEEZZNS1_9scan_implILNS1_25lookback_scan_determinismE0ELb0ELb0ES3_PKdPddZZZN2at6native31launch_logcumsumexp_cuda_kernelERKNSB_10TensorBaseESF_lENKUlvE_clEvENKUlvE_clEvEUlddE_dEEDaPvRmT3_T4_T5_mT6_P12ihipStream_tbENKUlT_T0_E_clISt17integral_constantIbLb0EESV_IbLb1EEEEDaSR_SS_EUlSR_E_NS1_11comp_targetILNS1_3genE5ELNS1_11target_archE942ELNS1_3gpuE9ELNS1_3repE0EEENS1_30default_config_static_selectorELNS0_4arch9wavefront6targetE0EEEvT1_,"axG",@progbits,_ZN7rocprim17ROCPRIM_400000_NS6detail17trampoline_kernelINS0_14default_configENS1_20scan_config_selectorIdEEZZNS1_9scan_implILNS1_25lookback_scan_determinismE0ELb0ELb0ES3_PKdPddZZZN2at6native31launch_logcumsumexp_cuda_kernelERKNSB_10TensorBaseESF_lENKUlvE_clEvENKUlvE_clEvEUlddE_dEEDaPvRmT3_T4_T5_mT6_P12ihipStream_tbENKUlT_T0_E_clISt17integral_constantIbLb0EESV_IbLb1EEEEDaSR_SS_EUlSR_E_NS1_11comp_targetILNS1_3genE5ELNS1_11target_archE942ELNS1_3gpuE9ELNS1_3repE0EEENS1_30default_config_static_selectorELNS0_4arch9wavefront6targetE0EEEvT1_,comdat
.Lfunc_end67:
	.size	_ZN7rocprim17ROCPRIM_400000_NS6detail17trampoline_kernelINS0_14default_configENS1_20scan_config_selectorIdEEZZNS1_9scan_implILNS1_25lookback_scan_determinismE0ELb0ELb0ES3_PKdPddZZZN2at6native31launch_logcumsumexp_cuda_kernelERKNSB_10TensorBaseESF_lENKUlvE_clEvENKUlvE_clEvEUlddE_dEEDaPvRmT3_T4_T5_mT6_P12ihipStream_tbENKUlT_T0_E_clISt17integral_constantIbLb0EESV_IbLb1EEEEDaSR_SS_EUlSR_E_NS1_11comp_targetILNS1_3genE5ELNS1_11target_archE942ELNS1_3gpuE9ELNS1_3repE0EEENS1_30default_config_static_selectorELNS0_4arch9wavefront6targetE0EEEvT1_, .Lfunc_end67-_ZN7rocprim17ROCPRIM_400000_NS6detail17trampoline_kernelINS0_14default_configENS1_20scan_config_selectorIdEEZZNS1_9scan_implILNS1_25lookback_scan_determinismE0ELb0ELb0ES3_PKdPddZZZN2at6native31launch_logcumsumexp_cuda_kernelERKNSB_10TensorBaseESF_lENKUlvE_clEvENKUlvE_clEvEUlddE_dEEDaPvRmT3_T4_T5_mT6_P12ihipStream_tbENKUlT_T0_E_clISt17integral_constantIbLb0EESV_IbLb1EEEEDaSR_SS_EUlSR_E_NS1_11comp_targetILNS1_3genE5ELNS1_11target_archE942ELNS1_3gpuE9ELNS1_3repE0EEENS1_30default_config_static_selectorELNS0_4arch9wavefront6targetE0EEEvT1_
                                        ; -- End function
	.set _ZN7rocprim17ROCPRIM_400000_NS6detail17trampoline_kernelINS0_14default_configENS1_20scan_config_selectorIdEEZZNS1_9scan_implILNS1_25lookback_scan_determinismE0ELb0ELb0ES3_PKdPddZZZN2at6native31launch_logcumsumexp_cuda_kernelERKNSB_10TensorBaseESF_lENKUlvE_clEvENKUlvE_clEvEUlddE_dEEDaPvRmT3_T4_T5_mT6_P12ihipStream_tbENKUlT_T0_E_clISt17integral_constantIbLb0EESV_IbLb1EEEEDaSR_SS_EUlSR_E_NS1_11comp_targetILNS1_3genE5ELNS1_11target_archE942ELNS1_3gpuE9ELNS1_3repE0EEENS1_30default_config_static_selectorELNS0_4arch9wavefront6targetE0EEEvT1_.num_vgpr, 0
	.set _ZN7rocprim17ROCPRIM_400000_NS6detail17trampoline_kernelINS0_14default_configENS1_20scan_config_selectorIdEEZZNS1_9scan_implILNS1_25lookback_scan_determinismE0ELb0ELb0ES3_PKdPddZZZN2at6native31launch_logcumsumexp_cuda_kernelERKNSB_10TensorBaseESF_lENKUlvE_clEvENKUlvE_clEvEUlddE_dEEDaPvRmT3_T4_T5_mT6_P12ihipStream_tbENKUlT_T0_E_clISt17integral_constantIbLb0EESV_IbLb1EEEEDaSR_SS_EUlSR_E_NS1_11comp_targetILNS1_3genE5ELNS1_11target_archE942ELNS1_3gpuE9ELNS1_3repE0EEENS1_30default_config_static_selectorELNS0_4arch9wavefront6targetE0EEEvT1_.num_agpr, 0
	.set _ZN7rocprim17ROCPRIM_400000_NS6detail17trampoline_kernelINS0_14default_configENS1_20scan_config_selectorIdEEZZNS1_9scan_implILNS1_25lookback_scan_determinismE0ELb0ELb0ES3_PKdPddZZZN2at6native31launch_logcumsumexp_cuda_kernelERKNSB_10TensorBaseESF_lENKUlvE_clEvENKUlvE_clEvEUlddE_dEEDaPvRmT3_T4_T5_mT6_P12ihipStream_tbENKUlT_T0_E_clISt17integral_constantIbLb0EESV_IbLb1EEEEDaSR_SS_EUlSR_E_NS1_11comp_targetILNS1_3genE5ELNS1_11target_archE942ELNS1_3gpuE9ELNS1_3repE0EEENS1_30default_config_static_selectorELNS0_4arch9wavefront6targetE0EEEvT1_.numbered_sgpr, 0
	.set _ZN7rocprim17ROCPRIM_400000_NS6detail17trampoline_kernelINS0_14default_configENS1_20scan_config_selectorIdEEZZNS1_9scan_implILNS1_25lookback_scan_determinismE0ELb0ELb0ES3_PKdPddZZZN2at6native31launch_logcumsumexp_cuda_kernelERKNSB_10TensorBaseESF_lENKUlvE_clEvENKUlvE_clEvEUlddE_dEEDaPvRmT3_T4_T5_mT6_P12ihipStream_tbENKUlT_T0_E_clISt17integral_constantIbLb0EESV_IbLb1EEEEDaSR_SS_EUlSR_E_NS1_11comp_targetILNS1_3genE5ELNS1_11target_archE942ELNS1_3gpuE9ELNS1_3repE0EEENS1_30default_config_static_selectorELNS0_4arch9wavefront6targetE0EEEvT1_.num_named_barrier, 0
	.set _ZN7rocprim17ROCPRIM_400000_NS6detail17trampoline_kernelINS0_14default_configENS1_20scan_config_selectorIdEEZZNS1_9scan_implILNS1_25lookback_scan_determinismE0ELb0ELb0ES3_PKdPddZZZN2at6native31launch_logcumsumexp_cuda_kernelERKNSB_10TensorBaseESF_lENKUlvE_clEvENKUlvE_clEvEUlddE_dEEDaPvRmT3_T4_T5_mT6_P12ihipStream_tbENKUlT_T0_E_clISt17integral_constantIbLb0EESV_IbLb1EEEEDaSR_SS_EUlSR_E_NS1_11comp_targetILNS1_3genE5ELNS1_11target_archE942ELNS1_3gpuE9ELNS1_3repE0EEENS1_30default_config_static_selectorELNS0_4arch9wavefront6targetE0EEEvT1_.private_seg_size, 0
	.set _ZN7rocprim17ROCPRIM_400000_NS6detail17trampoline_kernelINS0_14default_configENS1_20scan_config_selectorIdEEZZNS1_9scan_implILNS1_25lookback_scan_determinismE0ELb0ELb0ES3_PKdPddZZZN2at6native31launch_logcumsumexp_cuda_kernelERKNSB_10TensorBaseESF_lENKUlvE_clEvENKUlvE_clEvEUlddE_dEEDaPvRmT3_T4_T5_mT6_P12ihipStream_tbENKUlT_T0_E_clISt17integral_constantIbLb0EESV_IbLb1EEEEDaSR_SS_EUlSR_E_NS1_11comp_targetILNS1_3genE5ELNS1_11target_archE942ELNS1_3gpuE9ELNS1_3repE0EEENS1_30default_config_static_selectorELNS0_4arch9wavefront6targetE0EEEvT1_.uses_vcc, 0
	.set _ZN7rocprim17ROCPRIM_400000_NS6detail17trampoline_kernelINS0_14default_configENS1_20scan_config_selectorIdEEZZNS1_9scan_implILNS1_25lookback_scan_determinismE0ELb0ELb0ES3_PKdPddZZZN2at6native31launch_logcumsumexp_cuda_kernelERKNSB_10TensorBaseESF_lENKUlvE_clEvENKUlvE_clEvEUlddE_dEEDaPvRmT3_T4_T5_mT6_P12ihipStream_tbENKUlT_T0_E_clISt17integral_constantIbLb0EESV_IbLb1EEEEDaSR_SS_EUlSR_E_NS1_11comp_targetILNS1_3genE5ELNS1_11target_archE942ELNS1_3gpuE9ELNS1_3repE0EEENS1_30default_config_static_selectorELNS0_4arch9wavefront6targetE0EEEvT1_.uses_flat_scratch, 0
	.set _ZN7rocprim17ROCPRIM_400000_NS6detail17trampoline_kernelINS0_14default_configENS1_20scan_config_selectorIdEEZZNS1_9scan_implILNS1_25lookback_scan_determinismE0ELb0ELb0ES3_PKdPddZZZN2at6native31launch_logcumsumexp_cuda_kernelERKNSB_10TensorBaseESF_lENKUlvE_clEvENKUlvE_clEvEUlddE_dEEDaPvRmT3_T4_T5_mT6_P12ihipStream_tbENKUlT_T0_E_clISt17integral_constantIbLb0EESV_IbLb1EEEEDaSR_SS_EUlSR_E_NS1_11comp_targetILNS1_3genE5ELNS1_11target_archE942ELNS1_3gpuE9ELNS1_3repE0EEENS1_30default_config_static_selectorELNS0_4arch9wavefront6targetE0EEEvT1_.has_dyn_sized_stack, 0
	.set _ZN7rocprim17ROCPRIM_400000_NS6detail17trampoline_kernelINS0_14default_configENS1_20scan_config_selectorIdEEZZNS1_9scan_implILNS1_25lookback_scan_determinismE0ELb0ELb0ES3_PKdPddZZZN2at6native31launch_logcumsumexp_cuda_kernelERKNSB_10TensorBaseESF_lENKUlvE_clEvENKUlvE_clEvEUlddE_dEEDaPvRmT3_T4_T5_mT6_P12ihipStream_tbENKUlT_T0_E_clISt17integral_constantIbLb0EESV_IbLb1EEEEDaSR_SS_EUlSR_E_NS1_11comp_targetILNS1_3genE5ELNS1_11target_archE942ELNS1_3gpuE9ELNS1_3repE0EEENS1_30default_config_static_selectorELNS0_4arch9wavefront6targetE0EEEvT1_.has_recursion, 0
	.set _ZN7rocprim17ROCPRIM_400000_NS6detail17trampoline_kernelINS0_14default_configENS1_20scan_config_selectorIdEEZZNS1_9scan_implILNS1_25lookback_scan_determinismE0ELb0ELb0ES3_PKdPddZZZN2at6native31launch_logcumsumexp_cuda_kernelERKNSB_10TensorBaseESF_lENKUlvE_clEvENKUlvE_clEvEUlddE_dEEDaPvRmT3_T4_T5_mT6_P12ihipStream_tbENKUlT_T0_E_clISt17integral_constantIbLb0EESV_IbLb1EEEEDaSR_SS_EUlSR_E_NS1_11comp_targetILNS1_3genE5ELNS1_11target_archE942ELNS1_3gpuE9ELNS1_3repE0EEENS1_30default_config_static_selectorELNS0_4arch9wavefront6targetE0EEEvT1_.has_indirect_call, 0
	.section	.AMDGPU.csdata,"",@progbits
; Kernel info:
; codeLenInByte = 0
; TotalNumSgprs: 0
; NumVgprs: 0
; ScratchSize: 0
; MemoryBound: 0
; FloatMode: 240
; IeeeMode: 1
; LDSByteSize: 0 bytes/workgroup (compile time only)
; SGPRBlocks: 0
; VGPRBlocks: 0
; NumSGPRsForWavesPerEU: 1
; NumVGPRsForWavesPerEU: 1
; Occupancy: 16
; WaveLimiterHint : 0
; COMPUTE_PGM_RSRC2:SCRATCH_EN: 0
; COMPUTE_PGM_RSRC2:USER_SGPR: 6
; COMPUTE_PGM_RSRC2:TRAP_HANDLER: 0
; COMPUTE_PGM_RSRC2:TGID_X_EN: 1
; COMPUTE_PGM_RSRC2:TGID_Y_EN: 0
; COMPUTE_PGM_RSRC2:TGID_Z_EN: 0
; COMPUTE_PGM_RSRC2:TIDIG_COMP_CNT: 0
	.section	.text._ZN7rocprim17ROCPRIM_400000_NS6detail17trampoline_kernelINS0_14default_configENS1_20scan_config_selectorIdEEZZNS1_9scan_implILNS1_25lookback_scan_determinismE0ELb0ELb0ES3_PKdPddZZZN2at6native31launch_logcumsumexp_cuda_kernelERKNSB_10TensorBaseESF_lENKUlvE_clEvENKUlvE_clEvEUlddE_dEEDaPvRmT3_T4_T5_mT6_P12ihipStream_tbENKUlT_T0_E_clISt17integral_constantIbLb0EESV_IbLb1EEEEDaSR_SS_EUlSR_E_NS1_11comp_targetILNS1_3genE4ELNS1_11target_archE910ELNS1_3gpuE8ELNS1_3repE0EEENS1_30default_config_static_selectorELNS0_4arch9wavefront6targetE0EEEvT1_,"axG",@progbits,_ZN7rocprim17ROCPRIM_400000_NS6detail17trampoline_kernelINS0_14default_configENS1_20scan_config_selectorIdEEZZNS1_9scan_implILNS1_25lookback_scan_determinismE0ELb0ELb0ES3_PKdPddZZZN2at6native31launch_logcumsumexp_cuda_kernelERKNSB_10TensorBaseESF_lENKUlvE_clEvENKUlvE_clEvEUlddE_dEEDaPvRmT3_T4_T5_mT6_P12ihipStream_tbENKUlT_T0_E_clISt17integral_constantIbLb0EESV_IbLb1EEEEDaSR_SS_EUlSR_E_NS1_11comp_targetILNS1_3genE4ELNS1_11target_archE910ELNS1_3gpuE8ELNS1_3repE0EEENS1_30default_config_static_selectorELNS0_4arch9wavefront6targetE0EEEvT1_,comdat
	.globl	_ZN7rocprim17ROCPRIM_400000_NS6detail17trampoline_kernelINS0_14default_configENS1_20scan_config_selectorIdEEZZNS1_9scan_implILNS1_25lookback_scan_determinismE0ELb0ELb0ES3_PKdPddZZZN2at6native31launch_logcumsumexp_cuda_kernelERKNSB_10TensorBaseESF_lENKUlvE_clEvENKUlvE_clEvEUlddE_dEEDaPvRmT3_T4_T5_mT6_P12ihipStream_tbENKUlT_T0_E_clISt17integral_constantIbLb0EESV_IbLb1EEEEDaSR_SS_EUlSR_E_NS1_11comp_targetILNS1_3genE4ELNS1_11target_archE910ELNS1_3gpuE8ELNS1_3repE0EEENS1_30default_config_static_selectorELNS0_4arch9wavefront6targetE0EEEvT1_ ; -- Begin function _ZN7rocprim17ROCPRIM_400000_NS6detail17trampoline_kernelINS0_14default_configENS1_20scan_config_selectorIdEEZZNS1_9scan_implILNS1_25lookback_scan_determinismE0ELb0ELb0ES3_PKdPddZZZN2at6native31launch_logcumsumexp_cuda_kernelERKNSB_10TensorBaseESF_lENKUlvE_clEvENKUlvE_clEvEUlddE_dEEDaPvRmT3_T4_T5_mT6_P12ihipStream_tbENKUlT_T0_E_clISt17integral_constantIbLb0EESV_IbLb1EEEEDaSR_SS_EUlSR_E_NS1_11comp_targetILNS1_3genE4ELNS1_11target_archE910ELNS1_3gpuE8ELNS1_3repE0EEENS1_30default_config_static_selectorELNS0_4arch9wavefront6targetE0EEEvT1_
	.p2align	8
	.type	_ZN7rocprim17ROCPRIM_400000_NS6detail17trampoline_kernelINS0_14default_configENS1_20scan_config_selectorIdEEZZNS1_9scan_implILNS1_25lookback_scan_determinismE0ELb0ELb0ES3_PKdPddZZZN2at6native31launch_logcumsumexp_cuda_kernelERKNSB_10TensorBaseESF_lENKUlvE_clEvENKUlvE_clEvEUlddE_dEEDaPvRmT3_T4_T5_mT6_P12ihipStream_tbENKUlT_T0_E_clISt17integral_constantIbLb0EESV_IbLb1EEEEDaSR_SS_EUlSR_E_NS1_11comp_targetILNS1_3genE4ELNS1_11target_archE910ELNS1_3gpuE8ELNS1_3repE0EEENS1_30default_config_static_selectorELNS0_4arch9wavefront6targetE0EEEvT1_,@function
_ZN7rocprim17ROCPRIM_400000_NS6detail17trampoline_kernelINS0_14default_configENS1_20scan_config_selectorIdEEZZNS1_9scan_implILNS1_25lookback_scan_determinismE0ELb0ELb0ES3_PKdPddZZZN2at6native31launch_logcumsumexp_cuda_kernelERKNSB_10TensorBaseESF_lENKUlvE_clEvENKUlvE_clEvEUlddE_dEEDaPvRmT3_T4_T5_mT6_P12ihipStream_tbENKUlT_T0_E_clISt17integral_constantIbLb0EESV_IbLb1EEEEDaSR_SS_EUlSR_E_NS1_11comp_targetILNS1_3genE4ELNS1_11target_archE910ELNS1_3gpuE8ELNS1_3repE0EEENS1_30default_config_static_selectorELNS0_4arch9wavefront6targetE0EEEvT1_: ; @_ZN7rocprim17ROCPRIM_400000_NS6detail17trampoline_kernelINS0_14default_configENS1_20scan_config_selectorIdEEZZNS1_9scan_implILNS1_25lookback_scan_determinismE0ELb0ELb0ES3_PKdPddZZZN2at6native31launch_logcumsumexp_cuda_kernelERKNSB_10TensorBaseESF_lENKUlvE_clEvENKUlvE_clEvEUlddE_dEEDaPvRmT3_T4_T5_mT6_P12ihipStream_tbENKUlT_T0_E_clISt17integral_constantIbLb0EESV_IbLb1EEEEDaSR_SS_EUlSR_E_NS1_11comp_targetILNS1_3genE4ELNS1_11target_archE910ELNS1_3gpuE8ELNS1_3repE0EEENS1_30default_config_static_selectorELNS0_4arch9wavefront6targetE0EEEvT1_
; %bb.0:
	.section	.rodata,"a",@progbits
	.p2align	6, 0x0
	.amdhsa_kernel _ZN7rocprim17ROCPRIM_400000_NS6detail17trampoline_kernelINS0_14default_configENS1_20scan_config_selectorIdEEZZNS1_9scan_implILNS1_25lookback_scan_determinismE0ELb0ELb0ES3_PKdPddZZZN2at6native31launch_logcumsumexp_cuda_kernelERKNSB_10TensorBaseESF_lENKUlvE_clEvENKUlvE_clEvEUlddE_dEEDaPvRmT3_T4_T5_mT6_P12ihipStream_tbENKUlT_T0_E_clISt17integral_constantIbLb0EESV_IbLb1EEEEDaSR_SS_EUlSR_E_NS1_11comp_targetILNS1_3genE4ELNS1_11target_archE910ELNS1_3gpuE8ELNS1_3repE0EEENS1_30default_config_static_selectorELNS0_4arch9wavefront6targetE0EEEvT1_
		.amdhsa_group_segment_fixed_size 0
		.amdhsa_private_segment_fixed_size 0
		.amdhsa_kernarg_size 104
		.amdhsa_user_sgpr_count 6
		.amdhsa_user_sgpr_private_segment_buffer 1
		.amdhsa_user_sgpr_dispatch_ptr 0
		.amdhsa_user_sgpr_queue_ptr 0
		.amdhsa_user_sgpr_kernarg_segment_ptr 1
		.amdhsa_user_sgpr_dispatch_id 0
		.amdhsa_user_sgpr_flat_scratch_init 0
		.amdhsa_user_sgpr_private_segment_size 0
		.amdhsa_wavefront_size32 1
		.amdhsa_uses_dynamic_stack 0
		.amdhsa_system_sgpr_private_segment_wavefront_offset 0
		.amdhsa_system_sgpr_workgroup_id_x 1
		.amdhsa_system_sgpr_workgroup_id_y 0
		.amdhsa_system_sgpr_workgroup_id_z 0
		.amdhsa_system_sgpr_workgroup_info 0
		.amdhsa_system_vgpr_workitem_id 0
		.amdhsa_next_free_vgpr 1
		.amdhsa_next_free_sgpr 1
		.amdhsa_reserve_vcc 0
		.amdhsa_reserve_flat_scratch 0
		.amdhsa_float_round_mode_32 0
		.amdhsa_float_round_mode_16_64 0
		.amdhsa_float_denorm_mode_32 3
		.amdhsa_float_denorm_mode_16_64 3
		.amdhsa_dx10_clamp 1
		.amdhsa_ieee_mode 1
		.amdhsa_fp16_overflow 0
		.amdhsa_workgroup_processor_mode 1
		.amdhsa_memory_ordered 1
		.amdhsa_forward_progress 1
		.amdhsa_shared_vgpr_count 0
		.amdhsa_exception_fp_ieee_invalid_op 0
		.amdhsa_exception_fp_denorm_src 0
		.amdhsa_exception_fp_ieee_div_zero 0
		.amdhsa_exception_fp_ieee_overflow 0
		.amdhsa_exception_fp_ieee_underflow 0
		.amdhsa_exception_fp_ieee_inexact 0
		.amdhsa_exception_int_div_zero 0
	.end_amdhsa_kernel
	.section	.text._ZN7rocprim17ROCPRIM_400000_NS6detail17trampoline_kernelINS0_14default_configENS1_20scan_config_selectorIdEEZZNS1_9scan_implILNS1_25lookback_scan_determinismE0ELb0ELb0ES3_PKdPddZZZN2at6native31launch_logcumsumexp_cuda_kernelERKNSB_10TensorBaseESF_lENKUlvE_clEvENKUlvE_clEvEUlddE_dEEDaPvRmT3_T4_T5_mT6_P12ihipStream_tbENKUlT_T0_E_clISt17integral_constantIbLb0EESV_IbLb1EEEEDaSR_SS_EUlSR_E_NS1_11comp_targetILNS1_3genE4ELNS1_11target_archE910ELNS1_3gpuE8ELNS1_3repE0EEENS1_30default_config_static_selectorELNS0_4arch9wavefront6targetE0EEEvT1_,"axG",@progbits,_ZN7rocprim17ROCPRIM_400000_NS6detail17trampoline_kernelINS0_14default_configENS1_20scan_config_selectorIdEEZZNS1_9scan_implILNS1_25lookback_scan_determinismE0ELb0ELb0ES3_PKdPddZZZN2at6native31launch_logcumsumexp_cuda_kernelERKNSB_10TensorBaseESF_lENKUlvE_clEvENKUlvE_clEvEUlddE_dEEDaPvRmT3_T4_T5_mT6_P12ihipStream_tbENKUlT_T0_E_clISt17integral_constantIbLb0EESV_IbLb1EEEEDaSR_SS_EUlSR_E_NS1_11comp_targetILNS1_3genE4ELNS1_11target_archE910ELNS1_3gpuE8ELNS1_3repE0EEENS1_30default_config_static_selectorELNS0_4arch9wavefront6targetE0EEEvT1_,comdat
.Lfunc_end68:
	.size	_ZN7rocprim17ROCPRIM_400000_NS6detail17trampoline_kernelINS0_14default_configENS1_20scan_config_selectorIdEEZZNS1_9scan_implILNS1_25lookback_scan_determinismE0ELb0ELb0ES3_PKdPddZZZN2at6native31launch_logcumsumexp_cuda_kernelERKNSB_10TensorBaseESF_lENKUlvE_clEvENKUlvE_clEvEUlddE_dEEDaPvRmT3_T4_T5_mT6_P12ihipStream_tbENKUlT_T0_E_clISt17integral_constantIbLb0EESV_IbLb1EEEEDaSR_SS_EUlSR_E_NS1_11comp_targetILNS1_3genE4ELNS1_11target_archE910ELNS1_3gpuE8ELNS1_3repE0EEENS1_30default_config_static_selectorELNS0_4arch9wavefront6targetE0EEEvT1_, .Lfunc_end68-_ZN7rocprim17ROCPRIM_400000_NS6detail17trampoline_kernelINS0_14default_configENS1_20scan_config_selectorIdEEZZNS1_9scan_implILNS1_25lookback_scan_determinismE0ELb0ELb0ES3_PKdPddZZZN2at6native31launch_logcumsumexp_cuda_kernelERKNSB_10TensorBaseESF_lENKUlvE_clEvENKUlvE_clEvEUlddE_dEEDaPvRmT3_T4_T5_mT6_P12ihipStream_tbENKUlT_T0_E_clISt17integral_constantIbLb0EESV_IbLb1EEEEDaSR_SS_EUlSR_E_NS1_11comp_targetILNS1_3genE4ELNS1_11target_archE910ELNS1_3gpuE8ELNS1_3repE0EEENS1_30default_config_static_selectorELNS0_4arch9wavefront6targetE0EEEvT1_
                                        ; -- End function
	.set _ZN7rocprim17ROCPRIM_400000_NS6detail17trampoline_kernelINS0_14default_configENS1_20scan_config_selectorIdEEZZNS1_9scan_implILNS1_25lookback_scan_determinismE0ELb0ELb0ES3_PKdPddZZZN2at6native31launch_logcumsumexp_cuda_kernelERKNSB_10TensorBaseESF_lENKUlvE_clEvENKUlvE_clEvEUlddE_dEEDaPvRmT3_T4_T5_mT6_P12ihipStream_tbENKUlT_T0_E_clISt17integral_constantIbLb0EESV_IbLb1EEEEDaSR_SS_EUlSR_E_NS1_11comp_targetILNS1_3genE4ELNS1_11target_archE910ELNS1_3gpuE8ELNS1_3repE0EEENS1_30default_config_static_selectorELNS0_4arch9wavefront6targetE0EEEvT1_.num_vgpr, 0
	.set _ZN7rocprim17ROCPRIM_400000_NS6detail17trampoline_kernelINS0_14default_configENS1_20scan_config_selectorIdEEZZNS1_9scan_implILNS1_25lookback_scan_determinismE0ELb0ELb0ES3_PKdPddZZZN2at6native31launch_logcumsumexp_cuda_kernelERKNSB_10TensorBaseESF_lENKUlvE_clEvENKUlvE_clEvEUlddE_dEEDaPvRmT3_T4_T5_mT6_P12ihipStream_tbENKUlT_T0_E_clISt17integral_constantIbLb0EESV_IbLb1EEEEDaSR_SS_EUlSR_E_NS1_11comp_targetILNS1_3genE4ELNS1_11target_archE910ELNS1_3gpuE8ELNS1_3repE0EEENS1_30default_config_static_selectorELNS0_4arch9wavefront6targetE0EEEvT1_.num_agpr, 0
	.set _ZN7rocprim17ROCPRIM_400000_NS6detail17trampoline_kernelINS0_14default_configENS1_20scan_config_selectorIdEEZZNS1_9scan_implILNS1_25lookback_scan_determinismE0ELb0ELb0ES3_PKdPddZZZN2at6native31launch_logcumsumexp_cuda_kernelERKNSB_10TensorBaseESF_lENKUlvE_clEvENKUlvE_clEvEUlddE_dEEDaPvRmT3_T4_T5_mT6_P12ihipStream_tbENKUlT_T0_E_clISt17integral_constantIbLb0EESV_IbLb1EEEEDaSR_SS_EUlSR_E_NS1_11comp_targetILNS1_3genE4ELNS1_11target_archE910ELNS1_3gpuE8ELNS1_3repE0EEENS1_30default_config_static_selectorELNS0_4arch9wavefront6targetE0EEEvT1_.numbered_sgpr, 0
	.set _ZN7rocprim17ROCPRIM_400000_NS6detail17trampoline_kernelINS0_14default_configENS1_20scan_config_selectorIdEEZZNS1_9scan_implILNS1_25lookback_scan_determinismE0ELb0ELb0ES3_PKdPddZZZN2at6native31launch_logcumsumexp_cuda_kernelERKNSB_10TensorBaseESF_lENKUlvE_clEvENKUlvE_clEvEUlddE_dEEDaPvRmT3_T4_T5_mT6_P12ihipStream_tbENKUlT_T0_E_clISt17integral_constantIbLb0EESV_IbLb1EEEEDaSR_SS_EUlSR_E_NS1_11comp_targetILNS1_3genE4ELNS1_11target_archE910ELNS1_3gpuE8ELNS1_3repE0EEENS1_30default_config_static_selectorELNS0_4arch9wavefront6targetE0EEEvT1_.num_named_barrier, 0
	.set _ZN7rocprim17ROCPRIM_400000_NS6detail17trampoline_kernelINS0_14default_configENS1_20scan_config_selectorIdEEZZNS1_9scan_implILNS1_25lookback_scan_determinismE0ELb0ELb0ES3_PKdPddZZZN2at6native31launch_logcumsumexp_cuda_kernelERKNSB_10TensorBaseESF_lENKUlvE_clEvENKUlvE_clEvEUlddE_dEEDaPvRmT3_T4_T5_mT6_P12ihipStream_tbENKUlT_T0_E_clISt17integral_constantIbLb0EESV_IbLb1EEEEDaSR_SS_EUlSR_E_NS1_11comp_targetILNS1_3genE4ELNS1_11target_archE910ELNS1_3gpuE8ELNS1_3repE0EEENS1_30default_config_static_selectorELNS0_4arch9wavefront6targetE0EEEvT1_.private_seg_size, 0
	.set _ZN7rocprim17ROCPRIM_400000_NS6detail17trampoline_kernelINS0_14default_configENS1_20scan_config_selectorIdEEZZNS1_9scan_implILNS1_25lookback_scan_determinismE0ELb0ELb0ES3_PKdPddZZZN2at6native31launch_logcumsumexp_cuda_kernelERKNSB_10TensorBaseESF_lENKUlvE_clEvENKUlvE_clEvEUlddE_dEEDaPvRmT3_T4_T5_mT6_P12ihipStream_tbENKUlT_T0_E_clISt17integral_constantIbLb0EESV_IbLb1EEEEDaSR_SS_EUlSR_E_NS1_11comp_targetILNS1_3genE4ELNS1_11target_archE910ELNS1_3gpuE8ELNS1_3repE0EEENS1_30default_config_static_selectorELNS0_4arch9wavefront6targetE0EEEvT1_.uses_vcc, 0
	.set _ZN7rocprim17ROCPRIM_400000_NS6detail17trampoline_kernelINS0_14default_configENS1_20scan_config_selectorIdEEZZNS1_9scan_implILNS1_25lookback_scan_determinismE0ELb0ELb0ES3_PKdPddZZZN2at6native31launch_logcumsumexp_cuda_kernelERKNSB_10TensorBaseESF_lENKUlvE_clEvENKUlvE_clEvEUlddE_dEEDaPvRmT3_T4_T5_mT6_P12ihipStream_tbENKUlT_T0_E_clISt17integral_constantIbLb0EESV_IbLb1EEEEDaSR_SS_EUlSR_E_NS1_11comp_targetILNS1_3genE4ELNS1_11target_archE910ELNS1_3gpuE8ELNS1_3repE0EEENS1_30default_config_static_selectorELNS0_4arch9wavefront6targetE0EEEvT1_.uses_flat_scratch, 0
	.set _ZN7rocprim17ROCPRIM_400000_NS6detail17trampoline_kernelINS0_14default_configENS1_20scan_config_selectorIdEEZZNS1_9scan_implILNS1_25lookback_scan_determinismE0ELb0ELb0ES3_PKdPddZZZN2at6native31launch_logcumsumexp_cuda_kernelERKNSB_10TensorBaseESF_lENKUlvE_clEvENKUlvE_clEvEUlddE_dEEDaPvRmT3_T4_T5_mT6_P12ihipStream_tbENKUlT_T0_E_clISt17integral_constantIbLb0EESV_IbLb1EEEEDaSR_SS_EUlSR_E_NS1_11comp_targetILNS1_3genE4ELNS1_11target_archE910ELNS1_3gpuE8ELNS1_3repE0EEENS1_30default_config_static_selectorELNS0_4arch9wavefront6targetE0EEEvT1_.has_dyn_sized_stack, 0
	.set _ZN7rocprim17ROCPRIM_400000_NS6detail17trampoline_kernelINS0_14default_configENS1_20scan_config_selectorIdEEZZNS1_9scan_implILNS1_25lookback_scan_determinismE0ELb0ELb0ES3_PKdPddZZZN2at6native31launch_logcumsumexp_cuda_kernelERKNSB_10TensorBaseESF_lENKUlvE_clEvENKUlvE_clEvEUlddE_dEEDaPvRmT3_T4_T5_mT6_P12ihipStream_tbENKUlT_T0_E_clISt17integral_constantIbLb0EESV_IbLb1EEEEDaSR_SS_EUlSR_E_NS1_11comp_targetILNS1_3genE4ELNS1_11target_archE910ELNS1_3gpuE8ELNS1_3repE0EEENS1_30default_config_static_selectorELNS0_4arch9wavefront6targetE0EEEvT1_.has_recursion, 0
	.set _ZN7rocprim17ROCPRIM_400000_NS6detail17trampoline_kernelINS0_14default_configENS1_20scan_config_selectorIdEEZZNS1_9scan_implILNS1_25lookback_scan_determinismE0ELb0ELb0ES3_PKdPddZZZN2at6native31launch_logcumsumexp_cuda_kernelERKNSB_10TensorBaseESF_lENKUlvE_clEvENKUlvE_clEvEUlddE_dEEDaPvRmT3_T4_T5_mT6_P12ihipStream_tbENKUlT_T0_E_clISt17integral_constantIbLb0EESV_IbLb1EEEEDaSR_SS_EUlSR_E_NS1_11comp_targetILNS1_3genE4ELNS1_11target_archE910ELNS1_3gpuE8ELNS1_3repE0EEENS1_30default_config_static_selectorELNS0_4arch9wavefront6targetE0EEEvT1_.has_indirect_call, 0
	.section	.AMDGPU.csdata,"",@progbits
; Kernel info:
; codeLenInByte = 0
; TotalNumSgprs: 0
; NumVgprs: 0
; ScratchSize: 0
; MemoryBound: 0
; FloatMode: 240
; IeeeMode: 1
; LDSByteSize: 0 bytes/workgroup (compile time only)
; SGPRBlocks: 0
; VGPRBlocks: 0
; NumSGPRsForWavesPerEU: 1
; NumVGPRsForWavesPerEU: 1
; Occupancy: 16
; WaveLimiterHint : 0
; COMPUTE_PGM_RSRC2:SCRATCH_EN: 0
; COMPUTE_PGM_RSRC2:USER_SGPR: 6
; COMPUTE_PGM_RSRC2:TRAP_HANDLER: 0
; COMPUTE_PGM_RSRC2:TGID_X_EN: 1
; COMPUTE_PGM_RSRC2:TGID_Y_EN: 0
; COMPUTE_PGM_RSRC2:TGID_Z_EN: 0
; COMPUTE_PGM_RSRC2:TIDIG_COMP_CNT: 0
	.section	.text._ZN7rocprim17ROCPRIM_400000_NS6detail17trampoline_kernelINS0_14default_configENS1_20scan_config_selectorIdEEZZNS1_9scan_implILNS1_25lookback_scan_determinismE0ELb0ELb0ES3_PKdPddZZZN2at6native31launch_logcumsumexp_cuda_kernelERKNSB_10TensorBaseESF_lENKUlvE_clEvENKUlvE_clEvEUlddE_dEEDaPvRmT3_T4_T5_mT6_P12ihipStream_tbENKUlT_T0_E_clISt17integral_constantIbLb0EESV_IbLb1EEEEDaSR_SS_EUlSR_E_NS1_11comp_targetILNS1_3genE3ELNS1_11target_archE908ELNS1_3gpuE7ELNS1_3repE0EEENS1_30default_config_static_selectorELNS0_4arch9wavefront6targetE0EEEvT1_,"axG",@progbits,_ZN7rocprim17ROCPRIM_400000_NS6detail17trampoline_kernelINS0_14default_configENS1_20scan_config_selectorIdEEZZNS1_9scan_implILNS1_25lookback_scan_determinismE0ELb0ELb0ES3_PKdPddZZZN2at6native31launch_logcumsumexp_cuda_kernelERKNSB_10TensorBaseESF_lENKUlvE_clEvENKUlvE_clEvEUlddE_dEEDaPvRmT3_T4_T5_mT6_P12ihipStream_tbENKUlT_T0_E_clISt17integral_constantIbLb0EESV_IbLb1EEEEDaSR_SS_EUlSR_E_NS1_11comp_targetILNS1_3genE3ELNS1_11target_archE908ELNS1_3gpuE7ELNS1_3repE0EEENS1_30default_config_static_selectorELNS0_4arch9wavefront6targetE0EEEvT1_,comdat
	.globl	_ZN7rocprim17ROCPRIM_400000_NS6detail17trampoline_kernelINS0_14default_configENS1_20scan_config_selectorIdEEZZNS1_9scan_implILNS1_25lookback_scan_determinismE0ELb0ELb0ES3_PKdPddZZZN2at6native31launch_logcumsumexp_cuda_kernelERKNSB_10TensorBaseESF_lENKUlvE_clEvENKUlvE_clEvEUlddE_dEEDaPvRmT3_T4_T5_mT6_P12ihipStream_tbENKUlT_T0_E_clISt17integral_constantIbLb0EESV_IbLb1EEEEDaSR_SS_EUlSR_E_NS1_11comp_targetILNS1_3genE3ELNS1_11target_archE908ELNS1_3gpuE7ELNS1_3repE0EEENS1_30default_config_static_selectorELNS0_4arch9wavefront6targetE0EEEvT1_ ; -- Begin function _ZN7rocprim17ROCPRIM_400000_NS6detail17trampoline_kernelINS0_14default_configENS1_20scan_config_selectorIdEEZZNS1_9scan_implILNS1_25lookback_scan_determinismE0ELb0ELb0ES3_PKdPddZZZN2at6native31launch_logcumsumexp_cuda_kernelERKNSB_10TensorBaseESF_lENKUlvE_clEvENKUlvE_clEvEUlddE_dEEDaPvRmT3_T4_T5_mT6_P12ihipStream_tbENKUlT_T0_E_clISt17integral_constantIbLb0EESV_IbLb1EEEEDaSR_SS_EUlSR_E_NS1_11comp_targetILNS1_3genE3ELNS1_11target_archE908ELNS1_3gpuE7ELNS1_3repE0EEENS1_30default_config_static_selectorELNS0_4arch9wavefront6targetE0EEEvT1_
	.p2align	8
	.type	_ZN7rocprim17ROCPRIM_400000_NS6detail17trampoline_kernelINS0_14default_configENS1_20scan_config_selectorIdEEZZNS1_9scan_implILNS1_25lookback_scan_determinismE0ELb0ELb0ES3_PKdPddZZZN2at6native31launch_logcumsumexp_cuda_kernelERKNSB_10TensorBaseESF_lENKUlvE_clEvENKUlvE_clEvEUlddE_dEEDaPvRmT3_T4_T5_mT6_P12ihipStream_tbENKUlT_T0_E_clISt17integral_constantIbLb0EESV_IbLb1EEEEDaSR_SS_EUlSR_E_NS1_11comp_targetILNS1_3genE3ELNS1_11target_archE908ELNS1_3gpuE7ELNS1_3repE0EEENS1_30default_config_static_selectorELNS0_4arch9wavefront6targetE0EEEvT1_,@function
_ZN7rocprim17ROCPRIM_400000_NS6detail17trampoline_kernelINS0_14default_configENS1_20scan_config_selectorIdEEZZNS1_9scan_implILNS1_25lookback_scan_determinismE0ELb0ELb0ES3_PKdPddZZZN2at6native31launch_logcumsumexp_cuda_kernelERKNSB_10TensorBaseESF_lENKUlvE_clEvENKUlvE_clEvEUlddE_dEEDaPvRmT3_T4_T5_mT6_P12ihipStream_tbENKUlT_T0_E_clISt17integral_constantIbLb0EESV_IbLb1EEEEDaSR_SS_EUlSR_E_NS1_11comp_targetILNS1_3genE3ELNS1_11target_archE908ELNS1_3gpuE7ELNS1_3repE0EEENS1_30default_config_static_selectorELNS0_4arch9wavefront6targetE0EEEvT1_: ; @_ZN7rocprim17ROCPRIM_400000_NS6detail17trampoline_kernelINS0_14default_configENS1_20scan_config_selectorIdEEZZNS1_9scan_implILNS1_25lookback_scan_determinismE0ELb0ELb0ES3_PKdPddZZZN2at6native31launch_logcumsumexp_cuda_kernelERKNSB_10TensorBaseESF_lENKUlvE_clEvENKUlvE_clEvEUlddE_dEEDaPvRmT3_T4_T5_mT6_P12ihipStream_tbENKUlT_T0_E_clISt17integral_constantIbLb0EESV_IbLb1EEEEDaSR_SS_EUlSR_E_NS1_11comp_targetILNS1_3genE3ELNS1_11target_archE908ELNS1_3gpuE7ELNS1_3repE0EEENS1_30default_config_static_selectorELNS0_4arch9wavefront6targetE0EEEvT1_
; %bb.0:
	.section	.rodata,"a",@progbits
	.p2align	6, 0x0
	.amdhsa_kernel _ZN7rocprim17ROCPRIM_400000_NS6detail17trampoline_kernelINS0_14default_configENS1_20scan_config_selectorIdEEZZNS1_9scan_implILNS1_25lookback_scan_determinismE0ELb0ELb0ES3_PKdPddZZZN2at6native31launch_logcumsumexp_cuda_kernelERKNSB_10TensorBaseESF_lENKUlvE_clEvENKUlvE_clEvEUlddE_dEEDaPvRmT3_T4_T5_mT6_P12ihipStream_tbENKUlT_T0_E_clISt17integral_constantIbLb0EESV_IbLb1EEEEDaSR_SS_EUlSR_E_NS1_11comp_targetILNS1_3genE3ELNS1_11target_archE908ELNS1_3gpuE7ELNS1_3repE0EEENS1_30default_config_static_selectorELNS0_4arch9wavefront6targetE0EEEvT1_
		.amdhsa_group_segment_fixed_size 0
		.amdhsa_private_segment_fixed_size 0
		.amdhsa_kernarg_size 104
		.amdhsa_user_sgpr_count 6
		.amdhsa_user_sgpr_private_segment_buffer 1
		.amdhsa_user_sgpr_dispatch_ptr 0
		.amdhsa_user_sgpr_queue_ptr 0
		.amdhsa_user_sgpr_kernarg_segment_ptr 1
		.amdhsa_user_sgpr_dispatch_id 0
		.amdhsa_user_sgpr_flat_scratch_init 0
		.amdhsa_user_sgpr_private_segment_size 0
		.amdhsa_wavefront_size32 1
		.amdhsa_uses_dynamic_stack 0
		.amdhsa_system_sgpr_private_segment_wavefront_offset 0
		.amdhsa_system_sgpr_workgroup_id_x 1
		.amdhsa_system_sgpr_workgroup_id_y 0
		.amdhsa_system_sgpr_workgroup_id_z 0
		.amdhsa_system_sgpr_workgroup_info 0
		.amdhsa_system_vgpr_workitem_id 0
		.amdhsa_next_free_vgpr 1
		.amdhsa_next_free_sgpr 1
		.amdhsa_reserve_vcc 0
		.amdhsa_reserve_flat_scratch 0
		.amdhsa_float_round_mode_32 0
		.amdhsa_float_round_mode_16_64 0
		.amdhsa_float_denorm_mode_32 3
		.amdhsa_float_denorm_mode_16_64 3
		.amdhsa_dx10_clamp 1
		.amdhsa_ieee_mode 1
		.amdhsa_fp16_overflow 0
		.amdhsa_workgroup_processor_mode 1
		.amdhsa_memory_ordered 1
		.amdhsa_forward_progress 1
		.amdhsa_shared_vgpr_count 0
		.amdhsa_exception_fp_ieee_invalid_op 0
		.amdhsa_exception_fp_denorm_src 0
		.amdhsa_exception_fp_ieee_div_zero 0
		.amdhsa_exception_fp_ieee_overflow 0
		.amdhsa_exception_fp_ieee_underflow 0
		.amdhsa_exception_fp_ieee_inexact 0
		.amdhsa_exception_int_div_zero 0
	.end_amdhsa_kernel
	.section	.text._ZN7rocprim17ROCPRIM_400000_NS6detail17trampoline_kernelINS0_14default_configENS1_20scan_config_selectorIdEEZZNS1_9scan_implILNS1_25lookback_scan_determinismE0ELb0ELb0ES3_PKdPddZZZN2at6native31launch_logcumsumexp_cuda_kernelERKNSB_10TensorBaseESF_lENKUlvE_clEvENKUlvE_clEvEUlddE_dEEDaPvRmT3_T4_T5_mT6_P12ihipStream_tbENKUlT_T0_E_clISt17integral_constantIbLb0EESV_IbLb1EEEEDaSR_SS_EUlSR_E_NS1_11comp_targetILNS1_3genE3ELNS1_11target_archE908ELNS1_3gpuE7ELNS1_3repE0EEENS1_30default_config_static_selectorELNS0_4arch9wavefront6targetE0EEEvT1_,"axG",@progbits,_ZN7rocprim17ROCPRIM_400000_NS6detail17trampoline_kernelINS0_14default_configENS1_20scan_config_selectorIdEEZZNS1_9scan_implILNS1_25lookback_scan_determinismE0ELb0ELb0ES3_PKdPddZZZN2at6native31launch_logcumsumexp_cuda_kernelERKNSB_10TensorBaseESF_lENKUlvE_clEvENKUlvE_clEvEUlddE_dEEDaPvRmT3_T4_T5_mT6_P12ihipStream_tbENKUlT_T0_E_clISt17integral_constantIbLb0EESV_IbLb1EEEEDaSR_SS_EUlSR_E_NS1_11comp_targetILNS1_3genE3ELNS1_11target_archE908ELNS1_3gpuE7ELNS1_3repE0EEENS1_30default_config_static_selectorELNS0_4arch9wavefront6targetE0EEEvT1_,comdat
.Lfunc_end69:
	.size	_ZN7rocprim17ROCPRIM_400000_NS6detail17trampoline_kernelINS0_14default_configENS1_20scan_config_selectorIdEEZZNS1_9scan_implILNS1_25lookback_scan_determinismE0ELb0ELb0ES3_PKdPddZZZN2at6native31launch_logcumsumexp_cuda_kernelERKNSB_10TensorBaseESF_lENKUlvE_clEvENKUlvE_clEvEUlddE_dEEDaPvRmT3_T4_T5_mT6_P12ihipStream_tbENKUlT_T0_E_clISt17integral_constantIbLb0EESV_IbLb1EEEEDaSR_SS_EUlSR_E_NS1_11comp_targetILNS1_3genE3ELNS1_11target_archE908ELNS1_3gpuE7ELNS1_3repE0EEENS1_30default_config_static_selectorELNS0_4arch9wavefront6targetE0EEEvT1_, .Lfunc_end69-_ZN7rocprim17ROCPRIM_400000_NS6detail17trampoline_kernelINS0_14default_configENS1_20scan_config_selectorIdEEZZNS1_9scan_implILNS1_25lookback_scan_determinismE0ELb0ELb0ES3_PKdPddZZZN2at6native31launch_logcumsumexp_cuda_kernelERKNSB_10TensorBaseESF_lENKUlvE_clEvENKUlvE_clEvEUlddE_dEEDaPvRmT3_T4_T5_mT6_P12ihipStream_tbENKUlT_T0_E_clISt17integral_constantIbLb0EESV_IbLb1EEEEDaSR_SS_EUlSR_E_NS1_11comp_targetILNS1_3genE3ELNS1_11target_archE908ELNS1_3gpuE7ELNS1_3repE0EEENS1_30default_config_static_selectorELNS0_4arch9wavefront6targetE0EEEvT1_
                                        ; -- End function
	.set _ZN7rocprim17ROCPRIM_400000_NS6detail17trampoline_kernelINS0_14default_configENS1_20scan_config_selectorIdEEZZNS1_9scan_implILNS1_25lookback_scan_determinismE0ELb0ELb0ES3_PKdPddZZZN2at6native31launch_logcumsumexp_cuda_kernelERKNSB_10TensorBaseESF_lENKUlvE_clEvENKUlvE_clEvEUlddE_dEEDaPvRmT3_T4_T5_mT6_P12ihipStream_tbENKUlT_T0_E_clISt17integral_constantIbLb0EESV_IbLb1EEEEDaSR_SS_EUlSR_E_NS1_11comp_targetILNS1_3genE3ELNS1_11target_archE908ELNS1_3gpuE7ELNS1_3repE0EEENS1_30default_config_static_selectorELNS0_4arch9wavefront6targetE0EEEvT1_.num_vgpr, 0
	.set _ZN7rocprim17ROCPRIM_400000_NS6detail17trampoline_kernelINS0_14default_configENS1_20scan_config_selectorIdEEZZNS1_9scan_implILNS1_25lookback_scan_determinismE0ELb0ELb0ES3_PKdPddZZZN2at6native31launch_logcumsumexp_cuda_kernelERKNSB_10TensorBaseESF_lENKUlvE_clEvENKUlvE_clEvEUlddE_dEEDaPvRmT3_T4_T5_mT6_P12ihipStream_tbENKUlT_T0_E_clISt17integral_constantIbLb0EESV_IbLb1EEEEDaSR_SS_EUlSR_E_NS1_11comp_targetILNS1_3genE3ELNS1_11target_archE908ELNS1_3gpuE7ELNS1_3repE0EEENS1_30default_config_static_selectorELNS0_4arch9wavefront6targetE0EEEvT1_.num_agpr, 0
	.set _ZN7rocprim17ROCPRIM_400000_NS6detail17trampoline_kernelINS0_14default_configENS1_20scan_config_selectorIdEEZZNS1_9scan_implILNS1_25lookback_scan_determinismE0ELb0ELb0ES3_PKdPddZZZN2at6native31launch_logcumsumexp_cuda_kernelERKNSB_10TensorBaseESF_lENKUlvE_clEvENKUlvE_clEvEUlddE_dEEDaPvRmT3_T4_T5_mT6_P12ihipStream_tbENKUlT_T0_E_clISt17integral_constantIbLb0EESV_IbLb1EEEEDaSR_SS_EUlSR_E_NS1_11comp_targetILNS1_3genE3ELNS1_11target_archE908ELNS1_3gpuE7ELNS1_3repE0EEENS1_30default_config_static_selectorELNS0_4arch9wavefront6targetE0EEEvT1_.numbered_sgpr, 0
	.set _ZN7rocprim17ROCPRIM_400000_NS6detail17trampoline_kernelINS0_14default_configENS1_20scan_config_selectorIdEEZZNS1_9scan_implILNS1_25lookback_scan_determinismE0ELb0ELb0ES3_PKdPddZZZN2at6native31launch_logcumsumexp_cuda_kernelERKNSB_10TensorBaseESF_lENKUlvE_clEvENKUlvE_clEvEUlddE_dEEDaPvRmT3_T4_T5_mT6_P12ihipStream_tbENKUlT_T0_E_clISt17integral_constantIbLb0EESV_IbLb1EEEEDaSR_SS_EUlSR_E_NS1_11comp_targetILNS1_3genE3ELNS1_11target_archE908ELNS1_3gpuE7ELNS1_3repE0EEENS1_30default_config_static_selectorELNS0_4arch9wavefront6targetE0EEEvT1_.num_named_barrier, 0
	.set _ZN7rocprim17ROCPRIM_400000_NS6detail17trampoline_kernelINS0_14default_configENS1_20scan_config_selectorIdEEZZNS1_9scan_implILNS1_25lookback_scan_determinismE0ELb0ELb0ES3_PKdPddZZZN2at6native31launch_logcumsumexp_cuda_kernelERKNSB_10TensorBaseESF_lENKUlvE_clEvENKUlvE_clEvEUlddE_dEEDaPvRmT3_T4_T5_mT6_P12ihipStream_tbENKUlT_T0_E_clISt17integral_constantIbLb0EESV_IbLb1EEEEDaSR_SS_EUlSR_E_NS1_11comp_targetILNS1_3genE3ELNS1_11target_archE908ELNS1_3gpuE7ELNS1_3repE0EEENS1_30default_config_static_selectorELNS0_4arch9wavefront6targetE0EEEvT1_.private_seg_size, 0
	.set _ZN7rocprim17ROCPRIM_400000_NS6detail17trampoline_kernelINS0_14default_configENS1_20scan_config_selectorIdEEZZNS1_9scan_implILNS1_25lookback_scan_determinismE0ELb0ELb0ES3_PKdPddZZZN2at6native31launch_logcumsumexp_cuda_kernelERKNSB_10TensorBaseESF_lENKUlvE_clEvENKUlvE_clEvEUlddE_dEEDaPvRmT3_T4_T5_mT6_P12ihipStream_tbENKUlT_T0_E_clISt17integral_constantIbLb0EESV_IbLb1EEEEDaSR_SS_EUlSR_E_NS1_11comp_targetILNS1_3genE3ELNS1_11target_archE908ELNS1_3gpuE7ELNS1_3repE0EEENS1_30default_config_static_selectorELNS0_4arch9wavefront6targetE0EEEvT1_.uses_vcc, 0
	.set _ZN7rocprim17ROCPRIM_400000_NS6detail17trampoline_kernelINS0_14default_configENS1_20scan_config_selectorIdEEZZNS1_9scan_implILNS1_25lookback_scan_determinismE0ELb0ELb0ES3_PKdPddZZZN2at6native31launch_logcumsumexp_cuda_kernelERKNSB_10TensorBaseESF_lENKUlvE_clEvENKUlvE_clEvEUlddE_dEEDaPvRmT3_T4_T5_mT6_P12ihipStream_tbENKUlT_T0_E_clISt17integral_constantIbLb0EESV_IbLb1EEEEDaSR_SS_EUlSR_E_NS1_11comp_targetILNS1_3genE3ELNS1_11target_archE908ELNS1_3gpuE7ELNS1_3repE0EEENS1_30default_config_static_selectorELNS0_4arch9wavefront6targetE0EEEvT1_.uses_flat_scratch, 0
	.set _ZN7rocprim17ROCPRIM_400000_NS6detail17trampoline_kernelINS0_14default_configENS1_20scan_config_selectorIdEEZZNS1_9scan_implILNS1_25lookback_scan_determinismE0ELb0ELb0ES3_PKdPddZZZN2at6native31launch_logcumsumexp_cuda_kernelERKNSB_10TensorBaseESF_lENKUlvE_clEvENKUlvE_clEvEUlddE_dEEDaPvRmT3_T4_T5_mT6_P12ihipStream_tbENKUlT_T0_E_clISt17integral_constantIbLb0EESV_IbLb1EEEEDaSR_SS_EUlSR_E_NS1_11comp_targetILNS1_3genE3ELNS1_11target_archE908ELNS1_3gpuE7ELNS1_3repE0EEENS1_30default_config_static_selectorELNS0_4arch9wavefront6targetE0EEEvT1_.has_dyn_sized_stack, 0
	.set _ZN7rocprim17ROCPRIM_400000_NS6detail17trampoline_kernelINS0_14default_configENS1_20scan_config_selectorIdEEZZNS1_9scan_implILNS1_25lookback_scan_determinismE0ELb0ELb0ES3_PKdPddZZZN2at6native31launch_logcumsumexp_cuda_kernelERKNSB_10TensorBaseESF_lENKUlvE_clEvENKUlvE_clEvEUlddE_dEEDaPvRmT3_T4_T5_mT6_P12ihipStream_tbENKUlT_T0_E_clISt17integral_constantIbLb0EESV_IbLb1EEEEDaSR_SS_EUlSR_E_NS1_11comp_targetILNS1_3genE3ELNS1_11target_archE908ELNS1_3gpuE7ELNS1_3repE0EEENS1_30default_config_static_selectorELNS0_4arch9wavefront6targetE0EEEvT1_.has_recursion, 0
	.set _ZN7rocprim17ROCPRIM_400000_NS6detail17trampoline_kernelINS0_14default_configENS1_20scan_config_selectorIdEEZZNS1_9scan_implILNS1_25lookback_scan_determinismE0ELb0ELb0ES3_PKdPddZZZN2at6native31launch_logcumsumexp_cuda_kernelERKNSB_10TensorBaseESF_lENKUlvE_clEvENKUlvE_clEvEUlddE_dEEDaPvRmT3_T4_T5_mT6_P12ihipStream_tbENKUlT_T0_E_clISt17integral_constantIbLb0EESV_IbLb1EEEEDaSR_SS_EUlSR_E_NS1_11comp_targetILNS1_3genE3ELNS1_11target_archE908ELNS1_3gpuE7ELNS1_3repE0EEENS1_30default_config_static_selectorELNS0_4arch9wavefront6targetE0EEEvT1_.has_indirect_call, 0
	.section	.AMDGPU.csdata,"",@progbits
; Kernel info:
; codeLenInByte = 0
; TotalNumSgprs: 0
; NumVgprs: 0
; ScratchSize: 0
; MemoryBound: 0
; FloatMode: 240
; IeeeMode: 1
; LDSByteSize: 0 bytes/workgroup (compile time only)
; SGPRBlocks: 0
; VGPRBlocks: 0
; NumSGPRsForWavesPerEU: 1
; NumVGPRsForWavesPerEU: 1
; Occupancy: 16
; WaveLimiterHint : 0
; COMPUTE_PGM_RSRC2:SCRATCH_EN: 0
; COMPUTE_PGM_RSRC2:USER_SGPR: 6
; COMPUTE_PGM_RSRC2:TRAP_HANDLER: 0
; COMPUTE_PGM_RSRC2:TGID_X_EN: 1
; COMPUTE_PGM_RSRC2:TGID_Y_EN: 0
; COMPUTE_PGM_RSRC2:TGID_Z_EN: 0
; COMPUTE_PGM_RSRC2:TIDIG_COMP_CNT: 0
	.section	.text._ZN7rocprim17ROCPRIM_400000_NS6detail17trampoline_kernelINS0_14default_configENS1_20scan_config_selectorIdEEZZNS1_9scan_implILNS1_25lookback_scan_determinismE0ELb0ELb0ES3_PKdPddZZZN2at6native31launch_logcumsumexp_cuda_kernelERKNSB_10TensorBaseESF_lENKUlvE_clEvENKUlvE_clEvEUlddE_dEEDaPvRmT3_T4_T5_mT6_P12ihipStream_tbENKUlT_T0_E_clISt17integral_constantIbLb0EESV_IbLb1EEEEDaSR_SS_EUlSR_E_NS1_11comp_targetILNS1_3genE2ELNS1_11target_archE906ELNS1_3gpuE6ELNS1_3repE0EEENS1_30default_config_static_selectorELNS0_4arch9wavefront6targetE0EEEvT1_,"axG",@progbits,_ZN7rocprim17ROCPRIM_400000_NS6detail17trampoline_kernelINS0_14default_configENS1_20scan_config_selectorIdEEZZNS1_9scan_implILNS1_25lookback_scan_determinismE0ELb0ELb0ES3_PKdPddZZZN2at6native31launch_logcumsumexp_cuda_kernelERKNSB_10TensorBaseESF_lENKUlvE_clEvENKUlvE_clEvEUlddE_dEEDaPvRmT3_T4_T5_mT6_P12ihipStream_tbENKUlT_T0_E_clISt17integral_constantIbLb0EESV_IbLb1EEEEDaSR_SS_EUlSR_E_NS1_11comp_targetILNS1_3genE2ELNS1_11target_archE906ELNS1_3gpuE6ELNS1_3repE0EEENS1_30default_config_static_selectorELNS0_4arch9wavefront6targetE0EEEvT1_,comdat
	.globl	_ZN7rocprim17ROCPRIM_400000_NS6detail17trampoline_kernelINS0_14default_configENS1_20scan_config_selectorIdEEZZNS1_9scan_implILNS1_25lookback_scan_determinismE0ELb0ELb0ES3_PKdPddZZZN2at6native31launch_logcumsumexp_cuda_kernelERKNSB_10TensorBaseESF_lENKUlvE_clEvENKUlvE_clEvEUlddE_dEEDaPvRmT3_T4_T5_mT6_P12ihipStream_tbENKUlT_T0_E_clISt17integral_constantIbLb0EESV_IbLb1EEEEDaSR_SS_EUlSR_E_NS1_11comp_targetILNS1_3genE2ELNS1_11target_archE906ELNS1_3gpuE6ELNS1_3repE0EEENS1_30default_config_static_selectorELNS0_4arch9wavefront6targetE0EEEvT1_ ; -- Begin function _ZN7rocprim17ROCPRIM_400000_NS6detail17trampoline_kernelINS0_14default_configENS1_20scan_config_selectorIdEEZZNS1_9scan_implILNS1_25lookback_scan_determinismE0ELb0ELb0ES3_PKdPddZZZN2at6native31launch_logcumsumexp_cuda_kernelERKNSB_10TensorBaseESF_lENKUlvE_clEvENKUlvE_clEvEUlddE_dEEDaPvRmT3_T4_T5_mT6_P12ihipStream_tbENKUlT_T0_E_clISt17integral_constantIbLb0EESV_IbLb1EEEEDaSR_SS_EUlSR_E_NS1_11comp_targetILNS1_3genE2ELNS1_11target_archE906ELNS1_3gpuE6ELNS1_3repE0EEENS1_30default_config_static_selectorELNS0_4arch9wavefront6targetE0EEEvT1_
	.p2align	8
	.type	_ZN7rocprim17ROCPRIM_400000_NS6detail17trampoline_kernelINS0_14default_configENS1_20scan_config_selectorIdEEZZNS1_9scan_implILNS1_25lookback_scan_determinismE0ELb0ELb0ES3_PKdPddZZZN2at6native31launch_logcumsumexp_cuda_kernelERKNSB_10TensorBaseESF_lENKUlvE_clEvENKUlvE_clEvEUlddE_dEEDaPvRmT3_T4_T5_mT6_P12ihipStream_tbENKUlT_T0_E_clISt17integral_constantIbLb0EESV_IbLb1EEEEDaSR_SS_EUlSR_E_NS1_11comp_targetILNS1_3genE2ELNS1_11target_archE906ELNS1_3gpuE6ELNS1_3repE0EEENS1_30default_config_static_selectorELNS0_4arch9wavefront6targetE0EEEvT1_,@function
_ZN7rocprim17ROCPRIM_400000_NS6detail17trampoline_kernelINS0_14default_configENS1_20scan_config_selectorIdEEZZNS1_9scan_implILNS1_25lookback_scan_determinismE0ELb0ELb0ES3_PKdPddZZZN2at6native31launch_logcumsumexp_cuda_kernelERKNSB_10TensorBaseESF_lENKUlvE_clEvENKUlvE_clEvEUlddE_dEEDaPvRmT3_T4_T5_mT6_P12ihipStream_tbENKUlT_T0_E_clISt17integral_constantIbLb0EESV_IbLb1EEEEDaSR_SS_EUlSR_E_NS1_11comp_targetILNS1_3genE2ELNS1_11target_archE906ELNS1_3gpuE6ELNS1_3repE0EEENS1_30default_config_static_selectorELNS0_4arch9wavefront6targetE0EEEvT1_: ; @_ZN7rocprim17ROCPRIM_400000_NS6detail17trampoline_kernelINS0_14default_configENS1_20scan_config_selectorIdEEZZNS1_9scan_implILNS1_25lookback_scan_determinismE0ELb0ELb0ES3_PKdPddZZZN2at6native31launch_logcumsumexp_cuda_kernelERKNSB_10TensorBaseESF_lENKUlvE_clEvENKUlvE_clEvEUlddE_dEEDaPvRmT3_T4_T5_mT6_P12ihipStream_tbENKUlT_T0_E_clISt17integral_constantIbLb0EESV_IbLb1EEEEDaSR_SS_EUlSR_E_NS1_11comp_targetILNS1_3genE2ELNS1_11target_archE906ELNS1_3gpuE6ELNS1_3repE0EEENS1_30default_config_static_selectorELNS0_4arch9wavefront6targetE0EEEvT1_
; %bb.0:
	.section	.rodata,"a",@progbits
	.p2align	6, 0x0
	.amdhsa_kernel _ZN7rocprim17ROCPRIM_400000_NS6detail17trampoline_kernelINS0_14default_configENS1_20scan_config_selectorIdEEZZNS1_9scan_implILNS1_25lookback_scan_determinismE0ELb0ELb0ES3_PKdPddZZZN2at6native31launch_logcumsumexp_cuda_kernelERKNSB_10TensorBaseESF_lENKUlvE_clEvENKUlvE_clEvEUlddE_dEEDaPvRmT3_T4_T5_mT6_P12ihipStream_tbENKUlT_T0_E_clISt17integral_constantIbLb0EESV_IbLb1EEEEDaSR_SS_EUlSR_E_NS1_11comp_targetILNS1_3genE2ELNS1_11target_archE906ELNS1_3gpuE6ELNS1_3repE0EEENS1_30default_config_static_selectorELNS0_4arch9wavefront6targetE0EEEvT1_
		.amdhsa_group_segment_fixed_size 0
		.amdhsa_private_segment_fixed_size 0
		.amdhsa_kernarg_size 104
		.amdhsa_user_sgpr_count 6
		.amdhsa_user_sgpr_private_segment_buffer 1
		.amdhsa_user_sgpr_dispatch_ptr 0
		.amdhsa_user_sgpr_queue_ptr 0
		.amdhsa_user_sgpr_kernarg_segment_ptr 1
		.amdhsa_user_sgpr_dispatch_id 0
		.amdhsa_user_sgpr_flat_scratch_init 0
		.amdhsa_user_sgpr_private_segment_size 0
		.amdhsa_wavefront_size32 1
		.amdhsa_uses_dynamic_stack 0
		.amdhsa_system_sgpr_private_segment_wavefront_offset 0
		.amdhsa_system_sgpr_workgroup_id_x 1
		.amdhsa_system_sgpr_workgroup_id_y 0
		.amdhsa_system_sgpr_workgroup_id_z 0
		.amdhsa_system_sgpr_workgroup_info 0
		.amdhsa_system_vgpr_workitem_id 0
		.amdhsa_next_free_vgpr 1
		.amdhsa_next_free_sgpr 1
		.amdhsa_reserve_vcc 0
		.amdhsa_reserve_flat_scratch 0
		.amdhsa_float_round_mode_32 0
		.amdhsa_float_round_mode_16_64 0
		.amdhsa_float_denorm_mode_32 3
		.amdhsa_float_denorm_mode_16_64 3
		.amdhsa_dx10_clamp 1
		.amdhsa_ieee_mode 1
		.amdhsa_fp16_overflow 0
		.amdhsa_workgroup_processor_mode 1
		.amdhsa_memory_ordered 1
		.amdhsa_forward_progress 1
		.amdhsa_shared_vgpr_count 0
		.amdhsa_exception_fp_ieee_invalid_op 0
		.amdhsa_exception_fp_denorm_src 0
		.amdhsa_exception_fp_ieee_div_zero 0
		.amdhsa_exception_fp_ieee_overflow 0
		.amdhsa_exception_fp_ieee_underflow 0
		.amdhsa_exception_fp_ieee_inexact 0
		.amdhsa_exception_int_div_zero 0
	.end_amdhsa_kernel
	.section	.text._ZN7rocprim17ROCPRIM_400000_NS6detail17trampoline_kernelINS0_14default_configENS1_20scan_config_selectorIdEEZZNS1_9scan_implILNS1_25lookback_scan_determinismE0ELb0ELb0ES3_PKdPddZZZN2at6native31launch_logcumsumexp_cuda_kernelERKNSB_10TensorBaseESF_lENKUlvE_clEvENKUlvE_clEvEUlddE_dEEDaPvRmT3_T4_T5_mT6_P12ihipStream_tbENKUlT_T0_E_clISt17integral_constantIbLb0EESV_IbLb1EEEEDaSR_SS_EUlSR_E_NS1_11comp_targetILNS1_3genE2ELNS1_11target_archE906ELNS1_3gpuE6ELNS1_3repE0EEENS1_30default_config_static_selectorELNS0_4arch9wavefront6targetE0EEEvT1_,"axG",@progbits,_ZN7rocprim17ROCPRIM_400000_NS6detail17trampoline_kernelINS0_14default_configENS1_20scan_config_selectorIdEEZZNS1_9scan_implILNS1_25lookback_scan_determinismE0ELb0ELb0ES3_PKdPddZZZN2at6native31launch_logcumsumexp_cuda_kernelERKNSB_10TensorBaseESF_lENKUlvE_clEvENKUlvE_clEvEUlddE_dEEDaPvRmT3_T4_T5_mT6_P12ihipStream_tbENKUlT_T0_E_clISt17integral_constantIbLb0EESV_IbLb1EEEEDaSR_SS_EUlSR_E_NS1_11comp_targetILNS1_3genE2ELNS1_11target_archE906ELNS1_3gpuE6ELNS1_3repE0EEENS1_30default_config_static_selectorELNS0_4arch9wavefront6targetE0EEEvT1_,comdat
.Lfunc_end70:
	.size	_ZN7rocprim17ROCPRIM_400000_NS6detail17trampoline_kernelINS0_14default_configENS1_20scan_config_selectorIdEEZZNS1_9scan_implILNS1_25lookback_scan_determinismE0ELb0ELb0ES3_PKdPddZZZN2at6native31launch_logcumsumexp_cuda_kernelERKNSB_10TensorBaseESF_lENKUlvE_clEvENKUlvE_clEvEUlddE_dEEDaPvRmT3_T4_T5_mT6_P12ihipStream_tbENKUlT_T0_E_clISt17integral_constantIbLb0EESV_IbLb1EEEEDaSR_SS_EUlSR_E_NS1_11comp_targetILNS1_3genE2ELNS1_11target_archE906ELNS1_3gpuE6ELNS1_3repE0EEENS1_30default_config_static_selectorELNS0_4arch9wavefront6targetE0EEEvT1_, .Lfunc_end70-_ZN7rocprim17ROCPRIM_400000_NS6detail17trampoline_kernelINS0_14default_configENS1_20scan_config_selectorIdEEZZNS1_9scan_implILNS1_25lookback_scan_determinismE0ELb0ELb0ES3_PKdPddZZZN2at6native31launch_logcumsumexp_cuda_kernelERKNSB_10TensorBaseESF_lENKUlvE_clEvENKUlvE_clEvEUlddE_dEEDaPvRmT3_T4_T5_mT6_P12ihipStream_tbENKUlT_T0_E_clISt17integral_constantIbLb0EESV_IbLb1EEEEDaSR_SS_EUlSR_E_NS1_11comp_targetILNS1_3genE2ELNS1_11target_archE906ELNS1_3gpuE6ELNS1_3repE0EEENS1_30default_config_static_selectorELNS0_4arch9wavefront6targetE0EEEvT1_
                                        ; -- End function
	.set _ZN7rocprim17ROCPRIM_400000_NS6detail17trampoline_kernelINS0_14default_configENS1_20scan_config_selectorIdEEZZNS1_9scan_implILNS1_25lookback_scan_determinismE0ELb0ELb0ES3_PKdPddZZZN2at6native31launch_logcumsumexp_cuda_kernelERKNSB_10TensorBaseESF_lENKUlvE_clEvENKUlvE_clEvEUlddE_dEEDaPvRmT3_T4_T5_mT6_P12ihipStream_tbENKUlT_T0_E_clISt17integral_constantIbLb0EESV_IbLb1EEEEDaSR_SS_EUlSR_E_NS1_11comp_targetILNS1_3genE2ELNS1_11target_archE906ELNS1_3gpuE6ELNS1_3repE0EEENS1_30default_config_static_selectorELNS0_4arch9wavefront6targetE0EEEvT1_.num_vgpr, 0
	.set _ZN7rocprim17ROCPRIM_400000_NS6detail17trampoline_kernelINS0_14default_configENS1_20scan_config_selectorIdEEZZNS1_9scan_implILNS1_25lookback_scan_determinismE0ELb0ELb0ES3_PKdPddZZZN2at6native31launch_logcumsumexp_cuda_kernelERKNSB_10TensorBaseESF_lENKUlvE_clEvENKUlvE_clEvEUlddE_dEEDaPvRmT3_T4_T5_mT6_P12ihipStream_tbENKUlT_T0_E_clISt17integral_constantIbLb0EESV_IbLb1EEEEDaSR_SS_EUlSR_E_NS1_11comp_targetILNS1_3genE2ELNS1_11target_archE906ELNS1_3gpuE6ELNS1_3repE0EEENS1_30default_config_static_selectorELNS0_4arch9wavefront6targetE0EEEvT1_.num_agpr, 0
	.set _ZN7rocprim17ROCPRIM_400000_NS6detail17trampoline_kernelINS0_14default_configENS1_20scan_config_selectorIdEEZZNS1_9scan_implILNS1_25lookback_scan_determinismE0ELb0ELb0ES3_PKdPddZZZN2at6native31launch_logcumsumexp_cuda_kernelERKNSB_10TensorBaseESF_lENKUlvE_clEvENKUlvE_clEvEUlddE_dEEDaPvRmT3_T4_T5_mT6_P12ihipStream_tbENKUlT_T0_E_clISt17integral_constantIbLb0EESV_IbLb1EEEEDaSR_SS_EUlSR_E_NS1_11comp_targetILNS1_3genE2ELNS1_11target_archE906ELNS1_3gpuE6ELNS1_3repE0EEENS1_30default_config_static_selectorELNS0_4arch9wavefront6targetE0EEEvT1_.numbered_sgpr, 0
	.set _ZN7rocprim17ROCPRIM_400000_NS6detail17trampoline_kernelINS0_14default_configENS1_20scan_config_selectorIdEEZZNS1_9scan_implILNS1_25lookback_scan_determinismE0ELb0ELb0ES3_PKdPddZZZN2at6native31launch_logcumsumexp_cuda_kernelERKNSB_10TensorBaseESF_lENKUlvE_clEvENKUlvE_clEvEUlddE_dEEDaPvRmT3_T4_T5_mT6_P12ihipStream_tbENKUlT_T0_E_clISt17integral_constantIbLb0EESV_IbLb1EEEEDaSR_SS_EUlSR_E_NS1_11comp_targetILNS1_3genE2ELNS1_11target_archE906ELNS1_3gpuE6ELNS1_3repE0EEENS1_30default_config_static_selectorELNS0_4arch9wavefront6targetE0EEEvT1_.num_named_barrier, 0
	.set _ZN7rocprim17ROCPRIM_400000_NS6detail17trampoline_kernelINS0_14default_configENS1_20scan_config_selectorIdEEZZNS1_9scan_implILNS1_25lookback_scan_determinismE0ELb0ELb0ES3_PKdPddZZZN2at6native31launch_logcumsumexp_cuda_kernelERKNSB_10TensorBaseESF_lENKUlvE_clEvENKUlvE_clEvEUlddE_dEEDaPvRmT3_T4_T5_mT6_P12ihipStream_tbENKUlT_T0_E_clISt17integral_constantIbLb0EESV_IbLb1EEEEDaSR_SS_EUlSR_E_NS1_11comp_targetILNS1_3genE2ELNS1_11target_archE906ELNS1_3gpuE6ELNS1_3repE0EEENS1_30default_config_static_selectorELNS0_4arch9wavefront6targetE0EEEvT1_.private_seg_size, 0
	.set _ZN7rocprim17ROCPRIM_400000_NS6detail17trampoline_kernelINS0_14default_configENS1_20scan_config_selectorIdEEZZNS1_9scan_implILNS1_25lookback_scan_determinismE0ELb0ELb0ES3_PKdPddZZZN2at6native31launch_logcumsumexp_cuda_kernelERKNSB_10TensorBaseESF_lENKUlvE_clEvENKUlvE_clEvEUlddE_dEEDaPvRmT3_T4_T5_mT6_P12ihipStream_tbENKUlT_T0_E_clISt17integral_constantIbLb0EESV_IbLb1EEEEDaSR_SS_EUlSR_E_NS1_11comp_targetILNS1_3genE2ELNS1_11target_archE906ELNS1_3gpuE6ELNS1_3repE0EEENS1_30default_config_static_selectorELNS0_4arch9wavefront6targetE0EEEvT1_.uses_vcc, 0
	.set _ZN7rocprim17ROCPRIM_400000_NS6detail17trampoline_kernelINS0_14default_configENS1_20scan_config_selectorIdEEZZNS1_9scan_implILNS1_25lookback_scan_determinismE0ELb0ELb0ES3_PKdPddZZZN2at6native31launch_logcumsumexp_cuda_kernelERKNSB_10TensorBaseESF_lENKUlvE_clEvENKUlvE_clEvEUlddE_dEEDaPvRmT3_T4_T5_mT6_P12ihipStream_tbENKUlT_T0_E_clISt17integral_constantIbLb0EESV_IbLb1EEEEDaSR_SS_EUlSR_E_NS1_11comp_targetILNS1_3genE2ELNS1_11target_archE906ELNS1_3gpuE6ELNS1_3repE0EEENS1_30default_config_static_selectorELNS0_4arch9wavefront6targetE0EEEvT1_.uses_flat_scratch, 0
	.set _ZN7rocprim17ROCPRIM_400000_NS6detail17trampoline_kernelINS0_14default_configENS1_20scan_config_selectorIdEEZZNS1_9scan_implILNS1_25lookback_scan_determinismE0ELb0ELb0ES3_PKdPddZZZN2at6native31launch_logcumsumexp_cuda_kernelERKNSB_10TensorBaseESF_lENKUlvE_clEvENKUlvE_clEvEUlddE_dEEDaPvRmT3_T4_T5_mT6_P12ihipStream_tbENKUlT_T0_E_clISt17integral_constantIbLb0EESV_IbLb1EEEEDaSR_SS_EUlSR_E_NS1_11comp_targetILNS1_3genE2ELNS1_11target_archE906ELNS1_3gpuE6ELNS1_3repE0EEENS1_30default_config_static_selectorELNS0_4arch9wavefront6targetE0EEEvT1_.has_dyn_sized_stack, 0
	.set _ZN7rocprim17ROCPRIM_400000_NS6detail17trampoline_kernelINS0_14default_configENS1_20scan_config_selectorIdEEZZNS1_9scan_implILNS1_25lookback_scan_determinismE0ELb0ELb0ES3_PKdPddZZZN2at6native31launch_logcumsumexp_cuda_kernelERKNSB_10TensorBaseESF_lENKUlvE_clEvENKUlvE_clEvEUlddE_dEEDaPvRmT3_T4_T5_mT6_P12ihipStream_tbENKUlT_T0_E_clISt17integral_constantIbLb0EESV_IbLb1EEEEDaSR_SS_EUlSR_E_NS1_11comp_targetILNS1_3genE2ELNS1_11target_archE906ELNS1_3gpuE6ELNS1_3repE0EEENS1_30default_config_static_selectorELNS0_4arch9wavefront6targetE0EEEvT1_.has_recursion, 0
	.set _ZN7rocprim17ROCPRIM_400000_NS6detail17trampoline_kernelINS0_14default_configENS1_20scan_config_selectorIdEEZZNS1_9scan_implILNS1_25lookback_scan_determinismE0ELb0ELb0ES3_PKdPddZZZN2at6native31launch_logcumsumexp_cuda_kernelERKNSB_10TensorBaseESF_lENKUlvE_clEvENKUlvE_clEvEUlddE_dEEDaPvRmT3_T4_T5_mT6_P12ihipStream_tbENKUlT_T0_E_clISt17integral_constantIbLb0EESV_IbLb1EEEEDaSR_SS_EUlSR_E_NS1_11comp_targetILNS1_3genE2ELNS1_11target_archE906ELNS1_3gpuE6ELNS1_3repE0EEENS1_30default_config_static_selectorELNS0_4arch9wavefront6targetE0EEEvT1_.has_indirect_call, 0
	.section	.AMDGPU.csdata,"",@progbits
; Kernel info:
; codeLenInByte = 0
; TotalNumSgprs: 0
; NumVgprs: 0
; ScratchSize: 0
; MemoryBound: 0
; FloatMode: 240
; IeeeMode: 1
; LDSByteSize: 0 bytes/workgroup (compile time only)
; SGPRBlocks: 0
; VGPRBlocks: 0
; NumSGPRsForWavesPerEU: 1
; NumVGPRsForWavesPerEU: 1
; Occupancy: 16
; WaveLimiterHint : 0
; COMPUTE_PGM_RSRC2:SCRATCH_EN: 0
; COMPUTE_PGM_RSRC2:USER_SGPR: 6
; COMPUTE_PGM_RSRC2:TRAP_HANDLER: 0
; COMPUTE_PGM_RSRC2:TGID_X_EN: 1
; COMPUTE_PGM_RSRC2:TGID_Y_EN: 0
; COMPUTE_PGM_RSRC2:TGID_Z_EN: 0
; COMPUTE_PGM_RSRC2:TIDIG_COMP_CNT: 0
	.section	.text._ZN7rocprim17ROCPRIM_400000_NS6detail17trampoline_kernelINS0_14default_configENS1_20scan_config_selectorIdEEZZNS1_9scan_implILNS1_25lookback_scan_determinismE0ELb0ELb0ES3_PKdPddZZZN2at6native31launch_logcumsumexp_cuda_kernelERKNSB_10TensorBaseESF_lENKUlvE_clEvENKUlvE_clEvEUlddE_dEEDaPvRmT3_T4_T5_mT6_P12ihipStream_tbENKUlT_T0_E_clISt17integral_constantIbLb0EESV_IbLb1EEEEDaSR_SS_EUlSR_E_NS1_11comp_targetILNS1_3genE10ELNS1_11target_archE1201ELNS1_3gpuE5ELNS1_3repE0EEENS1_30default_config_static_selectorELNS0_4arch9wavefront6targetE0EEEvT1_,"axG",@progbits,_ZN7rocprim17ROCPRIM_400000_NS6detail17trampoline_kernelINS0_14default_configENS1_20scan_config_selectorIdEEZZNS1_9scan_implILNS1_25lookback_scan_determinismE0ELb0ELb0ES3_PKdPddZZZN2at6native31launch_logcumsumexp_cuda_kernelERKNSB_10TensorBaseESF_lENKUlvE_clEvENKUlvE_clEvEUlddE_dEEDaPvRmT3_T4_T5_mT6_P12ihipStream_tbENKUlT_T0_E_clISt17integral_constantIbLb0EESV_IbLb1EEEEDaSR_SS_EUlSR_E_NS1_11comp_targetILNS1_3genE10ELNS1_11target_archE1201ELNS1_3gpuE5ELNS1_3repE0EEENS1_30default_config_static_selectorELNS0_4arch9wavefront6targetE0EEEvT1_,comdat
	.globl	_ZN7rocprim17ROCPRIM_400000_NS6detail17trampoline_kernelINS0_14default_configENS1_20scan_config_selectorIdEEZZNS1_9scan_implILNS1_25lookback_scan_determinismE0ELb0ELb0ES3_PKdPddZZZN2at6native31launch_logcumsumexp_cuda_kernelERKNSB_10TensorBaseESF_lENKUlvE_clEvENKUlvE_clEvEUlddE_dEEDaPvRmT3_T4_T5_mT6_P12ihipStream_tbENKUlT_T0_E_clISt17integral_constantIbLb0EESV_IbLb1EEEEDaSR_SS_EUlSR_E_NS1_11comp_targetILNS1_3genE10ELNS1_11target_archE1201ELNS1_3gpuE5ELNS1_3repE0EEENS1_30default_config_static_selectorELNS0_4arch9wavefront6targetE0EEEvT1_ ; -- Begin function _ZN7rocprim17ROCPRIM_400000_NS6detail17trampoline_kernelINS0_14default_configENS1_20scan_config_selectorIdEEZZNS1_9scan_implILNS1_25lookback_scan_determinismE0ELb0ELb0ES3_PKdPddZZZN2at6native31launch_logcumsumexp_cuda_kernelERKNSB_10TensorBaseESF_lENKUlvE_clEvENKUlvE_clEvEUlddE_dEEDaPvRmT3_T4_T5_mT6_P12ihipStream_tbENKUlT_T0_E_clISt17integral_constantIbLb0EESV_IbLb1EEEEDaSR_SS_EUlSR_E_NS1_11comp_targetILNS1_3genE10ELNS1_11target_archE1201ELNS1_3gpuE5ELNS1_3repE0EEENS1_30default_config_static_selectorELNS0_4arch9wavefront6targetE0EEEvT1_
	.p2align	8
	.type	_ZN7rocprim17ROCPRIM_400000_NS6detail17trampoline_kernelINS0_14default_configENS1_20scan_config_selectorIdEEZZNS1_9scan_implILNS1_25lookback_scan_determinismE0ELb0ELb0ES3_PKdPddZZZN2at6native31launch_logcumsumexp_cuda_kernelERKNSB_10TensorBaseESF_lENKUlvE_clEvENKUlvE_clEvEUlddE_dEEDaPvRmT3_T4_T5_mT6_P12ihipStream_tbENKUlT_T0_E_clISt17integral_constantIbLb0EESV_IbLb1EEEEDaSR_SS_EUlSR_E_NS1_11comp_targetILNS1_3genE10ELNS1_11target_archE1201ELNS1_3gpuE5ELNS1_3repE0EEENS1_30default_config_static_selectorELNS0_4arch9wavefront6targetE0EEEvT1_,@function
_ZN7rocprim17ROCPRIM_400000_NS6detail17trampoline_kernelINS0_14default_configENS1_20scan_config_selectorIdEEZZNS1_9scan_implILNS1_25lookback_scan_determinismE0ELb0ELb0ES3_PKdPddZZZN2at6native31launch_logcumsumexp_cuda_kernelERKNSB_10TensorBaseESF_lENKUlvE_clEvENKUlvE_clEvEUlddE_dEEDaPvRmT3_T4_T5_mT6_P12ihipStream_tbENKUlT_T0_E_clISt17integral_constantIbLb0EESV_IbLb1EEEEDaSR_SS_EUlSR_E_NS1_11comp_targetILNS1_3genE10ELNS1_11target_archE1201ELNS1_3gpuE5ELNS1_3repE0EEENS1_30default_config_static_selectorELNS0_4arch9wavefront6targetE0EEEvT1_: ; @_ZN7rocprim17ROCPRIM_400000_NS6detail17trampoline_kernelINS0_14default_configENS1_20scan_config_selectorIdEEZZNS1_9scan_implILNS1_25lookback_scan_determinismE0ELb0ELb0ES3_PKdPddZZZN2at6native31launch_logcumsumexp_cuda_kernelERKNSB_10TensorBaseESF_lENKUlvE_clEvENKUlvE_clEvEUlddE_dEEDaPvRmT3_T4_T5_mT6_P12ihipStream_tbENKUlT_T0_E_clISt17integral_constantIbLb0EESV_IbLb1EEEEDaSR_SS_EUlSR_E_NS1_11comp_targetILNS1_3genE10ELNS1_11target_archE1201ELNS1_3gpuE5ELNS1_3repE0EEENS1_30default_config_static_selectorELNS0_4arch9wavefront6targetE0EEEvT1_
; %bb.0:
	.section	.rodata,"a",@progbits
	.p2align	6, 0x0
	.amdhsa_kernel _ZN7rocprim17ROCPRIM_400000_NS6detail17trampoline_kernelINS0_14default_configENS1_20scan_config_selectorIdEEZZNS1_9scan_implILNS1_25lookback_scan_determinismE0ELb0ELb0ES3_PKdPddZZZN2at6native31launch_logcumsumexp_cuda_kernelERKNSB_10TensorBaseESF_lENKUlvE_clEvENKUlvE_clEvEUlddE_dEEDaPvRmT3_T4_T5_mT6_P12ihipStream_tbENKUlT_T0_E_clISt17integral_constantIbLb0EESV_IbLb1EEEEDaSR_SS_EUlSR_E_NS1_11comp_targetILNS1_3genE10ELNS1_11target_archE1201ELNS1_3gpuE5ELNS1_3repE0EEENS1_30default_config_static_selectorELNS0_4arch9wavefront6targetE0EEEvT1_
		.amdhsa_group_segment_fixed_size 0
		.amdhsa_private_segment_fixed_size 0
		.amdhsa_kernarg_size 104
		.amdhsa_user_sgpr_count 6
		.amdhsa_user_sgpr_private_segment_buffer 1
		.amdhsa_user_sgpr_dispatch_ptr 0
		.amdhsa_user_sgpr_queue_ptr 0
		.amdhsa_user_sgpr_kernarg_segment_ptr 1
		.amdhsa_user_sgpr_dispatch_id 0
		.amdhsa_user_sgpr_flat_scratch_init 0
		.amdhsa_user_sgpr_private_segment_size 0
		.amdhsa_wavefront_size32 1
		.amdhsa_uses_dynamic_stack 0
		.amdhsa_system_sgpr_private_segment_wavefront_offset 0
		.amdhsa_system_sgpr_workgroup_id_x 1
		.amdhsa_system_sgpr_workgroup_id_y 0
		.amdhsa_system_sgpr_workgroup_id_z 0
		.amdhsa_system_sgpr_workgroup_info 0
		.amdhsa_system_vgpr_workitem_id 0
		.amdhsa_next_free_vgpr 1
		.amdhsa_next_free_sgpr 1
		.amdhsa_reserve_vcc 0
		.amdhsa_reserve_flat_scratch 0
		.amdhsa_float_round_mode_32 0
		.amdhsa_float_round_mode_16_64 0
		.amdhsa_float_denorm_mode_32 3
		.amdhsa_float_denorm_mode_16_64 3
		.amdhsa_dx10_clamp 1
		.amdhsa_ieee_mode 1
		.amdhsa_fp16_overflow 0
		.amdhsa_workgroup_processor_mode 1
		.amdhsa_memory_ordered 1
		.amdhsa_forward_progress 1
		.amdhsa_shared_vgpr_count 0
		.amdhsa_exception_fp_ieee_invalid_op 0
		.amdhsa_exception_fp_denorm_src 0
		.amdhsa_exception_fp_ieee_div_zero 0
		.amdhsa_exception_fp_ieee_overflow 0
		.amdhsa_exception_fp_ieee_underflow 0
		.amdhsa_exception_fp_ieee_inexact 0
		.amdhsa_exception_int_div_zero 0
	.end_amdhsa_kernel
	.section	.text._ZN7rocprim17ROCPRIM_400000_NS6detail17trampoline_kernelINS0_14default_configENS1_20scan_config_selectorIdEEZZNS1_9scan_implILNS1_25lookback_scan_determinismE0ELb0ELb0ES3_PKdPddZZZN2at6native31launch_logcumsumexp_cuda_kernelERKNSB_10TensorBaseESF_lENKUlvE_clEvENKUlvE_clEvEUlddE_dEEDaPvRmT3_T4_T5_mT6_P12ihipStream_tbENKUlT_T0_E_clISt17integral_constantIbLb0EESV_IbLb1EEEEDaSR_SS_EUlSR_E_NS1_11comp_targetILNS1_3genE10ELNS1_11target_archE1201ELNS1_3gpuE5ELNS1_3repE0EEENS1_30default_config_static_selectorELNS0_4arch9wavefront6targetE0EEEvT1_,"axG",@progbits,_ZN7rocprim17ROCPRIM_400000_NS6detail17trampoline_kernelINS0_14default_configENS1_20scan_config_selectorIdEEZZNS1_9scan_implILNS1_25lookback_scan_determinismE0ELb0ELb0ES3_PKdPddZZZN2at6native31launch_logcumsumexp_cuda_kernelERKNSB_10TensorBaseESF_lENKUlvE_clEvENKUlvE_clEvEUlddE_dEEDaPvRmT3_T4_T5_mT6_P12ihipStream_tbENKUlT_T0_E_clISt17integral_constantIbLb0EESV_IbLb1EEEEDaSR_SS_EUlSR_E_NS1_11comp_targetILNS1_3genE10ELNS1_11target_archE1201ELNS1_3gpuE5ELNS1_3repE0EEENS1_30default_config_static_selectorELNS0_4arch9wavefront6targetE0EEEvT1_,comdat
.Lfunc_end71:
	.size	_ZN7rocprim17ROCPRIM_400000_NS6detail17trampoline_kernelINS0_14default_configENS1_20scan_config_selectorIdEEZZNS1_9scan_implILNS1_25lookback_scan_determinismE0ELb0ELb0ES3_PKdPddZZZN2at6native31launch_logcumsumexp_cuda_kernelERKNSB_10TensorBaseESF_lENKUlvE_clEvENKUlvE_clEvEUlddE_dEEDaPvRmT3_T4_T5_mT6_P12ihipStream_tbENKUlT_T0_E_clISt17integral_constantIbLb0EESV_IbLb1EEEEDaSR_SS_EUlSR_E_NS1_11comp_targetILNS1_3genE10ELNS1_11target_archE1201ELNS1_3gpuE5ELNS1_3repE0EEENS1_30default_config_static_selectorELNS0_4arch9wavefront6targetE0EEEvT1_, .Lfunc_end71-_ZN7rocprim17ROCPRIM_400000_NS6detail17trampoline_kernelINS0_14default_configENS1_20scan_config_selectorIdEEZZNS1_9scan_implILNS1_25lookback_scan_determinismE0ELb0ELb0ES3_PKdPddZZZN2at6native31launch_logcumsumexp_cuda_kernelERKNSB_10TensorBaseESF_lENKUlvE_clEvENKUlvE_clEvEUlddE_dEEDaPvRmT3_T4_T5_mT6_P12ihipStream_tbENKUlT_T0_E_clISt17integral_constantIbLb0EESV_IbLb1EEEEDaSR_SS_EUlSR_E_NS1_11comp_targetILNS1_3genE10ELNS1_11target_archE1201ELNS1_3gpuE5ELNS1_3repE0EEENS1_30default_config_static_selectorELNS0_4arch9wavefront6targetE0EEEvT1_
                                        ; -- End function
	.set _ZN7rocprim17ROCPRIM_400000_NS6detail17trampoline_kernelINS0_14default_configENS1_20scan_config_selectorIdEEZZNS1_9scan_implILNS1_25lookback_scan_determinismE0ELb0ELb0ES3_PKdPddZZZN2at6native31launch_logcumsumexp_cuda_kernelERKNSB_10TensorBaseESF_lENKUlvE_clEvENKUlvE_clEvEUlddE_dEEDaPvRmT3_T4_T5_mT6_P12ihipStream_tbENKUlT_T0_E_clISt17integral_constantIbLb0EESV_IbLb1EEEEDaSR_SS_EUlSR_E_NS1_11comp_targetILNS1_3genE10ELNS1_11target_archE1201ELNS1_3gpuE5ELNS1_3repE0EEENS1_30default_config_static_selectorELNS0_4arch9wavefront6targetE0EEEvT1_.num_vgpr, 0
	.set _ZN7rocprim17ROCPRIM_400000_NS6detail17trampoline_kernelINS0_14default_configENS1_20scan_config_selectorIdEEZZNS1_9scan_implILNS1_25lookback_scan_determinismE0ELb0ELb0ES3_PKdPddZZZN2at6native31launch_logcumsumexp_cuda_kernelERKNSB_10TensorBaseESF_lENKUlvE_clEvENKUlvE_clEvEUlddE_dEEDaPvRmT3_T4_T5_mT6_P12ihipStream_tbENKUlT_T0_E_clISt17integral_constantIbLb0EESV_IbLb1EEEEDaSR_SS_EUlSR_E_NS1_11comp_targetILNS1_3genE10ELNS1_11target_archE1201ELNS1_3gpuE5ELNS1_3repE0EEENS1_30default_config_static_selectorELNS0_4arch9wavefront6targetE0EEEvT1_.num_agpr, 0
	.set _ZN7rocprim17ROCPRIM_400000_NS6detail17trampoline_kernelINS0_14default_configENS1_20scan_config_selectorIdEEZZNS1_9scan_implILNS1_25lookback_scan_determinismE0ELb0ELb0ES3_PKdPddZZZN2at6native31launch_logcumsumexp_cuda_kernelERKNSB_10TensorBaseESF_lENKUlvE_clEvENKUlvE_clEvEUlddE_dEEDaPvRmT3_T4_T5_mT6_P12ihipStream_tbENKUlT_T0_E_clISt17integral_constantIbLb0EESV_IbLb1EEEEDaSR_SS_EUlSR_E_NS1_11comp_targetILNS1_3genE10ELNS1_11target_archE1201ELNS1_3gpuE5ELNS1_3repE0EEENS1_30default_config_static_selectorELNS0_4arch9wavefront6targetE0EEEvT1_.numbered_sgpr, 0
	.set _ZN7rocprim17ROCPRIM_400000_NS6detail17trampoline_kernelINS0_14default_configENS1_20scan_config_selectorIdEEZZNS1_9scan_implILNS1_25lookback_scan_determinismE0ELb0ELb0ES3_PKdPddZZZN2at6native31launch_logcumsumexp_cuda_kernelERKNSB_10TensorBaseESF_lENKUlvE_clEvENKUlvE_clEvEUlddE_dEEDaPvRmT3_T4_T5_mT6_P12ihipStream_tbENKUlT_T0_E_clISt17integral_constantIbLb0EESV_IbLb1EEEEDaSR_SS_EUlSR_E_NS1_11comp_targetILNS1_3genE10ELNS1_11target_archE1201ELNS1_3gpuE5ELNS1_3repE0EEENS1_30default_config_static_selectorELNS0_4arch9wavefront6targetE0EEEvT1_.num_named_barrier, 0
	.set _ZN7rocprim17ROCPRIM_400000_NS6detail17trampoline_kernelINS0_14default_configENS1_20scan_config_selectorIdEEZZNS1_9scan_implILNS1_25lookback_scan_determinismE0ELb0ELb0ES3_PKdPddZZZN2at6native31launch_logcumsumexp_cuda_kernelERKNSB_10TensorBaseESF_lENKUlvE_clEvENKUlvE_clEvEUlddE_dEEDaPvRmT3_T4_T5_mT6_P12ihipStream_tbENKUlT_T0_E_clISt17integral_constantIbLb0EESV_IbLb1EEEEDaSR_SS_EUlSR_E_NS1_11comp_targetILNS1_3genE10ELNS1_11target_archE1201ELNS1_3gpuE5ELNS1_3repE0EEENS1_30default_config_static_selectorELNS0_4arch9wavefront6targetE0EEEvT1_.private_seg_size, 0
	.set _ZN7rocprim17ROCPRIM_400000_NS6detail17trampoline_kernelINS0_14default_configENS1_20scan_config_selectorIdEEZZNS1_9scan_implILNS1_25lookback_scan_determinismE0ELb0ELb0ES3_PKdPddZZZN2at6native31launch_logcumsumexp_cuda_kernelERKNSB_10TensorBaseESF_lENKUlvE_clEvENKUlvE_clEvEUlddE_dEEDaPvRmT3_T4_T5_mT6_P12ihipStream_tbENKUlT_T0_E_clISt17integral_constantIbLb0EESV_IbLb1EEEEDaSR_SS_EUlSR_E_NS1_11comp_targetILNS1_3genE10ELNS1_11target_archE1201ELNS1_3gpuE5ELNS1_3repE0EEENS1_30default_config_static_selectorELNS0_4arch9wavefront6targetE0EEEvT1_.uses_vcc, 0
	.set _ZN7rocprim17ROCPRIM_400000_NS6detail17trampoline_kernelINS0_14default_configENS1_20scan_config_selectorIdEEZZNS1_9scan_implILNS1_25lookback_scan_determinismE0ELb0ELb0ES3_PKdPddZZZN2at6native31launch_logcumsumexp_cuda_kernelERKNSB_10TensorBaseESF_lENKUlvE_clEvENKUlvE_clEvEUlddE_dEEDaPvRmT3_T4_T5_mT6_P12ihipStream_tbENKUlT_T0_E_clISt17integral_constantIbLb0EESV_IbLb1EEEEDaSR_SS_EUlSR_E_NS1_11comp_targetILNS1_3genE10ELNS1_11target_archE1201ELNS1_3gpuE5ELNS1_3repE0EEENS1_30default_config_static_selectorELNS0_4arch9wavefront6targetE0EEEvT1_.uses_flat_scratch, 0
	.set _ZN7rocprim17ROCPRIM_400000_NS6detail17trampoline_kernelINS0_14default_configENS1_20scan_config_selectorIdEEZZNS1_9scan_implILNS1_25lookback_scan_determinismE0ELb0ELb0ES3_PKdPddZZZN2at6native31launch_logcumsumexp_cuda_kernelERKNSB_10TensorBaseESF_lENKUlvE_clEvENKUlvE_clEvEUlddE_dEEDaPvRmT3_T4_T5_mT6_P12ihipStream_tbENKUlT_T0_E_clISt17integral_constantIbLb0EESV_IbLb1EEEEDaSR_SS_EUlSR_E_NS1_11comp_targetILNS1_3genE10ELNS1_11target_archE1201ELNS1_3gpuE5ELNS1_3repE0EEENS1_30default_config_static_selectorELNS0_4arch9wavefront6targetE0EEEvT1_.has_dyn_sized_stack, 0
	.set _ZN7rocprim17ROCPRIM_400000_NS6detail17trampoline_kernelINS0_14default_configENS1_20scan_config_selectorIdEEZZNS1_9scan_implILNS1_25lookback_scan_determinismE0ELb0ELb0ES3_PKdPddZZZN2at6native31launch_logcumsumexp_cuda_kernelERKNSB_10TensorBaseESF_lENKUlvE_clEvENKUlvE_clEvEUlddE_dEEDaPvRmT3_T4_T5_mT6_P12ihipStream_tbENKUlT_T0_E_clISt17integral_constantIbLb0EESV_IbLb1EEEEDaSR_SS_EUlSR_E_NS1_11comp_targetILNS1_3genE10ELNS1_11target_archE1201ELNS1_3gpuE5ELNS1_3repE0EEENS1_30default_config_static_selectorELNS0_4arch9wavefront6targetE0EEEvT1_.has_recursion, 0
	.set _ZN7rocprim17ROCPRIM_400000_NS6detail17trampoline_kernelINS0_14default_configENS1_20scan_config_selectorIdEEZZNS1_9scan_implILNS1_25lookback_scan_determinismE0ELb0ELb0ES3_PKdPddZZZN2at6native31launch_logcumsumexp_cuda_kernelERKNSB_10TensorBaseESF_lENKUlvE_clEvENKUlvE_clEvEUlddE_dEEDaPvRmT3_T4_T5_mT6_P12ihipStream_tbENKUlT_T0_E_clISt17integral_constantIbLb0EESV_IbLb1EEEEDaSR_SS_EUlSR_E_NS1_11comp_targetILNS1_3genE10ELNS1_11target_archE1201ELNS1_3gpuE5ELNS1_3repE0EEENS1_30default_config_static_selectorELNS0_4arch9wavefront6targetE0EEEvT1_.has_indirect_call, 0
	.section	.AMDGPU.csdata,"",@progbits
; Kernel info:
; codeLenInByte = 0
; TotalNumSgprs: 0
; NumVgprs: 0
; ScratchSize: 0
; MemoryBound: 0
; FloatMode: 240
; IeeeMode: 1
; LDSByteSize: 0 bytes/workgroup (compile time only)
; SGPRBlocks: 0
; VGPRBlocks: 0
; NumSGPRsForWavesPerEU: 1
; NumVGPRsForWavesPerEU: 1
; Occupancy: 16
; WaveLimiterHint : 0
; COMPUTE_PGM_RSRC2:SCRATCH_EN: 0
; COMPUTE_PGM_RSRC2:USER_SGPR: 6
; COMPUTE_PGM_RSRC2:TRAP_HANDLER: 0
; COMPUTE_PGM_RSRC2:TGID_X_EN: 1
; COMPUTE_PGM_RSRC2:TGID_Y_EN: 0
; COMPUTE_PGM_RSRC2:TGID_Z_EN: 0
; COMPUTE_PGM_RSRC2:TIDIG_COMP_CNT: 0
	.section	.text._ZN7rocprim17ROCPRIM_400000_NS6detail17trampoline_kernelINS0_14default_configENS1_20scan_config_selectorIdEEZZNS1_9scan_implILNS1_25lookback_scan_determinismE0ELb0ELb0ES3_PKdPddZZZN2at6native31launch_logcumsumexp_cuda_kernelERKNSB_10TensorBaseESF_lENKUlvE_clEvENKUlvE_clEvEUlddE_dEEDaPvRmT3_T4_T5_mT6_P12ihipStream_tbENKUlT_T0_E_clISt17integral_constantIbLb0EESV_IbLb1EEEEDaSR_SS_EUlSR_E_NS1_11comp_targetILNS1_3genE10ELNS1_11target_archE1200ELNS1_3gpuE4ELNS1_3repE0EEENS1_30default_config_static_selectorELNS0_4arch9wavefront6targetE0EEEvT1_,"axG",@progbits,_ZN7rocprim17ROCPRIM_400000_NS6detail17trampoline_kernelINS0_14default_configENS1_20scan_config_selectorIdEEZZNS1_9scan_implILNS1_25lookback_scan_determinismE0ELb0ELb0ES3_PKdPddZZZN2at6native31launch_logcumsumexp_cuda_kernelERKNSB_10TensorBaseESF_lENKUlvE_clEvENKUlvE_clEvEUlddE_dEEDaPvRmT3_T4_T5_mT6_P12ihipStream_tbENKUlT_T0_E_clISt17integral_constantIbLb0EESV_IbLb1EEEEDaSR_SS_EUlSR_E_NS1_11comp_targetILNS1_3genE10ELNS1_11target_archE1200ELNS1_3gpuE4ELNS1_3repE0EEENS1_30default_config_static_selectorELNS0_4arch9wavefront6targetE0EEEvT1_,comdat
	.globl	_ZN7rocprim17ROCPRIM_400000_NS6detail17trampoline_kernelINS0_14default_configENS1_20scan_config_selectorIdEEZZNS1_9scan_implILNS1_25lookback_scan_determinismE0ELb0ELb0ES3_PKdPddZZZN2at6native31launch_logcumsumexp_cuda_kernelERKNSB_10TensorBaseESF_lENKUlvE_clEvENKUlvE_clEvEUlddE_dEEDaPvRmT3_T4_T5_mT6_P12ihipStream_tbENKUlT_T0_E_clISt17integral_constantIbLb0EESV_IbLb1EEEEDaSR_SS_EUlSR_E_NS1_11comp_targetILNS1_3genE10ELNS1_11target_archE1200ELNS1_3gpuE4ELNS1_3repE0EEENS1_30default_config_static_selectorELNS0_4arch9wavefront6targetE0EEEvT1_ ; -- Begin function _ZN7rocprim17ROCPRIM_400000_NS6detail17trampoline_kernelINS0_14default_configENS1_20scan_config_selectorIdEEZZNS1_9scan_implILNS1_25lookback_scan_determinismE0ELb0ELb0ES3_PKdPddZZZN2at6native31launch_logcumsumexp_cuda_kernelERKNSB_10TensorBaseESF_lENKUlvE_clEvENKUlvE_clEvEUlddE_dEEDaPvRmT3_T4_T5_mT6_P12ihipStream_tbENKUlT_T0_E_clISt17integral_constantIbLb0EESV_IbLb1EEEEDaSR_SS_EUlSR_E_NS1_11comp_targetILNS1_3genE10ELNS1_11target_archE1200ELNS1_3gpuE4ELNS1_3repE0EEENS1_30default_config_static_selectorELNS0_4arch9wavefront6targetE0EEEvT1_
	.p2align	8
	.type	_ZN7rocprim17ROCPRIM_400000_NS6detail17trampoline_kernelINS0_14default_configENS1_20scan_config_selectorIdEEZZNS1_9scan_implILNS1_25lookback_scan_determinismE0ELb0ELb0ES3_PKdPddZZZN2at6native31launch_logcumsumexp_cuda_kernelERKNSB_10TensorBaseESF_lENKUlvE_clEvENKUlvE_clEvEUlddE_dEEDaPvRmT3_T4_T5_mT6_P12ihipStream_tbENKUlT_T0_E_clISt17integral_constantIbLb0EESV_IbLb1EEEEDaSR_SS_EUlSR_E_NS1_11comp_targetILNS1_3genE10ELNS1_11target_archE1200ELNS1_3gpuE4ELNS1_3repE0EEENS1_30default_config_static_selectorELNS0_4arch9wavefront6targetE0EEEvT1_,@function
_ZN7rocprim17ROCPRIM_400000_NS6detail17trampoline_kernelINS0_14default_configENS1_20scan_config_selectorIdEEZZNS1_9scan_implILNS1_25lookback_scan_determinismE0ELb0ELb0ES3_PKdPddZZZN2at6native31launch_logcumsumexp_cuda_kernelERKNSB_10TensorBaseESF_lENKUlvE_clEvENKUlvE_clEvEUlddE_dEEDaPvRmT3_T4_T5_mT6_P12ihipStream_tbENKUlT_T0_E_clISt17integral_constantIbLb0EESV_IbLb1EEEEDaSR_SS_EUlSR_E_NS1_11comp_targetILNS1_3genE10ELNS1_11target_archE1200ELNS1_3gpuE4ELNS1_3repE0EEENS1_30default_config_static_selectorELNS0_4arch9wavefront6targetE0EEEvT1_: ; @_ZN7rocprim17ROCPRIM_400000_NS6detail17trampoline_kernelINS0_14default_configENS1_20scan_config_selectorIdEEZZNS1_9scan_implILNS1_25lookback_scan_determinismE0ELb0ELb0ES3_PKdPddZZZN2at6native31launch_logcumsumexp_cuda_kernelERKNSB_10TensorBaseESF_lENKUlvE_clEvENKUlvE_clEvEUlddE_dEEDaPvRmT3_T4_T5_mT6_P12ihipStream_tbENKUlT_T0_E_clISt17integral_constantIbLb0EESV_IbLb1EEEEDaSR_SS_EUlSR_E_NS1_11comp_targetILNS1_3genE10ELNS1_11target_archE1200ELNS1_3gpuE4ELNS1_3repE0EEENS1_30default_config_static_selectorELNS0_4arch9wavefront6targetE0EEEvT1_
; %bb.0:
	.section	.rodata,"a",@progbits
	.p2align	6, 0x0
	.amdhsa_kernel _ZN7rocprim17ROCPRIM_400000_NS6detail17trampoline_kernelINS0_14default_configENS1_20scan_config_selectorIdEEZZNS1_9scan_implILNS1_25lookback_scan_determinismE0ELb0ELb0ES3_PKdPddZZZN2at6native31launch_logcumsumexp_cuda_kernelERKNSB_10TensorBaseESF_lENKUlvE_clEvENKUlvE_clEvEUlddE_dEEDaPvRmT3_T4_T5_mT6_P12ihipStream_tbENKUlT_T0_E_clISt17integral_constantIbLb0EESV_IbLb1EEEEDaSR_SS_EUlSR_E_NS1_11comp_targetILNS1_3genE10ELNS1_11target_archE1200ELNS1_3gpuE4ELNS1_3repE0EEENS1_30default_config_static_selectorELNS0_4arch9wavefront6targetE0EEEvT1_
		.amdhsa_group_segment_fixed_size 0
		.amdhsa_private_segment_fixed_size 0
		.amdhsa_kernarg_size 104
		.amdhsa_user_sgpr_count 6
		.amdhsa_user_sgpr_private_segment_buffer 1
		.amdhsa_user_sgpr_dispatch_ptr 0
		.amdhsa_user_sgpr_queue_ptr 0
		.amdhsa_user_sgpr_kernarg_segment_ptr 1
		.amdhsa_user_sgpr_dispatch_id 0
		.amdhsa_user_sgpr_flat_scratch_init 0
		.amdhsa_user_sgpr_private_segment_size 0
		.amdhsa_wavefront_size32 1
		.amdhsa_uses_dynamic_stack 0
		.amdhsa_system_sgpr_private_segment_wavefront_offset 0
		.amdhsa_system_sgpr_workgroup_id_x 1
		.amdhsa_system_sgpr_workgroup_id_y 0
		.amdhsa_system_sgpr_workgroup_id_z 0
		.amdhsa_system_sgpr_workgroup_info 0
		.amdhsa_system_vgpr_workitem_id 0
		.amdhsa_next_free_vgpr 1
		.amdhsa_next_free_sgpr 1
		.amdhsa_reserve_vcc 0
		.amdhsa_reserve_flat_scratch 0
		.amdhsa_float_round_mode_32 0
		.amdhsa_float_round_mode_16_64 0
		.amdhsa_float_denorm_mode_32 3
		.amdhsa_float_denorm_mode_16_64 3
		.amdhsa_dx10_clamp 1
		.amdhsa_ieee_mode 1
		.amdhsa_fp16_overflow 0
		.amdhsa_workgroup_processor_mode 1
		.amdhsa_memory_ordered 1
		.amdhsa_forward_progress 1
		.amdhsa_shared_vgpr_count 0
		.amdhsa_exception_fp_ieee_invalid_op 0
		.amdhsa_exception_fp_denorm_src 0
		.amdhsa_exception_fp_ieee_div_zero 0
		.amdhsa_exception_fp_ieee_overflow 0
		.amdhsa_exception_fp_ieee_underflow 0
		.amdhsa_exception_fp_ieee_inexact 0
		.amdhsa_exception_int_div_zero 0
	.end_amdhsa_kernel
	.section	.text._ZN7rocprim17ROCPRIM_400000_NS6detail17trampoline_kernelINS0_14default_configENS1_20scan_config_selectorIdEEZZNS1_9scan_implILNS1_25lookback_scan_determinismE0ELb0ELb0ES3_PKdPddZZZN2at6native31launch_logcumsumexp_cuda_kernelERKNSB_10TensorBaseESF_lENKUlvE_clEvENKUlvE_clEvEUlddE_dEEDaPvRmT3_T4_T5_mT6_P12ihipStream_tbENKUlT_T0_E_clISt17integral_constantIbLb0EESV_IbLb1EEEEDaSR_SS_EUlSR_E_NS1_11comp_targetILNS1_3genE10ELNS1_11target_archE1200ELNS1_3gpuE4ELNS1_3repE0EEENS1_30default_config_static_selectorELNS0_4arch9wavefront6targetE0EEEvT1_,"axG",@progbits,_ZN7rocprim17ROCPRIM_400000_NS6detail17trampoline_kernelINS0_14default_configENS1_20scan_config_selectorIdEEZZNS1_9scan_implILNS1_25lookback_scan_determinismE0ELb0ELb0ES3_PKdPddZZZN2at6native31launch_logcumsumexp_cuda_kernelERKNSB_10TensorBaseESF_lENKUlvE_clEvENKUlvE_clEvEUlddE_dEEDaPvRmT3_T4_T5_mT6_P12ihipStream_tbENKUlT_T0_E_clISt17integral_constantIbLb0EESV_IbLb1EEEEDaSR_SS_EUlSR_E_NS1_11comp_targetILNS1_3genE10ELNS1_11target_archE1200ELNS1_3gpuE4ELNS1_3repE0EEENS1_30default_config_static_selectorELNS0_4arch9wavefront6targetE0EEEvT1_,comdat
.Lfunc_end72:
	.size	_ZN7rocprim17ROCPRIM_400000_NS6detail17trampoline_kernelINS0_14default_configENS1_20scan_config_selectorIdEEZZNS1_9scan_implILNS1_25lookback_scan_determinismE0ELb0ELb0ES3_PKdPddZZZN2at6native31launch_logcumsumexp_cuda_kernelERKNSB_10TensorBaseESF_lENKUlvE_clEvENKUlvE_clEvEUlddE_dEEDaPvRmT3_T4_T5_mT6_P12ihipStream_tbENKUlT_T0_E_clISt17integral_constantIbLb0EESV_IbLb1EEEEDaSR_SS_EUlSR_E_NS1_11comp_targetILNS1_3genE10ELNS1_11target_archE1200ELNS1_3gpuE4ELNS1_3repE0EEENS1_30default_config_static_selectorELNS0_4arch9wavefront6targetE0EEEvT1_, .Lfunc_end72-_ZN7rocprim17ROCPRIM_400000_NS6detail17trampoline_kernelINS0_14default_configENS1_20scan_config_selectorIdEEZZNS1_9scan_implILNS1_25lookback_scan_determinismE0ELb0ELb0ES3_PKdPddZZZN2at6native31launch_logcumsumexp_cuda_kernelERKNSB_10TensorBaseESF_lENKUlvE_clEvENKUlvE_clEvEUlddE_dEEDaPvRmT3_T4_T5_mT6_P12ihipStream_tbENKUlT_T0_E_clISt17integral_constantIbLb0EESV_IbLb1EEEEDaSR_SS_EUlSR_E_NS1_11comp_targetILNS1_3genE10ELNS1_11target_archE1200ELNS1_3gpuE4ELNS1_3repE0EEENS1_30default_config_static_selectorELNS0_4arch9wavefront6targetE0EEEvT1_
                                        ; -- End function
	.set _ZN7rocprim17ROCPRIM_400000_NS6detail17trampoline_kernelINS0_14default_configENS1_20scan_config_selectorIdEEZZNS1_9scan_implILNS1_25lookback_scan_determinismE0ELb0ELb0ES3_PKdPddZZZN2at6native31launch_logcumsumexp_cuda_kernelERKNSB_10TensorBaseESF_lENKUlvE_clEvENKUlvE_clEvEUlddE_dEEDaPvRmT3_T4_T5_mT6_P12ihipStream_tbENKUlT_T0_E_clISt17integral_constantIbLb0EESV_IbLb1EEEEDaSR_SS_EUlSR_E_NS1_11comp_targetILNS1_3genE10ELNS1_11target_archE1200ELNS1_3gpuE4ELNS1_3repE0EEENS1_30default_config_static_selectorELNS0_4arch9wavefront6targetE0EEEvT1_.num_vgpr, 0
	.set _ZN7rocprim17ROCPRIM_400000_NS6detail17trampoline_kernelINS0_14default_configENS1_20scan_config_selectorIdEEZZNS1_9scan_implILNS1_25lookback_scan_determinismE0ELb0ELb0ES3_PKdPddZZZN2at6native31launch_logcumsumexp_cuda_kernelERKNSB_10TensorBaseESF_lENKUlvE_clEvENKUlvE_clEvEUlddE_dEEDaPvRmT3_T4_T5_mT6_P12ihipStream_tbENKUlT_T0_E_clISt17integral_constantIbLb0EESV_IbLb1EEEEDaSR_SS_EUlSR_E_NS1_11comp_targetILNS1_3genE10ELNS1_11target_archE1200ELNS1_3gpuE4ELNS1_3repE0EEENS1_30default_config_static_selectorELNS0_4arch9wavefront6targetE0EEEvT1_.num_agpr, 0
	.set _ZN7rocprim17ROCPRIM_400000_NS6detail17trampoline_kernelINS0_14default_configENS1_20scan_config_selectorIdEEZZNS1_9scan_implILNS1_25lookback_scan_determinismE0ELb0ELb0ES3_PKdPddZZZN2at6native31launch_logcumsumexp_cuda_kernelERKNSB_10TensorBaseESF_lENKUlvE_clEvENKUlvE_clEvEUlddE_dEEDaPvRmT3_T4_T5_mT6_P12ihipStream_tbENKUlT_T0_E_clISt17integral_constantIbLb0EESV_IbLb1EEEEDaSR_SS_EUlSR_E_NS1_11comp_targetILNS1_3genE10ELNS1_11target_archE1200ELNS1_3gpuE4ELNS1_3repE0EEENS1_30default_config_static_selectorELNS0_4arch9wavefront6targetE0EEEvT1_.numbered_sgpr, 0
	.set _ZN7rocprim17ROCPRIM_400000_NS6detail17trampoline_kernelINS0_14default_configENS1_20scan_config_selectorIdEEZZNS1_9scan_implILNS1_25lookback_scan_determinismE0ELb0ELb0ES3_PKdPddZZZN2at6native31launch_logcumsumexp_cuda_kernelERKNSB_10TensorBaseESF_lENKUlvE_clEvENKUlvE_clEvEUlddE_dEEDaPvRmT3_T4_T5_mT6_P12ihipStream_tbENKUlT_T0_E_clISt17integral_constantIbLb0EESV_IbLb1EEEEDaSR_SS_EUlSR_E_NS1_11comp_targetILNS1_3genE10ELNS1_11target_archE1200ELNS1_3gpuE4ELNS1_3repE0EEENS1_30default_config_static_selectorELNS0_4arch9wavefront6targetE0EEEvT1_.num_named_barrier, 0
	.set _ZN7rocprim17ROCPRIM_400000_NS6detail17trampoline_kernelINS0_14default_configENS1_20scan_config_selectorIdEEZZNS1_9scan_implILNS1_25lookback_scan_determinismE0ELb0ELb0ES3_PKdPddZZZN2at6native31launch_logcumsumexp_cuda_kernelERKNSB_10TensorBaseESF_lENKUlvE_clEvENKUlvE_clEvEUlddE_dEEDaPvRmT3_T4_T5_mT6_P12ihipStream_tbENKUlT_T0_E_clISt17integral_constantIbLb0EESV_IbLb1EEEEDaSR_SS_EUlSR_E_NS1_11comp_targetILNS1_3genE10ELNS1_11target_archE1200ELNS1_3gpuE4ELNS1_3repE0EEENS1_30default_config_static_selectorELNS0_4arch9wavefront6targetE0EEEvT1_.private_seg_size, 0
	.set _ZN7rocprim17ROCPRIM_400000_NS6detail17trampoline_kernelINS0_14default_configENS1_20scan_config_selectorIdEEZZNS1_9scan_implILNS1_25lookback_scan_determinismE0ELb0ELb0ES3_PKdPddZZZN2at6native31launch_logcumsumexp_cuda_kernelERKNSB_10TensorBaseESF_lENKUlvE_clEvENKUlvE_clEvEUlddE_dEEDaPvRmT3_T4_T5_mT6_P12ihipStream_tbENKUlT_T0_E_clISt17integral_constantIbLb0EESV_IbLb1EEEEDaSR_SS_EUlSR_E_NS1_11comp_targetILNS1_3genE10ELNS1_11target_archE1200ELNS1_3gpuE4ELNS1_3repE0EEENS1_30default_config_static_selectorELNS0_4arch9wavefront6targetE0EEEvT1_.uses_vcc, 0
	.set _ZN7rocprim17ROCPRIM_400000_NS6detail17trampoline_kernelINS0_14default_configENS1_20scan_config_selectorIdEEZZNS1_9scan_implILNS1_25lookback_scan_determinismE0ELb0ELb0ES3_PKdPddZZZN2at6native31launch_logcumsumexp_cuda_kernelERKNSB_10TensorBaseESF_lENKUlvE_clEvENKUlvE_clEvEUlddE_dEEDaPvRmT3_T4_T5_mT6_P12ihipStream_tbENKUlT_T0_E_clISt17integral_constantIbLb0EESV_IbLb1EEEEDaSR_SS_EUlSR_E_NS1_11comp_targetILNS1_3genE10ELNS1_11target_archE1200ELNS1_3gpuE4ELNS1_3repE0EEENS1_30default_config_static_selectorELNS0_4arch9wavefront6targetE0EEEvT1_.uses_flat_scratch, 0
	.set _ZN7rocprim17ROCPRIM_400000_NS6detail17trampoline_kernelINS0_14default_configENS1_20scan_config_selectorIdEEZZNS1_9scan_implILNS1_25lookback_scan_determinismE0ELb0ELb0ES3_PKdPddZZZN2at6native31launch_logcumsumexp_cuda_kernelERKNSB_10TensorBaseESF_lENKUlvE_clEvENKUlvE_clEvEUlddE_dEEDaPvRmT3_T4_T5_mT6_P12ihipStream_tbENKUlT_T0_E_clISt17integral_constantIbLb0EESV_IbLb1EEEEDaSR_SS_EUlSR_E_NS1_11comp_targetILNS1_3genE10ELNS1_11target_archE1200ELNS1_3gpuE4ELNS1_3repE0EEENS1_30default_config_static_selectorELNS0_4arch9wavefront6targetE0EEEvT1_.has_dyn_sized_stack, 0
	.set _ZN7rocprim17ROCPRIM_400000_NS6detail17trampoline_kernelINS0_14default_configENS1_20scan_config_selectorIdEEZZNS1_9scan_implILNS1_25lookback_scan_determinismE0ELb0ELb0ES3_PKdPddZZZN2at6native31launch_logcumsumexp_cuda_kernelERKNSB_10TensorBaseESF_lENKUlvE_clEvENKUlvE_clEvEUlddE_dEEDaPvRmT3_T4_T5_mT6_P12ihipStream_tbENKUlT_T0_E_clISt17integral_constantIbLb0EESV_IbLb1EEEEDaSR_SS_EUlSR_E_NS1_11comp_targetILNS1_3genE10ELNS1_11target_archE1200ELNS1_3gpuE4ELNS1_3repE0EEENS1_30default_config_static_selectorELNS0_4arch9wavefront6targetE0EEEvT1_.has_recursion, 0
	.set _ZN7rocprim17ROCPRIM_400000_NS6detail17trampoline_kernelINS0_14default_configENS1_20scan_config_selectorIdEEZZNS1_9scan_implILNS1_25lookback_scan_determinismE0ELb0ELb0ES3_PKdPddZZZN2at6native31launch_logcumsumexp_cuda_kernelERKNSB_10TensorBaseESF_lENKUlvE_clEvENKUlvE_clEvEUlddE_dEEDaPvRmT3_T4_T5_mT6_P12ihipStream_tbENKUlT_T0_E_clISt17integral_constantIbLb0EESV_IbLb1EEEEDaSR_SS_EUlSR_E_NS1_11comp_targetILNS1_3genE10ELNS1_11target_archE1200ELNS1_3gpuE4ELNS1_3repE0EEENS1_30default_config_static_selectorELNS0_4arch9wavefront6targetE0EEEvT1_.has_indirect_call, 0
	.section	.AMDGPU.csdata,"",@progbits
; Kernel info:
; codeLenInByte = 0
; TotalNumSgprs: 0
; NumVgprs: 0
; ScratchSize: 0
; MemoryBound: 0
; FloatMode: 240
; IeeeMode: 1
; LDSByteSize: 0 bytes/workgroup (compile time only)
; SGPRBlocks: 0
; VGPRBlocks: 0
; NumSGPRsForWavesPerEU: 1
; NumVGPRsForWavesPerEU: 1
; Occupancy: 16
; WaveLimiterHint : 0
; COMPUTE_PGM_RSRC2:SCRATCH_EN: 0
; COMPUTE_PGM_RSRC2:USER_SGPR: 6
; COMPUTE_PGM_RSRC2:TRAP_HANDLER: 0
; COMPUTE_PGM_RSRC2:TGID_X_EN: 1
; COMPUTE_PGM_RSRC2:TGID_Y_EN: 0
; COMPUTE_PGM_RSRC2:TGID_Z_EN: 0
; COMPUTE_PGM_RSRC2:TIDIG_COMP_CNT: 0
	.section	.text._ZN7rocprim17ROCPRIM_400000_NS6detail17trampoline_kernelINS0_14default_configENS1_20scan_config_selectorIdEEZZNS1_9scan_implILNS1_25lookback_scan_determinismE0ELb0ELb0ES3_PKdPddZZZN2at6native31launch_logcumsumexp_cuda_kernelERKNSB_10TensorBaseESF_lENKUlvE_clEvENKUlvE_clEvEUlddE_dEEDaPvRmT3_T4_T5_mT6_P12ihipStream_tbENKUlT_T0_E_clISt17integral_constantIbLb0EESV_IbLb1EEEEDaSR_SS_EUlSR_E_NS1_11comp_targetILNS1_3genE9ELNS1_11target_archE1100ELNS1_3gpuE3ELNS1_3repE0EEENS1_30default_config_static_selectorELNS0_4arch9wavefront6targetE0EEEvT1_,"axG",@progbits,_ZN7rocprim17ROCPRIM_400000_NS6detail17trampoline_kernelINS0_14default_configENS1_20scan_config_selectorIdEEZZNS1_9scan_implILNS1_25lookback_scan_determinismE0ELb0ELb0ES3_PKdPddZZZN2at6native31launch_logcumsumexp_cuda_kernelERKNSB_10TensorBaseESF_lENKUlvE_clEvENKUlvE_clEvEUlddE_dEEDaPvRmT3_T4_T5_mT6_P12ihipStream_tbENKUlT_T0_E_clISt17integral_constantIbLb0EESV_IbLb1EEEEDaSR_SS_EUlSR_E_NS1_11comp_targetILNS1_3genE9ELNS1_11target_archE1100ELNS1_3gpuE3ELNS1_3repE0EEENS1_30default_config_static_selectorELNS0_4arch9wavefront6targetE0EEEvT1_,comdat
	.globl	_ZN7rocprim17ROCPRIM_400000_NS6detail17trampoline_kernelINS0_14default_configENS1_20scan_config_selectorIdEEZZNS1_9scan_implILNS1_25lookback_scan_determinismE0ELb0ELb0ES3_PKdPddZZZN2at6native31launch_logcumsumexp_cuda_kernelERKNSB_10TensorBaseESF_lENKUlvE_clEvENKUlvE_clEvEUlddE_dEEDaPvRmT3_T4_T5_mT6_P12ihipStream_tbENKUlT_T0_E_clISt17integral_constantIbLb0EESV_IbLb1EEEEDaSR_SS_EUlSR_E_NS1_11comp_targetILNS1_3genE9ELNS1_11target_archE1100ELNS1_3gpuE3ELNS1_3repE0EEENS1_30default_config_static_selectorELNS0_4arch9wavefront6targetE0EEEvT1_ ; -- Begin function _ZN7rocprim17ROCPRIM_400000_NS6detail17trampoline_kernelINS0_14default_configENS1_20scan_config_selectorIdEEZZNS1_9scan_implILNS1_25lookback_scan_determinismE0ELb0ELb0ES3_PKdPddZZZN2at6native31launch_logcumsumexp_cuda_kernelERKNSB_10TensorBaseESF_lENKUlvE_clEvENKUlvE_clEvEUlddE_dEEDaPvRmT3_T4_T5_mT6_P12ihipStream_tbENKUlT_T0_E_clISt17integral_constantIbLb0EESV_IbLb1EEEEDaSR_SS_EUlSR_E_NS1_11comp_targetILNS1_3genE9ELNS1_11target_archE1100ELNS1_3gpuE3ELNS1_3repE0EEENS1_30default_config_static_selectorELNS0_4arch9wavefront6targetE0EEEvT1_
	.p2align	8
	.type	_ZN7rocprim17ROCPRIM_400000_NS6detail17trampoline_kernelINS0_14default_configENS1_20scan_config_selectorIdEEZZNS1_9scan_implILNS1_25lookback_scan_determinismE0ELb0ELb0ES3_PKdPddZZZN2at6native31launch_logcumsumexp_cuda_kernelERKNSB_10TensorBaseESF_lENKUlvE_clEvENKUlvE_clEvEUlddE_dEEDaPvRmT3_T4_T5_mT6_P12ihipStream_tbENKUlT_T0_E_clISt17integral_constantIbLb0EESV_IbLb1EEEEDaSR_SS_EUlSR_E_NS1_11comp_targetILNS1_3genE9ELNS1_11target_archE1100ELNS1_3gpuE3ELNS1_3repE0EEENS1_30default_config_static_selectorELNS0_4arch9wavefront6targetE0EEEvT1_,@function
_ZN7rocprim17ROCPRIM_400000_NS6detail17trampoline_kernelINS0_14default_configENS1_20scan_config_selectorIdEEZZNS1_9scan_implILNS1_25lookback_scan_determinismE0ELb0ELb0ES3_PKdPddZZZN2at6native31launch_logcumsumexp_cuda_kernelERKNSB_10TensorBaseESF_lENKUlvE_clEvENKUlvE_clEvEUlddE_dEEDaPvRmT3_T4_T5_mT6_P12ihipStream_tbENKUlT_T0_E_clISt17integral_constantIbLb0EESV_IbLb1EEEEDaSR_SS_EUlSR_E_NS1_11comp_targetILNS1_3genE9ELNS1_11target_archE1100ELNS1_3gpuE3ELNS1_3repE0EEENS1_30default_config_static_selectorELNS0_4arch9wavefront6targetE0EEEvT1_: ; @_ZN7rocprim17ROCPRIM_400000_NS6detail17trampoline_kernelINS0_14default_configENS1_20scan_config_selectorIdEEZZNS1_9scan_implILNS1_25lookback_scan_determinismE0ELb0ELb0ES3_PKdPddZZZN2at6native31launch_logcumsumexp_cuda_kernelERKNSB_10TensorBaseESF_lENKUlvE_clEvENKUlvE_clEvEUlddE_dEEDaPvRmT3_T4_T5_mT6_P12ihipStream_tbENKUlT_T0_E_clISt17integral_constantIbLb0EESV_IbLb1EEEEDaSR_SS_EUlSR_E_NS1_11comp_targetILNS1_3genE9ELNS1_11target_archE1100ELNS1_3gpuE3ELNS1_3repE0EEENS1_30default_config_static_selectorELNS0_4arch9wavefront6targetE0EEEvT1_
; %bb.0:
	.section	.rodata,"a",@progbits
	.p2align	6, 0x0
	.amdhsa_kernel _ZN7rocprim17ROCPRIM_400000_NS6detail17trampoline_kernelINS0_14default_configENS1_20scan_config_selectorIdEEZZNS1_9scan_implILNS1_25lookback_scan_determinismE0ELb0ELb0ES3_PKdPddZZZN2at6native31launch_logcumsumexp_cuda_kernelERKNSB_10TensorBaseESF_lENKUlvE_clEvENKUlvE_clEvEUlddE_dEEDaPvRmT3_T4_T5_mT6_P12ihipStream_tbENKUlT_T0_E_clISt17integral_constantIbLb0EESV_IbLb1EEEEDaSR_SS_EUlSR_E_NS1_11comp_targetILNS1_3genE9ELNS1_11target_archE1100ELNS1_3gpuE3ELNS1_3repE0EEENS1_30default_config_static_selectorELNS0_4arch9wavefront6targetE0EEEvT1_
		.amdhsa_group_segment_fixed_size 0
		.amdhsa_private_segment_fixed_size 0
		.amdhsa_kernarg_size 104
		.amdhsa_user_sgpr_count 6
		.amdhsa_user_sgpr_private_segment_buffer 1
		.amdhsa_user_sgpr_dispatch_ptr 0
		.amdhsa_user_sgpr_queue_ptr 0
		.amdhsa_user_sgpr_kernarg_segment_ptr 1
		.amdhsa_user_sgpr_dispatch_id 0
		.amdhsa_user_sgpr_flat_scratch_init 0
		.amdhsa_user_sgpr_private_segment_size 0
		.amdhsa_wavefront_size32 1
		.amdhsa_uses_dynamic_stack 0
		.amdhsa_system_sgpr_private_segment_wavefront_offset 0
		.amdhsa_system_sgpr_workgroup_id_x 1
		.amdhsa_system_sgpr_workgroup_id_y 0
		.amdhsa_system_sgpr_workgroup_id_z 0
		.amdhsa_system_sgpr_workgroup_info 0
		.amdhsa_system_vgpr_workitem_id 0
		.amdhsa_next_free_vgpr 1
		.amdhsa_next_free_sgpr 1
		.amdhsa_reserve_vcc 0
		.amdhsa_reserve_flat_scratch 0
		.amdhsa_float_round_mode_32 0
		.amdhsa_float_round_mode_16_64 0
		.amdhsa_float_denorm_mode_32 3
		.amdhsa_float_denorm_mode_16_64 3
		.amdhsa_dx10_clamp 1
		.amdhsa_ieee_mode 1
		.amdhsa_fp16_overflow 0
		.amdhsa_workgroup_processor_mode 1
		.amdhsa_memory_ordered 1
		.amdhsa_forward_progress 1
		.amdhsa_shared_vgpr_count 0
		.amdhsa_exception_fp_ieee_invalid_op 0
		.amdhsa_exception_fp_denorm_src 0
		.amdhsa_exception_fp_ieee_div_zero 0
		.amdhsa_exception_fp_ieee_overflow 0
		.amdhsa_exception_fp_ieee_underflow 0
		.amdhsa_exception_fp_ieee_inexact 0
		.amdhsa_exception_int_div_zero 0
	.end_amdhsa_kernel
	.section	.text._ZN7rocprim17ROCPRIM_400000_NS6detail17trampoline_kernelINS0_14default_configENS1_20scan_config_selectorIdEEZZNS1_9scan_implILNS1_25lookback_scan_determinismE0ELb0ELb0ES3_PKdPddZZZN2at6native31launch_logcumsumexp_cuda_kernelERKNSB_10TensorBaseESF_lENKUlvE_clEvENKUlvE_clEvEUlddE_dEEDaPvRmT3_T4_T5_mT6_P12ihipStream_tbENKUlT_T0_E_clISt17integral_constantIbLb0EESV_IbLb1EEEEDaSR_SS_EUlSR_E_NS1_11comp_targetILNS1_3genE9ELNS1_11target_archE1100ELNS1_3gpuE3ELNS1_3repE0EEENS1_30default_config_static_selectorELNS0_4arch9wavefront6targetE0EEEvT1_,"axG",@progbits,_ZN7rocprim17ROCPRIM_400000_NS6detail17trampoline_kernelINS0_14default_configENS1_20scan_config_selectorIdEEZZNS1_9scan_implILNS1_25lookback_scan_determinismE0ELb0ELb0ES3_PKdPddZZZN2at6native31launch_logcumsumexp_cuda_kernelERKNSB_10TensorBaseESF_lENKUlvE_clEvENKUlvE_clEvEUlddE_dEEDaPvRmT3_T4_T5_mT6_P12ihipStream_tbENKUlT_T0_E_clISt17integral_constantIbLb0EESV_IbLb1EEEEDaSR_SS_EUlSR_E_NS1_11comp_targetILNS1_3genE9ELNS1_11target_archE1100ELNS1_3gpuE3ELNS1_3repE0EEENS1_30default_config_static_selectorELNS0_4arch9wavefront6targetE0EEEvT1_,comdat
.Lfunc_end73:
	.size	_ZN7rocprim17ROCPRIM_400000_NS6detail17trampoline_kernelINS0_14default_configENS1_20scan_config_selectorIdEEZZNS1_9scan_implILNS1_25lookback_scan_determinismE0ELb0ELb0ES3_PKdPddZZZN2at6native31launch_logcumsumexp_cuda_kernelERKNSB_10TensorBaseESF_lENKUlvE_clEvENKUlvE_clEvEUlddE_dEEDaPvRmT3_T4_T5_mT6_P12ihipStream_tbENKUlT_T0_E_clISt17integral_constantIbLb0EESV_IbLb1EEEEDaSR_SS_EUlSR_E_NS1_11comp_targetILNS1_3genE9ELNS1_11target_archE1100ELNS1_3gpuE3ELNS1_3repE0EEENS1_30default_config_static_selectorELNS0_4arch9wavefront6targetE0EEEvT1_, .Lfunc_end73-_ZN7rocprim17ROCPRIM_400000_NS6detail17trampoline_kernelINS0_14default_configENS1_20scan_config_selectorIdEEZZNS1_9scan_implILNS1_25lookback_scan_determinismE0ELb0ELb0ES3_PKdPddZZZN2at6native31launch_logcumsumexp_cuda_kernelERKNSB_10TensorBaseESF_lENKUlvE_clEvENKUlvE_clEvEUlddE_dEEDaPvRmT3_T4_T5_mT6_P12ihipStream_tbENKUlT_T0_E_clISt17integral_constantIbLb0EESV_IbLb1EEEEDaSR_SS_EUlSR_E_NS1_11comp_targetILNS1_3genE9ELNS1_11target_archE1100ELNS1_3gpuE3ELNS1_3repE0EEENS1_30default_config_static_selectorELNS0_4arch9wavefront6targetE0EEEvT1_
                                        ; -- End function
	.set _ZN7rocprim17ROCPRIM_400000_NS6detail17trampoline_kernelINS0_14default_configENS1_20scan_config_selectorIdEEZZNS1_9scan_implILNS1_25lookback_scan_determinismE0ELb0ELb0ES3_PKdPddZZZN2at6native31launch_logcumsumexp_cuda_kernelERKNSB_10TensorBaseESF_lENKUlvE_clEvENKUlvE_clEvEUlddE_dEEDaPvRmT3_T4_T5_mT6_P12ihipStream_tbENKUlT_T0_E_clISt17integral_constantIbLb0EESV_IbLb1EEEEDaSR_SS_EUlSR_E_NS1_11comp_targetILNS1_3genE9ELNS1_11target_archE1100ELNS1_3gpuE3ELNS1_3repE0EEENS1_30default_config_static_selectorELNS0_4arch9wavefront6targetE0EEEvT1_.num_vgpr, 0
	.set _ZN7rocprim17ROCPRIM_400000_NS6detail17trampoline_kernelINS0_14default_configENS1_20scan_config_selectorIdEEZZNS1_9scan_implILNS1_25lookback_scan_determinismE0ELb0ELb0ES3_PKdPddZZZN2at6native31launch_logcumsumexp_cuda_kernelERKNSB_10TensorBaseESF_lENKUlvE_clEvENKUlvE_clEvEUlddE_dEEDaPvRmT3_T4_T5_mT6_P12ihipStream_tbENKUlT_T0_E_clISt17integral_constantIbLb0EESV_IbLb1EEEEDaSR_SS_EUlSR_E_NS1_11comp_targetILNS1_3genE9ELNS1_11target_archE1100ELNS1_3gpuE3ELNS1_3repE0EEENS1_30default_config_static_selectorELNS0_4arch9wavefront6targetE0EEEvT1_.num_agpr, 0
	.set _ZN7rocprim17ROCPRIM_400000_NS6detail17trampoline_kernelINS0_14default_configENS1_20scan_config_selectorIdEEZZNS1_9scan_implILNS1_25lookback_scan_determinismE0ELb0ELb0ES3_PKdPddZZZN2at6native31launch_logcumsumexp_cuda_kernelERKNSB_10TensorBaseESF_lENKUlvE_clEvENKUlvE_clEvEUlddE_dEEDaPvRmT3_T4_T5_mT6_P12ihipStream_tbENKUlT_T0_E_clISt17integral_constantIbLb0EESV_IbLb1EEEEDaSR_SS_EUlSR_E_NS1_11comp_targetILNS1_3genE9ELNS1_11target_archE1100ELNS1_3gpuE3ELNS1_3repE0EEENS1_30default_config_static_selectorELNS0_4arch9wavefront6targetE0EEEvT1_.numbered_sgpr, 0
	.set _ZN7rocprim17ROCPRIM_400000_NS6detail17trampoline_kernelINS0_14default_configENS1_20scan_config_selectorIdEEZZNS1_9scan_implILNS1_25lookback_scan_determinismE0ELb0ELb0ES3_PKdPddZZZN2at6native31launch_logcumsumexp_cuda_kernelERKNSB_10TensorBaseESF_lENKUlvE_clEvENKUlvE_clEvEUlddE_dEEDaPvRmT3_T4_T5_mT6_P12ihipStream_tbENKUlT_T0_E_clISt17integral_constantIbLb0EESV_IbLb1EEEEDaSR_SS_EUlSR_E_NS1_11comp_targetILNS1_3genE9ELNS1_11target_archE1100ELNS1_3gpuE3ELNS1_3repE0EEENS1_30default_config_static_selectorELNS0_4arch9wavefront6targetE0EEEvT1_.num_named_barrier, 0
	.set _ZN7rocprim17ROCPRIM_400000_NS6detail17trampoline_kernelINS0_14default_configENS1_20scan_config_selectorIdEEZZNS1_9scan_implILNS1_25lookback_scan_determinismE0ELb0ELb0ES3_PKdPddZZZN2at6native31launch_logcumsumexp_cuda_kernelERKNSB_10TensorBaseESF_lENKUlvE_clEvENKUlvE_clEvEUlddE_dEEDaPvRmT3_T4_T5_mT6_P12ihipStream_tbENKUlT_T0_E_clISt17integral_constantIbLb0EESV_IbLb1EEEEDaSR_SS_EUlSR_E_NS1_11comp_targetILNS1_3genE9ELNS1_11target_archE1100ELNS1_3gpuE3ELNS1_3repE0EEENS1_30default_config_static_selectorELNS0_4arch9wavefront6targetE0EEEvT1_.private_seg_size, 0
	.set _ZN7rocprim17ROCPRIM_400000_NS6detail17trampoline_kernelINS0_14default_configENS1_20scan_config_selectorIdEEZZNS1_9scan_implILNS1_25lookback_scan_determinismE0ELb0ELb0ES3_PKdPddZZZN2at6native31launch_logcumsumexp_cuda_kernelERKNSB_10TensorBaseESF_lENKUlvE_clEvENKUlvE_clEvEUlddE_dEEDaPvRmT3_T4_T5_mT6_P12ihipStream_tbENKUlT_T0_E_clISt17integral_constantIbLb0EESV_IbLb1EEEEDaSR_SS_EUlSR_E_NS1_11comp_targetILNS1_3genE9ELNS1_11target_archE1100ELNS1_3gpuE3ELNS1_3repE0EEENS1_30default_config_static_selectorELNS0_4arch9wavefront6targetE0EEEvT1_.uses_vcc, 0
	.set _ZN7rocprim17ROCPRIM_400000_NS6detail17trampoline_kernelINS0_14default_configENS1_20scan_config_selectorIdEEZZNS1_9scan_implILNS1_25lookback_scan_determinismE0ELb0ELb0ES3_PKdPddZZZN2at6native31launch_logcumsumexp_cuda_kernelERKNSB_10TensorBaseESF_lENKUlvE_clEvENKUlvE_clEvEUlddE_dEEDaPvRmT3_T4_T5_mT6_P12ihipStream_tbENKUlT_T0_E_clISt17integral_constantIbLb0EESV_IbLb1EEEEDaSR_SS_EUlSR_E_NS1_11comp_targetILNS1_3genE9ELNS1_11target_archE1100ELNS1_3gpuE3ELNS1_3repE0EEENS1_30default_config_static_selectorELNS0_4arch9wavefront6targetE0EEEvT1_.uses_flat_scratch, 0
	.set _ZN7rocprim17ROCPRIM_400000_NS6detail17trampoline_kernelINS0_14default_configENS1_20scan_config_selectorIdEEZZNS1_9scan_implILNS1_25lookback_scan_determinismE0ELb0ELb0ES3_PKdPddZZZN2at6native31launch_logcumsumexp_cuda_kernelERKNSB_10TensorBaseESF_lENKUlvE_clEvENKUlvE_clEvEUlddE_dEEDaPvRmT3_T4_T5_mT6_P12ihipStream_tbENKUlT_T0_E_clISt17integral_constantIbLb0EESV_IbLb1EEEEDaSR_SS_EUlSR_E_NS1_11comp_targetILNS1_3genE9ELNS1_11target_archE1100ELNS1_3gpuE3ELNS1_3repE0EEENS1_30default_config_static_selectorELNS0_4arch9wavefront6targetE0EEEvT1_.has_dyn_sized_stack, 0
	.set _ZN7rocprim17ROCPRIM_400000_NS6detail17trampoline_kernelINS0_14default_configENS1_20scan_config_selectorIdEEZZNS1_9scan_implILNS1_25lookback_scan_determinismE0ELb0ELb0ES3_PKdPddZZZN2at6native31launch_logcumsumexp_cuda_kernelERKNSB_10TensorBaseESF_lENKUlvE_clEvENKUlvE_clEvEUlddE_dEEDaPvRmT3_T4_T5_mT6_P12ihipStream_tbENKUlT_T0_E_clISt17integral_constantIbLb0EESV_IbLb1EEEEDaSR_SS_EUlSR_E_NS1_11comp_targetILNS1_3genE9ELNS1_11target_archE1100ELNS1_3gpuE3ELNS1_3repE0EEENS1_30default_config_static_selectorELNS0_4arch9wavefront6targetE0EEEvT1_.has_recursion, 0
	.set _ZN7rocprim17ROCPRIM_400000_NS6detail17trampoline_kernelINS0_14default_configENS1_20scan_config_selectorIdEEZZNS1_9scan_implILNS1_25lookback_scan_determinismE0ELb0ELb0ES3_PKdPddZZZN2at6native31launch_logcumsumexp_cuda_kernelERKNSB_10TensorBaseESF_lENKUlvE_clEvENKUlvE_clEvEUlddE_dEEDaPvRmT3_T4_T5_mT6_P12ihipStream_tbENKUlT_T0_E_clISt17integral_constantIbLb0EESV_IbLb1EEEEDaSR_SS_EUlSR_E_NS1_11comp_targetILNS1_3genE9ELNS1_11target_archE1100ELNS1_3gpuE3ELNS1_3repE0EEENS1_30default_config_static_selectorELNS0_4arch9wavefront6targetE0EEEvT1_.has_indirect_call, 0
	.section	.AMDGPU.csdata,"",@progbits
; Kernel info:
; codeLenInByte = 0
; TotalNumSgprs: 0
; NumVgprs: 0
; ScratchSize: 0
; MemoryBound: 0
; FloatMode: 240
; IeeeMode: 1
; LDSByteSize: 0 bytes/workgroup (compile time only)
; SGPRBlocks: 0
; VGPRBlocks: 0
; NumSGPRsForWavesPerEU: 1
; NumVGPRsForWavesPerEU: 1
; Occupancy: 16
; WaveLimiterHint : 0
; COMPUTE_PGM_RSRC2:SCRATCH_EN: 0
; COMPUTE_PGM_RSRC2:USER_SGPR: 6
; COMPUTE_PGM_RSRC2:TRAP_HANDLER: 0
; COMPUTE_PGM_RSRC2:TGID_X_EN: 1
; COMPUTE_PGM_RSRC2:TGID_Y_EN: 0
; COMPUTE_PGM_RSRC2:TGID_Z_EN: 0
; COMPUTE_PGM_RSRC2:TIDIG_COMP_CNT: 0
	.section	.text._ZN7rocprim17ROCPRIM_400000_NS6detail17trampoline_kernelINS0_14default_configENS1_20scan_config_selectorIdEEZZNS1_9scan_implILNS1_25lookback_scan_determinismE0ELb0ELb0ES3_PKdPddZZZN2at6native31launch_logcumsumexp_cuda_kernelERKNSB_10TensorBaseESF_lENKUlvE_clEvENKUlvE_clEvEUlddE_dEEDaPvRmT3_T4_T5_mT6_P12ihipStream_tbENKUlT_T0_E_clISt17integral_constantIbLb0EESV_IbLb1EEEEDaSR_SS_EUlSR_E_NS1_11comp_targetILNS1_3genE8ELNS1_11target_archE1030ELNS1_3gpuE2ELNS1_3repE0EEENS1_30default_config_static_selectorELNS0_4arch9wavefront6targetE0EEEvT1_,"axG",@progbits,_ZN7rocprim17ROCPRIM_400000_NS6detail17trampoline_kernelINS0_14default_configENS1_20scan_config_selectorIdEEZZNS1_9scan_implILNS1_25lookback_scan_determinismE0ELb0ELb0ES3_PKdPddZZZN2at6native31launch_logcumsumexp_cuda_kernelERKNSB_10TensorBaseESF_lENKUlvE_clEvENKUlvE_clEvEUlddE_dEEDaPvRmT3_T4_T5_mT6_P12ihipStream_tbENKUlT_T0_E_clISt17integral_constantIbLb0EESV_IbLb1EEEEDaSR_SS_EUlSR_E_NS1_11comp_targetILNS1_3genE8ELNS1_11target_archE1030ELNS1_3gpuE2ELNS1_3repE0EEENS1_30default_config_static_selectorELNS0_4arch9wavefront6targetE0EEEvT1_,comdat
	.globl	_ZN7rocprim17ROCPRIM_400000_NS6detail17trampoline_kernelINS0_14default_configENS1_20scan_config_selectorIdEEZZNS1_9scan_implILNS1_25lookback_scan_determinismE0ELb0ELb0ES3_PKdPddZZZN2at6native31launch_logcumsumexp_cuda_kernelERKNSB_10TensorBaseESF_lENKUlvE_clEvENKUlvE_clEvEUlddE_dEEDaPvRmT3_T4_T5_mT6_P12ihipStream_tbENKUlT_T0_E_clISt17integral_constantIbLb0EESV_IbLb1EEEEDaSR_SS_EUlSR_E_NS1_11comp_targetILNS1_3genE8ELNS1_11target_archE1030ELNS1_3gpuE2ELNS1_3repE0EEENS1_30default_config_static_selectorELNS0_4arch9wavefront6targetE0EEEvT1_ ; -- Begin function _ZN7rocprim17ROCPRIM_400000_NS6detail17trampoline_kernelINS0_14default_configENS1_20scan_config_selectorIdEEZZNS1_9scan_implILNS1_25lookback_scan_determinismE0ELb0ELb0ES3_PKdPddZZZN2at6native31launch_logcumsumexp_cuda_kernelERKNSB_10TensorBaseESF_lENKUlvE_clEvENKUlvE_clEvEUlddE_dEEDaPvRmT3_T4_T5_mT6_P12ihipStream_tbENKUlT_T0_E_clISt17integral_constantIbLb0EESV_IbLb1EEEEDaSR_SS_EUlSR_E_NS1_11comp_targetILNS1_3genE8ELNS1_11target_archE1030ELNS1_3gpuE2ELNS1_3repE0EEENS1_30default_config_static_selectorELNS0_4arch9wavefront6targetE0EEEvT1_
	.p2align	8
	.type	_ZN7rocprim17ROCPRIM_400000_NS6detail17trampoline_kernelINS0_14default_configENS1_20scan_config_selectorIdEEZZNS1_9scan_implILNS1_25lookback_scan_determinismE0ELb0ELb0ES3_PKdPddZZZN2at6native31launch_logcumsumexp_cuda_kernelERKNSB_10TensorBaseESF_lENKUlvE_clEvENKUlvE_clEvEUlddE_dEEDaPvRmT3_T4_T5_mT6_P12ihipStream_tbENKUlT_T0_E_clISt17integral_constantIbLb0EESV_IbLb1EEEEDaSR_SS_EUlSR_E_NS1_11comp_targetILNS1_3genE8ELNS1_11target_archE1030ELNS1_3gpuE2ELNS1_3repE0EEENS1_30default_config_static_selectorELNS0_4arch9wavefront6targetE0EEEvT1_,@function
_ZN7rocprim17ROCPRIM_400000_NS6detail17trampoline_kernelINS0_14default_configENS1_20scan_config_selectorIdEEZZNS1_9scan_implILNS1_25lookback_scan_determinismE0ELb0ELb0ES3_PKdPddZZZN2at6native31launch_logcumsumexp_cuda_kernelERKNSB_10TensorBaseESF_lENKUlvE_clEvENKUlvE_clEvEUlddE_dEEDaPvRmT3_T4_T5_mT6_P12ihipStream_tbENKUlT_T0_E_clISt17integral_constantIbLb0EESV_IbLb1EEEEDaSR_SS_EUlSR_E_NS1_11comp_targetILNS1_3genE8ELNS1_11target_archE1030ELNS1_3gpuE2ELNS1_3repE0EEENS1_30default_config_static_selectorELNS0_4arch9wavefront6targetE0EEEvT1_: ; @_ZN7rocprim17ROCPRIM_400000_NS6detail17trampoline_kernelINS0_14default_configENS1_20scan_config_selectorIdEEZZNS1_9scan_implILNS1_25lookback_scan_determinismE0ELb0ELb0ES3_PKdPddZZZN2at6native31launch_logcumsumexp_cuda_kernelERKNSB_10TensorBaseESF_lENKUlvE_clEvENKUlvE_clEvEUlddE_dEEDaPvRmT3_T4_T5_mT6_P12ihipStream_tbENKUlT_T0_E_clISt17integral_constantIbLb0EESV_IbLb1EEEEDaSR_SS_EUlSR_E_NS1_11comp_targetILNS1_3genE8ELNS1_11target_archE1030ELNS1_3gpuE2ELNS1_3repE0EEENS1_30default_config_static_selectorELNS0_4arch9wavefront6targetE0EEEvT1_
; %bb.0:
	s_load_dwordx2 s[28:29], s[4:5], 0x30
	v_cmp_ne_u32_e64 s1, 0, v0
	v_cmp_eq_u32_e64 s2, 0, v0
	s_and_saveexec_b32 s0, s2
	s_cbranch_execz .LBB74_4
; %bb.1:
	s_mov_b32 s6, exec_lo
	s_mov_b32 s3, exec_lo
	v_mbcnt_lo_u32_b32 v1, s6, 0
                                        ; implicit-def: $vgpr2
	v_cmpx_eq_u32_e32 0, v1
	s_cbranch_execz .LBB74_3
; %bb.2:
	s_load_dwordx2 s[8:9], s[4:5], 0x60
	s_bcnt1_i32_b32 s6, s6
	v_mov_b32_e32 v2, 0
	v_mov_b32_e32 v3, s6
	s_waitcnt lgkmcnt(0)
	global_atomic_add v2, v2, v3, s[8:9] glc
.LBB74_3:
	s_or_b32 exec_lo, exec_lo, s3
	s_waitcnt vmcnt(0)
	v_readfirstlane_b32 s3, v2
	v_mov_b32_e32 v2, 0
	v_add_nc_u32_e32 v1, s3, v1
	ds_write_b32 v2, v1
.LBB74_4:
	s_or_b32 exec_lo, exec_lo, s0
	v_mov_b32_e32 v1, 0
	s_clause 0x2
	s_load_dwordx8 s[36:43], s[4:5], 0x0
	s_load_dword s0, s[4:5], 0x38
	s_load_dwordx8 s[20:27], s[4:5], 0x40
	s_waitcnt lgkmcnt(0)
	s_barrier
	buffer_gl0_inv
	ds_read_b32 v1, v1
	s_mov_b32 s5, 0
	v_lshlrev_b32_e32 v75, 3, v0
	s_waitcnt lgkmcnt(0)
	s_barrier
	buffer_gl0_inv
	s_lshl_b64 s[30:31], s[38:39], 3
	s_add_u32 s3, s36, s30
	s_addc_u32 s6, s37, s31
	s_add_i32 s0, s0, -1
	s_mul_i32 s4, s0, 0x700
	v_readfirstlane_b32 s85, v1
	s_sub_u32 s33, s42, s4
	v_cmp_ne_u32_e64 s0, s0, v1
	s_subb_u32 s84, s43, 0
	s_mul_i32 s4, s85, 0x700
	s_lshl_b64 s[34:35], s[4:5], 3
	s_add_u32 s4, s3, s34
	s_addc_u32 s5, s6, s35
	s_and_b32 vcc_lo, exec_lo, s0
	s_mov_b32 s6, -1
	s_cbranch_vccz .LBB74_6
; %bb.5:
	v_add_co_u32 v23, s3, s4, v75
	v_add_co_ci_u32_e64 v24, null, s5, 0, s3
	s_clause 0x1
	global_load_dwordx2 v[1:2], v75, s[4:5]
	global_load_dwordx2 v[3:4], v75, s[4:5] offset:1024
	v_add_co_u32 v5, vcc_lo, 0x800, v23
	v_add_co_ci_u32_e64 v6, null, 0, v24, vcc_lo
	v_add_co_u32 v7, vcc_lo, v23, 0x1000
	v_add_co_ci_u32_e64 v8, null, 0, v24, vcc_lo
	;; [unrolled: 2-line block ×9, first 2 shown]
	s_clause 0xb
	global_load_dwordx2 v[11:12], v[7:8], off offset:-2048
	global_load_dwordx2 v[7:8], v[7:8], off
	global_load_dwordx2 v[5:6], v[5:6], off offset:1024
	global_load_dwordx2 v[9:10], v[9:10], off offset:1024
	;; [unrolled: 1-line block ×4, first 2 shown]
	global_load_dwordx2 v[25:26], v[17:18], off offset:-2048
	global_load_dwordx2 v[17:18], v[17:18], off
	global_load_dwordx2 v[27:28], v[21:22], off offset:-2048
	global_load_dwordx2 v[21:22], v[21:22], off
	global_load_dwordx2 v[19:20], v[19:20], off offset:1024
	global_load_dwordx2 v[23:24], v[23:24], off offset:1024
	s_mov_b32 s6, 0
	s_waitcnt vmcnt(12)
	ds_write2st64_b64 v75, v[1:2], v[3:4] offset1:2
	s_waitcnt vmcnt(9)
	ds_write2st64_b64 v75, v[11:12], v[5:6] offset0:4 offset1:6
	s_waitcnt vmcnt(8)
	ds_write2st64_b64 v75, v[7:8], v[9:10] offset0:8 offset1:10
	;; [unrolled: 2-line block ×6, first 2 shown]
	s_waitcnt lgkmcnt(0)
	s_barrier
.LBB74_6:
	v_cmp_gt_u32_e64 s3, s33, v0
	s_andn2_b32 vcc_lo, exec_lo, s6
	s_cbranch_vccnz .LBB74_36
; %bb.7:
	v_mov_b32_e32 v1, 0
	global_load_dwordx2 v[2:3], v1, s[4:5]
	s_waitcnt vmcnt(0)
	v_mov_b32_e32 v4, v2
	v_mov_b32_e32 v5, v3
	;; [unrolled: 1-line block ×56, first 2 shown]
	s_and_saveexec_b32 s6, s3
	s_cbranch_execz .LBB74_9
; %bb.8:
	global_load_dwordx2 v[36:37], v75, s[4:5]
	v_mov_b32_e32 v4, v2
	v_mov_b32_e32 v5, v3
	;; [unrolled: 1-line block ×56, first 2 shown]
	s_waitcnt vmcnt(0)
	v_mov_b32_e32 v2, v36
	v_mov_b32_e32 v3, v37
.LBB74_9:
	s_or_b32 exec_lo, exec_lo, s6
	v_or_b32_e32 v1, 0x80, v0
	s_mov_b32 s3, exec_lo
	v_cmpx_gt_u32_e64 s33, v1
	s_cbranch_execz .LBB74_11
; %bb.10:
	global_load_dwordx2 v[6:7], v75, s[4:5] offset:1024
.LBB74_11:
	s_or_b32 exec_lo, exec_lo, s3
	v_or_b32_e32 v1, 0x100, v0
	s_mov_b32 s3, exec_lo
	v_cmpx_gt_u32_e64 s33, v1
	s_cbranch_execz .LBB74_13
; %bb.12:
	v_lshlrev_b32_e32 v1, 3, v1
	global_load_dwordx2 v[8:9], v1, s[4:5]
.LBB74_13:
	s_or_b32 exec_lo, exec_lo, s3
	v_or_b32_e32 v1, 0x180, v0
	s_mov_b32 s3, exec_lo
	v_cmpx_gt_u32_e64 s33, v1
	s_cbranch_execz .LBB74_15
; %bb.14:
	v_lshlrev_b32_e32 v1, 3, v1
	global_load_dwordx2 v[10:11], v1, s[4:5]
.LBB74_15:
	;; [unrolled: 9-line block ×12, first 2 shown]
	s_or_b32 exec_lo, exec_lo, s3
	s_waitcnt vmcnt(0)
	ds_write2st64_b64 v75, v[2:3], v[6:7] offset1:2
	ds_write2st64_b64 v75, v[8:9], v[10:11] offset0:4 offset1:6
	ds_write2st64_b64 v75, v[12:13], v[14:15] offset0:8 offset1:10
	;; [unrolled: 1-line block ×6, first 2 shown]
	s_waitcnt lgkmcnt(0)
	s_barrier
.LBB74_36:
	v_mul_u32_u24_e32 v76, 0x70, v0
	buffer_gl0_inv
	s_cmp_lg_u32 s85, 0
	ds_read_b128 v[1:4], v76
	ds_read_b128 v[57:60], v76 offset:16
	ds_read_b128 v[53:56], v76 offset:32
	;; [unrolled: 1-line block ×6, first 2 shown]
	s_waitcnt lgkmcnt(0)
	s_barrier
	buffer_gl0_inv
	v_cmp_u_f64_e64 s3, v[3:4], v[3:4]
	v_max_f64 v[61:62], v[3:4], v[3:4]
	s_cbranch_scc0 .LBB74_156
; %bb.37:
	v_max_f64 v[63:64], v[1:2], v[1:2]
	v_cmp_u_f64_e64 s16, v[1:2], v[1:2]
	v_min_f64 v[5:6], v[63:64], v[61:62]
	v_max_f64 v[7:8], v[63:64], v[61:62]
	v_cndmask_b32_e64 v5, v5, v1, s16
	v_cndmask_b32_e64 v6, v6, v2, s16
	;; [unrolled: 1-line block ×8, first 2 shown]
	v_mov_b32_e32 v6, v2
	v_mov_b32_e32 v5, v1
	v_cmp_class_f64_e64 s4, v[9:10], 0x1f8
	v_cmp_neq_f64_e32 vcc_lo, v[9:10], v[7:8]
	s_or_b32 s4, vcc_lo, s4
	s_and_saveexec_b32 s10, s4
	s_cbranch_execz .LBB74_39
; %bb.38:
	v_add_f64 v[5:6], v[9:10], -v[7:8]
	s_mov_b32 s4, 0x652b82fe
	s_mov_b32 s5, 0x3ff71547
	;; [unrolled: 1-line block ×10, first 2 shown]
	v_mul_f64 v[9:10], v[5:6], s[4:5]
	s_mov_b32 s4, 0xfca7ab0c
	s_mov_b32 s5, 0x3e928af3
	v_cmp_nlt_f64_e32 vcc_lo, 0x40900000, v[5:6]
	v_rndne_f64_e32 v[9:10], v[9:10]
	v_fma_f64 v[11:12], v[9:10], s[6:7], v[5:6]
	v_cvt_i32_f64_e32 v15, v[9:10]
	s_mov_b32 s7, 0x3fe62e42
	v_fma_f64 v[11:12], v[9:10], s[8:9], v[11:12]
	s_mov_b32 s9, 0x3c7abc9e
	v_fma_f64 v[13:14], v[11:12], s[12:13], s[4:5]
	s_mov_b32 s4, 0x623fde64
	s_mov_b32 s5, 0x3ec71dee
	;; [unrolled: 1-line block ×4, first 2 shown]
	v_fma_f64 v[13:14], v[11:12], v[13:14], s[4:5]
	s_mov_b32 s4, 0x7c89e6b0
	s_mov_b32 s5, 0x3efa0199
	v_fma_f64 v[13:14], v[11:12], v[13:14], s[4:5]
	s_mov_b32 s4, 0x14761f6e
	s_mov_b32 s5, 0x3f2a01a0
	;; [unrolled: 3-line block ×7, first 2 shown]
	v_fma_f64 v[13:14], v[11:12], v[13:14], s[4:5]
	v_cmp_ngt_f64_e64 s4, 0xc090cc00, v[5:6]
	s_mov_b32 s5, 0x3fe55555
	v_fma_f64 v[13:14], v[11:12], v[13:14], 1.0
	v_fma_f64 v[9:10], v[11:12], v[13:14], 1.0
	v_ldexp_f64 v[9:10], v[9:10], v15
	v_cndmask_b32_e32 v10, 0x7ff00000, v10, vcc_lo
	s_and_b32 vcc_lo, s4, vcc_lo
	v_cndmask_b32_e32 v5, 0, v9, vcc_lo
	v_cndmask_b32_e64 v6, 0, v10, s4
	s_mov_b32 s4, 0x55555555
	v_add_f64 v[9:10], v[5:6], 1.0
	v_frexp_mant_f64_e32 v[11:12], v[9:10]
	v_frexp_exp_i32_f64_e32 v15, v[9:10]
	v_add_f64 v[13:14], v[9:10], -1.0
	v_cmp_gt_f64_e32 vcc_lo, s[4:5], v[11:12]
	s_mov_b32 s4, 0x55555780
	v_add_f64 v[11:12], v[13:14], -v[9:10]
	v_add_f64 v[13:14], v[5:6], -v[13:14]
	v_subrev_co_ci_u32_e64 v31, null, 0, v15, vcc_lo
	v_add_f64 v[11:12], v[11:12], 1.0
	v_cmp_nge_f64_e32 vcc_lo, -1.0, v[5:6]
	v_sub_nc_u32_e32 v17, 0, v31
	v_ldexp_f64 v[9:10], v[9:10], v17
	v_add_f64 v[11:12], v[13:14], v[11:12]
	v_add_f64 v[15:16], v[9:10], 1.0
	v_add_f64 v[21:22], v[9:10], -1.0
	v_ldexp_f64 v[11:12], v[11:12], v17
	v_add_f64 v[13:14], v[15:16], -1.0
	v_add_f64 v[23:24], v[21:22], 1.0
	v_add_f64 v[13:14], v[9:10], -v[13:14]
	v_add_f64 v[9:10], v[9:10], -v[23:24]
	v_add_f64 v[13:14], v[11:12], v[13:14]
	v_add_f64 v[9:10], v[11:12], v[9:10]
	;; [unrolled: 1-line block ×4, first 2 shown]
	v_rcp_f64_e32 v[19:20], v[17:18]
	v_add_f64 v[15:16], v[17:18], -v[15:16]
	v_add_f64 v[21:22], v[23:24], -v[21:22]
	;; [unrolled: 1-line block ×3, first 2 shown]
	v_fma_f64 v[25:26], -v[17:18], v[19:20], 1.0
	v_add_f64 v[9:10], v[9:10], -v[21:22]
	v_fma_f64 v[19:20], v[25:26], v[19:20], v[19:20]
	v_fma_f64 v[11:12], -v[17:18], v[19:20], 1.0
	v_fma_f64 v[11:12], v[11:12], v[19:20], v[19:20]
	v_mul_f64 v[19:20], v[23:24], v[11:12]
	v_mul_f64 v[25:26], v[17:18], v[19:20]
	v_fma_f64 v[15:16], v[19:20], v[17:18], -v[25:26]
	v_fma_f64 v[15:16], v[19:20], v[13:14], v[15:16]
	v_add_f64 v[27:28], v[25:26], v[15:16]
	v_add_f64 v[29:30], v[23:24], -v[27:28]
	v_add_f64 v[21:22], v[27:28], -v[25:26]
	;; [unrolled: 1-line block ×5, first 2 shown]
	v_add_f64 v[9:10], v[9:10], v[23:24]
	v_add_f64 v[9:10], v[15:16], v[9:10]
	;; [unrolled: 1-line block ×3, first 2 shown]
	v_mul_f64 v[21:22], v[11:12], v[15:16]
	v_add_f64 v[27:28], v[29:30], -v[15:16]
	v_mul_f64 v[23:24], v[17:18], v[21:22]
	v_add_f64 v[9:10], v[9:10], v[27:28]
	v_fma_f64 v[17:18], v[21:22], v[17:18], -v[23:24]
	v_fma_f64 v[13:14], v[21:22], v[13:14], v[17:18]
	v_add_f64 v[17:18], v[23:24], v[13:14]
	v_add_f64 v[25:26], v[15:16], -v[17:18]
	v_add_f64 v[23:24], v[17:18], -v[23:24]
	;; [unrolled: 1-line block ×5, first 2 shown]
	v_add_f64 v[9:10], v[9:10], v[15:16]
	v_add_f64 v[15:16], v[19:20], v[21:22]
	;; [unrolled: 1-line block ×3, first 2 shown]
	v_add_f64 v[13:14], v[15:16], -v[19:20]
	v_add_f64 v[9:10], v[25:26], v[9:10]
	v_add_f64 v[13:14], v[21:22], -v[13:14]
	v_mul_f64 v[9:10], v[11:12], v[9:10]
	v_add_f64 v[9:10], v[13:14], v[9:10]
	v_add_f64 v[11:12], v[15:16], v[9:10]
	v_mul_f64 v[13:14], v[11:12], v[11:12]
	v_fma_f64 v[17:18], v[13:14], s[14:15], s[12:13]
	s_mov_b32 s12, 0xd7f4df2e
	s_mov_b32 s13, 0x3fc7474d
	v_mul_f64 v[19:20], v[11:12], v[13:14]
	v_fma_f64 v[17:18], v[13:14], v[17:18], s[12:13]
	s_mov_b32 s12, 0x16291751
	s_mov_b32 s13, 0x3fcc71c0
	v_fma_f64 v[17:18], v[13:14], v[17:18], s[12:13]
	s_mov_b32 s12, 0x9b27acf1
	s_mov_b32 s13, 0x3fd24924
	;; [unrolled: 3-line block ×3, first 2 shown]
	v_fma_f64 v[17:18], v[13:14], v[17:18], s[12:13]
	v_fma_f64 v[13:14], v[13:14], v[17:18], s[4:5]
	v_ldexp_f64 v[17:18], v[11:12], 1
	v_add_f64 v[11:12], v[11:12], -v[15:16]
	v_cmp_neq_f64_e64 s4, 0x7ff00000, v[5:6]
	v_cmp_ngt_f64_e64 s5, -1.0, v[5:6]
	v_mul_f64 v[13:14], v[19:20], v[13:14]
	v_cvt_f64_i32_e32 v[19:20], v31
	v_add_f64 v[9:10], v[9:10], -v[11:12]
	s_and_b32 vcc_lo, vcc_lo, s4
	v_add_f64 v[15:16], v[17:18], v[13:14]
	v_mul_f64 v[21:22], v[19:20], s[6:7]
	v_ldexp_f64 v[9:10], v[9:10], 1
	v_add_f64 v[11:12], v[15:16], -v[17:18]
	v_fma_f64 v[17:18], v[19:20], s[6:7], -v[21:22]
	v_add_f64 v[11:12], v[13:14], -v[11:12]
	v_fma_f64 v[13:14], v[19:20], s[8:9], v[17:18]
	v_add_f64 v[9:10], v[9:10], v[11:12]
	v_add_f64 v[11:12], v[21:22], v[13:14]
	;; [unrolled: 1-line block ×3, first 2 shown]
	v_add_f64 v[21:22], v[11:12], -v[21:22]
	v_add_f64 v[19:20], v[11:12], v[17:18]
	v_add_f64 v[15:16], v[17:18], -v[15:16]
	v_add_f64 v[13:14], v[13:14], -v[21:22]
	;; [unrolled: 1-line block ×6, first 2 shown]
	v_add_f64 v[17:18], v[13:14], v[9:10]
	v_add_f64 v[11:12], v[11:12], -v[25:26]
	v_add_f64 v[11:12], v[15:16], v[11:12]
	v_add_f64 v[15:16], v[17:18], -v[13:14]
	;; [unrolled: 2-line block ×3, first 2 shown]
	v_add_f64 v[9:10], v[9:10], -v[15:16]
	v_add_f64 v[21:22], v[19:20], v[11:12]
	v_add_f64 v[13:14], v[13:14], -v[17:18]
	v_add_f64 v[15:16], v[21:22], -v[19:20]
	v_add_f64 v[9:10], v[9:10], v[13:14]
	v_add_f64 v[11:12], v[11:12], -v[15:16]
	v_add_f64 v[9:10], v[9:10], v[11:12]
	v_add_f64 v[9:10], v[21:22], v[9:10]
	v_cndmask_b32_e32 v9, 0, v9, vcc_lo
	v_cmp_neq_f64_e32 vcc_lo, -1.0, v[5:6]
	v_cndmask_b32_e64 v10, 0x7ff00000, v10, s4
	v_cndmask_b32_e64 v10, 0x7ff80000, v10, s5
	v_cndmask_b32_e32 v10, 0xfff00000, v10, vcc_lo
	v_add_f64 v[5:6], v[7:8], v[9:10]
.LBB74_39:
	s_or_b32 exec_lo, exec_lo, s10
	v_max_f64 v[13:14], v[57:58], v[57:58]
	v_max_f64 v[7:8], v[5:6], v[5:6]
	v_cmp_u_f64_e32 vcc_lo, v[5:6], v[5:6]
	v_cmp_u_f64_e64 s4, v[57:58], v[57:58]
	v_min_f64 v[9:10], v[7:8], v[13:14]
	v_max_f64 v[7:8], v[7:8], v[13:14]
	v_cndmask_b32_e32 v9, v9, v5, vcc_lo
	v_cndmask_b32_e32 v10, v10, v6, vcc_lo
	;; [unrolled: 1-line block ×4, first 2 shown]
	v_cndmask_b32_e64 v9, v9, v57, s4
	v_cndmask_b32_e64 v10, v10, v58, s4
	;; [unrolled: 1-line block ×4, first 2 shown]
	v_cmp_class_f64_e64 s5, v[9:10], 0x1f8
	v_cmp_neq_f64_e32 vcc_lo, v[9:10], v[7:8]
	s_or_b32 s5, vcc_lo, s5
	s_and_saveexec_b32 s12, s5
	s_cbranch_execz .LBB74_41
; %bb.40:
	v_add_f64 v[5:6], v[9:10], -v[7:8]
	s_mov_b32 s6, 0x652b82fe
	s_mov_b32 s7, 0x3ff71547
	;; [unrolled: 1-line block ×10, first 2 shown]
	v_mul_f64 v[9:10], v[5:6], s[6:7]
	s_mov_b32 s7, 0xbfe62e42
	s_mov_b32 s6, 0xfefa39ef
	v_cmp_nlt_f64_e32 vcc_lo, 0x40900000, v[5:6]
	v_cmp_ngt_f64_e64 s5, 0xc090cc00, v[5:6]
	v_rndne_f64_e32 v[9:10], v[9:10]
	v_fma_f64 v[11:12], v[9:10], s[6:7], v[5:6]
	v_cvt_i32_f64_e32 v17, v[9:10]
	s_mov_b32 s7, 0x3fe62e42
	v_fma_f64 v[11:12], v[9:10], s[8:9], v[11:12]
	s_mov_b32 s9, 0x3c7abc9e
	v_fma_f64 v[15:16], v[11:12], s[14:15], s[10:11]
	s_mov_b32 s10, 0x623fde64
	s_mov_b32 s11, 0x3ec71dee
	;; [unrolled: 1-line block ×4, first 2 shown]
	v_fma_f64 v[15:16], v[11:12], v[15:16], s[10:11]
	s_mov_b32 s10, 0x7c89e6b0
	s_mov_b32 s11, 0x3efa0199
	v_fma_f64 v[15:16], v[11:12], v[15:16], s[10:11]
	s_mov_b32 s10, 0x14761f6e
	s_mov_b32 s11, 0x3f2a01a0
	;; [unrolled: 3-line block ×8, first 2 shown]
	v_fma_f64 v[15:16], v[11:12], v[15:16], 1.0
	v_fma_f64 v[9:10], v[11:12], v[15:16], 1.0
	v_ldexp_f64 v[9:10], v[9:10], v17
	v_cndmask_b32_e32 v10, 0x7ff00000, v10, vcc_lo
	s_and_b32 vcc_lo, s5, vcc_lo
	v_cndmask_b32_e32 v5, 0, v9, vcc_lo
	v_cndmask_b32_e64 v6, 0, v10, s5
	v_add_f64 v[9:10], v[5:6], 1.0
	v_cmp_neq_f64_e64 s5, 0x7ff00000, v[5:6]
	v_frexp_mant_f64_e32 v[11:12], v[9:10]
	v_frexp_exp_i32_f64_e32 v17, v[9:10]
	v_add_f64 v[15:16], v[9:10], -1.0
	v_cmp_gt_f64_e32 vcc_lo, s[10:11], v[11:12]
	s_mov_b32 s10, 0x55555780
	v_add_f64 v[11:12], v[15:16], -v[9:10]
	v_add_f64 v[15:16], v[5:6], -v[15:16]
	v_subrev_co_ci_u32_e64 v33, null, 0, v17, vcc_lo
	v_add_f64 v[11:12], v[11:12], 1.0
	v_cmp_nge_f64_e32 vcc_lo, -1.0, v[5:6]
	v_sub_nc_u32_e32 v19, 0, v33
	v_ldexp_f64 v[9:10], v[9:10], v19
	v_add_f64 v[11:12], v[15:16], v[11:12]
	s_and_b32 vcc_lo, vcc_lo, s5
	v_add_f64 v[17:18], v[9:10], 1.0
	v_add_f64 v[23:24], v[9:10], -1.0
	v_ldexp_f64 v[11:12], v[11:12], v19
	v_add_f64 v[15:16], v[17:18], -1.0
	v_add_f64 v[25:26], v[23:24], 1.0
	v_add_f64 v[15:16], v[9:10], -v[15:16]
	v_add_f64 v[9:10], v[9:10], -v[25:26]
	v_add_f64 v[15:16], v[11:12], v[15:16]
	v_add_f64 v[9:10], v[11:12], v[9:10]
	;; [unrolled: 1-line block ×4, first 2 shown]
	v_rcp_f64_e32 v[21:22], v[19:20]
	v_add_f64 v[17:18], v[19:20], -v[17:18]
	v_add_f64 v[23:24], v[25:26], -v[23:24]
	;; [unrolled: 1-line block ×3, first 2 shown]
	v_fma_f64 v[27:28], -v[19:20], v[21:22], 1.0
	v_add_f64 v[9:10], v[9:10], -v[23:24]
	v_fma_f64 v[21:22], v[27:28], v[21:22], v[21:22]
	v_fma_f64 v[11:12], -v[19:20], v[21:22], 1.0
	v_fma_f64 v[11:12], v[11:12], v[21:22], v[21:22]
	v_mul_f64 v[21:22], v[25:26], v[11:12]
	v_mul_f64 v[27:28], v[19:20], v[21:22]
	v_fma_f64 v[17:18], v[21:22], v[19:20], -v[27:28]
	v_fma_f64 v[17:18], v[21:22], v[15:16], v[17:18]
	v_add_f64 v[29:30], v[27:28], v[17:18]
	v_add_f64 v[31:32], v[25:26], -v[29:30]
	v_add_f64 v[23:24], v[29:30], -v[27:28]
	;; [unrolled: 1-line block ×5, first 2 shown]
	v_add_f64 v[9:10], v[9:10], v[25:26]
	v_add_f64 v[9:10], v[17:18], v[9:10]
	;; [unrolled: 1-line block ×3, first 2 shown]
	v_mul_f64 v[23:24], v[11:12], v[17:18]
	v_add_f64 v[29:30], v[31:32], -v[17:18]
	v_mul_f64 v[25:26], v[19:20], v[23:24]
	v_add_f64 v[9:10], v[9:10], v[29:30]
	v_fma_f64 v[19:20], v[23:24], v[19:20], -v[25:26]
	v_fma_f64 v[15:16], v[23:24], v[15:16], v[19:20]
	v_add_f64 v[19:20], v[25:26], v[15:16]
	v_add_f64 v[27:28], v[17:18], -v[19:20]
	v_add_f64 v[25:26], v[19:20], -v[25:26]
	;; [unrolled: 1-line block ×5, first 2 shown]
	v_add_f64 v[9:10], v[9:10], v[17:18]
	v_add_f64 v[17:18], v[21:22], v[23:24]
	;; [unrolled: 1-line block ×3, first 2 shown]
	v_add_f64 v[15:16], v[17:18], -v[21:22]
	v_add_f64 v[9:10], v[27:28], v[9:10]
	v_add_f64 v[15:16], v[23:24], -v[15:16]
	v_mul_f64 v[9:10], v[11:12], v[9:10]
	v_add_f64 v[9:10], v[15:16], v[9:10]
	v_add_f64 v[11:12], v[17:18], v[9:10]
	v_mul_f64 v[15:16], v[11:12], v[11:12]
	v_fma_f64 v[19:20], v[15:16], s[18:19], s[14:15]
	s_mov_b32 s14, 0xd7f4df2e
	s_mov_b32 s15, 0x3fc7474d
	v_mul_f64 v[21:22], v[11:12], v[15:16]
	v_fma_f64 v[19:20], v[15:16], v[19:20], s[14:15]
	s_mov_b32 s14, 0x16291751
	s_mov_b32 s15, 0x3fcc71c0
	v_fma_f64 v[19:20], v[15:16], v[19:20], s[14:15]
	s_mov_b32 s14, 0x9b27acf1
	s_mov_b32 s15, 0x3fd24924
	;; [unrolled: 3-line block ×3, first 2 shown]
	v_fma_f64 v[19:20], v[15:16], v[19:20], s[14:15]
	v_fma_f64 v[15:16], v[15:16], v[19:20], s[10:11]
	v_ldexp_f64 v[19:20], v[11:12], 1
	v_add_f64 v[11:12], v[11:12], -v[17:18]
	v_mul_f64 v[15:16], v[21:22], v[15:16]
	v_cvt_f64_i32_e32 v[21:22], v33
	v_add_f64 v[9:10], v[9:10], -v[11:12]
	v_add_f64 v[17:18], v[19:20], v[15:16]
	v_mul_f64 v[23:24], v[21:22], s[6:7]
	v_ldexp_f64 v[9:10], v[9:10], 1
	v_add_f64 v[11:12], v[17:18], -v[19:20]
	v_fma_f64 v[19:20], v[21:22], s[6:7], -v[23:24]
	v_cmp_ngt_f64_e64 s6, -1.0, v[5:6]
	v_add_f64 v[11:12], v[15:16], -v[11:12]
	v_fma_f64 v[15:16], v[21:22], s[8:9], v[19:20]
	v_add_f64 v[9:10], v[9:10], v[11:12]
	v_add_f64 v[11:12], v[23:24], v[15:16]
	;; [unrolled: 1-line block ×3, first 2 shown]
	v_add_f64 v[23:24], v[11:12], -v[23:24]
	v_add_f64 v[21:22], v[11:12], v[19:20]
	v_add_f64 v[17:18], v[19:20], -v[17:18]
	v_add_f64 v[15:16], v[15:16], -v[23:24]
	;; [unrolled: 1-line block ×6, first 2 shown]
	v_add_f64 v[19:20], v[15:16], v[9:10]
	v_add_f64 v[11:12], v[11:12], -v[27:28]
	v_add_f64 v[11:12], v[17:18], v[11:12]
	v_add_f64 v[17:18], v[19:20], -v[15:16]
	;; [unrolled: 2-line block ×3, first 2 shown]
	v_add_f64 v[9:10], v[9:10], -v[17:18]
	v_add_f64 v[23:24], v[21:22], v[11:12]
	v_add_f64 v[15:16], v[15:16], -v[19:20]
	v_add_f64 v[17:18], v[23:24], -v[21:22]
	v_add_f64 v[9:10], v[9:10], v[15:16]
	v_add_f64 v[11:12], v[11:12], -v[17:18]
	v_add_f64 v[9:10], v[9:10], v[11:12]
	v_add_f64 v[9:10], v[23:24], v[9:10]
	v_cndmask_b32_e32 v9, 0, v9, vcc_lo
	v_cmp_neq_f64_e32 vcc_lo, -1.0, v[5:6]
	v_cndmask_b32_e64 v10, 0x7ff00000, v10, s5
	v_cndmask_b32_e64 v10, 0x7ff80000, v10, s6
	v_cndmask_b32_e32 v10, 0xfff00000, v10, vcc_lo
	v_add_f64 v[5:6], v[7:8], v[9:10]
.LBB74_41:
	s_or_b32 exec_lo, exec_lo, s12
	v_max_f64 v[15:16], v[59:60], v[59:60]
	v_max_f64 v[7:8], v[5:6], v[5:6]
	v_cmp_u_f64_e32 vcc_lo, v[5:6], v[5:6]
	v_cmp_u_f64_e64 s5, v[59:60], v[59:60]
	v_min_f64 v[9:10], v[7:8], v[15:16]
	v_max_f64 v[7:8], v[7:8], v[15:16]
	v_cndmask_b32_e32 v9, v9, v5, vcc_lo
	v_cndmask_b32_e32 v10, v10, v6, vcc_lo
	;; [unrolled: 1-line block ×4, first 2 shown]
	v_cndmask_b32_e64 v9, v9, v59, s5
	v_cndmask_b32_e64 v10, v10, v60, s5
	;; [unrolled: 1-line block ×4, first 2 shown]
	v_cmp_class_f64_e64 s6, v[9:10], 0x1f8
	v_cmp_neq_f64_e32 vcc_lo, v[9:10], v[7:8]
	s_or_b32 s6, vcc_lo, s6
	s_and_saveexec_b32 s12, s6
	s_cbranch_execz .LBB74_43
; %bb.42:
	v_add_f64 v[5:6], v[9:10], -v[7:8]
	s_mov_b32 s6, 0x652b82fe
	s_mov_b32 s7, 0x3ff71547
	s_mov_b32 s9, 0xbfe62e42
	s_mov_b32 s8, 0xfefa39ef
	s_mov_b32 s11, 0xbc7abc9e
	s_mov_b32 s10, 0x3b39803f
	s_mov_b32 s14, 0x6a5dcb37
	s_mov_b32 s15, 0x3e5ade15
	s_mov_b32 s18, 0xbf559e2b
	s_mov_b32 s19, 0x3fc3ab76
	v_mul_f64 v[9:10], v[5:6], s[6:7]
	s_mov_b32 s6, 0xfca7ab0c
	s_mov_b32 s7, 0x3e928af3
	v_cmp_nlt_f64_e32 vcc_lo, 0x40900000, v[5:6]
	v_rndne_f64_e32 v[9:10], v[9:10]
	v_fma_f64 v[11:12], v[9:10], s[8:9], v[5:6]
	v_cvt_i32_f64_e32 v19, v[9:10]
	s_mov_b32 s9, 0x3fe62e42
	v_fma_f64 v[11:12], v[9:10], s[10:11], v[11:12]
	s_mov_b32 s11, 0x3c7abc9e
	v_fma_f64 v[17:18], v[11:12], s[14:15], s[6:7]
	s_mov_b32 s6, 0x623fde64
	s_mov_b32 s7, 0x3ec71dee
	;; [unrolled: 1-line block ×4, first 2 shown]
	v_fma_f64 v[17:18], v[11:12], v[17:18], s[6:7]
	s_mov_b32 s6, 0x7c89e6b0
	s_mov_b32 s7, 0x3efa0199
	v_fma_f64 v[17:18], v[11:12], v[17:18], s[6:7]
	s_mov_b32 s6, 0x14761f6e
	s_mov_b32 s7, 0x3f2a01a0
	;; [unrolled: 3-line block ×7, first 2 shown]
	v_fma_f64 v[17:18], v[11:12], v[17:18], s[6:7]
	v_cmp_ngt_f64_e64 s6, 0xc090cc00, v[5:6]
	s_mov_b32 s7, 0x3fe55555
	v_fma_f64 v[17:18], v[11:12], v[17:18], 1.0
	v_fma_f64 v[9:10], v[11:12], v[17:18], 1.0
	v_ldexp_f64 v[9:10], v[9:10], v19
	v_cndmask_b32_e32 v10, 0x7ff00000, v10, vcc_lo
	s_and_b32 vcc_lo, s6, vcc_lo
	v_cndmask_b32_e32 v5, 0, v9, vcc_lo
	v_cndmask_b32_e64 v6, 0, v10, s6
	s_mov_b32 s6, 0x55555555
	v_add_f64 v[9:10], v[5:6], 1.0
	v_frexp_mant_f64_e32 v[11:12], v[9:10]
	v_frexp_exp_i32_f64_e32 v19, v[9:10]
	v_add_f64 v[17:18], v[9:10], -1.0
	v_cmp_gt_f64_e32 vcc_lo, s[6:7], v[11:12]
	s_mov_b32 s6, 0x55555780
	v_add_f64 v[11:12], v[17:18], -v[9:10]
	v_add_f64 v[17:18], v[5:6], -v[17:18]
	v_subrev_co_ci_u32_e64 v35, null, 0, v19, vcc_lo
	v_add_f64 v[11:12], v[11:12], 1.0
	v_cmp_nge_f64_e32 vcc_lo, -1.0, v[5:6]
	v_sub_nc_u32_e32 v21, 0, v35
	v_ldexp_f64 v[9:10], v[9:10], v21
	v_add_f64 v[11:12], v[17:18], v[11:12]
	v_add_f64 v[19:20], v[9:10], 1.0
	v_add_f64 v[25:26], v[9:10], -1.0
	v_ldexp_f64 v[11:12], v[11:12], v21
	v_add_f64 v[17:18], v[19:20], -1.0
	v_add_f64 v[27:28], v[25:26], 1.0
	v_add_f64 v[17:18], v[9:10], -v[17:18]
	v_add_f64 v[9:10], v[9:10], -v[27:28]
	v_add_f64 v[17:18], v[11:12], v[17:18]
	v_add_f64 v[9:10], v[11:12], v[9:10]
	;; [unrolled: 1-line block ×4, first 2 shown]
	v_rcp_f64_e32 v[23:24], v[21:22]
	v_add_f64 v[19:20], v[21:22], -v[19:20]
	v_add_f64 v[25:26], v[27:28], -v[25:26]
	;; [unrolled: 1-line block ×3, first 2 shown]
	v_fma_f64 v[29:30], -v[21:22], v[23:24], 1.0
	v_add_f64 v[9:10], v[9:10], -v[25:26]
	v_fma_f64 v[23:24], v[29:30], v[23:24], v[23:24]
	v_fma_f64 v[11:12], -v[21:22], v[23:24], 1.0
	v_fma_f64 v[11:12], v[11:12], v[23:24], v[23:24]
	v_mul_f64 v[23:24], v[27:28], v[11:12]
	v_mul_f64 v[29:30], v[21:22], v[23:24]
	v_fma_f64 v[19:20], v[23:24], v[21:22], -v[29:30]
	v_fma_f64 v[19:20], v[23:24], v[17:18], v[19:20]
	v_add_f64 v[31:32], v[29:30], v[19:20]
	v_add_f64 v[33:34], v[27:28], -v[31:32]
	v_add_f64 v[25:26], v[31:32], -v[29:30]
	;; [unrolled: 1-line block ×5, first 2 shown]
	v_add_f64 v[9:10], v[9:10], v[27:28]
	v_add_f64 v[9:10], v[19:20], v[9:10]
	;; [unrolled: 1-line block ×3, first 2 shown]
	v_mul_f64 v[25:26], v[11:12], v[19:20]
	v_add_f64 v[31:32], v[33:34], -v[19:20]
	v_mul_f64 v[27:28], v[21:22], v[25:26]
	v_add_f64 v[9:10], v[9:10], v[31:32]
	v_fma_f64 v[21:22], v[25:26], v[21:22], -v[27:28]
	v_fma_f64 v[17:18], v[25:26], v[17:18], v[21:22]
	v_add_f64 v[21:22], v[27:28], v[17:18]
	v_add_f64 v[29:30], v[19:20], -v[21:22]
	v_add_f64 v[27:28], v[21:22], -v[27:28]
	;; [unrolled: 1-line block ×5, first 2 shown]
	v_add_f64 v[9:10], v[9:10], v[19:20]
	v_add_f64 v[19:20], v[23:24], v[25:26]
	;; [unrolled: 1-line block ×3, first 2 shown]
	v_add_f64 v[17:18], v[19:20], -v[23:24]
	v_add_f64 v[9:10], v[29:30], v[9:10]
	v_add_f64 v[17:18], v[25:26], -v[17:18]
	v_mul_f64 v[9:10], v[11:12], v[9:10]
	v_add_f64 v[9:10], v[17:18], v[9:10]
	v_add_f64 v[11:12], v[19:20], v[9:10]
	v_mul_f64 v[17:18], v[11:12], v[11:12]
	v_fma_f64 v[21:22], v[17:18], s[18:19], s[14:15]
	s_mov_b32 s14, 0xd7f4df2e
	s_mov_b32 s15, 0x3fc7474d
	v_mul_f64 v[23:24], v[11:12], v[17:18]
	v_fma_f64 v[21:22], v[17:18], v[21:22], s[14:15]
	s_mov_b32 s14, 0x16291751
	s_mov_b32 s15, 0x3fcc71c0
	v_fma_f64 v[21:22], v[17:18], v[21:22], s[14:15]
	s_mov_b32 s14, 0x9b27acf1
	s_mov_b32 s15, 0x3fd24924
	;; [unrolled: 3-line block ×3, first 2 shown]
	v_fma_f64 v[21:22], v[17:18], v[21:22], s[14:15]
	v_fma_f64 v[17:18], v[17:18], v[21:22], s[6:7]
	v_ldexp_f64 v[21:22], v[11:12], 1
	v_add_f64 v[11:12], v[11:12], -v[19:20]
	v_cmp_neq_f64_e64 s6, 0x7ff00000, v[5:6]
	v_cmp_ngt_f64_e64 s7, -1.0, v[5:6]
	v_mul_f64 v[17:18], v[23:24], v[17:18]
	v_cvt_f64_i32_e32 v[23:24], v35
	v_add_f64 v[9:10], v[9:10], -v[11:12]
	s_and_b32 vcc_lo, vcc_lo, s6
	v_add_f64 v[19:20], v[21:22], v[17:18]
	v_mul_f64 v[25:26], v[23:24], s[8:9]
	v_ldexp_f64 v[9:10], v[9:10], 1
	v_add_f64 v[11:12], v[19:20], -v[21:22]
	v_fma_f64 v[21:22], v[23:24], s[8:9], -v[25:26]
	v_add_f64 v[11:12], v[17:18], -v[11:12]
	v_fma_f64 v[17:18], v[23:24], s[10:11], v[21:22]
	v_add_f64 v[9:10], v[9:10], v[11:12]
	v_add_f64 v[11:12], v[25:26], v[17:18]
	v_add_f64 v[21:22], v[19:20], v[9:10]
	v_add_f64 v[25:26], v[11:12], -v[25:26]
	v_add_f64 v[23:24], v[11:12], v[21:22]
	v_add_f64 v[19:20], v[21:22], -v[19:20]
	v_add_f64 v[17:18], v[17:18], -v[25:26]
	;; [unrolled: 1-line block ×6, first 2 shown]
	v_add_f64 v[21:22], v[17:18], v[9:10]
	v_add_f64 v[11:12], v[11:12], -v[29:30]
	v_add_f64 v[11:12], v[19:20], v[11:12]
	v_add_f64 v[19:20], v[21:22], -v[17:18]
	;; [unrolled: 2-line block ×3, first 2 shown]
	v_add_f64 v[9:10], v[9:10], -v[19:20]
	v_add_f64 v[25:26], v[23:24], v[11:12]
	v_add_f64 v[17:18], v[17:18], -v[21:22]
	v_add_f64 v[19:20], v[25:26], -v[23:24]
	v_add_f64 v[9:10], v[9:10], v[17:18]
	v_add_f64 v[11:12], v[11:12], -v[19:20]
	v_add_f64 v[9:10], v[9:10], v[11:12]
	v_add_f64 v[9:10], v[25:26], v[9:10]
	v_cndmask_b32_e32 v9, 0, v9, vcc_lo
	v_cmp_neq_f64_e32 vcc_lo, -1.0, v[5:6]
	v_cndmask_b32_e64 v10, 0x7ff00000, v10, s6
	v_cndmask_b32_e64 v10, 0x7ff80000, v10, s7
	v_cndmask_b32_e32 v10, 0xfff00000, v10, vcc_lo
	v_add_f64 v[5:6], v[7:8], v[9:10]
.LBB74_43:
	s_or_b32 exec_lo, exec_lo, s12
	v_max_f64 v[17:18], v[53:54], v[53:54]
	v_max_f64 v[7:8], v[5:6], v[5:6]
	v_cmp_u_f64_e32 vcc_lo, v[5:6], v[5:6]
	v_cmp_u_f64_e64 s6, v[53:54], v[53:54]
	v_min_f64 v[9:10], v[7:8], v[17:18]
	v_max_f64 v[7:8], v[7:8], v[17:18]
	v_cndmask_b32_e32 v9, v9, v5, vcc_lo
	v_cndmask_b32_e32 v10, v10, v6, vcc_lo
	;; [unrolled: 1-line block ×4, first 2 shown]
	v_cndmask_b32_e64 v9, v9, v53, s6
	v_cndmask_b32_e64 v10, v10, v54, s6
	;; [unrolled: 1-line block ×4, first 2 shown]
	v_cmp_class_f64_e64 s7, v[9:10], 0x1f8
	v_cmp_neq_f64_e32 vcc_lo, v[9:10], v[7:8]
	s_or_b32 s7, vcc_lo, s7
	s_and_saveexec_b32 s14, s7
	s_cbranch_execz .LBB74_45
; %bb.44:
	v_add_f64 v[5:6], v[9:10], -v[7:8]
	s_mov_b32 s8, 0x652b82fe
	s_mov_b32 s9, 0x3ff71547
	;; [unrolled: 1-line block ×10, first 2 shown]
	v_mul_f64 v[9:10], v[5:6], s[8:9]
	s_mov_b32 s9, 0xbfe62e42
	s_mov_b32 s8, 0xfefa39ef
	v_cmp_nlt_f64_e32 vcc_lo, 0x40900000, v[5:6]
	v_cmp_ngt_f64_e64 s7, 0xc090cc00, v[5:6]
	v_rndne_f64_e32 v[9:10], v[9:10]
	v_fma_f64 v[11:12], v[9:10], s[8:9], v[5:6]
	v_cvt_i32_f64_e32 v21, v[9:10]
	s_mov_b32 s9, 0x3fe62e42
	v_fma_f64 v[11:12], v[9:10], s[10:11], v[11:12]
	s_mov_b32 s11, 0x3c7abc9e
	v_fma_f64 v[19:20], v[11:12], s[18:19], s[12:13]
	s_mov_b32 s12, 0x623fde64
	s_mov_b32 s13, 0x3ec71dee
	;; [unrolled: 1-line block ×4, first 2 shown]
	v_fma_f64 v[19:20], v[11:12], v[19:20], s[12:13]
	s_mov_b32 s12, 0x7c89e6b0
	s_mov_b32 s13, 0x3efa0199
	v_fma_f64 v[19:20], v[11:12], v[19:20], s[12:13]
	s_mov_b32 s12, 0x14761f6e
	s_mov_b32 s13, 0x3f2a01a0
	;; [unrolled: 3-line block ×8, first 2 shown]
	v_fma_f64 v[19:20], v[11:12], v[19:20], 1.0
	v_fma_f64 v[9:10], v[11:12], v[19:20], 1.0
	v_ldexp_f64 v[9:10], v[9:10], v21
	v_cndmask_b32_e32 v10, 0x7ff00000, v10, vcc_lo
	s_and_b32 vcc_lo, s7, vcc_lo
	v_cndmask_b32_e32 v5, 0, v9, vcc_lo
	v_cndmask_b32_e64 v6, 0, v10, s7
	v_add_f64 v[9:10], v[5:6], 1.0
	v_cmp_neq_f64_e64 s7, 0x7ff00000, v[5:6]
	v_frexp_mant_f64_e32 v[11:12], v[9:10]
	v_frexp_exp_i32_f64_e32 v21, v[9:10]
	v_add_f64 v[19:20], v[9:10], -1.0
	v_cmp_gt_f64_e32 vcc_lo, s[12:13], v[11:12]
	s_mov_b32 s12, 0x55555780
	v_add_f64 v[11:12], v[19:20], -v[9:10]
	v_add_f64 v[19:20], v[5:6], -v[19:20]
	v_subrev_co_ci_u32_e64 v65, null, 0, v21, vcc_lo
	v_add_f64 v[11:12], v[11:12], 1.0
	v_cmp_nge_f64_e32 vcc_lo, -1.0, v[5:6]
	v_sub_nc_u32_e32 v23, 0, v65
	v_ldexp_f64 v[9:10], v[9:10], v23
	v_add_f64 v[11:12], v[19:20], v[11:12]
	s_and_b32 vcc_lo, vcc_lo, s7
	v_add_f64 v[21:22], v[9:10], 1.0
	v_add_f64 v[27:28], v[9:10], -1.0
	v_ldexp_f64 v[11:12], v[11:12], v23
	v_add_f64 v[19:20], v[21:22], -1.0
	v_add_f64 v[29:30], v[27:28], 1.0
	v_add_f64 v[19:20], v[9:10], -v[19:20]
	v_add_f64 v[9:10], v[9:10], -v[29:30]
	v_add_f64 v[19:20], v[11:12], v[19:20]
	v_add_f64 v[9:10], v[11:12], v[9:10]
	;; [unrolled: 1-line block ×4, first 2 shown]
	v_rcp_f64_e32 v[25:26], v[23:24]
	v_add_f64 v[21:22], v[23:24], -v[21:22]
	v_add_f64 v[27:28], v[29:30], -v[27:28]
	;; [unrolled: 1-line block ×3, first 2 shown]
	v_fma_f64 v[31:32], -v[23:24], v[25:26], 1.0
	v_add_f64 v[9:10], v[9:10], -v[27:28]
	v_fma_f64 v[25:26], v[31:32], v[25:26], v[25:26]
	v_fma_f64 v[11:12], -v[23:24], v[25:26], 1.0
	v_fma_f64 v[11:12], v[11:12], v[25:26], v[25:26]
	v_mul_f64 v[25:26], v[29:30], v[11:12]
	v_mul_f64 v[31:32], v[23:24], v[25:26]
	v_fma_f64 v[21:22], v[25:26], v[23:24], -v[31:32]
	v_fma_f64 v[21:22], v[25:26], v[19:20], v[21:22]
	v_add_f64 v[33:34], v[31:32], v[21:22]
	v_add_f64 v[35:36], v[29:30], -v[33:34]
	v_add_f64 v[27:28], v[33:34], -v[31:32]
	;; [unrolled: 1-line block ×5, first 2 shown]
	v_add_f64 v[9:10], v[9:10], v[29:30]
	v_add_f64 v[9:10], v[21:22], v[9:10]
	;; [unrolled: 1-line block ×3, first 2 shown]
	v_mul_f64 v[27:28], v[11:12], v[21:22]
	v_add_f64 v[33:34], v[35:36], -v[21:22]
	v_mul_f64 v[29:30], v[23:24], v[27:28]
	v_add_f64 v[9:10], v[9:10], v[33:34]
	v_fma_f64 v[23:24], v[27:28], v[23:24], -v[29:30]
	v_fma_f64 v[19:20], v[27:28], v[19:20], v[23:24]
	v_add_f64 v[23:24], v[29:30], v[19:20]
	v_add_f64 v[31:32], v[21:22], -v[23:24]
	v_add_f64 v[29:30], v[23:24], -v[29:30]
	;; [unrolled: 1-line block ×5, first 2 shown]
	v_add_f64 v[9:10], v[9:10], v[21:22]
	v_add_f64 v[21:22], v[25:26], v[27:28]
	;; [unrolled: 1-line block ×3, first 2 shown]
	v_add_f64 v[19:20], v[21:22], -v[25:26]
	v_add_f64 v[9:10], v[31:32], v[9:10]
	v_add_f64 v[19:20], v[27:28], -v[19:20]
	v_mul_f64 v[9:10], v[11:12], v[9:10]
	v_add_f64 v[9:10], v[19:20], v[9:10]
	v_add_f64 v[11:12], v[21:22], v[9:10]
	v_mul_f64 v[19:20], v[11:12], v[11:12]
	v_fma_f64 v[23:24], v[19:20], s[36:37], s[18:19]
	s_mov_b32 s18, 0xd7f4df2e
	s_mov_b32 s19, 0x3fc7474d
	v_mul_f64 v[25:26], v[11:12], v[19:20]
	v_fma_f64 v[23:24], v[19:20], v[23:24], s[18:19]
	s_mov_b32 s18, 0x16291751
	s_mov_b32 s19, 0x3fcc71c0
	v_fma_f64 v[23:24], v[19:20], v[23:24], s[18:19]
	s_mov_b32 s18, 0x9b27acf1
	s_mov_b32 s19, 0x3fd24924
	;; [unrolled: 3-line block ×3, first 2 shown]
	v_fma_f64 v[23:24], v[19:20], v[23:24], s[18:19]
	v_fma_f64 v[19:20], v[19:20], v[23:24], s[12:13]
	v_ldexp_f64 v[23:24], v[11:12], 1
	v_add_f64 v[11:12], v[11:12], -v[21:22]
	v_mul_f64 v[19:20], v[25:26], v[19:20]
	v_cvt_f64_i32_e32 v[25:26], v65
	v_add_f64 v[9:10], v[9:10], -v[11:12]
	v_add_f64 v[21:22], v[23:24], v[19:20]
	v_mul_f64 v[27:28], v[25:26], s[8:9]
	v_ldexp_f64 v[9:10], v[9:10], 1
	v_add_f64 v[11:12], v[21:22], -v[23:24]
	v_fma_f64 v[23:24], v[25:26], s[8:9], -v[27:28]
	v_cmp_ngt_f64_e64 s8, -1.0, v[5:6]
	v_add_f64 v[11:12], v[19:20], -v[11:12]
	v_fma_f64 v[19:20], v[25:26], s[10:11], v[23:24]
	v_add_f64 v[9:10], v[9:10], v[11:12]
	v_add_f64 v[11:12], v[27:28], v[19:20]
	;; [unrolled: 1-line block ×3, first 2 shown]
	v_add_f64 v[27:28], v[11:12], -v[27:28]
	v_add_f64 v[25:26], v[11:12], v[23:24]
	v_add_f64 v[21:22], v[23:24], -v[21:22]
	v_add_f64 v[19:20], v[19:20], -v[27:28]
	;; [unrolled: 1-line block ×6, first 2 shown]
	v_add_f64 v[23:24], v[19:20], v[9:10]
	v_add_f64 v[11:12], v[11:12], -v[31:32]
	v_add_f64 v[11:12], v[21:22], v[11:12]
	v_add_f64 v[21:22], v[23:24], -v[19:20]
	;; [unrolled: 2-line block ×3, first 2 shown]
	v_add_f64 v[9:10], v[9:10], -v[21:22]
	v_add_f64 v[27:28], v[25:26], v[11:12]
	v_add_f64 v[19:20], v[19:20], -v[23:24]
	v_add_f64 v[21:22], v[27:28], -v[25:26]
	v_add_f64 v[9:10], v[9:10], v[19:20]
	v_add_f64 v[11:12], v[11:12], -v[21:22]
	v_add_f64 v[9:10], v[9:10], v[11:12]
	v_add_f64 v[9:10], v[27:28], v[9:10]
	v_cndmask_b32_e32 v9, 0, v9, vcc_lo
	v_cmp_neq_f64_e32 vcc_lo, -1.0, v[5:6]
	v_cndmask_b32_e64 v10, 0x7ff00000, v10, s7
	v_cndmask_b32_e64 v10, 0x7ff80000, v10, s8
	v_cndmask_b32_e32 v10, 0xfff00000, v10, vcc_lo
	v_add_f64 v[5:6], v[7:8], v[9:10]
.LBB74_45:
	s_or_b32 exec_lo, exec_lo, s14
	v_max_f64 v[19:20], v[55:56], v[55:56]
	v_max_f64 v[7:8], v[5:6], v[5:6]
	v_cmp_u_f64_e32 vcc_lo, v[5:6], v[5:6]
	v_cmp_u_f64_e64 s7, v[55:56], v[55:56]
	v_min_f64 v[9:10], v[7:8], v[19:20]
	v_max_f64 v[7:8], v[7:8], v[19:20]
	v_cndmask_b32_e32 v9, v9, v5, vcc_lo
	v_cndmask_b32_e32 v10, v10, v6, vcc_lo
	;; [unrolled: 1-line block ×4, first 2 shown]
	v_cndmask_b32_e64 v9, v9, v55, s7
	v_cndmask_b32_e64 v10, v10, v56, s7
	;; [unrolled: 1-line block ×4, first 2 shown]
	v_cmp_class_f64_e64 s8, v[9:10], 0x1f8
	v_cmp_neq_f64_e32 vcc_lo, v[9:10], v[7:8]
	s_or_b32 s8, vcc_lo, s8
	s_and_saveexec_b32 s14, s8
	s_cbranch_execz .LBB74_47
; %bb.46:
	v_add_f64 v[5:6], v[9:10], -v[7:8]
	s_mov_b32 s8, 0x652b82fe
	s_mov_b32 s9, 0x3ff71547
	;; [unrolled: 1-line block ×10, first 2 shown]
	v_mul_f64 v[9:10], v[5:6], s[8:9]
	s_mov_b32 s8, 0xfca7ab0c
	s_mov_b32 s9, 0x3e928af3
	v_cmp_nlt_f64_e32 vcc_lo, 0x40900000, v[5:6]
	v_rndne_f64_e32 v[9:10], v[9:10]
	v_fma_f64 v[11:12], v[9:10], s[10:11], v[5:6]
	v_cvt_i32_f64_e32 v23, v[9:10]
	s_mov_b32 s11, 0x3fe62e42
	v_fma_f64 v[11:12], v[9:10], s[12:13], v[11:12]
	s_mov_b32 s13, 0x3c7abc9e
	v_fma_f64 v[21:22], v[11:12], s[18:19], s[8:9]
	s_mov_b32 s8, 0x623fde64
	s_mov_b32 s9, 0x3ec71dee
	;; [unrolled: 1-line block ×4, first 2 shown]
	v_fma_f64 v[21:22], v[11:12], v[21:22], s[8:9]
	s_mov_b32 s8, 0x7c89e6b0
	s_mov_b32 s9, 0x3efa0199
	v_fma_f64 v[21:22], v[11:12], v[21:22], s[8:9]
	s_mov_b32 s8, 0x14761f6e
	s_mov_b32 s9, 0x3f2a01a0
	;; [unrolled: 3-line block ×7, first 2 shown]
	v_fma_f64 v[21:22], v[11:12], v[21:22], s[8:9]
	v_cmp_ngt_f64_e64 s8, 0xc090cc00, v[5:6]
	s_mov_b32 s9, 0x3fe55555
	v_fma_f64 v[21:22], v[11:12], v[21:22], 1.0
	v_fma_f64 v[9:10], v[11:12], v[21:22], 1.0
	v_ldexp_f64 v[9:10], v[9:10], v23
	v_cndmask_b32_e32 v10, 0x7ff00000, v10, vcc_lo
	s_and_b32 vcc_lo, s8, vcc_lo
	v_cndmask_b32_e32 v5, 0, v9, vcc_lo
	v_cndmask_b32_e64 v6, 0, v10, s8
	s_mov_b32 s8, 0x55555555
	v_add_f64 v[9:10], v[5:6], 1.0
	v_frexp_mant_f64_e32 v[11:12], v[9:10]
	v_frexp_exp_i32_f64_e32 v23, v[9:10]
	v_add_f64 v[21:22], v[9:10], -1.0
	v_cmp_gt_f64_e32 vcc_lo, s[8:9], v[11:12]
	s_mov_b32 s8, 0x55555780
	v_add_f64 v[11:12], v[21:22], -v[9:10]
	v_add_f64 v[21:22], v[5:6], -v[21:22]
	v_subrev_co_ci_u32_e64 v67, null, 0, v23, vcc_lo
	v_add_f64 v[11:12], v[11:12], 1.0
	v_cmp_nge_f64_e32 vcc_lo, -1.0, v[5:6]
	v_sub_nc_u32_e32 v25, 0, v67
	v_ldexp_f64 v[9:10], v[9:10], v25
	v_add_f64 v[11:12], v[21:22], v[11:12]
	v_add_f64 v[23:24], v[9:10], 1.0
	v_add_f64 v[29:30], v[9:10], -1.0
	v_ldexp_f64 v[11:12], v[11:12], v25
	v_add_f64 v[21:22], v[23:24], -1.0
	v_add_f64 v[31:32], v[29:30], 1.0
	v_add_f64 v[21:22], v[9:10], -v[21:22]
	v_add_f64 v[9:10], v[9:10], -v[31:32]
	v_add_f64 v[21:22], v[11:12], v[21:22]
	v_add_f64 v[9:10], v[11:12], v[9:10]
	;; [unrolled: 1-line block ×4, first 2 shown]
	v_rcp_f64_e32 v[27:28], v[25:26]
	v_add_f64 v[23:24], v[25:26], -v[23:24]
	v_add_f64 v[29:30], v[31:32], -v[29:30]
	;; [unrolled: 1-line block ×3, first 2 shown]
	v_fma_f64 v[33:34], -v[25:26], v[27:28], 1.0
	v_add_f64 v[9:10], v[9:10], -v[29:30]
	v_fma_f64 v[27:28], v[33:34], v[27:28], v[27:28]
	v_fma_f64 v[11:12], -v[25:26], v[27:28], 1.0
	v_fma_f64 v[11:12], v[11:12], v[27:28], v[27:28]
	v_mul_f64 v[27:28], v[31:32], v[11:12]
	v_mul_f64 v[33:34], v[25:26], v[27:28]
	v_fma_f64 v[23:24], v[27:28], v[25:26], -v[33:34]
	v_fma_f64 v[23:24], v[27:28], v[21:22], v[23:24]
	v_add_f64 v[35:36], v[33:34], v[23:24]
	v_add_f64 v[65:66], v[31:32], -v[35:36]
	v_add_f64 v[29:30], v[35:36], -v[33:34]
	;; [unrolled: 1-line block ×5, first 2 shown]
	v_add_f64 v[9:10], v[9:10], v[31:32]
	v_add_f64 v[9:10], v[23:24], v[9:10]
	;; [unrolled: 1-line block ×3, first 2 shown]
	v_mul_f64 v[29:30], v[11:12], v[23:24]
	v_add_f64 v[35:36], v[65:66], -v[23:24]
	v_mul_f64 v[31:32], v[25:26], v[29:30]
	v_add_f64 v[9:10], v[9:10], v[35:36]
	v_fma_f64 v[25:26], v[29:30], v[25:26], -v[31:32]
	v_fma_f64 v[21:22], v[29:30], v[21:22], v[25:26]
	v_add_f64 v[25:26], v[31:32], v[21:22]
	v_add_f64 v[33:34], v[23:24], -v[25:26]
	v_add_f64 v[31:32], v[25:26], -v[31:32]
	;; [unrolled: 1-line block ×5, first 2 shown]
	v_add_f64 v[9:10], v[9:10], v[23:24]
	v_add_f64 v[23:24], v[27:28], v[29:30]
	;; [unrolled: 1-line block ×3, first 2 shown]
	v_add_f64 v[21:22], v[23:24], -v[27:28]
	v_add_f64 v[9:10], v[33:34], v[9:10]
	v_add_f64 v[21:22], v[29:30], -v[21:22]
	v_mul_f64 v[9:10], v[11:12], v[9:10]
	v_add_f64 v[9:10], v[21:22], v[9:10]
	v_add_f64 v[11:12], v[23:24], v[9:10]
	v_mul_f64 v[21:22], v[11:12], v[11:12]
	v_fma_f64 v[25:26], v[21:22], s[36:37], s[18:19]
	s_mov_b32 s18, 0xd7f4df2e
	s_mov_b32 s19, 0x3fc7474d
	v_mul_f64 v[27:28], v[11:12], v[21:22]
	v_fma_f64 v[25:26], v[21:22], v[25:26], s[18:19]
	s_mov_b32 s18, 0x16291751
	s_mov_b32 s19, 0x3fcc71c0
	v_fma_f64 v[25:26], v[21:22], v[25:26], s[18:19]
	s_mov_b32 s18, 0x9b27acf1
	s_mov_b32 s19, 0x3fd24924
	;; [unrolled: 3-line block ×3, first 2 shown]
	v_fma_f64 v[25:26], v[21:22], v[25:26], s[18:19]
	v_fma_f64 v[21:22], v[21:22], v[25:26], s[8:9]
	v_ldexp_f64 v[25:26], v[11:12], 1
	v_add_f64 v[11:12], v[11:12], -v[23:24]
	v_cmp_neq_f64_e64 s8, 0x7ff00000, v[5:6]
	v_cmp_ngt_f64_e64 s9, -1.0, v[5:6]
	v_mul_f64 v[21:22], v[27:28], v[21:22]
	v_cvt_f64_i32_e32 v[27:28], v67
	v_add_f64 v[9:10], v[9:10], -v[11:12]
	s_and_b32 vcc_lo, vcc_lo, s8
	v_add_f64 v[23:24], v[25:26], v[21:22]
	v_mul_f64 v[29:30], v[27:28], s[10:11]
	v_ldexp_f64 v[9:10], v[9:10], 1
	v_add_f64 v[11:12], v[23:24], -v[25:26]
	v_fma_f64 v[25:26], v[27:28], s[10:11], -v[29:30]
	v_add_f64 v[11:12], v[21:22], -v[11:12]
	v_fma_f64 v[21:22], v[27:28], s[12:13], v[25:26]
	v_add_f64 v[9:10], v[9:10], v[11:12]
	v_add_f64 v[11:12], v[29:30], v[21:22]
	;; [unrolled: 1-line block ×3, first 2 shown]
	v_add_f64 v[29:30], v[11:12], -v[29:30]
	v_add_f64 v[27:28], v[11:12], v[25:26]
	v_add_f64 v[23:24], v[25:26], -v[23:24]
	v_add_f64 v[21:22], v[21:22], -v[29:30]
	;; [unrolled: 1-line block ×6, first 2 shown]
	v_add_f64 v[25:26], v[21:22], v[9:10]
	v_add_f64 v[11:12], v[11:12], -v[33:34]
	v_add_f64 v[11:12], v[23:24], v[11:12]
	v_add_f64 v[23:24], v[25:26], -v[21:22]
	;; [unrolled: 2-line block ×3, first 2 shown]
	v_add_f64 v[9:10], v[9:10], -v[23:24]
	v_add_f64 v[29:30], v[27:28], v[11:12]
	v_add_f64 v[21:22], v[21:22], -v[25:26]
	v_add_f64 v[23:24], v[29:30], -v[27:28]
	v_add_f64 v[9:10], v[9:10], v[21:22]
	v_add_f64 v[11:12], v[11:12], -v[23:24]
	v_add_f64 v[9:10], v[9:10], v[11:12]
	v_add_f64 v[9:10], v[29:30], v[9:10]
	v_cndmask_b32_e32 v9, 0, v9, vcc_lo
	v_cmp_neq_f64_e32 vcc_lo, -1.0, v[5:6]
	v_cndmask_b32_e64 v10, 0x7ff00000, v10, s8
	v_cndmask_b32_e64 v10, 0x7ff80000, v10, s9
	v_cndmask_b32_e32 v10, 0xfff00000, v10, vcc_lo
	v_add_f64 v[5:6], v[7:8], v[9:10]
.LBB74_47:
	s_or_b32 exec_lo, exec_lo, s14
	v_max_f64 v[21:22], v[49:50], v[49:50]
	v_max_f64 v[7:8], v[5:6], v[5:6]
	v_cmp_u_f64_e32 vcc_lo, v[5:6], v[5:6]
	v_cmp_u_f64_e64 s8, v[49:50], v[49:50]
	v_min_f64 v[9:10], v[7:8], v[21:22]
	v_max_f64 v[7:8], v[7:8], v[21:22]
	v_cndmask_b32_e32 v9, v9, v5, vcc_lo
	v_cndmask_b32_e32 v10, v10, v6, vcc_lo
	;; [unrolled: 1-line block ×4, first 2 shown]
	v_cndmask_b32_e64 v9, v9, v49, s8
	v_cndmask_b32_e64 v10, v10, v50, s8
	;; [unrolled: 1-line block ×4, first 2 shown]
	v_cmp_class_f64_e64 s9, v[9:10], 0x1f8
	v_cmp_neq_f64_e32 vcc_lo, v[9:10], v[7:8]
	s_or_b32 s9, vcc_lo, s9
	s_and_saveexec_b32 s17, s9
	s_cbranch_execz .LBB74_49
; %bb.48:
	v_add_f64 v[5:6], v[9:10], -v[7:8]
	s_mov_b32 s10, 0x652b82fe
	s_mov_b32 s11, 0x3ff71547
	;; [unrolled: 1-line block ×10, first 2 shown]
	v_mul_f64 v[9:10], v[5:6], s[10:11]
	s_mov_b32 s11, 0xbfe62e42
	s_mov_b32 s10, 0xfefa39ef
	v_cmp_nlt_f64_e32 vcc_lo, 0x40900000, v[5:6]
	v_cmp_ngt_f64_e64 s9, 0xc090cc00, v[5:6]
	v_rndne_f64_e32 v[9:10], v[9:10]
	v_fma_f64 v[11:12], v[9:10], s[10:11], v[5:6]
	v_cvt_i32_f64_e32 v25, v[9:10]
	s_mov_b32 s11, 0x3fe62e42
	v_fma_f64 v[11:12], v[9:10], s[12:13], v[11:12]
	s_mov_b32 s13, 0x3c7abc9e
	v_fma_f64 v[23:24], v[11:12], s[18:19], s[14:15]
	s_mov_b32 s14, 0x623fde64
	s_mov_b32 s15, 0x3ec71dee
	;; [unrolled: 1-line block ×4, first 2 shown]
	v_fma_f64 v[23:24], v[11:12], v[23:24], s[14:15]
	s_mov_b32 s14, 0x7c89e6b0
	s_mov_b32 s15, 0x3efa0199
	v_fma_f64 v[23:24], v[11:12], v[23:24], s[14:15]
	s_mov_b32 s14, 0x14761f6e
	s_mov_b32 s15, 0x3f2a01a0
	;; [unrolled: 3-line block ×8, first 2 shown]
	v_fma_f64 v[23:24], v[11:12], v[23:24], 1.0
	v_fma_f64 v[9:10], v[11:12], v[23:24], 1.0
	v_ldexp_f64 v[9:10], v[9:10], v25
	v_cndmask_b32_e32 v10, 0x7ff00000, v10, vcc_lo
	s_and_b32 vcc_lo, s9, vcc_lo
	v_cndmask_b32_e32 v5, 0, v9, vcc_lo
	v_cndmask_b32_e64 v6, 0, v10, s9
	v_add_f64 v[9:10], v[5:6], 1.0
	v_cmp_neq_f64_e64 s9, 0x7ff00000, v[5:6]
	v_frexp_mant_f64_e32 v[11:12], v[9:10]
	v_frexp_exp_i32_f64_e32 v25, v[9:10]
	v_add_f64 v[23:24], v[9:10], -1.0
	v_cmp_gt_f64_e32 vcc_lo, s[14:15], v[11:12]
	s_mov_b32 s14, 0x55555780
	v_add_f64 v[11:12], v[23:24], -v[9:10]
	v_add_f64 v[23:24], v[5:6], -v[23:24]
	v_subrev_co_ci_u32_e64 v69, null, 0, v25, vcc_lo
	v_add_f64 v[11:12], v[11:12], 1.0
	v_cmp_nge_f64_e32 vcc_lo, -1.0, v[5:6]
	v_sub_nc_u32_e32 v27, 0, v69
	v_ldexp_f64 v[9:10], v[9:10], v27
	v_add_f64 v[11:12], v[23:24], v[11:12]
	s_and_b32 vcc_lo, vcc_lo, s9
	v_add_f64 v[25:26], v[9:10], 1.0
	v_add_f64 v[31:32], v[9:10], -1.0
	v_ldexp_f64 v[11:12], v[11:12], v27
	v_add_f64 v[23:24], v[25:26], -1.0
	v_add_f64 v[33:34], v[31:32], 1.0
	v_add_f64 v[23:24], v[9:10], -v[23:24]
	v_add_f64 v[9:10], v[9:10], -v[33:34]
	v_add_f64 v[23:24], v[11:12], v[23:24]
	v_add_f64 v[9:10], v[11:12], v[9:10]
	;; [unrolled: 1-line block ×4, first 2 shown]
	v_rcp_f64_e32 v[29:30], v[27:28]
	v_add_f64 v[25:26], v[27:28], -v[25:26]
	v_add_f64 v[31:32], v[33:34], -v[31:32]
	;; [unrolled: 1-line block ×3, first 2 shown]
	v_fma_f64 v[35:36], -v[27:28], v[29:30], 1.0
	v_add_f64 v[9:10], v[9:10], -v[31:32]
	v_fma_f64 v[29:30], v[35:36], v[29:30], v[29:30]
	v_fma_f64 v[11:12], -v[27:28], v[29:30], 1.0
	v_fma_f64 v[11:12], v[11:12], v[29:30], v[29:30]
	v_mul_f64 v[29:30], v[33:34], v[11:12]
	v_mul_f64 v[35:36], v[27:28], v[29:30]
	v_fma_f64 v[25:26], v[29:30], v[27:28], -v[35:36]
	v_fma_f64 v[25:26], v[29:30], v[23:24], v[25:26]
	v_add_f64 v[65:66], v[35:36], v[25:26]
	v_add_f64 v[67:68], v[33:34], -v[65:66]
	v_add_f64 v[31:32], v[65:66], -v[35:36]
	;; [unrolled: 1-line block ×5, first 2 shown]
	v_add_f64 v[9:10], v[9:10], v[33:34]
	v_add_f64 v[9:10], v[25:26], v[9:10]
	;; [unrolled: 1-line block ×3, first 2 shown]
	v_mul_f64 v[31:32], v[11:12], v[25:26]
	v_add_f64 v[65:66], v[67:68], -v[25:26]
	v_mul_f64 v[33:34], v[27:28], v[31:32]
	v_add_f64 v[9:10], v[9:10], v[65:66]
	v_fma_f64 v[27:28], v[31:32], v[27:28], -v[33:34]
	v_fma_f64 v[23:24], v[31:32], v[23:24], v[27:28]
	v_add_f64 v[27:28], v[33:34], v[23:24]
	v_add_f64 v[35:36], v[25:26], -v[27:28]
	v_add_f64 v[33:34], v[27:28], -v[33:34]
	;; [unrolled: 1-line block ×5, first 2 shown]
	v_add_f64 v[9:10], v[9:10], v[25:26]
	v_add_f64 v[25:26], v[29:30], v[31:32]
	;; [unrolled: 1-line block ×3, first 2 shown]
	v_add_f64 v[23:24], v[25:26], -v[29:30]
	v_add_f64 v[9:10], v[35:36], v[9:10]
	v_add_f64 v[23:24], v[31:32], -v[23:24]
	v_mul_f64 v[9:10], v[11:12], v[9:10]
	v_add_f64 v[9:10], v[23:24], v[9:10]
	v_add_f64 v[11:12], v[25:26], v[9:10]
	v_mul_f64 v[23:24], v[11:12], v[11:12]
	v_fma_f64 v[27:28], v[23:24], s[36:37], s[18:19]
	s_mov_b32 s18, 0xd7f4df2e
	s_mov_b32 s19, 0x3fc7474d
	v_mul_f64 v[29:30], v[11:12], v[23:24]
	v_fma_f64 v[27:28], v[23:24], v[27:28], s[18:19]
	s_mov_b32 s18, 0x16291751
	s_mov_b32 s19, 0x3fcc71c0
	v_fma_f64 v[27:28], v[23:24], v[27:28], s[18:19]
	s_mov_b32 s18, 0x9b27acf1
	s_mov_b32 s19, 0x3fd24924
	;; [unrolled: 3-line block ×3, first 2 shown]
	v_fma_f64 v[27:28], v[23:24], v[27:28], s[18:19]
	v_fma_f64 v[23:24], v[23:24], v[27:28], s[14:15]
	v_ldexp_f64 v[27:28], v[11:12], 1
	v_add_f64 v[11:12], v[11:12], -v[25:26]
	v_mul_f64 v[23:24], v[29:30], v[23:24]
	v_cvt_f64_i32_e32 v[29:30], v69
	v_add_f64 v[9:10], v[9:10], -v[11:12]
	v_add_f64 v[25:26], v[27:28], v[23:24]
	v_mul_f64 v[31:32], v[29:30], s[10:11]
	v_ldexp_f64 v[9:10], v[9:10], 1
	v_add_f64 v[11:12], v[25:26], -v[27:28]
	v_fma_f64 v[27:28], v[29:30], s[10:11], -v[31:32]
	v_cmp_ngt_f64_e64 s10, -1.0, v[5:6]
	v_add_f64 v[11:12], v[23:24], -v[11:12]
	v_fma_f64 v[23:24], v[29:30], s[12:13], v[27:28]
	v_add_f64 v[9:10], v[9:10], v[11:12]
	v_add_f64 v[11:12], v[31:32], v[23:24]
	;; [unrolled: 1-line block ×3, first 2 shown]
	v_add_f64 v[31:32], v[11:12], -v[31:32]
	v_add_f64 v[29:30], v[11:12], v[27:28]
	v_add_f64 v[25:26], v[27:28], -v[25:26]
	v_add_f64 v[23:24], v[23:24], -v[31:32]
	v_add_f64 v[33:34], v[29:30], -v[11:12]
	v_add_f64 v[9:10], v[9:10], -v[25:26]
	v_add_f64 v[35:36], v[29:30], -v[33:34]
	v_add_f64 v[25:26], v[27:28], -v[33:34]
	v_add_f64 v[27:28], v[23:24], v[9:10]
	v_add_f64 v[11:12], v[11:12], -v[35:36]
	v_add_f64 v[11:12], v[25:26], v[11:12]
	v_add_f64 v[25:26], v[27:28], -v[23:24]
	;; [unrolled: 2-line block ×3, first 2 shown]
	v_add_f64 v[9:10], v[9:10], -v[25:26]
	v_add_f64 v[31:32], v[29:30], v[11:12]
	v_add_f64 v[23:24], v[23:24], -v[27:28]
	v_add_f64 v[25:26], v[31:32], -v[29:30]
	v_add_f64 v[9:10], v[9:10], v[23:24]
	v_add_f64 v[11:12], v[11:12], -v[25:26]
	v_add_f64 v[9:10], v[9:10], v[11:12]
	v_add_f64 v[9:10], v[31:32], v[9:10]
	v_cndmask_b32_e32 v9, 0, v9, vcc_lo
	v_cmp_neq_f64_e32 vcc_lo, -1.0, v[5:6]
	v_cndmask_b32_e64 v10, 0x7ff00000, v10, s9
	v_cndmask_b32_e64 v10, 0x7ff80000, v10, s10
	v_cndmask_b32_e32 v10, 0xfff00000, v10, vcc_lo
	v_add_f64 v[5:6], v[7:8], v[9:10]
.LBB74_49:
	s_or_b32 exec_lo, exec_lo, s17
	v_max_f64 v[23:24], v[51:52], v[51:52]
	v_max_f64 v[7:8], v[5:6], v[5:6]
	v_cmp_u_f64_e32 vcc_lo, v[5:6], v[5:6]
	v_cmp_u_f64_e64 s9, v[51:52], v[51:52]
	v_min_f64 v[9:10], v[7:8], v[23:24]
	v_max_f64 v[7:8], v[7:8], v[23:24]
	v_cndmask_b32_e32 v9, v9, v5, vcc_lo
	v_cndmask_b32_e32 v10, v10, v6, vcc_lo
	;; [unrolled: 1-line block ×4, first 2 shown]
	v_cndmask_b32_e64 v9, v9, v51, s9
	v_cndmask_b32_e64 v10, v10, v52, s9
	;; [unrolled: 1-line block ×4, first 2 shown]
	v_cmp_class_f64_e64 s10, v[9:10], 0x1f8
	v_cmp_neq_f64_e32 vcc_lo, v[9:10], v[7:8]
	s_or_b32 s10, vcc_lo, s10
	s_and_saveexec_b32 s17, s10
	s_cbranch_execz .LBB74_51
; %bb.50:
	v_add_f64 v[5:6], v[9:10], -v[7:8]
	s_mov_b32 s10, 0x652b82fe
	s_mov_b32 s11, 0x3ff71547
	;; [unrolled: 1-line block ×10, first 2 shown]
	v_mul_f64 v[9:10], v[5:6], s[10:11]
	s_mov_b32 s10, 0xfca7ab0c
	s_mov_b32 s11, 0x3e928af3
	v_cmp_nlt_f64_e32 vcc_lo, 0x40900000, v[5:6]
	v_rndne_f64_e32 v[9:10], v[9:10]
	v_fma_f64 v[11:12], v[9:10], s[12:13], v[5:6]
	v_cvt_i32_f64_e32 v27, v[9:10]
	s_mov_b32 s13, 0x3fe62e42
	v_fma_f64 v[11:12], v[9:10], s[14:15], v[11:12]
	s_mov_b32 s15, 0x3c7abc9e
	v_fma_f64 v[25:26], v[11:12], s[18:19], s[10:11]
	s_mov_b32 s10, 0x623fde64
	s_mov_b32 s11, 0x3ec71dee
	;; [unrolled: 1-line block ×4, first 2 shown]
	v_fma_f64 v[25:26], v[11:12], v[25:26], s[10:11]
	s_mov_b32 s10, 0x7c89e6b0
	s_mov_b32 s11, 0x3efa0199
	v_fma_f64 v[25:26], v[11:12], v[25:26], s[10:11]
	s_mov_b32 s10, 0x14761f6e
	s_mov_b32 s11, 0x3f2a01a0
	v_fma_f64 v[25:26], v[11:12], v[25:26], s[10:11]
	s_mov_b32 s10, 0x1852b7b0
	s_mov_b32 s11, 0x3f56c16c
	v_fma_f64 v[25:26], v[11:12], v[25:26], s[10:11]
	s_mov_b32 s10, 0x11122322
	s_mov_b32 s11, 0x3f811111
	v_fma_f64 v[25:26], v[11:12], v[25:26], s[10:11]
	s_mov_b32 s10, 0x555502a1
	s_mov_b32 s11, 0x3fa55555
	v_fma_f64 v[25:26], v[11:12], v[25:26], s[10:11]
	s_mov_b32 s10, 0x55555511
	s_mov_b32 s11, 0x3fc55555
	v_fma_f64 v[25:26], v[11:12], v[25:26], s[10:11]
	s_mov_b32 s10, 11
	s_mov_b32 s11, 0x3fe00000
	v_fma_f64 v[25:26], v[11:12], v[25:26], s[10:11]
	v_cmp_ngt_f64_e64 s10, 0xc090cc00, v[5:6]
	s_mov_b32 s11, 0x3fe55555
	v_fma_f64 v[25:26], v[11:12], v[25:26], 1.0
	v_fma_f64 v[9:10], v[11:12], v[25:26], 1.0
	v_ldexp_f64 v[9:10], v[9:10], v27
	v_cndmask_b32_e32 v10, 0x7ff00000, v10, vcc_lo
	s_and_b32 vcc_lo, s10, vcc_lo
	v_cndmask_b32_e32 v5, 0, v9, vcc_lo
	v_cndmask_b32_e64 v6, 0, v10, s10
	s_mov_b32 s10, 0x55555555
	v_add_f64 v[9:10], v[5:6], 1.0
	v_frexp_mant_f64_e32 v[11:12], v[9:10]
	v_frexp_exp_i32_f64_e32 v27, v[9:10]
	v_add_f64 v[25:26], v[9:10], -1.0
	v_cmp_gt_f64_e32 vcc_lo, s[10:11], v[11:12]
	s_mov_b32 s10, 0x55555780
	v_add_f64 v[11:12], v[25:26], -v[9:10]
	v_add_f64 v[25:26], v[5:6], -v[25:26]
	v_subrev_co_ci_u32_e64 v71, null, 0, v27, vcc_lo
	v_add_f64 v[11:12], v[11:12], 1.0
	v_cmp_nge_f64_e32 vcc_lo, -1.0, v[5:6]
	v_sub_nc_u32_e32 v29, 0, v71
	v_ldexp_f64 v[9:10], v[9:10], v29
	v_add_f64 v[11:12], v[25:26], v[11:12]
	v_add_f64 v[27:28], v[9:10], 1.0
	v_add_f64 v[33:34], v[9:10], -1.0
	v_ldexp_f64 v[11:12], v[11:12], v29
	v_add_f64 v[25:26], v[27:28], -1.0
	v_add_f64 v[35:36], v[33:34], 1.0
	v_add_f64 v[25:26], v[9:10], -v[25:26]
	v_add_f64 v[9:10], v[9:10], -v[35:36]
	v_add_f64 v[25:26], v[11:12], v[25:26]
	v_add_f64 v[9:10], v[11:12], v[9:10]
	;; [unrolled: 1-line block ×4, first 2 shown]
	v_rcp_f64_e32 v[31:32], v[29:30]
	v_add_f64 v[27:28], v[29:30], -v[27:28]
	v_add_f64 v[33:34], v[35:36], -v[33:34]
	;; [unrolled: 1-line block ×3, first 2 shown]
	v_fma_f64 v[65:66], -v[29:30], v[31:32], 1.0
	v_add_f64 v[9:10], v[9:10], -v[33:34]
	v_fma_f64 v[31:32], v[65:66], v[31:32], v[31:32]
	v_fma_f64 v[11:12], -v[29:30], v[31:32], 1.0
	v_fma_f64 v[11:12], v[11:12], v[31:32], v[31:32]
	v_mul_f64 v[31:32], v[35:36], v[11:12]
	v_mul_f64 v[65:66], v[29:30], v[31:32]
	v_fma_f64 v[27:28], v[31:32], v[29:30], -v[65:66]
	v_fma_f64 v[27:28], v[31:32], v[25:26], v[27:28]
	v_add_f64 v[67:68], v[65:66], v[27:28]
	v_add_f64 v[69:70], v[35:36], -v[67:68]
	v_add_f64 v[33:34], v[67:68], -v[65:66]
	;; [unrolled: 1-line block ×5, first 2 shown]
	v_add_f64 v[9:10], v[9:10], v[35:36]
	v_add_f64 v[9:10], v[27:28], v[9:10]
	;; [unrolled: 1-line block ×3, first 2 shown]
	v_mul_f64 v[33:34], v[11:12], v[27:28]
	v_add_f64 v[67:68], v[69:70], -v[27:28]
	v_mul_f64 v[35:36], v[29:30], v[33:34]
	v_add_f64 v[9:10], v[9:10], v[67:68]
	v_fma_f64 v[29:30], v[33:34], v[29:30], -v[35:36]
	v_fma_f64 v[25:26], v[33:34], v[25:26], v[29:30]
	v_add_f64 v[29:30], v[35:36], v[25:26]
	v_add_f64 v[65:66], v[27:28], -v[29:30]
	v_add_f64 v[35:36], v[29:30], -v[35:36]
	;; [unrolled: 1-line block ×5, first 2 shown]
	v_add_f64 v[9:10], v[9:10], v[27:28]
	v_add_f64 v[27:28], v[31:32], v[33:34]
	;; [unrolled: 1-line block ×3, first 2 shown]
	v_add_f64 v[25:26], v[27:28], -v[31:32]
	v_add_f64 v[9:10], v[65:66], v[9:10]
	v_add_f64 v[25:26], v[33:34], -v[25:26]
	v_mul_f64 v[9:10], v[11:12], v[9:10]
	v_add_f64 v[9:10], v[25:26], v[9:10]
	v_add_f64 v[11:12], v[27:28], v[9:10]
	v_mul_f64 v[25:26], v[11:12], v[11:12]
	v_fma_f64 v[29:30], v[25:26], s[36:37], s[18:19]
	s_mov_b32 s18, 0xd7f4df2e
	s_mov_b32 s19, 0x3fc7474d
	v_mul_f64 v[31:32], v[11:12], v[25:26]
	v_fma_f64 v[29:30], v[25:26], v[29:30], s[18:19]
	s_mov_b32 s18, 0x16291751
	s_mov_b32 s19, 0x3fcc71c0
	v_fma_f64 v[29:30], v[25:26], v[29:30], s[18:19]
	s_mov_b32 s18, 0x9b27acf1
	s_mov_b32 s19, 0x3fd24924
	;; [unrolled: 3-line block ×3, first 2 shown]
	v_fma_f64 v[29:30], v[25:26], v[29:30], s[18:19]
	v_fma_f64 v[25:26], v[25:26], v[29:30], s[10:11]
	v_ldexp_f64 v[29:30], v[11:12], 1
	v_add_f64 v[11:12], v[11:12], -v[27:28]
	v_cmp_neq_f64_e64 s10, 0x7ff00000, v[5:6]
	v_cmp_ngt_f64_e64 s11, -1.0, v[5:6]
	v_mul_f64 v[25:26], v[31:32], v[25:26]
	v_cvt_f64_i32_e32 v[31:32], v71
	v_add_f64 v[9:10], v[9:10], -v[11:12]
	s_and_b32 vcc_lo, vcc_lo, s10
	v_add_f64 v[27:28], v[29:30], v[25:26]
	v_mul_f64 v[33:34], v[31:32], s[12:13]
	v_ldexp_f64 v[9:10], v[9:10], 1
	v_add_f64 v[11:12], v[27:28], -v[29:30]
	v_fma_f64 v[29:30], v[31:32], s[12:13], -v[33:34]
	v_add_f64 v[11:12], v[25:26], -v[11:12]
	v_fma_f64 v[25:26], v[31:32], s[14:15], v[29:30]
	v_add_f64 v[9:10], v[9:10], v[11:12]
	v_add_f64 v[11:12], v[33:34], v[25:26]
	;; [unrolled: 1-line block ×3, first 2 shown]
	v_add_f64 v[33:34], v[11:12], -v[33:34]
	v_add_f64 v[31:32], v[11:12], v[29:30]
	v_add_f64 v[27:28], v[29:30], -v[27:28]
	v_add_f64 v[25:26], v[25:26], -v[33:34]
	;; [unrolled: 1-line block ×6, first 2 shown]
	v_add_f64 v[29:30], v[25:26], v[9:10]
	v_add_f64 v[11:12], v[11:12], -v[65:66]
	v_add_f64 v[11:12], v[27:28], v[11:12]
	v_add_f64 v[27:28], v[29:30], -v[25:26]
	;; [unrolled: 2-line block ×3, first 2 shown]
	v_add_f64 v[9:10], v[9:10], -v[27:28]
	v_add_f64 v[33:34], v[31:32], v[11:12]
	v_add_f64 v[25:26], v[25:26], -v[29:30]
	v_add_f64 v[27:28], v[33:34], -v[31:32]
	v_add_f64 v[9:10], v[9:10], v[25:26]
	v_add_f64 v[11:12], v[11:12], -v[27:28]
	v_add_f64 v[9:10], v[9:10], v[11:12]
	v_add_f64 v[9:10], v[33:34], v[9:10]
	v_cndmask_b32_e32 v9, 0, v9, vcc_lo
	v_cmp_neq_f64_e32 vcc_lo, -1.0, v[5:6]
	v_cndmask_b32_e64 v10, 0x7ff00000, v10, s10
	v_cndmask_b32_e64 v10, 0x7ff80000, v10, s11
	v_cndmask_b32_e32 v10, 0xfff00000, v10, vcc_lo
	v_add_f64 v[5:6], v[7:8], v[9:10]
.LBB74_51:
	s_or_b32 exec_lo, exec_lo, s17
	v_max_f64 v[25:26], v[45:46], v[45:46]
	v_max_f64 v[7:8], v[5:6], v[5:6]
	v_cmp_u_f64_e32 vcc_lo, v[5:6], v[5:6]
	v_cmp_u_f64_e64 s10, v[45:46], v[45:46]
	v_min_f64 v[9:10], v[7:8], v[25:26]
	v_max_f64 v[7:8], v[7:8], v[25:26]
	v_cndmask_b32_e32 v9, v9, v5, vcc_lo
	v_cndmask_b32_e32 v10, v10, v6, vcc_lo
	;; [unrolled: 1-line block ×4, first 2 shown]
	v_cndmask_b32_e64 v9, v9, v45, s10
	v_cndmask_b32_e64 v10, v10, v46, s10
	;; [unrolled: 1-line block ×4, first 2 shown]
	v_cmp_class_f64_e64 s11, v[9:10], 0x1f8
	v_cmp_neq_f64_e32 vcc_lo, v[9:10], v[7:8]
	s_or_b32 s11, vcc_lo, s11
	s_and_saveexec_b32 s17, s11
	s_cbranch_execz .LBB74_53
; %bb.52:
	v_add_f64 v[5:6], v[9:10], -v[7:8]
	s_mov_b32 s12, 0x652b82fe
	s_mov_b32 s13, 0x3ff71547
	;; [unrolled: 1-line block ×10, first 2 shown]
	v_mul_f64 v[9:10], v[5:6], s[12:13]
	s_mov_b32 s13, 0xbfe62e42
	s_mov_b32 s12, 0xfefa39ef
	v_cmp_nlt_f64_e32 vcc_lo, 0x40900000, v[5:6]
	v_cmp_ngt_f64_e64 s11, 0xc090cc00, v[5:6]
	v_rndne_f64_e32 v[9:10], v[9:10]
	v_fma_f64 v[11:12], v[9:10], s[12:13], v[5:6]
	v_cvt_i32_f64_e32 v29, v[9:10]
	s_mov_b32 s13, 0x3fe62e42
	v_fma_f64 v[11:12], v[9:10], s[14:15], v[11:12]
	s_mov_b32 s15, 0x3c7abc9e
	v_fma_f64 v[27:28], v[11:12], s[36:37], s[18:19]
	s_mov_b32 s18, 0x623fde64
	s_mov_b32 s19, 0x3ec71dee
	;; [unrolled: 1-line block ×4, first 2 shown]
	v_fma_f64 v[27:28], v[11:12], v[27:28], s[18:19]
	s_mov_b32 s18, 0x7c89e6b0
	s_mov_b32 s19, 0x3efa0199
	v_fma_f64 v[27:28], v[11:12], v[27:28], s[18:19]
	s_mov_b32 s18, 0x14761f6e
	s_mov_b32 s19, 0x3f2a01a0
	;; [unrolled: 3-line block ×8, first 2 shown]
	v_fma_f64 v[27:28], v[11:12], v[27:28], 1.0
	v_fma_f64 v[9:10], v[11:12], v[27:28], 1.0
	v_ldexp_f64 v[9:10], v[9:10], v29
	v_cndmask_b32_e32 v10, 0x7ff00000, v10, vcc_lo
	s_and_b32 vcc_lo, s11, vcc_lo
	v_cndmask_b32_e32 v5, 0, v9, vcc_lo
	v_cndmask_b32_e64 v6, 0, v10, s11
	v_add_f64 v[9:10], v[5:6], 1.0
	v_cmp_neq_f64_e64 s11, 0x7ff00000, v[5:6]
	v_frexp_mant_f64_e32 v[11:12], v[9:10]
	v_frexp_exp_i32_f64_e32 v29, v[9:10]
	v_add_f64 v[27:28], v[9:10], -1.0
	v_cmp_gt_f64_e32 vcc_lo, s[18:19], v[11:12]
	s_mov_b32 s18, 0x55555780
	v_add_f64 v[11:12], v[27:28], -v[9:10]
	v_add_f64 v[27:28], v[5:6], -v[27:28]
	v_subrev_co_ci_u32_e64 v73, null, 0, v29, vcc_lo
	v_add_f64 v[11:12], v[11:12], 1.0
	v_cmp_nge_f64_e32 vcc_lo, -1.0, v[5:6]
	v_sub_nc_u32_e32 v31, 0, v73
	v_ldexp_f64 v[9:10], v[9:10], v31
	v_add_f64 v[11:12], v[27:28], v[11:12]
	s_and_b32 vcc_lo, vcc_lo, s11
	v_add_f64 v[29:30], v[9:10], 1.0
	v_add_f64 v[35:36], v[9:10], -1.0
	v_ldexp_f64 v[11:12], v[11:12], v31
	v_add_f64 v[27:28], v[29:30], -1.0
	v_add_f64 v[65:66], v[35:36], 1.0
	v_add_f64 v[27:28], v[9:10], -v[27:28]
	v_add_f64 v[9:10], v[9:10], -v[65:66]
	v_add_f64 v[27:28], v[11:12], v[27:28]
	v_add_f64 v[9:10], v[11:12], v[9:10]
	v_add_f64 v[31:32], v[29:30], v[27:28]
	v_add_f64 v[65:66], v[35:36], v[9:10]
	v_rcp_f64_e32 v[33:34], v[31:32]
	v_add_f64 v[29:30], v[31:32], -v[29:30]
	v_add_f64 v[35:36], v[65:66], -v[35:36]
	;; [unrolled: 1-line block ×3, first 2 shown]
	v_fma_f64 v[67:68], -v[31:32], v[33:34], 1.0
	v_add_f64 v[9:10], v[9:10], -v[35:36]
	v_fma_f64 v[33:34], v[67:68], v[33:34], v[33:34]
	v_fma_f64 v[11:12], -v[31:32], v[33:34], 1.0
	v_fma_f64 v[11:12], v[11:12], v[33:34], v[33:34]
	v_mul_f64 v[33:34], v[65:66], v[11:12]
	v_mul_f64 v[67:68], v[31:32], v[33:34]
	v_fma_f64 v[29:30], v[33:34], v[31:32], -v[67:68]
	v_fma_f64 v[29:30], v[33:34], v[27:28], v[29:30]
	v_add_f64 v[69:70], v[67:68], v[29:30]
	v_add_f64 v[71:72], v[65:66], -v[69:70]
	v_add_f64 v[35:36], v[69:70], -v[67:68]
	v_add_f64 v[65:66], v[65:66], -v[71:72]
	v_add_f64 v[29:30], v[35:36], -v[29:30]
	v_add_f64 v[65:66], v[65:66], -v[69:70]
	v_add_f64 v[9:10], v[9:10], v[65:66]
	v_add_f64 v[9:10], v[29:30], v[9:10]
	;; [unrolled: 1-line block ×3, first 2 shown]
	v_mul_f64 v[35:36], v[11:12], v[29:30]
	v_add_f64 v[69:70], v[71:72], -v[29:30]
	v_mul_f64 v[65:66], v[31:32], v[35:36]
	v_add_f64 v[9:10], v[9:10], v[69:70]
	v_fma_f64 v[31:32], v[35:36], v[31:32], -v[65:66]
	v_fma_f64 v[27:28], v[35:36], v[27:28], v[31:32]
	v_add_f64 v[31:32], v[65:66], v[27:28]
	v_add_f64 v[67:68], v[29:30], -v[31:32]
	v_add_f64 v[65:66], v[31:32], -v[65:66]
	;; [unrolled: 1-line block ×5, first 2 shown]
	v_add_f64 v[9:10], v[9:10], v[29:30]
	v_add_f64 v[29:30], v[33:34], v[35:36]
	;; [unrolled: 1-line block ×3, first 2 shown]
	v_add_f64 v[27:28], v[29:30], -v[33:34]
	v_add_f64 v[9:10], v[67:68], v[9:10]
	v_add_f64 v[27:28], v[35:36], -v[27:28]
	v_mul_f64 v[9:10], v[11:12], v[9:10]
	v_add_f64 v[9:10], v[27:28], v[9:10]
	v_add_f64 v[11:12], v[29:30], v[9:10]
	v_mul_f64 v[27:28], v[11:12], v[11:12]
	v_fma_f64 v[31:32], v[27:28], s[38:39], s[36:37]
	s_mov_b32 s36, 0xd7f4df2e
	s_mov_b32 s37, 0x3fc7474d
	v_mul_f64 v[33:34], v[11:12], v[27:28]
	v_fma_f64 v[31:32], v[27:28], v[31:32], s[36:37]
	s_mov_b32 s36, 0x16291751
	s_mov_b32 s37, 0x3fcc71c0
	v_fma_f64 v[31:32], v[27:28], v[31:32], s[36:37]
	s_mov_b32 s36, 0x9b27acf1
	s_mov_b32 s37, 0x3fd24924
	;; [unrolled: 3-line block ×3, first 2 shown]
	v_fma_f64 v[31:32], v[27:28], v[31:32], s[36:37]
	v_fma_f64 v[27:28], v[27:28], v[31:32], s[18:19]
	v_ldexp_f64 v[31:32], v[11:12], 1
	v_add_f64 v[11:12], v[11:12], -v[29:30]
	v_mul_f64 v[27:28], v[33:34], v[27:28]
	v_cvt_f64_i32_e32 v[33:34], v73
	v_add_f64 v[9:10], v[9:10], -v[11:12]
	v_add_f64 v[29:30], v[31:32], v[27:28]
	v_mul_f64 v[35:36], v[33:34], s[12:13]
	v_ldexp_f64 v[9:10], v[9:10], 1
	v_add_f64 v[11:12], v[29:30], -v[31:32]
	v_fma_f64 v[31:32], v[33:34], s[12:13], -v[35:36]
	v_cmp_ngt_f64_e64 s12, -1.0, v[5:6]
	v_add_f64 v[11:12], v[27:28], -v[11:12]
	v_fma_f64 v[27:28], v[33:34], s[14:15], v[31:32]
	v_add_f64 v[9:10], v[9:10], v[11:12]
	v_add_f64 v[11:12], v[35:36], v[27:28]
	;; [unrolled: 1-line block ×3, first 2 shown]
	v_add_f64 v[35:36], v[11:12], -v[35:36]
	v_add_f64 v[33:34], v[11:12], v[31:32]
	v_add_f64 v[29:30], v[31:32], -v[29:30]
	v_add_f64 v[27:28], v[27:28], -v[35:36]
	;; [unrolled: 1-line block ×6, first 2 shown]
	v_add_f64 v[31:32], v[27:28], v[9:10]
	v_add_f64 v[11:12], v[11:12], -v[67:68]
	v_add_f64 v[11:12], v[29:30], v[11:12]
	v_add_f64 v[29:30], v[31:32], -v[27:28]
	;; [unrolled: 2-line block ×3, first 2 shown]
	v_add_f64 v[9:10], v[9:10], -v[29:30]
	v_add_f64 v[35:36], v[33:34], v[11:12]
	v_add_f64 v[27:28], v[27:28], -v[31:32]
	v_add_f64 v[29:30], v[35:36], -v[33:34]
	v_add_f64 v[9:10], v[9:10], v[27:28]
	v_add_f64 v[11:12], v[11:12], -v[29:30]
	v_add_f64 v[9:10], v[9:10], v[11:12]
	v_add_f64 v[9:10], v[35:36], v[9:10]
	v_cndmask_b32_e32 v9, 0, v9, vcc_lo
	v_cmp_neq_f64_e32 vcc_lo, -1.0, v[5:6]
	v_cndmask_b32_e64 v10, 0x7ff00000, v10, s11
	v_cndmask_b32_e64 v10, 0x7ff80000, v10, s12
	v_cndmask_b32_e32 v10, 0xfff00000, v10, vcc_lo
	v_add_f64 v[5:6], v[7:8], v[9:10]
.LBB74_53:
	s_or_b32 exec_lo, exec_lo, s17
	v_max_f64 v[27:28], v[47:48], v[47:48]
	v_max_f64 v[7:8], v[5:6], v[5:6]
	v_cmp_u_f64_e32 vcc_lo, v[5:6], v[5:6]
	v_cmp_u_f64_e64 s11, v[47:48], v[47:48]
	v_min_f64 v[9:10], v[7:8], v[27:28]
	v_max_f64 v[7:8], v[7:8], v[27:28]
	v_cndmask_b32_e32 v9, v9, v5, vcc_lo
	v_cndmask_b32_e32 v10, v10, v6, vcc_lo
	;; [unrolled: 1-line block ×4, first 2 shown]
	v_cndmask_b32_e64 v9, v9, v47, s11
	v_cndmask_b32_e64 v10, v10, v48, s11
	;; [unrolled: 1-line block ×4, first 2 shown]
	v_cmp_class_f64_e64 s12, v[9:10], 0x1f8
	v_cmp_neq_f64_e32 vcc_lo, v[9:10], v[7:8]
	s_or_b32 s12, vcc_lo, s12
	s_and_saveexec_b32 s17, s12
	s_cbranch_execz .LBB74_55
; %bb.54:
	v_add_f64 v[5:6], v[9:10], -v[7:8]
	s_mov_b32 s12, 0x652b82fe
	s_mov_b32 s13, 0x3ff71547
	s_mov_b32 s15, 0xbfe62e42
	s_mov_b32 s14, 0xfefa39ef
	s_mov_b32 s19, 0xbc7abc9e
	s_mov_b32 s18, 0x3b39803f
	s_mov_b32 s36, 0x6a5dcb37
	s_mov_b32 s37, 0x3e5ade15
	s_mov_b32 s38, 0xbf559e2b
	s_mov_b32 s39, 0x3fc3ab76
	v_mul_f64 v[9:10], v[5:6], s[12:13]
	s_mov_b32 s12, 0xfca7ab0c
	s_mov_b32 s13, 0x3e928af3
	v_cmp_nlt_f64_e32 vcc_lo, 0x40900000, v[5:6]
	v_rndne_f64_e32 v[9:10], v[9:10]
	v_fma_f64 v[11:12], v[9:10], s[14:15], v[5:6]
	v_cvt_i32_f64_e32 v31, v[9:10]
	s_mov_b32 s15, 0x3fe62e42
	v_fma_f64 v[11:12], v[9:10], s[18:19], v[11:12]
	s_mov_b32 s19, 0x3c7abc9e
	v_fma_f64 v[29:30], v[11:12], s[36:37], s[12:13]
	s_mov_b32 s12, 0x623fde64
	s_mov_b32 s13, 0x3ec71dee
	s_mov_b32 s36, 0x6b47b09a
	s_mov_b32 s37, 0x3fc38538
	v_fma_f64 v[29:30], v[11:12], v[29:30], s[12:13]
	s_mov_b32 s12, 0x7c89e6b0
	s_mov_b32 s13, 0x3efa0199
	v_fma_f64 v[29:30], v[11:12], v[29:30], s[12:13]
	s_mov_b32 s12, 0x14761f6e
	s_mov_b32 s13, 0x3f2a01a0
	;; [unrolled: 3-line block ×7, first 2 shown]
	v_fma_f64 v[29:30], v[11:12], v[29:30], s[12:13]
	v_cmp_ngt_f64_e64 s12, 0xc090cc00, v[5:6]
	s_mov_b32 s13, 0x3fe55555
	v_fma_f64 v[29:30], v[11:12], v[29:30], 1.0
	v_fma_f64 v[9:10], v[11:12], v[29:30], 1.0
	v_ldexp_f64 v[9:10], v[9:10], v31
	v_cndmask_b32_e32 v10, 0x7ff00000, v10, vcc_lo
	s_and_b32 vcc_lo, s12, vcc_lo
	v_cndmask_b32_e32 v5, 0, v9, vcc_lo
	v_cndmask_b32_e64 v6, 0, v10, s12
	s_mov_b32 s12, 0x55555555
	v_add_f64 v[9:10], v[5:6], 1.0
	v_frexp_mant_f64_e32 v[11:12], v[9:10]
	v_frexp_exp_i32_f64_e32 v31, v[9:10]
	v_add_f64 v[29:30], v[9:10], -1.0
	v_cmp_gt_f64_e32 vcc_lo, s[12:13], v[11:12]
	s_mov_b32 s12, 0x55555780
	v_add_f64 v[11:12], v[29:30], -v[9:10]
	v_add_f64 v[29:30], v[5:6], -v[29:30]
	v_subrev_co_ci_u32_e64 v77, null, 0, v31, vcc_lo
	v_add_f64 v[11:12], v[11:12], 1.0
	v_cmp_nge_f64_e32 vcc_lo, -1.0, v[5:6]
	v_sub_nc_u32_e32 v33, 0, v77
	v_ldexp_f64 v[9:10], v[9:10], v33
	v_add_f64 v[11:12], v[29:30], v[11:12]
	v_add_f64 v[31:32], v[9:10], 1.0
	v_add_f64 v[65:66], v[9:10], -1.0
	v_ldexp_f64 v[11:12], v[11:12], v33
	v_add_f64 v[29:30], v[31:32], -1.0
	v_add_f64 v[67:68], v[65:66], 1.0
	v_add_f64 v[29:30], v[9:10], -v[29:30]
	v_add_f64 v[9:10], v[9:10], -v[67:68]
	v_add_f64 v[29:30], v[11:12], v[29:30]
	v_add_f64 v[9:10], v[11:12], v[9:10]
	;; [unrolled: 1-line block ×4, first 2 shown]
	v_rcp_f64_e32 v[35:36], v[33:34]
	v_add_f64 v[31:32], v[33:34], -v[31:32]
	v_add_f64 v[65:66], v[67:68], -v[65:66]
	;; [unrolled: 1-line block ×3, first 2 shown]
	v_fma_f64 v[69:70], -v[33:34], v[35:36], 1.0
	v_add_f64 v[9:10], v[9:10], -v[65:66]
	v_fma_f64 v[35:36], v[69:70], v[35:36], v[35:36]
	v_fma_f64 v[11:12], -v[33:34], v[35:36], 1.0
	v_fma_f64 v[11:12], v[11:12], v[35:36], v[35:36]
	v_mul_f64 v[35:36], v[67:68], v[11:12]
	v_mul_f64 v[69:70], v[33:34], v[35:36]
	v_fma_f64 v[31:32], v[35:36], v[33:34], -v[69:70]
	v_fma_f64 v[31:32], v[35:36], v[29:30], v[31:32]
	v_add_f64 v[71:72], v[69:70], v[31:32]
	v_add_f64 v[73:74], v[67:68], -v[71:72]
	v_add_f64 v[65:66], v[71:72], -v[69:70]
	;; [unrolled: 1-line block ×5, first 2 shown]
	v_add_f64 v[9:10], v[9:10], v[67:68]
	v_add_f64 v[9:10], v[31:32], v[9:10]
	;; [unrolled: 1-line block ×3, first 2 shown]
	v_mul_f64 v[65:66], v[11:12], v[31:32]
	v_add_f64 v[71:72], v[73:74], -v[31:32]
	v_mul_f64 v[67:68], v[33:34], v[65:66]
	v_add_f64 v[9:10], v[9:10], v[71:72]
	v_fma_f64 v[33:34], v[65:66], v[33:34], -v[67:68]
	v_fma_f64 v[29:30], v[65:66], v[29:30], v[33:34]
	v_add_f64 v[33:34], v[67:68], v[29:30]
	v_add_f64 v[69:70], v[31:32], -v[33:34]
	v_add_f64 v[67:68], v[33:34], -v[67:68]
	;; [unrolled: 1-line block ×5, first 2 shown]
	v_add_f64 v[9:10], v[9:10], v[31:32]
	v_add_f64 v[31:32], v[35:36], v[65:66]
	;; [unrolled: 1-line block ×3, first 2 shown]
	v_add_f64 v[29:30], v[31:32], -v[35:36]
	v_add_f64 v[9:10], v[69:70], v[9:10]
	v_add_f64 v[29:30], v[65:66], -v[29:30]
	v_mul_f64 v[9:10], v[11:12], v[9:10]
	v_add_f64 v[9:10], v[29:30], v[9:10]
	v_add_f64 v[11:12], v[31:32], v[9:10]
	v_mul_f64 v[29:30], v[11:12], v[11:12]
	v_fma_f64 v[33:34], v[29:30], s[38:39], s[36:37]
	s_mov_b32 s36, 0xd7f4df2e
	s_mov_b32 s37, 0x3fc7474d
	v_mul_f64 v[35:36], v[11:12], v[29:30]
	v_fma_f64 v[33:34], v[29:30], v[33:34], s[36:37]
	s_mov_b32 s36, 0x16291751
	s_mov_b32 s37, 0x3fcc71c0
	v_fma_f64 v[33:34], v[29:30], v[33:34], s[36:37]
	s_mov_b32 s36, 0x9b27acf1
	s_mov_b32 s37, 0x3fd24924
	;; [unrolled: 3-line block ×3, first 2 shown]
	v_fma_f64 v[33:34], v[29:30], v[33:34], s[36:37]
	v_fma_f64 v[29:30], v[29:30], v[33:34], s[12:13]
	v_ldexp_f64 v[33:34], v[11:12], 1
	v_add_f64 v[11:12], v[11:12], -v[31:32]
	v_cmp_neq_f64_e64 s12, 0x7ff00000, v[5:6]
	v_cmp_ngt_f64_e64 s13, -1.0, v[5:6]
	v_mul_f64 v[29:30], v[35:36], v[29:30]
	v_cvt_f64_i32_e32 v[35:36], v77
	v_add_f64 v[9:10], v[9:10], -v[11:12]
	s_and_b32 vcc_lo, vcc_lo, s12
	v_add_f64 v[31:32], v[33:34], v[29:30]
	v_mul_f64 v[65:66], v[35:36], s[14:15]
	v_ldexp_f64 v[9:10], v[9:10], 1
	v_add_f64 v[11:12], v[31:32], -v[33:34]
	v_fma_f64 v[33:34], v[35:36], s[14:15], -v[65:66]
	v_add_f64 v[11:12], v[29:30], -v[11:12]
	v_fma_f64 v[29:30], v[35:36], s[18:19], v[33:34]
	v_add_f64 v[9:10], v[9:10], v[11:12]
	v_add_f64 v[11:12], v[65:66], v[29:30]
	;; [unrolled: 1-line block ×3, first 2 shown]
	v_add_f64 v[65:66], v[11:12], -v[65:66]
	v_add_f64 v[35:36], v[11:12], v[33:34]
	v_add_f64 v[31:32], v[33:34], -v[31:32]
	v_add_f64 v[29:30], v[29:30], -v[65:66]
	;; [unrolled: 1-line block ×6, first 2 shown]
	v_add_f64 v[33:34], v[29:30], v[9:10]
	v_add_f64 v[11:12], v[11:12], -v[69:70]
	v_add_f64 v[11:12], v[31:32], v[11:12]
	v_add_f64 v[31:32], v[33:34], -v[29:30]
	;; [unrolled: 2-line block ×3, first 2 shown]
	v_add_f64 v[9:10], v[9:10], -v[31:32]
	v_add_f64 v[65:66], v[35:36], v[11:12]
	v_add_f64 v[29:30], v[29:30], -v[33:34]
	v_add_f64 v[31:32], v[65:66], -v[35:36]
	v_add_f64 v[9:10], v[9:10], v[29:30]
	v_add_f64 v[11:12], v[11:12], -v[31:32]
	v_add_f64 v[9:10], v[9:10], v[11:12]
	v_add_f64 v[9:10], v[65:66], v[9:10]
	v_cndmask_b32_e32 v9, 0, v9, vcc_lo
	v_cmp_neq_f64_e32 vcc_lo, -1.0, v[5:6]
	v_cndmask_b32_e64 v10, 0x7ff00000, v10, s12
	v_cndmask_b32_e64 v10, 0x7ff80000, v10, s13
	v_cndmask_b32_e32 v10, 0xfff00000, v10, vcc_lo
	v_add_f64 v[5:6], v[7:8], v[9:10]
.LBB74_55:
	s_or_b32 exec_lo, exec_lo, s17
	v_max_f64 v[29:30], v[41:42], v[41:42]
	v_max_f64 v[7:8], v[5:6], v[5:6]
	v_cmp_u_f64_e32 vcc_lo, v[5:6], v[5:6]
	v_cmp_u_f64_e64 s12, v[41:42], v[41:42]
	v_min_f64 v[9:10], v[7:8], v[29:30]
	v_max_f64 v[7:8], v[7:8], v[29:30]
	v_cndmask_b32_e32 v9, v9, v5, vcc_lo
	v_cndmask_b32_e32 v10, v10, v6, vcc_lo
	;; [unrolled: 1-line block ×4, first 2 shown]
	v_cndmask_b32_e64 v9, v9, v41, s12
	v_cndmask_b32_e64 v10, v10, v42, s12
	;; [unrolled: 1-line block ×4, first 2 shown]
	v_cmp_class_f64_e64 s13, v[9:10], 0x1f8
	v_cmp_neq_f64_e32 vcc_lo, v[9:10], v[7:8]
	s_or_b32 s13, vcc_lo, s13
	s_and_saveexec_b32 s17, s13
	s_cbranch_execz .LBB74_57
; %bb.56:
	v_add_f64 v[5:6], v[9:10], -v[7:8]
	s_mov_b32 s14, 0x652b82fe
	s_mov_b32 s15, 0x3ff71547
	;; [unrolled: 1-line block ×10, first 2 shown]
	v_mul_f64 v[9:10], v[5:6], s[14:15]
	s_mov_b32 s15, 0xbfe62e42
	s_mov_b32 s14, 0xfefa39ef
	v_cmp_nlt_f64_e32 vcc_lo, 0x40900000, v[5:6]
	v_cmp_ngt_f64_e64 s13, 0xc090cc00, v[5:6]
	v_rndne_f64_e32 v[9:10], v[9:10]
	v_fma_f64 v[11:12], v[9:10], s[14:15], v[5:6]
	v_cvt_i32_f64_e32 v33, v[9:10]
	s_mov_b32 s15, 0x3fe62e42
	v_fma_f64 v[11:12], v[9:10], s[18:19], v[11:12]
	s_mov_b32 s19, 0x3c7abc9e
	v_fma_f64 v[31:32], v[11:12], s[38:39], s[36:37]
	s_mov_b32 s36, 0x623fde64
	s_mov_b32 s37, 0x3ec71dee
	;; [unrolled: 1-line block ×4, first 2 shown]
	v_fma_f64 v[31:32], v[11:12], v[31:32], s[36:37]
	s_mov_b32 s36, 0x7c89e6b0
	s_mov_b32 s37, 0x3efa0199
	v_fma_f64 v[31:32], v[11:12], v[31:32], s[36:37]
	s_mov_b32 s36, 0x14761f6e
	s_mov_b32 s37, 0x3f2a01a0
	;; [unrolled: 3-line block ×8, first 2 shown]
	v_fma_f64 v[31:32], v[11:12], v[31:32], 1.0
	v_fma_f64 v[9:10], v[11:12], v[31:32], 1.0
	v_ldexp_f64 v[9:10], v[9:10], v33
	v_cndmask_b32_e32 v10, 0x7ff00000, v10, vcc_lo
	s_and_b32 vcc_lo, s13, vcc_lo
	v_cndmask_b32_e32 v5, 0, v9, vcc_lo
	v_cndmask_b32_e64 v6, 0, v10, s13
	v_add_f64 v[9:10], v[5:6], 1.0
	v_cmp_neq_f64_e64 s13, 0x7ff00000, v[5:6]
	v_frexp_mant_f64_e32 v[11:12], v[9:10]
	v_frexp_exp_i32_f64_e32 v33, v[9:10]
	v_add_f64 v[31:32], v[9:10], -1.0
	v_cmp_gt_f64_e32 vcc_lo, s[36:37], v[11:12]
	s_mov_b32 s36, 0x55555780
	v_add_f64 v[11:12], v[31:32], -v[9:10]
	v_add_f64 v[31:32], v[5:6], -v[31:32]
	v_subrev_co_ci_u32_e64 v79, null, 0, v33, vcc_lo
	v_add_f64 v[11:12], v[11:12], 1.0
	v_cmp_nge_f64_e32 vcc_lo, -1.0, v[5:6]
	v_sub_nc_u32_e32 v35, 0, v79
	v_ldexp_f64 v[9:10], v[9:10], v35
	v_add_f64 v[11:12], v[31:32], v[11:12]
	s_and_b32 vcc_lo, vcc_lo, s13
	v_add_f64 v[33:34], v[9:10], 1.0
	v_add_f64 v[67:68], v[9:10], -1.0
	v_ldexp_f64 v[11:12], v[11:12], v35
	v_add_f64 v[31:32], v[33:34], -1.0
	v_add_f64 v[69:70], v[67:68], 1.0
	v_add_f64 v[31:32], v[9:10], -v[31:32]
	v_add_f64 v[9:10], v[9:10], -v[69:70]
	v_add_f64 v[31:32], v[11:12], v[31:32]
	v_add_f64 v[9:10], v[11:12], v[9:10]
	v_add_f64 v[35:36], v[33:34], v[31:32]
	v_add_f64 v[69:70], v[67:68], v[9:10]
	v_rcp_f64_e32 v[65:66], v[35:36]
	v_add_f64 v[33:34], v[35:36], -v[33:34]
	v_add_f64 v[67:68], v[69:70], -v[67:68]
	;; [unrolled: 1-line block ×3, first 2 shown]
	v_fma_f64 v[71:72], -v[35:36], v[65:66], 1.0
	v_add_f64 v[9:10], v[9:10], -v[67:68]
	v_fma_f64 v[65:66], v[71:72], v[65:66], v[65:66]
	v_fma_f64 v[11:12], -v[35:36], v[65:66], 1.0
	v_fma_f64 v[11:12], v[11:12], v[65:66], v[65:66]
	v_mul_f64 v[65:66], v[69:70], v[11:12]
	v_mul_f64 v[71:72], v[35:36], v[65:66]
	v_fma_f64 v[33:34], v[65:66], v[35:36], -v[71:72]
	v_fma_f64 v[33:34], v[65:66], v[31:32], v[33:34]
	v_add_f64 v[73:74], v[71:72], v[33:34]
	v_add_f64 v[77:78], v[69:70], -v[73:74]
	v_add_f64 v[67:68], v[73:74], -v[71:72]
	;; [unrolled: 1-line block ×5, first 2 shown]
	v_add_f64 v[9:10], v[9:10], v[69:70]
	v_add_f64 v[9:10], v[33:34], v[9:10]
	;; [unrolled: 1-line block ×3, first 2 shown]
	v_mul_f64 v[67:68], v[11:12], v[33:34]
	v_add_f64 v[73:74], v[77:78], -v[33:34]
	v_mul_f64 v[69:70], v[35:36], v[67:68]
	v_add_f64 v[9:10], v[9:10], v[73:74]
	v_fma_f64 v[35:36], v[67:68], v[35:36], -v[69:70]
	v_fma_f64 v[31:32], v[67:68], v[31:32], v[35:36]
	v_add_f64 v[35:36], v[69:70], v[31:32]
	v_add_f64 v[71:72], v[33:34], -v[35:36]
	v_add_f64 v[69:70], v[35:36], -v[69:70]
	;; [unrolled: 1-line block ×5, first 2 shown]
	v_add_f64 v[9:10], v[9:10], v[33:34]
	v_add_f64 v[33:34], v[65:66], v[67:68]
	v_add_f64 v[9:10], v[31:32], v[9:10]
	v_add_f64 v[31:32], v[33:34], -v[65:66]
	v_add_f64 v[9:10], v[71:72], v[9:10]
	v_add_f64 v[31:32], v[67:68], -v[31:32]
	v_mul_f64 v[9:10], v[11:12], v[9:10]
	v_add_f64 v[9:10], v[31:32], v[9:10]
	v_add_f64 v[11:12], v[33:34], v[9:10]
	v_mul_f64 v[31:32], v[11:12], v[11:12]
	v_fma_f64 v[35:36], v[31:32], s[42:43], s[38:39]
	s_mov_b32 s38, 0xd7f4df2e
	s_mov_b32 s39, 0x3fc7474d
	v_mul_f64 v[65:66], v[11:12], v[31:32]
	v_fma_f64 v[35:36], v[31:32], v[35:36], s[38:39]
	s_mov_b32 s38, 0x16291751
	s_mov_b32 s39, 0x3fcc71c0
	v_fma_f64 v[35:36], v[31:32], v[35:36], s[38:39]
	s_mov_b32 s38, 0x9b27acf1
	s_mov_b32 s39, 0x3fd24924
	;; [unrolled: 3-line block ×3, first 2 shown]
	v_fma_f64 v[35:36], v[31:32], v[35:36], s[38:39]
	v_fma_f64 v[31:32], v[31:32], v[35:36], s[36:37]
	v_ldexp_f64 v[35:36], v[11:12], 1
	v_add_f64 v[11:12], v[11:12], -v[33:34]
	v_mul_f64 v[31:32], v[65:66], v[31:32]
	v_cvt_f64_i32_e32 v[65:66], v79
	v_add_f64 v[9:10], v[9:10], -v[11:12]
	v_add_f64 v[33:34], v[35:36], v[31:32]
	v_mul_f64 v[67:68], v[65:66], s[14:15]
	v_ldexp_f64 v[9:10], v[9:10], 1
	v_add_f64 v[11:12], v[33:34], -v[35:36]
	v_fma_f64 v[35:36], v[65:66], s[14:15], -v[67:68]
	v_cmp_ngt_f64_e64 s14, -1.0, v[5:6]
	v_add_f64 v[11:12], v[31:32], -v[11:12]
	v_fma_f64 v[31:32], v[65:66], s[18:19], v[35:36]
	v_add_f64 v[9:10], v[9:10], v[11:12]
	v_add_f64 v[11:12], v[67:68], v[31:32]
	;; [unrolled: 1-line block ×3, first 2 shown]
	v_add_f64 v[67:68], v[11:12], -v[67:68]
	v_add_f64 v[65:66], v[11:12], v[35:36]
	v_add_f64 v[33:34], v[35:36], -v[33:34]
	v_add_f64 v[31:32], v[31:32], -v[67:68]
	v_add_f64 v[69:70], v[65:66], -v[11:12]
	v_add_f64 v[9:10], v[9:10], -v[33:34]
	v_add_f64 v[71:72], v[65:66], -v[69:70]
	v_add_f64 v[33:34], v[35:36], -v[69:70]
	v_add_f64 v[35:36], v[31:32], v[9:10]
	v_add_f64 v[11:12], v[11:12], -v[71:72]
	v_add_f64 v[11:12], v[33:34], v[11:12]
	v_add_f64 v[33:34], v[35:36], -v[31:32]
	;; [unrolled: 2-line block ×3, first 2 shown]
	v_add_f64 v[9:10], v[9:10], -v[33:34]
	v_add_f64 v[67:68], v[65:66], v[11:12]
	v_add_f64 v[31:32], v[31:32], -v[35:36]
	v_add_f64 v[33:34], v[67:68], -v[65:66]
	v_add_f64 v[9:10], v[9:10], v[31:32]
	v_add_f64 v[11:12], v[11:12], -v[33:34]
	v_add_f64 v[9:10], v[9:10], v[11:12]
	v_add_f64 v[9:10], v[67:68], v[9:10]
	v_cndmask_b32_e32 v9, 0, v9, vcc_lo
	v_cmp_neq_f64_e32 vcc_lo, -1.0, v[5:6]
	v_cndmask_b32_e64 v10, 0x7ff00000, v10, s13
	v_cndmask_b32_e64 v10, 0x7ff80000, v10, s14
	v_cndmask_b32_e32 v10, 0xfff00000, v10, vcc_lo
	v_add_f64 v[5:6], v[7:8], v[9:10]
.LBB74_57:
	s_or_b32 exec_lo, exec_lo, s17
	v_max_f64 v[31:32], v[43:44], v[43:44]
	v_max_f64 v[7:8], v[5:6], v[5:6]
	v_cmp_u_f64_e32 vcc_lo, v[5:6], v[5:6]
	v_cmp_u_f64_e64 s13, v[43:44], v[43:44]
	v_min_f64 v[9:10], v[7:8], v[31:32]
	v_max_f64 v[7:8], v[7:8], v[31:32]
	v_cndmask_b32_e32 v9, v9, v5, vcc_lo
	v_cndmask_b32_e32 v10, v10, v6, vcc_lo
	v_cndmask_b32_e32 v8, v8, v6, vcc_lo
	v_cndmask_b32_e32 v7, v7, v5, vcc_lo
	v_cndmask_b32_e64 v9, v9, v43, s13
	v_cndmask_b32_e64 v10, v10, v44, s13
	;; [unrolled: 1-line block ×4, first 2 shown]
	v_cmp_class_f64_e64 s14, v[9:10], 0x1f8
	v_cmp_neq_f64_e32 vcc_lo, v[9:10], v[7:8]
	s_or_b32 s14, vcc_lo, s14
	s_and_saveexec_b32 s17, s14
	s_cbranch_execz .LBB74_59
; %bb.58:
	v_add_f64 v[5:6], v[9:10], -v[7:8]
	s_mov_b32 s14, 0x652b82fe
	s_mov_b32 s15, 0x3ff71547
	;; [unrolled: 1-line block ×10, first 2 shown]
	v_mul_f64 v[9:10], v[5:6], s[14:15]
	s_mov_b32 s14, 0xfca7ab0c
	s_mov_b32 s15, 0x3e928af3
	v_cmp_nlt_f64_e32 vcc_lo, 0x40900000, v[5:6]
	v_rndne_f64_e32 v[9:10], v[9:10]
	v_fma_f64 v[11:12], v[9:10], s[18:19], v[5:6]
	v_cvt_i32_f64_e32 v35, v[9:10]
	s_mov_b32 s19, 0x3fe62e42
	v_fma_f64 v[11:12], v[9:10], s[36:37], v[11:12]
	s_mov_b32 s37, 0x3c7abc9e
	v_fma_f64 v[33:34], v[11:12], s[38:39], s[14:15]
	s_mov_b32 s14, 0x623fde64
	s_mov_b32 s15, 0x3ec71dee
	;; [unrolled: 1-line block ×4, first 2 shown]
	v_fma_f64 v[33:34], v[11:12], v[33:34], s[14:15]
	s_mov_b32 s14, 0x7c89e6b0
	s_mov_b32 s15, 0x3efa0199
	v_fma_f64 v[33:34], v[11:12], v[33:34], s[14:15]
	s_mov_b32 s14, 0x14761f6e
	s_mov_b32 s15, 0x3f2a01a0
	;; [unrolled: 3-line block ×7, first 2 shown]
	v_fma_f64 v[33:34], v[11:12], v[33:34], s[14:15]
	v_cmp_ngt_f64_e64 s14, 0xc090cc00, v[5:6]
	s_mov_b32 s15, 0x3fe55555
	v_fma_f64 v[33:34], v[11:12], v[33:34], 1.0
	v_fma_f64 v[9:10], v[11:12], v[33:34], 1.0
	v_ldexp_f64 v[9:10], v[9:10], v35
	v_cndmask_b32_e32 v10, 0x7ff00000, v10, vcc_lo
	s_and_b32 vcc_lo, s14, vcc_lo
	v_cndmask_b32_e32 v5, 0, v9, vcc_lo
	v_cndmask_b32_e64 v6, 0, v10, s14
	s_mov_b32 s14, 0x55555555
	v_add_f64 v[9:10], v[5:6], 1.0
	v_frexp_mant_f64_e32 v[11:12], v[9:10]
	v_frexp_exp_i32_f64_e32 v35, v[9:10]
	v_add_f64 v[33:34], v[9:10], -1.0
	v_cmp_gt_f64_e32 vcc_lo, s[14:15], v[11:12]
	s_mov_b32 s14, 0x55555780
	v_add_f64 v[11:12], v[33:34], -v[9:10]
	v_add_f64 v[33:34], v[5:6], -v[33:34]
	v_subrev_co_ci_u32_e64 v81, null, 0, v35, vcc_lo
	v_add_f64 v[11:12], v[11:12], 1.0
	v_cmp_nge_f64_e32 vcc_lo, -1.0, v[5:6]
	v_sub_nc_u32_e32 v65, 0, v81
	v_ldexp_f64 v[9:10], v[9:10], v65
	v_add_f64 v[11:12], v[33:34], v[11:12]
	v_add_f64 v[35:36], v[9:10], 1.0
	v_add_f64 v[69:70], v[9:10], -1.0
	v_ldexp_f64 v[11:12], v[11:12], v65
	v_add_f64 v[33:34], v[35:36], -1.0
	v_add_f64 v[71:72], v[69:70], 1.0
	v_add_f64 v[33:34], v[9:10], -v[33:34]
	v_add_f64 v[9:10], v[9:10], -v[71:72]
	v_add_f64 v[33:34], v[11:12], v[33:34]
	v_add_f64 v[9:10], v[11:12], v[9:10]
	;; [unrolled: 1-line block ×4, first 2 shown]
	v_rcp_f64_e32 v[67:68], v[65:66]
	v_add_f64 v[35:36], v[65:66], -v[35:36]
	v_add_f64 v[69:70], v[71:72], -v[69:70]
	;; [unrolled: 1-line block ×3, first 2 shown]
	v_fma_f64 v[73:74], -v[65:66], v[67:68], 1.0
	v_add_f64 v[9:10], v[9:10], -v[69:70]
	v_fma_f64 v[67:68], v[73:74], v[67:68], v[67:68]
	v_fma_f64 v[11:12], -v[65:66], v[67:68], 1.0
	v_fma_f64 v[11:12], v[11:12], v[67:68], v[67:68]
	v_mul_f64 v[67:68], v[71:72], v[11:12]
	v_mul_f64 v[73:74], v[65:66], v[67:68]
	v_fma_f64 v[35:36], v[67:68], v[65:66], -v[73:74]
	v_fma_f64 v[35:36], v[67:68], v[33:34], v[35:36]
	v_add_f64 v[77:78], v[73:74], v[35:36]
	v_add_f64 v[79:80], v[71:72], -v[77:78]
	v_add_f64 v[69:70], v[77:78], -v[73:74]
	;; [unrolled: 1-line block ×5, first 2 shown]
	v_add_f64 v[9:10], v[9:10], v[71:72]
	v_add_f64 v[9:10], v[35:36], v[9:10]
	;; [unrolled: 1-line block ×3, first 2 shown]
	v_mul_f64 v[69:70], v[11:12], v[35:36]
	v_add_f64 v[77:78], v[79:80], -v[35:36]
	v_mul_f64 v[71:72], v[65:66], v[69:70]
	v_add_f64 v[9:10], v[9:10], v[77:78]
	v_fma_f64 v[65:66], v[69:70], v[65:66], -v[71:72]
	v_fma_f64 v[33:34], v[69:70], v[33:34], v[65:66]
	v_add_f64 v[65:66], v[71:72], v[33:34]
	v_add_f64 v[73:74], v[35:36], -v[65:66]
	v_add_f64 v[71:72], v[65:66], -v[71:72]
	;; [unrolled: 1-line block ×5, first 2 shown]
	v_add_f64 v[9:10], v[9:10], v[35:36]
	v_add_f64 v[35:36], v[67:68], v[69:70]
	;; [unrolled: 1-line block ×3, first 2 shown]
	v_add_f64 v[33:34], v[35:36], -v[67:68]
	v_add_f64 v[9:10], v[73:74], v[9:10]
	v_add_f64 v[33:34], v[69:70], -v[33:34]
	v_mul_f64 v[9:10], v[11:12], v[9:10]
	v_add_f64 v[9:10], v[33:34], v[9:10]
	v_add_f64 v[11:12], v[35:36], v[9:10]
	v_mul_f64 v[33:34], v[11:12], v[11:12]
	v_fma_f64 v[65:66], v[33:34], s[42:43], s[38:39]
	s_mov_b32 s38, 0xd7f4df2e
	s_mov_b32 s39, 0x3fc7474d
	v_mul_f64 v[67:68], v[11:12], v[33:34]
	v_fma_f64 v[65:66], v[33:34], v[65:66], s[38:39]
	s_mov_b32 s38, 0x16291751
	s_mov_b32 s39, 0x3fcc71c0
	v_fma_f64 v[65:66], v[33:34], v[65:66], s[38:39]
	s_mov_b32 s38, 0x9b27acf1
	s_mov_b32 s39, 0x3fd24924
	;; [unrolled: 3-line block ×3, first 2 shown]
	v_fma_f64 v[65:66], v[33:34], v[65:66], s[38:39]
	v_fma_f64 v[33:34], v[33:34], v[65:66], s[14:15]
	v_ldexp_f64 v[65:66], v[11:12], 1
	v_add_f64 v[11:12], v[11:12], -v[35:36]
	v_cmp_neq_f64_e64 s14, 0x7ff00000, v[5:6]
	v_cmp_ngt_f64_e64 s15, -1.0, v[5:6]
	v_mul_f64 v[33:34], v[67:68], v[33:34]
	v_cvt_f64_i32_e32 v[67:68], v81
	v_add_f64 v[9:10], v[9:10], -v[11:12]
	s_and_b32 vcc_lo, vcc_lo, s14
	v_add_f64 v[35:36], v[65:66], v[33:34]
	v_mul_f64 v[69:70], v[67:68], s[18:19]
	v_ldexp_f64 v[9:10], v[9:10], 1
	v_add_f64 v[11:12], v[35:36], -v[65:66]
	v_fma_f64 v[65:66], v[67:68], s[18:19], -v[69:70]
	v_add_f64 v[11:12], v[33:34], -v[11:12]
	v_fma_f64 v[33:34], v[67:68], s[36:37], v[65:66]
	v_add_f64 v[9:10], v[9:10], v[11:12]
	v_add_f64 v[11:12], v[69:70], v[33:34]
	;; [unrolled: 1-line block ×3, first 2 shown]
	v_add_f64 v[69:70], v[11:12], -v[69:70]
	v_add_f64 v[67:68], v[11:12], v[65:66]
	v_add_f64 v[35:36], v[65:66], -v[35:36]
	v_add_f64 v[33:34], v[33:34], -v[69:70]
	;; [unrolled: 1-line block ×6, first 2 shown]
	v_add_f64 v[65:66], v[33:34], v[9:10]
	v_add_f64 v[11:12], v[11:12], -v[73:74]
	v_add_f64 v[11:12], v[35:36], v[11:12]
	v_add_f64 v[35:36], v[65:66], -v[33:34]
	;; [unrolled: 2-line block ×3, first 2 shown]
	v_add_f64 v[9:10], v[9:10], -v[35:36]
	v_add_f64 v[69:70], v[67:68], v[11:12]
	v_add_f64 v[33:34], v[33:34], -v[65:66]
	v_add_f64 v[35:36], v[69:70], -v[67:68]
	v_add_f64 v[9:10], v[9:10], v[33:34]
	v_add_f64 v[11:12], v[11:12], -v[35:36]
	v_add_f64 v[9:10], v[9:10], v[11:12]
	v_add_f64 v[9:10], v[69:70], v[9:10]
	v_cndmask_b32_e32 v9, 0, v9, vcc_lo
	v_cmp_neq_f64_e32 vcc_lo, -1.0, v[5:6]
	v_cndmask_b32_e64 v10, 0x7ff00000, v10, s14
	v_cndmask_b32_e64 v10, 0x7ff80000, v10, s15
	v_cndmask_b32_e32 v10, 0xfff00000, v10, vcc_lo
	v_add_f64 v[5:6], v[7:8], v[9:10]
.LBB74_59:
	s_or_b32 exec_lo, exec_lo, s17
	v_max_f64 v[33:34], v[37:38], v[37:38]
	v_max_f64 v[7:8], v[5:6], v[5:6]
	v_cmp_u_f64_e32 vcc_lo, v[5:6], v[5:6]
	v_cmp_u_f64_e64 s14, v[37:38], v[37:38]
	v_min_f64 v[9:10], v[7:8], v[33:34]
	v_max_f64 v[7:8], v[7:8], v[33:34]
	v_cndmask_b32_e32 v9, v9, v5, vcc_lo
	v_cndmask_b32_e32 v10, v10, v6, vcc_lo
	;; [unrolled: 1-line block ×4, first 2 shown]
	v_cndmask_b32_e64 v9, v9, v37, s14
	v_cndmask_b32_e64 v10, v10, v38, s14
	;; [unrolled: 1-line block ×4, first 2 shown]
	v_cmp_class_f64_e64 s15, v[9:10], 0x1f8
	v_cmp_neq_f64_e32 vcc_lo, v[9:10], v[7:8]
	s_or_b32 s15, vcc_lo, s15
	s_and_saveexec_b32 s42, s15
	s_cbranch_execz .LBB74_61
; %bb.60:
	v_add_f64 v[5:6], v[9:10], -v[7:8]
	s_mov_b32 s18, 0x652b82fe
	s_mov_b32 s19, 0x3ff71547
	;; [unrolled: 1-line block ×10, first 2 shown]
	v_mul_f64 v[9:10], v[5:6], s[18:19]
	s_mov_b32 s19, 0xbfe62e42
	s_mov_b32 s18, 0xfefa39ef
	v_cmp_nlt_f64_e32 vcc_lo, 0x40900000, v[5:6]
	v_cmp_ngt_f64_e64 s15, 0xc090cc00, v[5:6]
	v_rndne_f64_e32 v[9:10], v[9:10]
	v_fma_f64 v[11:12], v[9:10], s[18:19], v[5:6]
	v_cvt_i32_f64_e32 v65, v[9:10]
	s_mov_b32 s19, 0x3fe62e42
	v_fma_f64 v[11:12], v[9:10], s[36:37], v[11:12]
	s_mov_b32 s37, 0x3c7abc9e
	v_fma_f64 v[35:36], v[11:12], s[44:45], s[38:39]
	s_mov_b32 s38, 0x623fde64
	s_mov_b32 s39, 0x3ec71dee
	;; [unrolled: 1-line block ×4, first 2 shown]
	v_fma_f64 v[35:36], v[11:12], v[35:36], s[38:39]
	s_mov_b32 s38, 0x7c89e6b0
	s_mov_b32 s39, 0x3efa0199
	v_fma_f64 v[35:36], v[11:12], v[35:36], s[38:39]
	s_mov_b32 s38, 0x14761f6e
	s_mov_b32 s39, 0x3f2a01a0
	;; [unrolled: 3-line block ×8, first 2 shown]
	v_fma_f64 v[35:36], v[11:12], v[35:36], 1.0
	v_fma_f64 v[9:10], v[11:12], v[35:36], 1.0
	v_ldexp_f64 v[9:10], v[9:10], v65
	v_cndmask_b32_e32 v10, 0x7ff00000, v10, vcc_lo
	s_and_b32 vcc_lo, s15, vcc_lo
	v_cndmask_b32_e32 v5, 0, v9, vcc_lo
	v_cndmask_b32_e64 v6, 0, v10, s15
	v_add_f64 v[9:10], v[5:6], 1.0
	v_cmp_neq_f64_e64 s15, 0x7ff00000, v[5:6]
	v_cmp_ngt_f64_e64 s17, -1.0, v[5:6]
	v_frexp_mant_f64_e32 v[11:12], v[9:10]
	v_frexp_exp_i32_f64_e32 v65, v[9:10]
	v_add_f64 v[35:36], v[9:10], -1.0
	v_cmp_gt_f64_e32 vcc_lo, s[38:39], v[11:12]
	s_mov_b32 s38, 0x55555780
	v_add_f64 v[11:12], v[35:36], -v[9:10]
	v_add_f64 v[35:36], v[5:6], -v[35:36]
	v_subrev_co_ci_u32_e64 v83, null, 0, v65, vcc_lo
	v_add_f64 v[11:12], v[11:12], 1.0
	v_cmp_nge_f64_e32 vcc_lo, -1.0, v[5:6]
	v_sub_nc_u32_e32 v67, 0, v83
	v_ldexp_f64 v[9:10], v[9:10], v67
	v_add_f64 v[11:12], v[35:36], v[11:12]
	s_and_b32 vcc_lo, vcc_lo, s15
	v_add_f64 v[65:66], v[9:10], 1.0
	v_add_f64 v[71:72], v[9:10], -1.0
	v_ldexp_f64 v[11:12], v[11:12], v67
	v_add_f64 v[35:36], v[65:66], -1.0
	v_add_f64 v[73:74], v[71:72], 1.0
	v_add_f64 v[35:36], v[9:10], -v[35:36]
	v_add_f64 v[9:10], v[9:10], -v[73:74]
	v_add_f64 v[35:36], v[11:12], v[35:36]
	v_add_f64 v[9:10], v[11:12], v[9:10]
	;; [unrolled: 1-line block ×4, first 2 shown]
	v_rcp_f64_e32 v[69:70], v[67:68]
	v_add_f64 v[65:66], v[67:68], -v[65:66]
	v_add_f64 v[71:72], v[73:74], -v[71:72]
	;; [unrolled: 1-line block ×3, first 2 shown]
	v_fma_f64 v[77:78], -v[67:68], v[69:70], 1.0
	v_add_f64 v[9:10], v[9:10], -v[71:72]
	v_fma_f64 v[69:70], v[77:78], v[69:70], v[69:70]
	v_fma_f64 v[11:12], -v[67:68], v[69:70], 1.0
	v_fma_f64 v[11:12], v[11:12], v[69:70], v[69:70]
	v_mul_f64 v[69:70], v[73:74], v[11:12]
	v_mul_f64 v[77:78], v[67:68], v[69:70]
	v_fma_f64 v[65:66], v[69:70], v[67:68], -v[77:78]
	v_fma_f64 v[65:66], v[69:70], v[35:36], v[65:66]
	v_add_f64 v[79:80], v[77:78], v[65:66]
	v_add_f64 v[81:82], v[73:74], -v[79:80]
	v_add_f64 v[71:72], v[79:80], -v[77:78]
	v_add_f64 v[73:74], v[73:74], -v[81:82]
	v_add_f64 v[65:66], v[71:72], -v[65:66]
	v_add_f64 v[73:74], v[73:74], -v[79:80]
	v_add_f64 v[9:10], v[9:10], v[73:74]
	v_add_f64 v[9:10], v[65:66], v[9:10]
	;; [unrolled: 1-line block ×3, first 2 shown]
	v_mul_f64 v[71:72], v[11:12], v[65:66]
	v_add_f64 v[79:80], v[81:82], -v[65:66]
	v_mul_f64 v[73:74], v[67:68], v[71:72]
	v_add_f64 v[9:10], v[9:10], v[79:80]
	v_fma_f64 v[67:68], v[71:72], v[67:68], -v[73:74]
	v_fma_f64 v[35:36], v[71:72], v[35:36], v[67:68]
	v_add_f64 v[67:68], v[73:74], v[35:36]
	v_add_f64 v[77:78], v[65:66], -v[67:68]
	v_add_f64 v[73:74], v[67:68], -v[73:74]
	;; [unrolled: 1-line block ×5, first 2 shown]
	v_add_f64 v[9:10], v[9:10], v[65:66]
	v_add_f64 v[65:66], v[69:70], v[71:72]
	;; [unrolled: 1-line block ×3, first 2 shown]
	v_add_f64 v[35:36], v[65:66], -v[69:70]
	v_add_f64 v[9:10], v[77:78], v[9:10]
	v_add_f64 v[35:36], v[71:72], -v[35:36]
	v_mul_f64 v[9:10], v[11:12], v[9:10]
	v_add_f64 v[9:10], v[35:36], v[9:10]
	v_add_f64 v[11:12], v[65:66], v[9:10]
	v_mul_f64 v[35:36], v[11:12], v[11:12]
	v_fma_f64 v[67:68], v[35:36], s[46:47], s[44:45]
	s_mov_b32 s44, 0xd7f4df2e
	s_mov_b32 s45, 0x3fc7474d
	v_mul_f64 v[69:70], v[11:12], v[35:36]
	v_fma_f64 v[67:68], v[35:36], v[67:68], s[44:45]
	s_mov_b32 s44, 0x16291751
	s_mov_b32 s45, 0x3fcc71c0
	v_fma_f64 v[67:68], v[35:36], v[67:68], s[44:45]
	s_mov_b32 s44, 0x9b27acf1
	s_mov_b32 s45, 0x3fd24924
	;; [unrolled: 3-line block ×3, first 2 shown]
	v_fma_f64 v[67:68], v[35:36], v[67:68], s[44:45]
	v_fma_f64 v[35:36], v[35:36], v[67:68], s[38:39]
	v_ldexp_f64 v[67:68], v[11:12], 1
	v_add_f64 v[11:12], v[11:12], -v[65:66]
	v_mul_f64 v[35:36], v[69:70], v[35:36]
	v_cvt_f64_i32_e32 v[69:70], v83
	v_add_f64 v[9:10], v[9:10], -v[11:12]
	v_add_f64 v[65:66], v[67:68], v[35:36]
	v_mul_f64 v[71:72], v[69:70], s[18:19]
	v_ldexp_f64 v[9:10], v[9:10], 1
	v_add_f64 v[11:12], v[65:66], -v[67:68]
	v_fma_f64 v[67:68], v[69:70], s[18:19], -v[71:72]
	v_add_f64 v[11:12], v[35:36], -v[11:12]
	v_fma_f64 v[35:36], v[69:70], s[36:37], v[67:68]
	v_add_f64 v[9:10], v[9:10], v[11:12]
	v_add_f64 v[11:12], v[71:72], v[35:36]
	;; [unrolled: 1-line block ×3, first 2 shown]
	v_add_f64 v[71:72], v[11:12], -v[71:72]
	v_add_f64 v[69:70], v[11:12], v[67:68]
	v_add_f64 v[65:66], v[67:68], -v[65:66]
	v_add_f64 v[35:36], v[35:36], -v[71:72]
	;; [unrolled: 1-line block ×6, first 2 shown]
	v_add_f64 v[67:68], v[35:36], v[9:10]
	v_add_f64 v[11:12], v[11:12], -v[77:78]
	v_add_f64 v[11:12], v[65:66], v[11:12]
	v_add_f64 v[65:66], v[67:68], -v[35:36]
	;; [unrolled: 2-line block ×3, first 2 shown]
	v_add_f64 v[9:10], v[9:10], -v[65:66]
	v_add_f64 v[71:72], v[69:70], v[11:12]
	v_add_f64 v[35:36], v[35:36], -v[67:68]
	v_add_f64 v[65:66], v[71:72], -v[69:70]
	v_add_f64 v[9:10], v[9:10], v[35:36]
	v_add_f64 v[11:12], v[11:12], -v[65:66]
	v_add_f64 v[9:10], v[9:10], v[11:12]
	v_add_f64 v[9:10], v[71:72], v[9:10]
	v_cndmask_b32_e32 v9, 0, v9, vcc_lo
	v_cmp_neq_f64_e32 vcc_lo, -1.0, v[5:6]
	v_cndmask_b32_e64 v10, 0x7ff00000, v10, s15
	v_cndmask_b32_e64 v10, 0x7ff80000, v10, s17
	v_cndmask_b32_e32 v10, 0xfff00000, v10, vcc_lo
	v_add_f64 v[5:6], v[7:8], v[9:10]
.LBB74_61:
	s_or_b32 exec_lo, exec_lo, s42
	v_max_f64 v[35:36], v[39:40], v[39:40]
	v_max_f64 v[7:8], v[5:6], v[5:6]
	v_cmp_u_f64_e32 vcc_lo, v[5:6], v[5:6]
	v_cmp_u_f64_e64 s15, v[39:40], v[39:40]
	v_min_f64 v[9:10], v[7:8], v[35:36]
	v_max_f64 v[7:8], v[7:8], v[35:36]
	v_cndmask_b32_e32 v9, v9, v5, vcc_lo
	v_cndmask_b32_e32 v10, v10, v6, vcc_lo
	;; [unrolled: 1-line block ×4, first 2 shown]
	v_cndmask_b32_e64 v9, v9, v39, s15
	v_cndmask_b32_e64 v10, v10, v40, s15
	;; [unrolled: 1-line block ×4, first 2 shown]
	v_cmp_class_f64_e64 s17, v[9:10], 0x1f8
	v_cmp_neq_f64_e32 vcc_lo, v[9:10], v[7:8]
	s_or_b32 s17, vcc_lo, s17
	s_and_saveexec_b32 s42, s17
	s_cbranch_execz .LBB74_63
; %bb.62:
	v_add_f64 v[5:6], v[9:10], -v[7:8]
	s_mov_b32 s18, 0x652b82fe
	s_mov_b32 s19, 0x3ff71547
	;; [unrolled: 1-line block ×10, first 2 shown]
	v_mul_f64 v[9:10], v[5:6], s[18:19]
	s_mov_b32 s19, 0xbfe62e42
	s_mov_b32 s18, 0xfefa39ef
	v_cmp_nlt_f64_e32 vcc_lo, 0x40900000, v[5:6]
	v_cmp_ngt_f64_e64 s17, 0xc090cc00, v[5:6]
	v_rndne_f64_e32 v[9:10], v[9:10]
	v_fma_f64 v[11:12], v[9:10], s[18:19], v[5:6]
	v_cvt_i32_f64_e32 v67, v[9:10]
	s_mov_b32 s19, 0x3fe62e42
	v_fma_f64 v[11:12], v[9:10], s[36:37], v[11:12]
	s_mov_b32 s37, 0x3c7abc9e
	v_fma_f64 v[65:66], v[11:12], s[44:45], s[38:39]
	s_mov_b32 s38, 0x623fde64
	s_mov_b32 s39, 0x3ec71dee
	;; [unrolled: 1-line block ×4, first 2 shown]
	v_fma_f64 v[65:66], v[11:12], v[65:66], s[38:39]
	s_mov_b32 s38, 0x7c89e6b0
	s_mov_b32 s39, 0x3efa0199
	v_fma_f64 v[65:66], v[11:12], v[65:66], s[38:39]
	s_mov_b32 s38, 0x14761f6e
	s_mov_b32 s39, 0x3f2a01a0
	;; [unrolled: 3-line block ×8, first 2 shown]
	v_fma_f64 v[65:66], v[11:12], v[65:66], 1.0
	v_fma_f64 v[9:10], v[11:12], v[65:66], 1.0
	v_ldexp_f64 v[9:10], v[9:10], v67
	v_cndmask_b32_e32 v10, 0x7ff00000, v10, vcc_lo
	s_and_b32 vcc_lo, s17, vcc_lo
	v_cndmask_b32_e32 v5, 0, v9, vcc_lo
	v_cndmask_b32_e64 v6, 0, v10, s17
	v_add_f64 v[9:10], v[5:6], 1.0
	v_cmp_neq_f64_e64 s17, 0x7ff00000, v[5:6]
	v_frexp_mant_f64_e32 v[11:12], v[9:10]
	v_frexp_exp_i32_f64_e32 v67, v[9:10]
	v_add_f64 v[65:66], v[9:10], -1.0
	v_cmp_gt_f64_e32 vcc_lo, s[38:39], v[11:12]
	s_mov_b32 s38, 0x55555780
	v_add_f64 v[11:12], v[65:66], -v[9:10]
	v_add_f64 v[65:66], v[5:6], -v[65:66]
	v_subrev_co_ci_u32_e64 v85, null, 0, v67, vcc_lo
	v_add_f64 v[11:12], v[11:12], 1.0
	v_cmp_nge_f64_e32 vcc_lo, -1.0, v[5:6]
	v_sub_nc_u32_e32 v69, 0, v85
	v_ldexp_f64 v[9:10], v[9:10], v69
	v_add_f64 v[11:12], v[65:66], v[11:12]
	s_and_b32 vcc_lo, vcc_lo, s17
	v_add_f64 v[67:68], v[9:10], 1.0
	v_add_f64 v[73:74], v[9:10], -1.0
	v_ldexp_f64 v[11:12], v[11:12], v69
	v_add_f64 v[65:66], v[67:68], -1.0
	v_add_f64 v[77:78], v[73:74], 1.0
	v_add_f64 v[65:66], v[9:10], -v[65:66]
	v_add_f64 v[9:10], v[9:10], -v[77:78]
	v_add_f64 v[65:66], v[11:12], v[65:66]
	v_add_f64 v[9:10], v[11:12], v[9:10]
	;; [unrolled: 1-line block ×4, first 2 shown]
	v_rcp_f64_e32 v[71:72], v[69:70]
	v_add_f64 v[67:68], v[69:70], -v[67:68]
	v_add_f64 v[73:74], v[77:78], -v[73:74]
	;; [unrolled: 1-line block ×3, first 2 shown]
	v_fma_f64 v[79:80], -v[69:70], v[71:72], 1.0
	v_add_f64 v[9:10], v[9:10], -v[73:74]
	v_fma_f64 v[71:72], v[79:80], v[71:72], v[71:72]
	v_fma_f64 v[11:12], -v[69:70], v[71:72], 1.0
	v_fma_f64 v[11:12], v[11:12], v[71:72], v[71:72]
	v_mul_f64 v[71:72], v[77:78], v[11:12]
	v_mul_f64 v[79:80], v[69:70], v[71:72]
	v_fma_f64 v[67:68], v[71:72], v[69:70], -v[79:80]
	v_fma_f64 v[67:68], v[71:72], v[65:66], v[67:68]
	v_add_f64 v[81:82], v[79:80], v[67:68]
	v_add_f64 v[83:84], v[77:78], -v[81:82]
	v_add_f64 v[73:74], v[81:82], -v[79:80]
	;; [unrolled: 1-line block ×5, first 2 shown]
	v_add_f64 v[9:10], v[9:10], v[77:78]
	v_add_f64 v[9:10], v[67:68], v[9:10]
	v_add_f64 v[67:68], v[83:84], v[9:10]
	v_mul_f64 v[73:74], v[11:12], v[67:68]
	v_add_f64 v[81:82], v[83:84], -v[67:68]
	v_mul_f64 v[77:78], v[69:70], v[73:74]
	v_add_f64 v[9:10], v[9:10], v[81:82]
	v_fma_f64 v[69:70], v[73:74], v[69:70], -v[77:78]
	v_fma_f64 v[65:66], v[73:74], v[65:66], v[69:70]
	v_add_f64 v[69:70], v[77:78], v[65:66]
	v_add_f64 v[79:80], v[67:68], -v[69:70]
	v_add_f64 v[77:78], v[69:70], -v[77:78]
	;; [unrolled: 1-line block ×5, first 2 shown]
	v_add_f64 v[9:10], v[9:10], v[67:68]
	v_add_f64 v[67:68], v[71:72], v[73:74]
	;; [unrolled: 1-line block ×3, first 2 shown]
	v_add_f64 v[65:66], v[67:68], -v[71:72]
	v_add_f64 v[9:10], v[79:80], v[9:10]
	v_add_f64 v[65:66], v[73:74], -v[65:66]
	v_mul_f64 v[9:10], v[11:12], v[9:10]
	v_add_f64 v[9:10], v[65:66], v[9:10]
	v_add_f64 v[11:12], v[67:68], v[9:10]
	v_mul_f64 v[65:66], v[11:12], v[11:12]
	v_fma_f64 v[69:70], v[65:66], s[46:47], s[44:45]
	s_mov_b32 s44, 0xd7f4df2e
	s_mov_b32 s45, 0x3fc7474d
	v_mul_f64 v[71:72], v[11:12], v[65:66]
	v_fma_f64 v[69:70], v[65:66], v[69:70], s[44:45]
	s_mov_b32 s44, 0x16291751
	s_mov_b32 s45, 0x3fcc71c0
	v_fma_f64 v[69:70], v[65:66], v[69:70], s[44:45]
	s_mov_b32 s44, 0x9b27acf1
	s_mov_b32 s45, 0x3fd24924
	;; [unrolled: 3-line block ×3, first 2 shown]
	v_fma_f64 v[69:70], v[65:66], v[69:70], s[44:45]
	v_fma_f64 v[65:66], v[65:66], v[69:70], s[38:39]
	v_ldexp_f64 v[69:70], v[11:12], 1
	v_add_f64 v[11:12], v[11:12], -v[67:68]
	v_mul_f64 v[65:66], v[71:72], v[65:66]
	v_cvt_f64_i32_e32 v[71:72], v85
	v_add_f64 v[9:10], v[9:10], -v[11:12]
	v_add_f64 v[67:68], v[69:70], v[65:66]
	v_mul_f64 v[73:74], v[71:72], s[18:19]
	v_ldexp_f64 v[9:10], v[9:10], 1
	v_add_f64 v[11:12], v[67:68], -v[69:70]
	v_fma_f64 v[69:70], v[71:72], s[18:19], -v[73:74]
	v_cmp_ngt_f64_e64 s18, -1.0, v[5:6]
	v_add_f64 v[11:12], v[65:66], -v[11:12]
	v_fma_f64 v[65:66], v[71:72], s[36:37], v[69:70]
	v_add_f64 v[9:10], v[9:10], v[11:12]
	v_add_f64 v[11:12], v[73:74], v[65:66]
	;; [unrolled: 1-line block ×3, first 2 shown]
	v_add_f64 v[73:74], v[11:12], -v[73:74]
	v_add_f64 v[71:72], v[11:12], v[69:70]
	v_add_f64 v[67:68], v[69:70], -v[67:68]
	v_add_f64 v[65:66], v[65:66], -v[73:74]
	;; [unrolled: 1-line block ×6, first 2 shown]
	v_add_f64 v[69:70], v[65:66], v[9:10]
	v_add_f64 v[11:12], v[11:12], -v[79:80]
	v_add_f64 v[11:12], v[67:68], v[11:12]
	v_add_f64 v[67:68], v[69:70], -v[65:66]
	;; [unrolled: 2-line block ×3, first 2 shown]
	v_add_f64 v[9:10], v[9:10], -v[67:68]
	v_add_f64 v[73:74], v[71:72], v[11:12]
	v_add_f64 v[65:66], v[65:66], -v[69:70]
	v_add_f64 v[67:68], v[73:74], -v[71:72]
	v_add_f64 v[9:10], v[9:10], v[65:66]
	v_add_f64 v[11:12], v[11:12], -v[67:68]
	v_add_f64 v[9:10], v[9:10], v[11:12]
	v_add_f64 v[9:10], v[73:74], v[9:10]
	v_cndmask_b32_e32 v9, 0, v9, vcc_lo
	v_cmp_neq_f64_e32 vcc_lo, -1.0, v[5:6]
	v_cndmask_b32_e64 v10, 0x7ff00000, v10, s17
	v_cndmask_b32_e64 v10, 0x7ff80000, v10, s18
	v_cndmask_b32_e32 v10, 0xfff00000, v10, vcc_lo
	v_add_f64 v[5:6], v[7:8], v[9:10]
.LBB74_63:
	s_or_b32 exec_lo, exec_lo, s42
	v_mbcnt_lo_u32_b32 v77, -1, 0
	v_mov_b32_dpp v7, v5 row_shr:1 row_mask:0xf bank_mask:0xf
	v_mov_b32_dpp v8, v6 row_shr:1 row_mask:0xf bank_mask:0xf
	v_mov_b32_e32 v9, v5
	v_mov_b32_e32 v10, v6
	v_and_b32_e32 v11, 15, v77
	s_mov_b32 s42, exec_lo
	v_cmpx_ne_u32_e32 0, v11
	s_cbranch_execz .LBB74_67
; %bb.64:
	v_max_f64 v[9:10], v[7:8], v[7:8]
	v_max_f64 v[65:66], v[5:6], v[5:6]
	v_cmp_u_f64_e32 vcc_lo, v[7:8], v[7:8]
	v_cmp_u_f64_e64 s17, v[5:6], v[5:6]
	v_min_f64 v[67:68], v[9:10], v[65:66]
	v_max_f64 v[9:10], v[9:10], v[65:66]
	v_cndmask_b32_e32 v12, v68, v8, vcc_lo
	v_cndmask_b32_e32 v65, v67, v7, vcc_lo
	;; [unrolled: 1-line block ×4, first 2 shown]
	v_cndmask_b32_e64 v10, v12, v6, s17
	v_cndmask_b32_e64 v9, v65, v5, s17
	;; [unrolled: 1-line block ×4, first 2 shown]
	v_cmp_class_f64_e64 s17, v[9:10], 0x1f8
	v_cmp_neq_f64_e32 vcc_lo, v[9:10], v[5:6]
	s_or_b32 s17, vcc_lo, s17
	s_and_saveexec_b32 s43, s17
	s_cbranch_execz .LBB74_66
; %bb.65:
	v_add_f64 v[7:8], v[9:10], -v[5:6]
	s_mov_b32 s18, 0x652b82fe
	s_mov_b32 s19, 0x3ff71547
	s_mov_b32 s37, 0xbc7abc9e
	s_mov_b32 s36, 0x3b39803f
	s_mov_b32 s38, 0xfca7ab0c
	s_mov_b32 s44, 0x6a5dcb37
	s_mov_b32 s39, 0x3e928af3
	s_mov_b32 s45, 0x3e5ade15
	s_mov_b32 s46, 0xbf559e2b
	s_mov_b32 s47, 0x3fc3ab76
	v_mul_f64 v[9:10], v[7:8], s[18:19]
	s_mov_b32 s19, 0xbfe62e42
	s_mov_b32 s18, 0xfefa39ef
	v_cmp_nlt_f64_e32 vcc_lo, 0x40900000, v[7:8]
	v_cmp_ngt_f64_e64 s17, 0xc090cc00, v[7:8]
	v_rndne_f64_e32 v[9:10], v[9:10]
	v_fma_f64 v[65:66], v[9:10], s[18:19], v[7:8]
	v_cvt_i32_f64_e32 v12, v[9:10]
	s_mov_b32 s19, 0x3fe62e42
	v_fma_f64 v[65:66], v[9:10], s[36:37], v[65:66]
	s_mov_b32 s37, 0x3c7abc9e
	v_fma_f64 v[67:68], v[65:66], s[44:45], s[38:39]
	s_mov_b32 s38, 0x623fde64
	s_mov_b32 s39, 0x3ec71dee
	;; [unrolled: 1-line block ×4, first 2 shown]
	v_fma_f64 v[67:68], v[65:66], v[67:68], s[38:39]
	s_mov_b32 s38, 0x7c89e6b0
	s_mov_b32 s39, 0x3efa0199
	v_fma_f64 v[67:68], v[65:66], v[67:68], s[38:39]
	s_mov_b32 s38, 0x14761f6e
	s_mov_b32 s39, 0x3f2a01a0
	;; [unrolled: 3-line block ×8, first 2 shown]
	v_fma_f64 v[67:68], v[65:66], v[67:68], 1.0
	v_fma_f64 v[9:10], v[65:66], v[67:68], 1.0
	v_ldexp_f64 v[9:10], v[9:10], v12
	v_cndmask_b32_e32 v10, 0x7ff00000, v10, vcc_lo
	s_and_b32 vcc_lo, s17, vcc_lo
	v_cndmask_b32_e32 v7, 0, v9, vcc_lo
	v_cndmask_b32_e64 v8, 0, v10, s17
	v_add_f64 v[9:10], v[7:8], 1.0
	v_cmp_neq_f64_e64 s17, 0x7ff00000, v[7:8]
	v_frexp_mant_f64_e32 v[65:66], v[9:10]
	v_frexp_exp_i32_f64_e32 v12, v[9:10]
	v_add_f64 v[67:68], v[9:10], -1.0
	v_cmp_gt_f64_e32 vcc_lo, s[38:39], v[65:66]
	s_mov_b32 s38, 0x55555780
	v_add_f64 v[65:66], v[67:68], -v[9:10]
	v_add_f64 v[67:68], v[7:8], -v[67:68]
	v_subrev_co_ci_u32_e64 v12, null, 0, v12, vcc_lo
	v_add_f64 v[65:66], v[65:66], 1.0
	v_cmp_nge_f64_e32 vcc_lo, -1.0, v[7:8]
	v_sub_nc_u32_e32 v71, 0, v12
	v_ldexp_f64 v[9:10], v[9:10], v71
	v_add_f64 v[65:66], v[67:68], v[65:66]
	s_and_b32 vcc_lo, vcc_lo, s17
	v_add_f64 v[69:70], v[9:10], 1.0
	v_add_f64 v[78:79], v[9:10], -1.0
	v_ldexp_f64 v[65:66], v[65:66], v71
	v_add_f64 v[67:68], v[69:70], -1.0
	v_add_f64 v[80:81], v[78:79], 1.0
	v_add_f64 v[67:68], v[9:10], -v[67:68]
	v_add_f64 v[9:10], v[9:10], -v[80:81]
	v_add_f64 v[67:68], v[65:66], v[67:68]
	v_add_f64 v[9:10], v[65:66], v[9:10]
	;; [unrolled: 1-line block ×4, first 2 shown]
	v_rcp_f64_e32 v[73:74], v[71:72]
	v_add_f64 v[69:70], v[71:72], -v[69:70]
	v_add_f64 v[78:79], v[80:81], -v[78:79]
	;; [unrolled: 1-line block ×3, first 2 shown]
	v_fma_f64 v[82:83], -v[71:72], v[73:74], 1.0
	v_add_f64 v[9:10], v[9:10], -v[78:79]
	v_fma_f64 v[73:74], v[82:83], v[73:74], v[73:74]
	v_fma_f64 v[65:66], -v[71:72], v[73:74], 1.0
	v_fma_f64 v[65:66], v[65:66], v[73:74], v[73:74]
	v_mul_f64 v[73:74], v[80:81], v[65:66]
	v_mul_f64 v[82:83], v[71:72], v[73:74]
	v_fma_f64 v[69:70], v[73:74], v[71:72], -v[82:83]
	v_fma_f64 v[69:70], v[73:74], v[67:68], v[69:70]
	v_add_f64 v[84:85], v[82:83], v[69:70]
	v_add_f64 v[86:87], v[80:81], -v[84:85]
	v_add_f64 v[78:79], v[84:85], -v[82:83]
	;; [unrolled: 1-line block ×5, first 2 shown]
	v_add_f64 v[9:10], v[9:10], v[80:81]
	v_add_f64 v[9:10], v[69:70], v[9:10]
	;; [unrolled: 1-line block ×3, first 2 shown]
	v_mul_f64 v[78:79], v[65:66], v[69:70]
	v_add_f64 v[84:85], v[86:87], -v[69:70]
	v_mul_f64 v[80:81], v[71:72], v[78:79]
	v_add_f64 v[9:10], v[9:10], v[84:85]
	v_fma_f64 v[71:72], v[78:79], v[71:72], -v[80:81]
	v_fma_f64 v[67:68], v[78:79], v[67:68], v[71:72]
	v_add_f64 v[71:72], v[80:81], v[67:68]
	v_add_f64 v[82:83], v[69:70], -v[71:72]
	v_add_f64 v[80:81], v[71:72], -v[80:81]
	;; [unrolled: 1-line block ×5, first 2 shown]
	v_add_f64 v[9:10], v[9:10], v[69:70]
	v_add_f64 v[69:70], v[73:74], v[78:79]
	;; [unrolled: 1-line block ×3, first 2 shown]
	v_add_f64 v[67:68], v[69:70], -v[73:74]
	v_add_f64 v[9:10], v[82:83], v[9:10]
	v_add_f64 v[67:68], v[78:79], -v[67:68]
	v_mul_f64 v[9:10], v[65:66], v[9:10]
	v_add_f64 v[9:10], v[67:68], v[9:10]
	v_add_f64 v[65:66], v[69:70], v[9:10]
	v_mul_f64 v[67:68], v[65:66], v[65:66]
	v_fma_f64 v[71:72], v[67:68], s[46:47], s[44:45]
	s_mov_b32 s44, 0xd7f4df2e
	s_mov_b32 s45, 0x3fc7474d
	v_mul_f64 v[73:74], v[65:66], v[67:68]
	v_fma_f64 v[71:72], v[67:68], v[71:72], s[44:45]
	s_mov_b32 s44, 0x16291751
	s_mov_b32 s45, 0x3fcc71c0
	v_fma_f64 v[71:72], v[67:68], v[71:72], s[44:45]
	s_mov_b32 s44, 0x9b27acf1
	s_mov_b32 s45, 0x3fd24924
	;; [unrolled: 3-line block ×3, first 2 shown]
	v_fma_f64 v[71:72], v[67:68], v[71:72], s[44:45]
	v_fma_f64 v[67:68], v[67:68], v[71:72], s[38:39]
	v_ldexp_f64 v[71:72], v[65:66], 1
	v_add_f64 v[65:66], v[65:66], -v[69:70]
	v_mul_f64 v[67:68], v[73:74], v[67:68]
	v_cvt_f64_i32_e32 v[73:74], v12
	v_add_f64 v[9:10], v[9:10], -v[65:66]
	v_add_f64 v[69:70], v[71:72], v[67:68]
	v_mul_f64 v[78:79], v[73:74], s[18:19]
	v_ldexp_f64 v[9:10], v[9:10], 1
	v_add_f64 v[65:66], v[69:70], -v[71:72]
	v_fma_f64 v[71:72], v[73:74], s[18:19], -v[78:79]
	v_cmp_ngt_f64_e64 s18, -1.0, v[7:8]
	v_add_f64 v[65:66], v[67:68], -v[65:66]
	v_fma_f64 v[67:68], v[73:74], s[36:37], v[71:72]
	v_add_f64 v[9:10], v[9:10], v[65:66]
	v_add_f64 v[65:66], v[78:79], v[67:68]
	;; [unrolled: 1-line block ×3, first 2 shown]
	v_add_f64 v[78:79], v[65:66], -v[78:79]
	v_add_f64 v[73:74], v[65:66], v[71:72]
	v_add_f64 v[69:70], v[71:72], -v[69:70]
	v_add_f64 v[67:68], v[67:68], -v[78:79]
	;; [unrolled: 1-line block ×6, first 2 shown]
	v_add_f64 v[71:72], v[67:68], v[9:10]
	v_add_f64 v[65:66], v[65:66], -v[82:83]
	v_add_f64 v[65:66], v[69:70], v[65:66]
	v_add_f64 v[69:70], v[71:72], -v[67:68]
	;; [unrolled: 2-line block ×3, first 2 shown]
	v_add_f64 v[9:10], v[9:10], -v[69:70]
	v_add_f64 v[78:79], v[73:74], v[65:66]
	v_add_f64 v[67:68], v[67:68], -v[71:72]
	v_add_f64 v[69:70], v[78:79], -v[73:74]
	v_add_f64 v[9:10], v[9:10], v[67:68]
	v_add_f64 v[65:66], v[65:66], -v[69:70]
	v_add_f64 v[9:10], v[9:10], v[65:66]
	v_add_f64 v[9:10], v[78:79], v[9:10]
	v_cndmask_b32_e32 v9, 0, v9, vcc_lo
	v_cmp_neq_f64_e32 vcc_lo, -1.0, v[7:8]
	v_cndmask_b32_e64 v10, 0x7ff00000, v10, s17
	v_cndmask_b32_e64 v10, 0x7ff80000, v10, s18
	v_cndmask_b32_e32 v10, 0xfff00000, v10, vcc_lo
	v_add_f64 v[7:8], v[5:6], v[9:10]
.LBB74_66:
	s_or_b32 exec_lo, exec_lo, s43
	v_mov_b32_e32 v5, v7
	v_mov_b32_e32 v9, v7
	;; [unrolled: 1-line block ×4, first 2 shown]
.LBB74_67:
	s_or_b32 exec_lo, exec_lo, s42
	v_mov_b32_dpp v7, v9 row_shr:2 row_mask:0xf bank_mask:0xf
	v_mov_b32_dpp v8, v10 row_shr:2 row_mask:0xf bank_mask:0xf
	s_mov_b32 s42, exec_lo
	v_cmpx_lt_u32_e32 1, v11
	s_cbranch_execz .LBB74_71
; %bb.68:
	v_max_f64 v[9:10], v[7:8], v[7:8]
	v_max_f64 v[65:66], v[5:6], v[5:6]
	v_cmp_u_f64_e32 vcc_lo, v[7:8], v[7:8]
	v_cmp_u_f64_e64 s17, v[5:6], v[5:6]
	v_min_f64 v[67:68], v[9:10], v[65:66]
	v_max_f64 v[9:10], v[9:10], v[65:66]
	v_cndmask_b32_e32 v12, v68, v8, vcc_lo
	v_cndmask_b32_e32 v65, v67, v7, vcc_lo
	;; [unrolled: 1-line block ×4, first 2 shown]
	v_cndmask_b32_e64 v10, v12, v6, s17
	v_cndmask_b32_e64 v9, v65, v5, s17
	;; [unrolled: 1-line block ×4, first 2 shown]
	v_cmp_class_f64_e64 s17, v[9:10], 0x1f8
	v_cmp_neq_f64_e32 vcc_lo, v[9:10], v[5:6]
	s_or_b32 s17, vcc_lo, s17
	s_and_saveexec_b32 s43, s17
	s_cbranch_execz .LBB74_70
; %bb.69:
	v_add_f64 v[7:8], v[9:10], -v[5:6]
	s_mov_b32 s18, 0x652b82fe
	s_mov_b32 s19, 0x3ff71547
	;; [unrolled: 1-line block ×10, first 2 shown]
	v_mul_f64 v[9:10], v[7:8], s[18:19]
	s_mov_b32 s19, 0xbfe62e42
	s_mov_b32 s18, 0xfefa39ef
	v_cmp_nlt_f64_e32 vcc_lo, 0x40900000, v[7:8]
	v_cmp_ngt_f64_e64 s17, 0xc090cc00, v[7:8]
	v_rndne_f64_e32 v[9:10], v[9:10]
	v_fma_f64 v[65:66], v[9:10], s[18:19], v[7:8]
	v_cvt_i32_f64_e32 v12, v[9:10]
	s_mov_b32 s19, 0x3fe62e42
	v_fma_f64 v[65:66], v[9:10], s[36:37], v[65:66]
	s_mov_b32 s37, 0x3c7abc9e
	v_fma_f64 v[67:68], v[65:66], s[44:45], s[38:39]
	s_mov_b32 s38, 0x623fde64
	s_mov_b32 s39, 0x3ec71dee
	;; [unrolled: 1-line block ×4, first 2 shown]
	v_fma_f64 v[67:68], v[65:66], v[67:68], s[38:39]
	s_mov_b32 s38, 0x7c89e6b0
	s_mov_b32 s39, 0x3efa0199
	v_fma_f64 v[67:68], v[65:66], v[67:68], s[38:39]
	s_mov_b32 s38, 0x14761f6e
	s_mov_b32 s39, 0x3f2a01a0
	;; [unrolled: 3-line block ×8, first 2 shown]
	v_fma_f64 v[67:68], v[65:66], v[67:68], 1.0
	v_fma_f64 v[9:10], v[65:66], v[67:68], 1.0
	v_ldexp_f64 v[9:10], v[9:10], v12
	v_cndmask_b32_e32 v10, 0x7ff00000, v10, vcc_lo
	s_and_b32 vcc_lo, s17, vcc_lo
	v_cndmask_b32_e32 v7, 0, v9, vcc_lo
	v_cndmask_b32_e64 v8, 0, v10, s17
	v_add_f64 v[9:10], v[7:8], 1.0
	v_cmp_neq_f64_e64 s17, 0x7ff00000, v[7:8]
	v_frexp_mant_f64_e32 v[65:66], v[9:10]
	v_frexp_exp_i32_f64_e32 v12, v[9:10]
	v_add_f64 v[67:68], v[9:10], -1.0
	v_cmp_gt_f64_e32 vcc_lo, s[38:39], v[65:66]
	s_mov_b32 s38, 0x55555780
	v_add_f64 v[65:66], v[67:68], -v[9:10]
	v_add_f64 v[67:68], v[7:8], -v[67:68]
	v_subrev_co_ci_u32_e64 v12, null, 0, v12, vcc_lo
	v_add_f64 v[65:66], v[65:66], 1.0
	v_cmp_nge_f64_e32 vcc_lo, -1.0, v[7:8]
	v_sub_nc_u32_e32 v71, 0, v12
	v_ldexp_f64 v[9:10], v[9:10], v71
	v_add_f64 v[65:66], v[67:68], v[65:66]
	s_and_b32 vcc_lo, vcc_lo, s17
	v_add_f64 v[69:70], v[9:10], 1.0
	v_add_f64 v[78:79], v[9:10], -1.0
	v_ldexp_f64 v[65:66], v[65:66], v71
	v_add_f64 v[67:68], v[69:70], -1.0
	v_add_f64 v[80:81], v[78:79], 1.0
	v_add_f64 v[67:68], v[9:10], -v[67:68]
	v_add_f64 v[9:10], v[9:10], -v[80:81]
	v_add_f64 v[67:68], v[65:66], v[67:68]
	v_add_f64 v[9:10], v[65:66], v[9:10]
	;; [unrolled: 1-line block ×4, first 2 shown]
	v_rcp_f64_e32 v[73:74], v[71:72]
	v_add_f64 v[69:70], v[71:72], -v[69:70]
	v_add_f64 v[78:79], v[80:81], -v[78:79]
	;; [unrolled: 1-line block ×3, first 2 shown]
	v_fma_f64 v[82:83], -v[71:72], v[73:74], 1.0
	v_add_f64 v[9:10], v[9:10], -v[78:79]
	v_fma_f64 v[73:74], v[82:83], v[73:74], v[73:74]
	v_fma_f64 v[65:66], -v[71:72], v[73:74], 1.0
	v_fma_f64 v[65:66], v[65:66], v[73:74], v[73:74]
	v_mul_f64 v[73:74], v[80:81], v[65:66]
	v_mul_f64 v[82:83], v[71:72], v[73:74]
	v_fma_f64 v[69:70], v[73:74], v[71:72], -v[82:83]
	v_fma_f64 v[69:70], v[73:74], v[67:68], v[69:70]
	v_add_f64 v[84:85], v[82:83], v[69:70]
	v_add_f64 v[86:87], v[80:81], -v[84:85]
	v_add_f64 v[78:79], v[84:85], -v[82:83]
	;; [unrolled: 1-line block ×5, first 2 shown]
	v_add_f64 v[9:10], v[9:10], v[80:81]
	v_add_f64 v[9:10], v[69:70], v[9:10]
	;; [unrolled: 1-line block ×3, first 2 shown]
	v_mul_f64 v[78:79], v[65:66], v[69:70]
	v_add_f64 v[84:85], v[86:87], -v[69:70]
	v_mul_f64 v[80:81], v[71:72], v[78:79]
	v_add_f64 v[9:10], v[9:10], v[84:85]
	v_fma_f64 v[71:72], v[78:79], v[71:72], -v[80:81]
	v_fma_f64 v[67:68], v[78:79], v[67:68], v[71:72]
	v_add_f64 v[71:72], v[80:81], v[67:68]
	v_add_f64 v[82:83], v[69:70], -v[71:72]
	v_add_f64 v[80:81], v[71:72], -v[80:81]
	;; [unrolled: 1-line block ×5, first 2 shown]
	v_add_f64 v[9:10], v[9:10], v[69:70]
	v_add_f64 v[69:70], v[73:74], v[78:79]
	;; [unrolled: 1-line block ×3, first 2 shown]
	v_add_f64 v[67:68], v[69:70], -v[73:74]
	v_add_f64 v[9:10], v[82:83], v[9:10]
	v_add_f64 v[67:68], v[78:79], -v[67:68]
	v_mul_f64 v[9:10], v[65:66], v[9:10]
	v_add_f64 v[9:10], v[67:68], v[9:10]
	v_add_f64 v[65:66], v[69:70], v[9:10]
	v_mul_f64 v[67:68], v[65:66], v[65:66]
	v_fma_f64 v[71:72], v[67:68], s[46:47], s[44:45]
	s_mov_b32 s44, 0xd7f4df2e
	s_mov_b32 s45, 0x3fc7474d
	v_mul_f64 v[73:74], v[65:66], v[67:68]
	v_fma_f64 v[71:72], v[67:68], v[71:72], s[44:45]
	s_mov_b32 s44, 0x16291751
	s_mov_b32 s45, 0x3fcc71c0
	v_fma_f64 v[71:72], v[67:68], v[71:72], s[44:45]
	s_mov_b32 s44, 0x9b27acf1
	s_mov_b32 s45, 0x3fd24924
	;; [unrolled: 3-line block ×3, first 2 shown]
	v_fma_f64 v[71:72], v[67:68], v[71:72], s[44:45]
	v_fma_f64 v[67:68], v[67:68], v[71:72], s[38:39]
	v_ldexp_f64 v[71:72], v[65:66], 1
	v_add_f64 v[65:66], v[65:66], -v[69:70]
	v_mul_f64 v[67:68], v[73:74], v[67:68]
	v_cvt_f64_i32_e32 v[73:74], v12
	v_add_f64 v[9:10], v[9:10], -v[65:66]
	v_add_f64 v[69:70], v[71:72], v[67:68]
	v_mul_f64 v[78:79], v[73:74], s[18:19]
	v_ldexp_f64 v[9:10], v[9:10], 1
	v_add_f64 v[65:66], v[69:70], -v[71:72]
	v_fma_f64 v[71:72], v[73:74], s[18:19], -v[78:79]
	v_cmp_ngt_f64_e64 s18, -1.0, v[7:8]
	v_add_f64 v[65:66], v[67:68], -v[65:66]
	v_fma_f64 v[67:68], v[73:74], s[36:37], v[71:72]
	v_add_f64 v[9:10], v[9:10], v[65:66]
	v_add_f64 v[65:66], v[78:79], v[67:68]
	;; [unrolled: 1-line block ×3, first 2 shown]
	v_add_f64 v[78:79], v[65:66], -v[78:79]
	v_add_f64 v[73:74], v[65:66], v[71:72]
	v_add_f64 v[69:70], v[71:72], -v[69:70]
	v_add_f64 v[67:68], v[67:68], -v[78:79]
	;; [unrolled: 1-line block ×6, first 2 shown]
	v_add_f64 v[71:72], v[67:68], v[9:10]
	v_add_f64 v[65:66], v[65:66], -v[82:83]
	v_add_f64 v[65:66], v[69:70], v[65:66]
	v_add_f64 v[69:70], v[71:72], -v[67:68]
	;; [unrolled: 2-line block ×3, first 2 shown]
	v_add_f64 v[9:10], v[9:10], -v[69:70]
	v_add_f64 v[78:79], v[73:74], v[65:66]
	v_add_f64 v[67:68], v[67:68], -v[71:72]
	v_add_f64 v[69:70], v[78:79], -v[73:74]
	v_add_f64 v[9:10], v[9:10], v[67:68]
	v_add_f64 v[65:66], v[65:66], -v[69:70]
	v_add_f64 v[9:10], v[9:10], v[65:66]
	v_add_f64 v[9:10], v[78:79], v[9:10]
	v_cndmask_b32_e32 v9, 0, v9, vcc_lo
	v_cmp_neq_f64_e32 vcc_lo, -1.0, v[7:8]
	v_cndmask_b32_e64 v10, 0x7ff00000, v10, s17
	v_cndmask_b32_e64 v10, 0x7ff80000, v10, s18
	v_cndmask_b32_e32 v10, 0xfff00000, v10, vcc_lo
	v_add_f64 v[7:8], v[5:6], v[9:10]
.LBB74_70:
	s_or_b32 exec_lo, exec_lo, s43
	v_mov_b32_e32 v5, v7
	v_mov_b32_e32 v6, v8
	;; [unrolled: 1-line block ×4, first 2 shown]
.LBB74_71:
	s_or_b32 exec_lo, exec_lo, s42
	v_mov_b32_dpp v7, v9 row_shr:4 row_mask:0xf bank_mask:0xf
	v_mov_b32_dpp v8, v10 row_shr:4 row_mask:0xf bank_mask:0xf
	s_mov_b32 s42, exec_lo
	v_cmpx_lt_u32_e32 3, v11
	s_cbranch_execz .LBB74_75
; %bb.72:
	v_max_f64 v[9:10], v[7:8], v[7:8]
	v_max_f64 v[65:66], v[5:6], v[5:6]
	v_cmp_u_f64_e32 vcc_lo, v[7:8], v[7:8]
	v_cmp_u_f64_e64 s17, v[5:6], v[5:6]
	v_min_f64 v[67:68], v[9:10], v[65:66]
	v_max_f64 v[9:10], v[9:10], v[65:66]
	v_cndmask_b32_e32 v12, v68, v8, vcc_lo
	v_cndmask_b32_e32 v65, v67, v7, vcc_lo
	;; [unrolled: 1-line block ×4, first 2 shown]
	v_cndmask_b32_e64 v10, v12, v6, s17
	v_cndmask_b32_e64 v9, v65, v5, s17
	;; [unrolled: 1-line block ×4, first 2 shown]
	v_cmp_class_f64_e64 s17, v[9:10], 0x1f8
	v_cmp_neq_f64_e32 vcc_lo, v[9:10], v[5:6]
	s_or_b32 s17, vcc_lo, s17
	s_and_saveexec_b32 s43, s17
	s_cbranch_execz .LBB74_74
; %bb.73:
	v_add_f64 v[7:8], v[9:10], -v[5:6]
	s_mov_b32 s18, 0x652b82fe
	s_mov_b32 s19, 0x3ff71547
	;; [unrolled: 1-line block ×10, first 2 shown]
	v_mul_f64 v[9:10], v[7:8], s[18:19]
	s_mov_b32 s19, 0xbfe62e42
	s_mov_b32 s18, 0xfefa39ef
	v_cmp_nlt_f64_e32 vcc_lo, 0x40900000, v[7:8]
	v_cmp_ngt_f64_e64 s17, 0xc090cc00, v[7:8]
	v_rndne_f64_e32 v[9:10], v[9:10]
	v_fma_f64 v[65:66], v[9:10], s[18:19], v[7:8]
	v_cvt_i32_f64_e32 v12, v[9:10]
	s_mov_b32 s19, 0x3fe62e42
	v_fma_f64 v[65:66], v[9:10], s[36:37], v[65:66]
	s_mov_b32 s37, 0x3c7abc9e
	v_fma_f64 v[67:68], v[65:66], s[44:45], s[38:39]
	s_mov_b32 s38, 0x623fde64
	s_mov_b32 s39, 0x3ec71dee
	;; [unrolled: 1-line block ×4, first 2 shown]
	v_fma_f64 v[67:68], v[65:66], v[67:68], s[38:39]
	s_mov_b32 s38, 0x7c89e6b0
	s_mov_b32 s39, 0x3efa0199
	v_fma_f64 v[67:68], v[65:66], v[67:68], s[38:39]
	s_mov_b32 s38, 0x14761f6e
	s_mov_b32 s39, 0x3f2a01a0
	;; [unrolled: 3-line block ×8, first 2 shown]
	v_fma_f64 v[67:68], v[65:66], v[67:68], 1.0
	v_fma_f64 v[9:10], v[65:66], v[67:68], 1.0
	v_ldexp_f64 v[9:10], v[9:10], v12
	v_cndmask_b32_e32 v10, 0x7ff00000, v10, vcc_lo
	s_and_b32 vcc_lo, s17, vcc_lo
	v_cndmask_b32_e32 v7, 0, v9, vcc_lo
	v_cndmask_b32_e64 v8, 0, v10, s17
	v_add_f64 v[9:10], v[7:8], 1.0
	v_cmp_neq_f64_e64 s17, 0x7ff00000, v[7:8]
	v_frexp_mant_f64_e32 v[65:66], v[9:10]
	v_frexp_exp_i32_f64_e32 v12, v[9:10]
	v_add_f64 v[67:68], v[9:10], -1.0
	v_cmp_gt_f64_e32 vcc_lo, s[38:39], v[65:66]
	s_mov_b32 s38, 0x55555780
	v_add_f64 v[65:66], v[67:68], -v[9:10]
	v_add_f64 v[67:68], v[7:8], -v[67:68]
	v_subrev_co_ci_u32_e64 v12, null, 0, v12, vcc_lo
	v_add_f64 v[65:66], v[65:66], 1.0
	v_cmp_nge_f64_e32 vcc_lo, -1.0, v[7:8]
	v_sub_nc_u32_e32 v71, 0, v12
	v_ldexp_f64 v[9:10], v[9:10], v71
	v_add_f64 v[65:66], v[67:68], v[65:66]
	s_and_b32 vcc_lo, vcc_lo, s17
	v_add_f64 v[69:70], v[9:10], 1.0
	v_add_f64 v[78:79], v[9:10], -1.0
	v_ldexp_f64 v[65:66], v[65:66], v71
	v_add_f64 v[67:68], v[69:70], -1.0
	v_add_f64 v[80:81], v[78:79], 1.0
	v_add_f64 v[67:68], v[9:10], -v[67:68]
	v_add_f64 v[9:10], v[9:10], -v[80:81]
	v_add_f64 v[67:68], v[65:66], v[67:68]
	v_add_f64 v[9:10], v[65:66], v[9:10]
	v_add_f64 v[71:72], v[69:70], v[67:68]
	v_add_f64 v[80:81], v[78:79], v[9:10]
	v_rcp_f64_e32 v[73:74], v[71:72]
	v_add_f64 v[69:70], v[71:72], -v[69:70]
	v_add_f64 v[78:79], v[80:81], -v[78:79]
	;; [unrolled: 1-line block ×3, first 2 shown]
	v_fma_f64 v[82:83], -v[71:72], v[73:74], 1.0
	v_add_f64 v[9:10], v[9:10], -v[78:79]
	v_fma_f64 v[73:74], v[82:83], v[73:74], v[73:74]
	v_fma_f64 v[65:66], -v[71:72], v[73:74], 1.0
	v_fma_f64 v[65:66], v[65:66], v[73:74], v[73:74]
	v_mul_f64 v[73:74], v[80:81], v[65:66]
	v_mul_f64 v[82:83], v[71:72], v[73:74]
	v_fma_f64 v[69:70], v[73:74], v[71:72], -v[82:83]
	v_fma_f64 v[69:70], v[73:74], v[67:68], v[69:70]
	v_add_f64 v[84:85], v[82:83], v[69:70]
	v_add_f64 v[86:87], v[80:81], -v[84:85]
	v_add_f64 v[78:79], v[84:85], -v[82:83]
	;; [unrolled: 1-line block ×5, first 2 shown]
	v_add_f64 v[9:10], v[9:10], v[80:81]
	v_add_f64 v[9:10], v[69:70], v[9:10]
	;; [unrolled: 1-line block ×3, first 2 shown]
	v_mul_f64 v[78:79], v[65:66], v[69:70]
	v_add_f64 v[84:85], v[86:87], -v[69:70]
	v_mul_f64 v[80:81], v[71:72], v[78:79]
	v_add_f64 v[9:10], v[9:10], v[84:85]
	v_fma_f64 v[71:72], v[78:79], v[71:72], -v[80:81]
	v_fma_f64 v[67:68], v[78:79], v[67:68], v[71:72]
	v_add_f64 v[71:72], v[80:81], v[67:68]
	v_add_f64 v[82:83], v[69:70], -v[71:72]
	v_add_f64 v[80:81], v[71:72], -v[80:81]
	;; [unrolled: 1-line block ×5, first 2 shown]
	v_add_f64 v[9:10], v[9:10], v[69:70]
	v_add_f64 v[69:70], v[73:74], v[78:79]
	;; [unrolled: 1-line block ×3, first 2 shown]
	v_add_f64 v[67:68], v[69:70], -v[73:74]
	v_add_f64 v[9:10], v[82:83], v[9:10]
	v_add_f64 v[67:68], v[78:79], -v[67:68]
	v_mul_f64 v[9:10], v[65:66], v[9:10]
	v_add_f64 v[9:10], v[67:68], v[9:10]
	v_add_f64 v[65:66], v[69:70], v[9:10]
	v_mul_f64 v[67:68], v[65:66], v[65:66]
	v_fma_f64 v[71:72], v[67:68], s[46:47], s[44:45]
	s_mov_b32 s44, 0xd7f4df2e
	s_mov_b32 s45, 0x3fc7474d
	v_mul_f64 v[73:74], v[65:66], v[67:68]
	v_fma_f64 v[71:72], v[67:68], v[71:72], s[44:45]
	s_mov_b32 s44, 0x16291751
	s_mov_b32 s45, 0x3fcc71c0
	v_fma_f64 v[71:72], v[67:68], v[71:72], s[44:45]
	s_mov_b32 s44, 0x9b27acf1
	s_mov_b32 s45, 0x3fd24924
	;; [unrolled: 3-line block ×3, first 2 shown]
	v_fma_f64 v[71:72], v[67:68], v[71:72], s[44:45]
	v_fma_f64 v[67:68], v[67:68], v[71:72], s[38:39]
	v_ldexp_f64 v[71:72], v[65:66], 1
	v_add_f64 v[65:66], v[65:66], -v[69:70]
	v_mul_f64 v[67:68], v[73:74], v[67:68]
	v_cvt_f64_i32_e32 v[73:74], v12
	v_add_f64 v[9:10], v[9:10], -v[65:66]
	v_add_f64 v[69:70], v[71:72], v[67:68]
	v_mul_f64 v[78:79], v[73:74], s[18:19]
	v_ldexp_f64 v[9:10], v[9:10], 1
	v_add_f64 v[65:66], v[69:70], -v[71:72]
	v_fma_f64 v[71:72], v[73:74], s[18:19], -v[78:79]
	v_cmp_ngt_f64_e64 s18, -1.0, v[7:8]
	v_add_f64 v[65:66], v[67:68], -v[65:66]
	v_fma_f64 v[67:68], v[73:74], s[36:37], v[71:72]
	v_add_f64 v[9:10], v[9:10], v[65:66]
	v_add_f64 v[65:66], v[78:79], v[67:68]
	;; [unrolled: 1-line block ×3, first 2 shown]
	v_add_f64 v[78:79], v[65:66], -v[78:79]
	v_add_f64 v[73:74], v[65:66], v[71:72]
	v_add_f64 v[69:70], v[71:72], -v[69:70]
	v_add_f64 v[67:68], v[67:68], -v[78:79]
	;; [unrolled: 1-line block ×6, first 2 shown]
	v_add_f64 v[71:72], v[67:68], v[9:10]
	v_add_f64 v[65:66], v[65:66], -v[82:83]
	v_add_f64 v[65:66], v[69:70], v[65:66]
	v_add_f64 v[69:70], v[71:72], -v[67:68]
	;; [unrolled: 2-line block ×3, first 2 shown]
	v_add_f64 v[9:10], v[9:10], -v[69:70]
	v_add_f64 v[78:79], v[73:74], v[65:66]
	v_add_f64 v[67:68], v[67:68], -v[71:72]
	v_add_f64 v[69:70], v[78:79], -v[73:74]
	v_add_f64 v[9:10], v[9:10], v[67:68]
	v_add_f64 v[65:66], v[65:66], -v[69:70]
	v_add_f64 v[9:10], v[9:10], v[65:66]
	v_add_f64 v[9:10], v[78:79], v[9:10]
	v_cndmask_b32_e32 v9, 0, v9, vcc_lo
	v_cmp_neq_f64_e32 vcc_lo, -1.0, v[7:8]
	v_cndmask_b32_e64 v10, 0x7ff00000, v10, s17
	v_cndmask_b32_e64 v10, 0x7ff80000, v10, s18
	v_cndmask_b32_e32 v10, 0xfff00000, v10, vcc_lo
	v_add_f64 v[7:8], v[5:6], v[9:10]
.LBB74_74:
	s_or_b32 exec_lo, exec_lo, s43
	v_mov_b32_e32 v5, v7
	v_mov_b32_e32 v6, v8
	;; [unrolled: 1-line block ×4, first 2 shown]
.LBB74_75:
	s_or_b32 exec_lo, exec_lo, s42
	v_mov_b32_dpp v7, v9 row_shr:8 row_mask:0xf bank_mask:0xf
	v_mov_b32_dpp v8, v10 row_shr:8 row_mask:0xf bank_mask:0xf
	s_mov_b32 s42, exec_lo
	v_cmpx_lt_u32_e32 7, v11
	s_cbranch_execz .LBB74_79
; %bb.76:
	v_max_f64 v[9:10], v[7:8], v[7:8]
	v_max_f64 v[11:12], v[5:6], v[5:6]
	v_cmp_u_f64_e32 vcc_lo, v[7:8], v[7:8]
	v_cmp_u_f64_e64 s17, v[5:6], v[5:6]
	v_min_f64 v[65:66], v[9:10], v[11:12]
	v_max_f64 v[9:10], v[9:10], v[11:12]
	v_cndmask_b32_e32 v11, v66, v8, vcc_lo
	v_cndmask_b32_e32 v12, v65, v7, vcc_lo
	;; [unrolled: 1-line block ×4, first 2 shown]
	v_cndmask_b32_e64 v10, v11, v6, s17
	v_cndmask_b32_e64 v9, v12, v5, s17
	;; [unrolled: 1-line block ×4, first 2 shown]
	v_cmp_class_f64_e64 s17, v[9:10], 0x1f8
	v_cmp_neq_f64_e32 vcc_lo, v[9:10], v[5:6]
	s_or_b32 s17, vcc_lo, s17
	s_and_saveexec_b32 s43, s17
	s_cbranch_execz .LBB74_78
; %bb.77:
	v_add_f64 v[7:8], v[9:10], -v[5:6]
	s_mov_b32 s18, 0x652b82fe
	s_mov_b32 s19, 0x3ff71547
	s_mov_b32 s37, 0xbc7abc9e
	s_mov_b32 s36, 0x3b39803f
	s_mov_b32 s38, 0xfca7ab0c
	s_mov_b32 s44, 0x6a5dcb37
	s_mov_b32 s39, 0x3e928af3
	s_mov_b32 s45, 0x3e5ade15
	s_mov_b32 s46, 0xbf559e2b
	s_mov_b32 s47, 0x3fc3ab76
	v_mul_f64 v[9:10], v[7:8], s[18:19]
	s_mov_b32 s19, 0xbfe62e42
	s_mov_b32 s18, 0xfefa39ef
	v_cmp_nlt_f64_e32 vcc_lo, 0x40900000, v[7:8]
	v_cmp_ngt_f64_e64 s17, 0xc090cc00, v[7:8]
	v_rndne_f64_e32 v[9:10], v[9:10]
	v_fma_f64 v[11:12], v[9:10], s[18:19], v[7:8]
	v_cvt_i32_f64_e32 v67, v[9:10]
	s_mov_b32 s19, 0x3fe62e42
	v_fma_f64 v[11:12], v[9:10], s[36:37], v[11:12]
	s_mov_b32 s37, 0x3c7abc9e
	v_fma_f64 v[65:66], v[11:12], s[44:45], s[38:39]
	s_mov_b32 s38, 0x623fde64
	s_mov_b32 s39, 0x3ec71dee
	;; [unrolled: 1-line block ×4, first 2 shown]
	v_fma_f64 v[65:66], v[11:12], v[65:66], s[38:39]
	s_mov_b32 s38, 0x7c89e6b0
	s_mov_b32 s39, 0x3efa0199
	v_fma_f64 v[65:66], v[11:12], v[65:66], s[38:39]
	s_mov_b32 s38, 0x14761f6e
	s_mov_b32 s39, 0x3f2a01a0
	;; [unrolled: 3-line block ×8, first 2 shown]
	v_fma_f64 v[65:66], v[11:12], v[65:66], 1.0
	v_fma_f64 v[9:10], v[11:12], v[65:66], 1.0
	v_ldexp_f64 v[9:10], v[9:10], v67
	v_cndmask_b32_e32 v10, 0x7ff00000, v10, vcc_lo
	s_and_b32 vcc_lo, s17, vcc_lo
	v_cndmask_b32_e32 v7, 0, v9, vcc_lo
	v_cndmask_b32_e64 v8, 0, v10, s17
	v_add_f64 v[9:10], v[7:8], 1.0
	v_cmp_neq_f64_e64 s17, 0x7ff00000, v[7:8]
	v_frexp_mant_f64_e32 v[11:12], v[9:10]
	v_frexp_exp_i32_f64_e32 v67, v[9:10]
	v_add_f64 v[65:66], v[9:10], -1.0
	v_cmp_gt_f64_e32 vcc_lo, s[38:39], v[11:12]
	s_mov_b32 s38, 0x55555780
	v_add_f64 v[11:12], v[65:66], -v[9:10]
	v_add_f64 v[65:66], v[7:8], -v[65:66]
	v_subrev_co_ci_u32_e64 v86, null, 0, v67, vcc_lo
	v_add_f64 v[11:12], v[11:12], 1.0
	v_cmp_nge_f64_e32 vcc_lo, -1.0, v[7:8]
	v_sub_nc_u32_e32 v69, 0, v86
	v_ldexp_f64 v[9:10], v[9:10], v69
	v_add_f64 v[11:12], v[65:66], v[11:12]
	s_and_b32 vcc_lo, vcc_lo, s17
	v_add_f64 v[67:68], v[9:10], 1.0
	v_add_f64 v[73:74], v[9:10], -1.0
	v_ldexp_f64 v[11:12], v[11:12], v69
	v_add_f64 v[65:66], v[67:68], -1.0
	v_add_f64 v[78:79], v[73:74], 1.0
	v_add_f64 v[65:66], v[9:10], -v[65:66]
	v_add_f64 v[9:10], v[9:10], -v[78:79]
	v_add_f64 v[65:66], v[11:12], v[65:66]
	v_add_f64 v[9:10], v[11:12], v[9:10]
	;; [unrolled: 1-line block ×4, first 2 shown]
	v_rcp_f64_e32 v[71:72], v[69:70]
	v_add_f64 v[67:68], v[69:70], -v[67:68]
	v_add_f64 v[73:74], v[78:79], -v[73:74]
	;; [unrolled: 1-line block ×3, first 2 shown]
	v_fma_f64 v[80:81], -v[69:70], v[71:72], 1.0
	v_add_f64 v[9:10], v[9:10], -v[73:74]
	v_fma_f64 v[71:72], v[80:81], v[71:72], v[71:72]
	v_fma_f64 v[11:12], -v[69:70], v[71:72], 1.0
	v_fma_f64 v[11:12], v[11:12], v[71:72], v[71:72]
	v_mul_f64 v[71:72], v[78:79], v[11:12]
	v_mul_f64 v[80:81], v[69:70], v[71:72]
	v_fma_f64 v[67:68], v[71:72], v[69:70], -v[80:81]
	v_fma_f64 v[67:68], v[71:72], v[65:66], v[67:68]
	v_add_f64 v[82:83], v[80:81], v[67:68]
	v_add_f64 v[84:85], v[78:79], -v[82:83]
	v_add_f64 v[73:74], v[82:83], -v[80:81]
	;; [unrolled: 1-line block ×5, first 2 shown]
	v_add_f64 v[9:10], v[9:10], v[78:79]
	v_add_f64 v[9:10], v[67:68], v[9:10]
	v_add_f64 v[67:68], v[84:85], v[9:10]
	v_mul_f64 v[73:74], v[11:12], v[67:68]
	v_add_f64 v[82:83], v[84:85], -v[67:68]
	v_mul_f64 v[78:79], v[69:70], v[73:74]
	v_add_f64 v[9:10], v[9:10], v[82:83]
	v_fma_f64 v[69:70], v[73:74], v[69:70], -v[78:79]
	v_fma_f64 v[65:66], v[73:74], v[65:66], v[69:70]
	v_add_f64 v[69:70], v[78:79], v[65:66]
	v_add_f64 v[80:81], v[67:68], -v[69:70]
	v_add_f64 v[78:79], v[69:70], -v[78:79]
	;; [unrolled: 1-line block ×5, first 2 shown]
	v_add_f64 v[9:10], v[9:10], v[67:68]
	v_add_f64 v[67:68], v[71:72], v[73:74]
	;; [unrolled: 1-line block ×3, first 2 shown]
	v_add_f64 v[65:66], v[67:68], -v[71:72]
	v_add_f64 v[9:10], v[80:81], v[9:10]
	v_add_f64 v[65:66], v[73:74], -v[65:66]
	v_mul_f64 v[9:10], v[11:12], v[9:10]
	v_add_f64 v[9:10], v[65:66], v[9:10]
	v_add_f64 v[11:12], v[67:68], v[9:10]
	v_mul_f64 v[65:66], v[11:12], v[11:12]
	v_fma_f64 v[69:70], v[65:66], s[46:47], s[44:45]
	s_mov_b32 s44, 0xd7f4df2e
	s_mov_b32 s45, 0x3fc7474d
	v_mul_f64 v[71:72], v[11:12], v[65:66]
	v_fma_f64 v[69:70], v[65:66], v[69:70], s[44:45]
	s_mov_b32 s44, 0x16291751
	s_mov_b32 s45, 0x3fcc71c0
	v_fma_f64 v[69:70], v[65:66], v[69:70], s[44:45]
	s_mov_b32 s44, 0x9b27acf1
	s_mov_b32 s45, 0x3fd24924
	;; [unrolled: 3-line block ×3, first 2 shown]
	v_fma_f64 v[69:70], v[65:66], v[69:70], s[44:45]
	v_fma_f64 v[65:66], v[65:66], v[69:70], s[38:39]
	v_ldexp_f64 v[69:70], v[11:12], 1
	v_add_f64 v[11:12], v[11:12], -v[67:68]
	v_mul_f64 v[65:66], v[71:72], v[65:66]
	v_cvt_f64_i32_e32 v[71:72], v86
	v_add_f64 v[9:10], v[9:10], -v[11:12]
	v_add_f64 v[67:68], v[69:70], v[65:66]
	v_mul_f64 v[73:74], v[71:72], s[18:19]
	v_ldexp_f64 v[9:10], v[9:10], 1
	v_add_f64 v[11:12], v[67:68], -v[69:70]
	v_fma_f64 v[69:70], v[71:72], s[18:19], -v[73:74]
	v_cmp_ngt_f64_e64 s18, -1.0, v[7:8]
	v_add_f64 v[11:12], v[65:66], -v[11:12]
	v_fma_f64 v[65:66], v[71:72], s[36:37], v[69:70]
	v_add_f64 v[9:10], v[9:10], v[11:12]
	v_add_f64 v[11:12], v[73:74], v[65:66]
	;; [unrolled: 1-line block ×3, first 2 shown]
	v_add_f64 v[73:74], v[11:12], -v[73:74]
	v_add_f64 v[71:72], v[11:12], v[69:70]
	v_add_f64 v[67:68], v[69:70], -v[67:68]
	v_add_f64 v[65:66], v[65:66], -v[73:74]
	v_add_f64 v[78:79], v[71:72], -v[11:12]
	v_add_f64 v[9:10], v[9:10], -v[67:68]
	v_add_f64 v[80:81], v[71:72], -v[78:79]
	v_add_f64 v[67:68], v[69:70], -v[78:79]
	v_add_f64 v[69:70], v[65:66], v[9:10]
	v_add_f64 v[11:12], v[11:12], -v[80:81]
	v_add_f64 v[11:12], v[67:68], v[11:12]
	v_add_f64 v[67:68], v[69:70], -v[65:66]
	;; [unrolled: 2-line block ×3, first 2 shown]
	v_add_f64 v[9:10], v[9:10], -v[67:68]
	v_add_f64 v[73:74], v[71:72], v[11:12]
	v_add_f64 v[65:66], v[65:66], -v[69:70]
	v_add_f64 v[67:68], v[73:74], -v[71:72]
	v_add_f64 v[9:10], v[9:10], v[65:66]
	v_add_f64 v[11:12], v[11:12], -v[67:68]
	v_add_f64 v[9:10], v[9:10], v[11:12]
	v_add_f64 v[9:10], v[73:74], v[9:10]
	v_cndmask_b32_e32 v9, 0, v9, vcc_lo
	v_cmp_neq_f64_e32 vcc_lo, -1.0, v[7:8]
	v_cndmask_b32_e64 v10, 0x7ff00000, v10, s17
	v_cndmask_b32_e64 v10, 0x7ff80000, v10, s18
	v_cndmask_b32_e32 v10, 0xfff00000, v10, vcc_lo
	v_add_f64 v[7:8], v[5:6], v[9:10]
.LBB74_78:
	s_or_b32 exec_lo, exec_lo, s43
	v_mov_b32_e32 v5, v7
	v_mov_b32_e32 v9, v7
	;; [unrolled: 1-line block ×4, first 2 shown]
.LBB74_79:
	s_or_b32 exec_lo, exec_lo, s42
	ds_swizzle_b32 v7, v9 offset:swizzle(BROADCAST,32,15)
	ds_swizzle_b32 v8, v10 offset:swizzle(BROADCAST,32,15)
	v_and_b32_e32 v9, 16, v77
	s_mov_b32 s42, exec_lo
	v_cmpx_ne_u32_e32 0, v9
	s_cbranch_execz .LBB74_83
; %bb.80:
	s_waitcnt lgkmcnt(0)
	v_max_f64 v[9:10], v[7:8], v[7:8]
	v_max_f64 v[11:12], v[5:6], v[5:6]
	v_cmp_u_f64_e32 vcc_lo, v[7:8], v[7:8]
	v_cmp_u_f64_e64 s17, v[5:6], v[5:6]
	v_min_f64 v[65:66], v[9:10], v[11:12]
	v_max_f64 v[9:10], v[9:10], v[11:12]
	v_cndmask_b32_e32 v11, v66, v8, vcc_lo
	v_cndmask_b32_e32 v12, v65, v7, vcc_lo
	;; [unrolled: 1-line block ×4, first 2 shown]
	v_cndmask_b32_e64 v10, v11, v6, s17
	v_cndmask_b32_e64 v9, v12, v5, s17
	;; [unrolled: 1-line block ×4, first 2 shown]
	v_cmp_class_f64_e64 s17, v[9:10], 0x1f8
	v_cmp_neq_f64_e32 vcc_lo, v[9:10], v[5:6]
	s_or_b32 s17, vcc_lo, s17
	s_and_saveexec_b32 s43, s17
	s_cbranch_execz .LBB74_82
; %bb.81:
	v_add_f64 v[7:8], v[9:10], -v[5:6]
	s_mov_b32 s18, 0x652b82fe
	s_mov_b32 s19, 0x3ff71547
	;; [unrolled: 1-line block ×10, first 2 shown]
	v_mul_f64 v[9:10], v[7:8], s[18:19]
	s_mov_b32 s19, 0xbfe62e42
	s_mov_b32 s18, 0xfefa39ef
	v_cmp_nlt_f64_e32 vcc_lo, 0x40900000, v[7:8]
	v_cmp_ngt_f64_e64 s17, 0xc090cc00, v[7:8]
	v_rndne_f64_e32 v[9:10], v[9:10]
	v_fma_f64 v[11:12], v[9:10], s[18:19], v[7:8]
	v_cvt_i32_f64_e32 v67, v[9:10]
	s_mov_b32 s19, 0x3fe62e42
	v_fma_f64 v[11:12], v[9:10], s[36:37], v[11:12]
	s_mov_b32 s37, 0x3c7abc9e
	v_fma_f64 v[65:66], v[11:12], s[44:45], s[38:39]
	s_mov_b32 s38, 0x623fde64
	s_mov_b32 s39, 0x3ec71dee
	;; [unrolled: 1-line block ×4, first 2 shown]
	v_fma_f64 v[65:66], v[11:12], v[65:66], s[38:39]
	s_mov_b32 s38, 0x7c89e6b0
	s_mov_b32 s39, 0x3efa0199
	v_fma_f64 v[65:66], v[11:12], v[65:66], s[38:39]
	s_mov_b32 s38, 0x14761f6e
	s_mov_b32 s39, 0x3f2a01a0
	;; [unrolled: 3-line block ×8, first 2 shown]
	v_fma_f64 v[65:66], v[11:12], v[65:66], 1.0
	v_fma_f64 v[9:10], v[11:12], v[65:66], 1.0
	v_ldexp_f64 v[9:10], v[9:10], v67
	v_cndmask_b32_e32 v10, 0x7ff00000, v10, vcc_lo
	s_and_b32 vcc_lo, s17, vcc_lo
	v_cndmask_b32_e32 v7, 0, v9, vcc_lo
	v_cndmask_b32_e64 v8, 0, v10, s17
	v_add_f64 v[9:10], v[7:8], 1.0
	v_cmp_neq_f64_e64 s17, 0x7ff00000, v[7:8]
	v_frexp_mant_f64_e32 v[11:12], v[9:10]
	v_frexp_exp_i32_f64_e32 v67, v[9:10]
	v_add_f64 v[65:66], v[9:10], -1.0
	v_cmp_gt_f64_e32 vcc_lo, s[38:39], v[11:12]
	s_mov_b32 s38, 0x55555780
	v_add_f64 v[11:12], v[65:66], -v[9:10]
	v_add_f64 v[65:66], v[7:8], -v[65:66]
	v_subrev_co_ci_u32_e64 v86, null, 0, v67, vcc_lo
	v_add_f64 v[11:12], v[11:12], 1.0
	v_cmp_nge_f64_e32 vcc_lo, -1.0, v[7:8]
	v_sub_nc_u32_e32 v69, 0, v86
	v_ldexp_f64 v[9:10], v[9:10], v69
	v_add_f64 v[11:12], v[65:66], v[11:12]
	s_and_b32 vcc_lo, vcc_lo, s17
	v_add_f64 v[67:68], v[9:10], 1.0
	v_add_f64 v[73:74], v[9:10], -1.0
	v_ldexp_f64 v[11:12], v[11:12], v69
	v_add_f64 v[65:66], v[67:68], -1.0
	v_add_f64 v[78:79], v[73:74], 1.0
	v_add_f64 v[65:66], v[9:10], -v[65:66]
	v_add_f64 v[9:10], v[9:10], -v[78:79]
	v_add_f64 v[65:66], v[11:12], v[65:66]
	v_add_f64 v[9:10], v[11:12], v[9:10]
	;; [unrolled: 1-line block ×4, first 2 shown]
	v_rcp_f64_e32 v[71:72], v[69:70]
	v_add_f64 v[67:68], v[69:70], -v[67:68]
	v_add_f64 v[73:74], v[78:79], -v[73:74]
	;; [unrolled: 1-line block ×3, first 2 shown]
	v_fma_f64 v[80:81], -v[69:70], v[71:72], 1.0
	v_add_f64 v[9:10], v[9:10], -v[73:74]
	v_fma_f64 v[71:72], v[80:81], v[71:72], v[71:72]
	v_fma_f64 v[11:12], -v[69:70], v[71:72], 1.0
	v_fma_f64 v[11:12], v[11:12], v[71:72], v[71:72]
	v_mul_f64 v[71:72], v[78:79], v[11:12]
	v_mul_f64 v[80:81], v[69:70], v[71:72]
	v_fma_f64 v[67:68], v[71:72], v[69:70], -v[80:81]
	v_fma_f64 v[67:68], v[71:72], v[65:66], v[67:68]
	v_add_f64 v[82:83], v[80:81], v[67:68]
	v_add_f64 v[84:85], v[78:79], -v[82:83]
	v_add_f64 v[73:74], v[82:83], -v[80:81]
	v_add_f64 v[78:79], v[78:79], -v[84:85]
	v_add_f64 v[67:68], v[73:74], -v[67:68]
	v_add_f64 v[78:79], v[78:79], -v[82:83]
	v_add_f64 v[9:10], v[9:10], v[78:79]
	v_add_f64 v[9:10], v[67:68], v[9:10]
	;; [unrolled: 1-line block ×3, first 2 shown]
	v_mul_f64 v[73:74], v[11:12], v[67:68]
	v_add_f64 v[82:83], v[84:85], -v[67:68]
	v_mul_f64 v[78:79], v[69:70], v[73:74]
	v_add_f64 v[9:10], v[9:10], v[82:83]
	v_fma_f64 v[69:70], v[73:74], v[69:70], -v[78:79]
	v_fma_f64 v[65:66], v[73:74], v[65:66], v[69:70]
	v_add_f64 v[69:70], v[78:79], v[65:66]
	v_add_f64 v[80:81], v[67:68], -v[69:70]
	v_add_f64 v[78:79], v[69:70], -v[78:79]
	;; [unrolled: 1-line block ×5, first 2 shown]
	v_add_f64 v[9:10], v[9:10], v[67:68]
	v_add_f64 v[67:68], v[71:72], v[73:74]
	;; [unrolled: 1-line block ×3, first 2 shown]
	v_add_f64 v[65:66], v[67:68], -v[71:72]
	v_add_f64 v[9:10], v[80:81], v[9:10]
	v_add_f64 v[65:66], v[73:74], -v[65:66]
	v_mul_f64 v[9:10], v[11:12], v[9:10]
	v_add_f64 v[9:10], v[65:66], v[9:10]
	v_add_f64 v[11:12], v[67:68], v[9:10]
	v_mul_f64 v[65:66], v[11:12], v[11:12]
	v_fma_f64 v[69:70], v[65:66], s[46:47], s[44:45]
	s_mov_b32 s44, 0xd7f4df2e
	s_mov_b32 s45, 0x3fc7474d
	v_mul_f64 v[71:72], v[11:12], v[65:66]
	v_fma_f64 v[69:70], v[65:66], v[69:70], s[44:45]
	s_mov_b32 s44, 0x16291751
	s_mov_b32 s45, 0x3fcc71c0
	v_fma_f64 v[69:70], v[65:66], v[69:70], s[44:45]
	s_mov_b32 s44, 0x9b27acf1
	s_mov_b32 s45, 0x3fd24924
	;; [unrolled: 3-line block ×3, first 2 shown]
	v_fma_f64 v[69:70], v[65:66], v[69:70], s[44:45]
	v_fma_f64 v[65:66], v[65:66], v[69:70], s[38:39]
	v_ldexp_f64 v[69:70], v[11:12], 1
	v_add_f64 v[11:12], v[11:12], -v[67:68]
	v_mul_f64 v[65:66], v[71:72], v[65:66]
	v_cvt_f64_i32_e32 v[71:72], v86
	v_add_f64 v[9:10], v[9:10], -v[11:12]
	v_add_f64 v[67:68], v[69:70], v[65:66]
	v_mul_f64 v[73:74], v[71:72], s[18:19]
	v_ldexp_f64 v[9:10], v[9:10], 1
	v_add_f64 v[11:12], v[67:68], -v[69:70]
	v_fma_f64 v[69:70], v[71:72], s[18:19], -v[73:74]
	v_cmp_ngt_f64_e64 s18, -1.0, v[7:8]
	v_add_f64 v[11:12], v[65:66], -v[11:12]
	v_fma_f64 v[65:66], v[71:72], s[36:37], v[69:70]
	v_add_f64 v[9:10], v[9:10], v[11:12]
	v_add_f64 v[11:12], v[73:74], v[65:66]
	;; [unrolled: 1-line block ×3, first 2 shown]
	v_add_f64 v[73:74], v[11:12], -v[73:74]
	v_add_f64 v[71:72], v[11:12], v[69:70]
	v_add_f64 v[67:68], v[69:70], -v[67:68]
	v_add_f64 v[65:66], v[65:66], -v[73:74]
	;; [unrolled: 1-line block ×6, first 2 shown]
	v_add_f64 v[69:70], v[65:66], v[9:10]
	v_add_f64 v[11:12], v[11:12], -v[80:81]
	v_add_f64 v[11:12], v[67:68], v[11:12]
	v_add_f64 v[67:68], v[69:70], -v[65:66]
	;; [unrolled: 2-line block ×3, first 2 shown]
	v_add_f64 v[9:10], v[9:10], -v[67:68]
	v_add_f64 v[73:74], v[71:72], v[11:12]
	v_add_f64 v[65:66], v[65:66], -v[69:70]
	v_add_f64 v[67:68], v[73:74], -v[71:72]
	v_add_f64 v[9:10], v[9:10], v[65:66]
	v_add_f64 v[11:12], v[11:12], -v[67:68]
	v_add_f64 v[9:10], v[9:10], v[11:12]
	v_add_f64 v[9:10], v[73:74], v[9:10]
	v_cndmask_b32_e32 v9, 0, v9, vcc_lo
	v_cmp_neq_f64_e32 vcc_lo, -1.0, v[7:8]
	v_cndmask_b32_e64 v10, 0x7ff00000, v10, s17
	v_cndmask_b32_e64 v10, 0x7ff80000, v10, s18
	v_cndmask_b32_e32 v10, 0xfff00000, v10, vcc_lo
	v_add_f64 v[7:8], v[5:6], v[9:10]
.LBB74_82:
	s_or_b32 exec_lo, exec_lo, s43
	v_mov_b32_e32 v5, v7
	v_mov_b32_e32 v6, v8
.LBB74_83:
	s_or_b32 exec_lo, exec_lo, s42
	s_waitcnt lgkmcnt(1)
	v_or_b32_e32 v7, 31, v0
	v_lshrrev_b32_e32 v67, 5, v0
	s_mov_b32 s17, exec_lo
	v_cmpx_eq_u32_e64 v0, v7
; %bb.84:
	v_lshlrev_b32_e32 v7, 3, v67
	ds_write_b64 v7, v[5:6]
; %bb.85:
	s_or_b32 exec_lo, exec_lo, s17
	s_mov_b32 s42, exec_lo
	s_waitcnt lgkmcnt(0)
	s_barrier
	buffer_gl0_inv
	v_cmpx_gt_u32_e32 4, v0
	s_cbranch_execz .LBB74_95
; %bb.86:
	ds_read_b64 v[7:8], v75
	v_and_b32_e32 v65, 3, v77
	s_mov_b32 s43, exec_lo
	s_waitcnt lgkmcnt(0)
	v_mov_b32_dpp v9, v7 row_shr:1 row_mask:0xf bank_mask:0xf
	v_mov_b32_dpp v10, v8 row_shr:1 row_mask:0xf bank_mask:0xf
	v_mov_b32_e32 v11, v7
	v_mov_b32_e32 v12, v8
	v_cmpx_ne_u32_e32 0, v65
	s_cbranch_execz .LBB74_90
; %bb.87:
	v_max_f64 v[11:12], v[9:10], v[9:10]
	v_max_f64 v[68:69], v[7:8], v[7:8]
	v_cmp_u_f64_e32 vcc_lo, v[9:10], v[9:10]
	v_cmp_u_f64_e64 s17, v[7:8], v[7:8]
	v_min_f64 v[70:71], v[11:12], v[68:69]
	v_max_f64 v[11:12], v[11:12], v[68:69]
	v_cndmask_b32_e32 v66, v71, v10, vcc_lo
	v_cndmask_b32_e32 v68, v70, v9, vcc_lo
	;; [unrolled: 1-line block ×4, first 2 shown]
	v_cndmask_b32_e64 v12, v66, v8, s17
	v_cndmask_b32_e64 v11, v68, v7, s17
	;; [unrolled: 1-line block ×4, first 2 shown]
	v_cmp_class_f64_e64 s17, v[11:12], 0x1f8
	v_cmp_neq_f64_e32 vcc_lo, v[11:12], v[7:8]
	s_or_b32 s17, vcc_lo, s17
	s_and_saveexec_b32 s44, s17
	s_cbranch_execz .LBB74_89
; %bb.88:
	v_add_f64 v[9:10], v[11:12], -v[7:8]
	s_mov_b32 s18, 0x652b82fe
	s_mov_b32 s19, 0x3ff71547
	;; [unrolled: 1-line block ×10, first 2 shown]
	v_mul_f64 v[11:12], v[9:10], s[18:19]
	s_mov_b32 s19, 0xbfe62e42
	s_mov_b32 s18, 0xfefa39ef
	v_cmp_nlt_f64_e32 vcc_lo, 0x40900000, v[9:10]
	v_cmp_ngt_f64_e64 s17, 0xc090cc00, v[9:10]
	v_rndne_f64_e32 v[11:12], v[11:12]
	v_fma_f64 v[68:69], v[11:12], s[18:19], v[9:10]
	v_cvt_i32_f64_e32 v66, v[11:12]
	s_mov_b32 s19, 0x3fe62e42
	v_fma_f64 v[68:69], v[11:12], s[36:37], v[68:69]
	s_mov_b32 s37, 0x3c7abc9e
	v_fma_f64 v[70:71], v[68:69], s[46:47], s[38:39]
	s_mov_b32 s38, 0x623fde64
	s_mov_b32 s39, 0x3ec71dee
	;; [unrolled: 1-line block ×4, first 2 shown]
	v_fma_f64 v[70:71], v[68:69], v[70:71], s[38:39]
	s_mov_b32 s38, 0x7c89e6b0
	s_mov_b32 s39, 0x3efa0199
	v_fma_f64 v[70:71], v[68:69], v[70:71], s[38:39]
	s_mov_b32 s38, 0x14761f6e
	s_mov_b32 s39, 0x3f2a01a0
	;; [unrolled: 3-line block ×8, first 2 shown]
	v_fma_f64 v[70:71], v[68:69], v[70:71], 1.0
	v_fma_f64 v[11:12], v[68:69], v[70:71], 1.0
	v_ldexp_f64 v[11:12], v[11:12], v66
	v_cndmask_b32_e32 v12, 0x7ff00000, v12, vcc_lo
	s_and_b32 vcc_lo, s17, vcc_lo
	v_cndmask_b32_e32 v9, 0, v11, vcc_lo
	v_cndmask_b32_e64 v10, 0, v12, s17
	v_add_f64 v[11:12], v[9:10], 1.0
	v_cmp_neq_f64_e64 s17, 0x7ff00000, v[9:10]
	v_frexp_mant_f64_e32 v[68:69], v[11:12]
	v_frexp_exp_i32_f64_e32 v66, v[11:12]
	v_add_f64 v[70:71], v[11:12], -1.0
	v_cmp_gt_f64_e32 vcc_lo, s[38:39], v[68:69]
	s_mov_b32 s38, 0x55555780
	v_add_f64 v[68:69], v[70:71], -v[11:12]
	v_add_f64 v[70:71], v[9:10], -v[70:71]
	v_subrev_co_ci_u32_e64 v66, null, 0, v66, vcc_lo
	v_add_f64 v[68:69], v[68:69], 1.0
	v_cmp_nge_f64_e32 vcc_lo, -1.0, v[9:10]
	v_sub_nc_u32_e32 v74, 0, v66
	v_ldexp_f64 v[11:12], v[11:12], v74
	v_add_f64 v[68:69], v[70:71], v[68:69]
	s_and_b32 vcc_lo, vcc_lo, s17
	v_add_f64 v[72:73], v[11:12], 1.0
	v_add_f64 v[82:83], v[11:12], -1.0
	v_ldexp_f64 v[68:69], v[68:69], v74
	v_add_f64 v[70:71], v[72:73], -1.0
	v_add_f64 v[84:85], v[82:83], 1.0
	v_add_f64 v[70:71], v[11:12], -v[70:71]
	v_add_f64 v[11:12], v[11:12], -v[84:85]
	v_add_f64 v[70:71], v[68:69], v[70:71]
	v_add_f64 v[11:12], v[68:69], v[11:12]
	;; [unrolled: 1-line block ×4, first 2 shown]
	v_rcp_f64_e32 v[80:81], v[78:79]
	v_add_f64 v[72:73], v[78:79], -v[72:73]
	v_add_f64 v[82:83], v[84:85], -v[82:83]
	v_add_f64 v[70:71], v[70:71], -v[72:73]
	v_fma_f64 v[86:87], -v[78:79], v[80:81], 1.0
	v_add_f64 v[11:12], v[11:12], -v[82:83]
	v_fma_f64 v[80:81], v[86:87], v[80:81], v[80:81]
	v_fma_f64 v[68:69], -v[78:79], v[80:81], 1.0
	v_fma_f64 v[68:69], v[68:69], v[80:81], v[80:81]
	v_mul_f64 v[80:81], v[84:85], v[68:69]
	v_mul_f64 v[86:87], v[78:79], v[80:81]
	v_fma_f64 v[72:73], v[80:81], v[78:79], -v[86:87]
	v_fma_f64 v[72:73], v[80:81], v[70:71], v[72:73]
	v_add_f64 v[88:89], v[86:87], v[72:73]
	v_add_f64 v[90:91], v[84:85], -v[88:89]
	v_add_f64 v[82:83], v[88:89], -v[86:87]
	;; [unrolled: 1-line block ×5, first 2 shown]
	v_add_f64 v[11:12], v[11:12], v[84:85]
	v_add_f64 v[11:12], v[72:73], v[11:12]
	;; [unrolled: 1-line block ×3, first 2 shown]
	v_mul_f64 v[82:83], v[68:69], v[72:73]
	v_add_f64 v[88:89], v[90:91], -v[72:73]
	v_mul_f64 v[84:85], v[78:79], v[82:83]
	v_add_f64 v[11:12], v[11:12], v[88:89]
	v_fma_f64 v[78:79], v[82:83], v[78:79], -v[84:85]
	v_fma_f64 v[70:71], v[82:83], v[70:71], v[78:79]
	v_add_f64 v[78:79], v[84:85], v[70:71]
	v_add_f64 v[86:87], v[72:73], -v[78:79]
	v_add_f64 v[84:85], v[78:79], -v[84:85]
	;; [unrolled: 1-line block ×5, first 2 shown]
	v_add_f64 v[11:12], v[11:12], v[72:73]
	v_add_f64 v[72:73], v[80:81], v[82:83]
	;; [unrolled: 1-line block ×3, first 2 shown]
	v_add_f64 v[70:71], v[72:73], -v[80:81]
	v_add_f64 v[11:12], v[86:87], v[11:12]
	v_add_f64 v[70:71], v[82:83], -v[70:71]
	v_mul_f64 v[11:12], v[68:69], v[11:12]
	v_add_f64 v[11:12], v[70:71], v[11:12]
	v_add_f64 v[68:69], v[72:73], v[11:12]
	v_mul_f64 v[70:71], v[68:69], v[68:69]
	v_fma_f64 v[78:79], v[70:71], s[48:49], s[46:47]
	s_mov_b32 s46, 0xd7f4df2e
	s_mov_b32 s47, 0x3fc7474d
	v_mul_f64 v[80:81], v[68:69], v[70:71]
	v_fma_f64 v[78:79], v[70:71], v[78:79], s[46:47]
	s_mov_b32 s46, 0x16291751
	s_mov_b32 s47, 0x3fcc71c0
	v_fma_f64 v[78:79], v[70:71], v[78:79], s[46:47]
	s_mov_b32 s46, 0x9b27acf1
	s_mov_b32 s47, 0x3fd24924
	v_fma_f64 v[78:79], v[70:71], v[78:79], s[46:47]
	s_mov_b32 s46, 0x998ef7b6
	s_mov_b32 s47, 0x3fd99999
	v_fma_f64 v[78:79], v[70:71], v[78:79], s[46:47]
	v_fma_f64 v[70:71], v[70:71], v[78:79], s[38:39]
	v_ldexp_f64 v[78:79], v[68:69], 1
	v_add_f64 v[68:69], v[68:69], -v[72:73]
	v_mul_f64 v[70:71], v[80:81], v[70:71]
	v_cvt_f64_i32_e32 v[80:81], v66
	v_add_f64 v[11:12], v[11:12], -v[68:69]
	v_add_f64 v[72:73], v[78:79], v[70:71]
	v_mul_f64 v[82:83], v[80:81], s[18:19]
	v_ldexp_f64 v[11:12], v[11:12], 1
	v_add_f64 v[68:69], v[72:73], -v[78:79]
	v_fma_f64 v[78:79], v[80:81], s[18:19], -v[82:83]
	v_cmp_ngt_f64_e64 s18, -1.0, v[9:10]
	v_add_f64 v[68:69], v[70:71], -v[68:69]
	v_fma_f64 v[70:71], v[80:81], s[36:37], v[78:79]
	v_add_f64 v[11:12], v[11:12], v[68:69]
	v_add_f64 v[68:69], v[82:83], v[70:71]
	;; [unrolled: 1-line block ×3, first 2 shown]
	v_add_f64 v[82:83], v[68:69], -v[82:83]
	v_add_f64 v[80:81], v[68:69], v[78:79]
	v_add_f64 v[72:73], v[78:79], -v[72:73]
	v_add_f64 v[70:71], v[70:71], -v[82:83]
	v_add_f64 v[84:85], v[80:81], -v[68:69]
	v_add_f64 v[11:12], v[11:12], -v[72:73]
	v_add_f64 v[86:87], v[80:81], -v[84:85]
	v_add_f64 v[72:73], v[78:79], -v[84:85]
	v_add_f64 v[78:79], v[70:71], v[11:12]
	v_add_f64 v[68:69], v[68:69], -v[86:87]
	v_add_f64 v[68:69], v[72:73], v[68:69]
	v_add_f64 v[72:73], v[78:79], -v[70:71]
	v_add_f64 v[68:69], v[78:79], v[68:69]
	v_add_f64 v[78:79], v[78:79], -v[72:73]
	v_add_f64 v[11:12], v[11:12], -v[72:73]
	v_add_f64 v[82:83], v[80:81], v[68:69]
	v_add_f64 v[70:71], v[70:71], -v[78:79]
	v_add_f64 v[72:73], v[82:83], -v[80:81]
	v_add_f64 v[11:12], v[11:12], v[70:71]
	v_add_f64 v[68:69], v[68:69], -v[72:73]
	v_add_f64 v[11:12], v[11:12], v[68:69]
	v_add_f64 v[11:12], v[82:83], v[11:12]
	v_cndmask_b32_e32 v11, 0, v11, vcc_lo
	v_cmp_neq_f64_e32 vcc_lo, -1.0, v[9:10]
	v_cndmask_b32_e64 v12, 0x7ff00000, v12, s17
	v_cndmask_b32_e64 v12, 0x7ff80000, v12, s18
	v_cndmask_b32_e32 v12, 0xfff00000, v12, vcc_lo
	v_add_f64 v[9:10], v[7:8], v[11:12]
.LBB74_89:
	s_or_b32 exec_lo, exec_lo, s44
	v_mov_b32_e32 v7, v9
	v_mov_b32_e32 v11, v9
	;; [unrolled: 1-line block ×4, first 2 shown]
.LBB74_90:
	s_or_b32 exec_lo, exec_lo, s43
	v_mov_b32_dpp v9, v11 row_shr:2 row_mask:0xf bank_mask:0xf
	v_mov_b32_dpp v10, v12 row_shr:2 row_mask:0xf bank_mask:0xf
	s_mov_b32 s43, exec_lo
	v_cmpx_lt_u32_e32 1, v65
	s_cbranch_execz .LBB74_94
; %bb.91:
	v_max_f64 v[11:12], v[9:10], v[9:10]
	v_max_f64 v[65:66], v[7:8], v[7:8]
	v_cmp_u_f64_e32 vcc_lo, v[9:10], v[9:10]
	v_cmp_u_f64_e64 s17, v[7:8], v[7:8]
	v_min_f64 v[68:69], v[11:12], v[65:66]
	v_max_f64 v[11:12], v[11:12], v[65:66]
	v_cndmask_b32_e32 v65, v69, v10, vcc_lo
	v_cndmask_b32_e32 v66, v68, v9, vcc_lo
	;; [unrolled: 1-line block ×4, first 2 shown]
	v_cndmask_b32_e64 v12, v65, v8, s17
	v_cndmask_b32_e64 v11, v66, v7, s17
	v_cndmask_b32_e64 v8, v68, v8, s17
	v_cndmask_b32_e64 v7, v69, v7, s17
	v_cmp_class_f64_e64 s17, v[11:12], 0x1f8
	v_cmp_neq_f64_e32 vcc_lo, v[11:12], v[7:8]
	s_or_b32 s17, vcc_lo, s17
	s_and_saveexec_b32 s44, s17
	s_cbranch_execz .LBB74_93
; %bb.92:
	v_add_f64 v[9:10], v[11:12], -v[7:8]
	s_mov_b32 s18, 0x652b82fe
	s_mov_b32 s19, 0x3ff71547
	;; [unrolled: 1-line block ×10, first 2 shown]
	v_mul_f64 v[11:12], v[9:10], s[18:19]
	s_mov_b32 s19, 0xbfe62e42
	s_mov_b32 s18, 0xfefa39ef
	v_cmp_nlt_f64_e32 vcc_lo, 0x40900000, v[9:10]
	v_cmp_ngt_f64_e64 s17, 0xc090cc00, v[9:10]
	v_rndne_f64_e32 v[11:12], v[11:12]
	v_fma_f64 v[65:66], v[11:12], s[18:19], v[9:10]
	v_cvt_i32_f64_e32 v70, v[11:12]
	s_mov_b32 s19, 0x3fe62e42
	v_fma_f64 v[65:66], v[11:12], s[36:37], v[65:66]
	s_mov_b32 s37, 0x3c7abc9e
	v_fma_f64 v[68:69], v[65:66], s[46:47], s[38:39]
	s_mov_b32 s38, 0x623fde64
	s_mov_b32 s39, 0x3ec71dee
	;; [unrolled: 1-line block ×4, first 2 shown]
	v_fma_f64 v[68:69], v[65:66], v[68:69], s[38:39]
	s_mov_b32 s38, 0x7c89e6b0
	s_mov_b32 s39, 0x3efa0199
	v_fma_f64 v[68:69], v[65:66], v[68:69], s[38:39]
	s_mov_b32 s38, 0x14761f6e
	s_mov_b32 s39, 0x3f2a01a0
	;; [unrolled: 3-line block ×8, first 2 shown]
	v_fma_f64 v[68:69], v[65:66], v[68:69], 1.0
	v_fma_f64 v[11:12], v[65:66], v[68:69], 1.0
	v_ldexp_f64 v[11:12], v[11:12], v70
	v_cndmask_b32_e32 v12, 0x7ff00000, v12, vcc_lo
	s_and_b32 vcc_lo, s17, vcc_lo
	v_cndmask_b32_e32 v9, 0, v11, vcc_lo
	v_cndmask_b32_e64 v10, 0, v12, s17
	v_add_f64 v[11:12], v[9:10], 1.0
	v_cmp_neq_f64_e64 s17, 0x7ff00000, v[9:10]
	v_frexp_mant_f64_e32 v[65:66], v[11:12]
	v_frexp_exp_i32_f64_e32 v70, v[11:12]
	v_add_f64 v[68:69], v[11:12], -1.0
	v_cmp_gt_f64_e32 vcc_lo, s[38:39], v[65:66]
	s_mov_b32 s38, 0x55555780
	v_add_f64 v[65:66], v[68:69], -v[11:12]
	v_add_f64 v[68:69], v[9:10], -v[68:69]
	v_subrev_co_ci_u32_e64 v74, null, 0, v70, vcc_lo
	v_add_f64 v[65:66], v[65:66], 1.0
	v_cmp_nge_f64_e32 vcc_lo, -1.0, v[9:10]
	v_sub_nc_u32_e32 v72, 0, v74
	v_ldexp_f64 v[11:12], v[11:12], v72
	v_add_f64 v[65:66], v[68:69], v[65:66]
	s_and_b32 vcc_lo, vcc_lo, s17
	v_add_f64 v[70:71], v[11:12], 1.0
	v_add_f64 v[80:81], v[11:12], -1.0
	v_ldexp_f64 v[65:66], v[65:66], v72
	v_add_f64 v[68:69], v[70:71], -1.0
	v_add_f64 v[82:83], v[80:81], 1.0
	v_add_f64 v[68:69], v[11:12], -v[68:69]
	v_add_f64 v[11:12], v[11:12], -v[82:83]
	v_add_f64 v[68:69], v[65:66], v[68:69]
	v_add_f64 v[11:12], v[65:66], v[11:12]
	;; [unrolled: 1-line block ×4, first 2 shown]
	v_rcp_f64_e32 v[78:79], v[72:73]
	v_add_f64 v[70:71], v[72:73], -v[70:71]
	v_add_f64 v[80:81], v[82:83], -v[80:81]
	;; [unrolled: 1-line block ×3, first 2 shown]
	v_fma_f64 v[84:85], -v[72:73], v[78:79], 1.0
	v_add_f64 v[11:12], v[11:12], -v[80:81]
	v_fma_f64 v[78:79], v[84:85], v[78:79], v[78:79]
	v_fma_f64 v[65:66], -v[72:73], v[78:79], 1.0
	v_fma_f64 v[65:66], v[65:66], v[78:79], v[78:79]
	v_mul_f64 v[78:79], v[82:83], v[65:66]
	v_mul_f64 v[84:85], v[72:73], v[78:79]
	v_fma_f64 v[70:71], v[78:79], v[72:73], -v[84:85]
	v_fma_f64 v[70:71], v[78:79], v[68:69], v[70:71]
	v_add_f64 v[86:87], v[84:85], v[70:71]
	v_add_f64 v[88:89], v[82:83], -v[86:87]
	v_add_f64 v[80:81], v[86:87], -v[84:85]
	;; [unrolled: 1-line block ×5, first 2 shown]
	v_add_f64 v[11:12], v[11:12], v[82:83]
	v_add_f64 v[11:12], v[70:71], v[11:12]
	;; [unrolled: 1-line block ×3, first 2 shown]
	v_mul_f64 v[80:81], v[65:66], v[70:71]
	v_add_f64 v[86:87], v[88:89], -v[70:71]
	v_mul_f64 v[82:83], v[72:73], v[80:81]
	v_add_f64 v[11:12], v[11:12], v[86:87]
	v_fma_f64 v[72:73], v[80:81], v[72:73], -v[82:83]
	v_fma_f64 v[68:69], v[80:81], v[68:69], v[72:73]
	v_add_f64 v[72:73], v[82:83], v[68:69]
	v_add_f64 v[84:85], v[70:71], -v[72:73]
	v_add_f64 v[82:83], v[72:73], -v[82:83]
	;; [unrolled: 1-line block ×5, first 2 shown]
	v_add_f64 v[11:12], v[11:12], v[70:71]
	v_add_f64 v[70:71], v[78:79], v[80:81]
	;; [unrolled: 1-line block ×3, first 2 shown]
	v_add_f64 v[68:69], v[70:71], -v[78:79]
	v_add_f64 v[11:12], v[84:85], v[11:12]
	v_add_f64 v[68:69], v[80:81], -v[68:69]
	v_mul_f64 v[11:12], v[65:66], v[11:12]
	v_add_f64 v[11:12], v[68:69], v[11:12]
	v_add_f64 v[65:66], v[70:71], v[11:12]
	v_mul_f64 v[68:69], v[65:66], v[65:66]
	v_fma_f64 v[72:73], v[68:69], s[48:49], s[46:47]
	s_mov_b32 s46, 0xd7f4df2e
	s_mov_b32 s47, 0x3fc7474d
	v_mul_f64 v[78:79], v[65:66], v[68:69]
	v_fma_f64 v[72:73], v[68:69], v[72:73], s[46:47]
	s_mov_b32 s46, 0x16291751
	s_mov_b32 s47, 0x3fcc71c0
	v_fma_f64 v[72:73], v[68:69], v[72:73], s[46:47]
	s_mov_b32 s46, 0x9b27acf1
	s_mov_b32 s47, 0x3fd24924
	;; [unrolled: 3-line block ×3, first 2 shown]
	v_fma_f64 v[72:73], v[68:69], v[72:73], s[46:47]
	v_fma_f64 v[68:69], v[68:69], v[72:73], s[38:39]
	v_ldexp_f64 v[72:73], v[65:66], 1
	v_add_f64 v[65:66], v[65:66], -v[70:71]
	v_mul_f64 v[68:69], v[78:79], v[68:69]
	v_cvt_f64_i32_e32 v[78:79], v74
	v_add_f64 v[11:12], v[11:12], -v[65:66]
	v_add_f64 v[70:71], v[72:73], v[68:69]
	v_mul_f64 v[80:81], v[78:79], s[18:19]
	v_ldexp_f64 v[11:12], v[11:12], 1
	v_add_f64 v[65:66], v[70:71], -v[72:73]
	v_fma_f64 v[72:73], v[78:79], s[18:19], -v[80:81]
	v_cmp_ngt_f64_e64 s18, -1.0, v[9:10]
	v_add_f64 v[65:66], v[68:69], -v[65:66]
	v_fma_f64 v[68:69], v[78:79], s[36:37], v[72:73]
	v_add_f64 v[11:12], v[11:12], v[65:66]
	v_add_f64 v[65:66], v[80:81], v[68:69]
	;; [unrolled: 1-line block ×3, first 2 shown]
	v_add_f64 v[80:81], v[65:66], -v[80:81]
	v_add_f64 v[78:79], v[65:66], v[72:73]
	v_add_f64 v[70:71], v[72:73], -v[70:71]
	v_add_f64 v[68:69], v[68:69], -v[80:81]
	;; [unrolled: 1-line block ×6, first 2 shown]
	v_add_f64 v[72:73], v[68:69], v[11:12]
	v_add_f64 v[65:66], v[65:66], -v[84:85]
	v_add_f64 v[65:66], v[70:71], v[65:66]
	v_add_f64 v[70:71], v[72:73], -v[68:69]
	;; [unrolled: 2-line block ×3, first 2 shown]
	v_add_f64 v[11:12], v[11:12], -v[70:71]
	v_add_f64 v[80:81], v[78:79], v[65:66]
	v_add_f64 v[68:69], v[68:69], -v[72:73]
	v_add_f64 v[70:71], v[80:81], -v[78:79]
	v_add_f64 v[11:12], v[11:12], v[68:69]
	v_add_f64 v[65:66], v[65:66], -v[70:71]
	v_add_f64 v[11:12], v[11:12], v[65:66]
	v_add_f64 v[11:12], v[80:81], v[11:12]
	v_cndmask_b32_e32 v11, 0, v11, vcc_lo
	v_cmp_neq_f64_e32 vcc_lo, -1.0, v[9:10]
	v_cndmask_b32_e64 v12, 0x7ff00000, v12, s17
	v_cndmask_b32_e64 v12, 0x7ff80000, v12, s18
	v_cndmask_b32_e32 v12, 0xfff00000, v12, vcc_lo
	v_add_f64 v[9:10], v[7:8], v[11:12]
.LBB74_93:
	s_or_b32 exec_lo, exec_lo, s44
	v_mov_b32_e32 v7, v9
	v_mov_b32_e32 v8, v10
.LBB74_94:
	s_or_b32 exec_lo, exec_lo, s43
	ds_write_b64 v75, v[7:8]
.LBB74_95:
	s_or_b32 exec_lo, exec_lo, s42
	s_mov_b32 s42, exec_lo
	v_cmp_gt_u32_e32 vcc_lo, 32, v0
	s_waitcnt lgkmcnt(0)
	s_barrier
	buffer_gl0_inv
                                        ; implicit-def: $vgpr65_vgpr66
	v_cmpx_lt_u32_e32 31, v0
	s_cbranch_execz .LBB74_99
; %bb.96:
	v_lshl_add_u32 v7, v67, 3, -8
	v_cmp_u_f64_e64 s18, v[5:6], v[5:6]
	ds_read_b64 v[65:66], v7
	v_max_f64 v[7:8], v[5:6], v[5:6]
	s_waitcnt lgkmcnt(0)
	v_max_f64 v[9:10], v[65:66], v[65:66]
	v_cmp_u_f64_e64 s17, v[65:66], v[65:66]
	v_min_f64 v[11:12], v[9:10], v[7:8]
	v_max_f64 v[7:8], v[9:10], v[7:8]
	v_cndmask_b32_e64 v9, v11, v65, s17
	v_cndmask_b32_e64 v10, v12, v66, s17
	;; [unrolled: 1-line block ×8, first 2 shown]
	v_mov_b32_e32 v5, v65
	v_mov_b32_e32 v6, v66
	v_cmp_class_f64_e64 s18, v[9:10], 0x1f8
	v_cmp_neq_f64_e64 s17, v[9:10], v[7:8]
	s_or_b32 s17, s17, s18
	s_and_saveexec_b32 s43, s17
	s_cbranch_execz .LBB74_98
; %bb.97:
	v_add_f64 v[5:6], v[9:10], -v[7:8]
	s_mov_b32 s18, 0x652b82fe
	s_mov_b32 s19, 0x3ff71547
	s_mov_b32 s37, 0xbfe62e42
	s_mov_b32 s36, 0xfefa39ef
	s_mov_b32 s39, 0xbc7abc9e
	s_mov_b32 s38, 0x3b39803f
	s_mov_b32 s44, 0x6a5dcb37
	s_mov_b32 s45, 0x3e5ade15
	s_mov_b32 s46, 0xbf559e2b
	s_mov_b32 s47, 0x3fc3ab76
	v_mul_f64 v[9:10], v[5:6], s[18:19]
	s_mov_b32 s18, 0xfca7ab0c
	s_mov_b32 s19, 0x3e928af3
	v_cmp_nlt_f64_e64 s17, 0x40900000, v[5:6]
	v_rndne_f64_e32 v[9:10], v[9:10]
	v_fma_f64 v[11:12], v[9:10], s[36:37], v[5:6]
	v_cvt_i32_f64_e32 v69, v[9:10]
	s_mov_b32 s37, 0x3fe62e42
	v_fma_f64 v[11:12], v[9:10], s[38:39], v[11:12]
	s_mov_b32 s39, 0x3c7abc9e
	v_fma_f64 v[67:68], v[11:12], s[44:45], s[18:19]
	s_mov_b32 s18, 0x623fde64
	s_mov_b32 s19, 0x3ec71dee
	;; [unrolled: 1-line block ×4, first 2 shown]
	v_fma_f64 v[67:68], v[11:12], v[67:68], s[18:19]
	s_mov_b32 s18, 0x7c89e6b0
	s_mov_b32 s19, 0x3efa0199
	v_fma_f64 v[67:68], v[11:12], v[67:68], s[18:19]
	s_mov_b32 s18, 0x14761f6e
	s_mov_b32 s19, 0x3f2a01a0
	;; [unrolled: 3-line block ×7, first 2 shown]
	v_fma_f64 v[67:68], v[11:12], v[67:68], s[18:19]
	v_cmp_ngt_f64_e64 s18, 0xc090cc00, v[5:6]
	s_mov_b32 s19, 0x3fe55555
	v_fma_f64 v[67:68], v[11:12], v[67:68], 1.0
	v_fma_f64 v[9:10], v[11:12], v[67:68], 1.0
	v_ldexp_f64 v[9:10], v[9:10], v69
	v_cndmask_b32_e64 v10, 0x7ff00000, v10, s17
	s_and_b32 s17, s18, s17
	v_cndmask_b32_e64 v5, 0, v9, s17
	v_cndmask_b32_e64 v6, 0, v10, s18
	s_mov_b32 s18, 0x55555555
	v_add_f64 v[9:10], v[5:6], 1.0
	v_frexp_mant_f64_e32 v[11:12], v[9:10]
	v_frexp_exp_i32_f64_e32 v69, v[9:10]
	v_add_f64 v[67:68], v[9:10], -1.0
	v_cmp_gt_f64_e64 s17, s[18:19], v[11:12]
	s_mov_b32 s18, 0x55555780
	v_add_f64 v[11:12], v[67:68], -v[9:10]
	v_add_f64 v[67:68], v[5:6], -v[67:68]
	v_subrev_co_ci_u32_e64 v88, null, 0, v69, s17
	v_add_f64 v[11:12], v[11:12], 1.0
	v_cmp_nge_f64_e64 s17, -1.0, v[5:6]
	v_sub_nc_u32_e32 v71, 0, v88
	v_ldexp_f64 v[9:10], v[9:10], v71
	v_add_f64 v[11:12], v[67:68], v[11:12]
	v_add_f64 v[69:70], v[9:10], 1.0
	v_add_f64 v[78:79], v[9:10], -1.0
	v_ldexp_f64 v[11:12], v[11:12], v71
	v_add_f64 v[67:68], v[69:70], -1.0
	v_add_f64 v[80:81], v[78:79], 1.0
	v_add_f64 v[67:68], v[9:10], -v[67:68]
	v_add_f64 v[9:10], v[9:10], -v[80:81]
	v_add_f64 v[67:68], v[11:12], v[67:68]
	v_add_f64 v[9:10], v[11:12], v[9:10]
	;; [unrolled: 1-line block ×4, first 2 shown]
	v_rcp_f64_e32 v[73:74], v[71:72]
	v_add_f64 v[69:70], v[71:72], -v[69:70]
	v_add_f64 v[78:79], v[80:81], -v[78:79]
	;; [unrolled: 1-line block ×3, first 2 shown]
	v_fma_f64 v[82:83], -v[71:72], v[73:74], 1.0
	v_add_f64 v[9:10], v[9:10], -v[78:79]
	v_fma_f64 v[73:74], v[82:83], v[73:74], v[73:74]
	v_fma_f64 v[11:12], -v[71:72], v[73:74], 1.0
	v_fma_f64 v[11:12], v[11:12], v[73:74], v[73:74]
	v_mul_f64 v[73:74], v[80:81], v[11:12]
	v_mul_f64 v[82:83], v[71:72], v[73:74]
	v_fma_f64 v[69:70], v[73:74], v[71:72], -v[82:83]
	v_fma_f64 v[69:70], v[73:74], v[67:68], v[69:70]
	v_add_f64 v[84:85], v[82:83], v[69:70]
	v_add_f64 v[86:87], v[80:81], -v[84:85]
	v_add_f64 v[78:79], v[84:85], -v[82:83]
	;; [unrolled: 1-line block ×5, first 2 shown]
	v_add_f64 v[9:10], v[9:10], v[80:81]
	v_add_f64 v[9:10], v[69:70], v[9:10]
	;; [unrolled: 1-line block ×3, first 2 shown]
	v_mul_f64 v[78:79], v[11:12], v[69:70]
	v_add_f64 v[84:85], v[86:87], -v[69:70]
	v_mul_f64 v[80:81], v[71:72], v[78:79]
	v_add_f64 v[9:10], v[9:10], v[84:85]
	v_fma_f64 v[71:72], v[78:79], v[71:72], -v[80:81]
	v_fma_f64 v[67:68], v[78:79], v[67:68], v[71:72]
	v_add_f64 v[71:72], v[80:81], v[67:68]
	v_add_f64 v[82:83], v[69:70], -v[71:72]
	v_add_f64 v[80:81], v[71:72], -v[80:81]
	;; [unrolled: 1-line block ×5, first 2 shown]
	v_add_f64 v[9:10], v[9:10], v[69:70]
	v_add_f64 v[69:70], v[73:74], v[78:79]
	;; [unrolled: 1-line block ×3, first 2 shown]
	v_add_f64 v[67:68], v[69:70], -v[73:74]
	v_add_f64 v[9:10], v[82:83], v[9:10]
	v_add_f64 v[67:68], v[78:79], -v[67:68]
	v_mul_f64 v[9:10], v[11:12], v[9:10]
	v_add_f64 v[9:10], v[67:68], v[9:10]
	v_add_f64 v[11:12], v[69:70], v[9:10]
	v_mul_f64 v[67:68], v[11:12], v[11:12]
	v_fma_f64 v[71:72], v[67:68], s[46:47], s[44:45]
	s_mov_b32 s44, 0xd7f4df2e
	s_mov_b32 s45, 0x3fc7474d
	v_mul_f64 v[73:74], v[11:12], v[67:68]
	v_fma_f64 v[71:72], v[67:68], v[71:72], s[44:45]
	s_mov_b32 s44, 0x16291751
	s_mov_b32 s45, 0x3fcc71c0
	v_fma_f64 v[71:72], v[67:68], v[71:72], s[44:45]
	s_mov_b32 s44, 0x9b27acf1
	s_mov_b32 s45, 0x3fd24924
	;; [unrolled: 3-line block ×3, first 2 shown]
	v_fma_f64 v[71:72], v[67:68], v[71:72], s[44:45]
	v_fma_f64 v[67:68], v[67:68], v[71:72], s[18:19]
	v_ldexp_f64 v[71:72], v[11:12], 1
	v_add_f64 v[11:12], v[11:12], -v[69:70]
	v_cmp_neq_f64_e64 s18, 0x7ff00000, v[5:6]
	v_cmp_ngt_f64_e64 s19, -1.0, v[5:6]
	v_mul_f64 v[67:68], v[73:74], v[67:68]
	v_cvt_f64_i32_e32 v[73:74], v88
	v_add_f64 v[9:10], v[9:10], -v[11:12]
	s_and_b32 s17, s17, s18
	v_add_f64 v[69:70], v[71:72], v[67:68]
	v_mul_f64 v[78:79], v[73:74], s[36:37]
	v_ldexp_f64 v[9:10], v[9:10], 1
	v_add_f64 v[11:12], v[69:70], -v[71:72]
	v_fma_f64 v[71:72], v[73:74], s[36:37], -v[78:79]
	v_add_f64 v[11:12], v[67:68], -v[11:12]
	v_fma_f64 v[67:68], v[73:74], s[38:39], v[71:72]
	v_add_f64 v[9:10], v[9:10], v[11:12]
	v_add_f64 v[11:12], v[78:79], v[67:68]
	;; [unrolled: 1-line block ×3, first 2 shown]
	v_add_f64 v[78:79], v[11:12], -v[78:79]
	v_add_f64 v[73:74], v[11:12], v[71:72]
	v_add_f64 v[69:70], v[71:72], -v[69:70]
	v_add_f64 v[67:68], v[67:68], -v[78:79]
	;; [unrolled: 1-line block ×6, first 2 shown]
	v_add_f64 v[71:72], v[67:68], v[9:10]
	v_add_f64 v[11:12], v[11:12], -v[82:83]
	v_add_f64 v[11:12], v[69:70], v[11:12]
	v_add_f64 v[69:70], v[71:72], -v[67:68]
	;; [unrolled: 2-line block ×3, first 2 shown]
	v_add_f64 v[9:10], v[9:10], -v[69:70]
	v_add_f64 v[78:79], v[73:74], v[11:12]
	v_add_f64 v[67:68], v[67:68], -v[71:72]
	v_add_f64 v[69:70], v[78:79], -v[73:74]
	v_add_f64 v[9:10], v[9:10], v[67:68]
	v_add_f64 v[11:12], v[11:12], -v[69:70]
	v_add_f64 v[9:10], v[9:10], v[11:12]
	v_add_f64 v[9:10], v[78:79], v[9:10]
	v_cndmask_b32_e64 v9, 0, v9, s17
	v_cmp_neq_f64_e64 s17, -1.0, v[5:6]
	v_cndmask_b32_e64 v10, 0x7ff00000, v10, s18
	v_cndmask_b32_e64 v10, 0x7ff80000, v10, s19
	;; [unrolled: 1-line block ×3, first 2 shown]
	v_add_f64 v[5:6], v[7:8], v[9:10]
.LBB74_98:
	s_or_b32 exec_lo, exec_lo, s43
.LBB74_99:
	s_or_b32 exec_lo, exec_lo, s42
	v_sub_co_u32 v7, s17, v77, 1
	v_cmp_gt_i32_e64 s18, 0, v7
	v_cndmask_b32_e64 v7, v7, v77, s18
	v_lshlrev_b32_e32 v7, 2, v7
	ds_bpermute_b32 v78, v7, v5
	ds_bpermute_b32 v79, v7, v6
	s_and_saveexec_b32 s86, vcc_lo
	s_cbranch_execz .LBB74_163
; %bb.100:
	v_mov_b32_e32 v8, 0
	ds_read_b64 v[5:6], v8 offset:24
	s_and_saveexec_b32 s18, s17
	s_cbranch_execz .LBB74_102
; %bb.101:
	s_add_i32 s36, s85, 32
	s_mov_b32 s37, 0
	v_mov_b32_e32 v7, 1
	s_lshl_b64 s[36:37], s[36:37], 4
	s_add_u32 s36, s28, s36
	s_addc_u32 s37, s29, s37
	v_mov_b32_e32 v9, s36
	v_mov_b32_e32 v10, s37
	s_waitcnt lgkmcnt(0)
	;;#ASMSTART
	global_store_dwordx4 v[9:10], v[5:8] off	
s_waitcnt vmcnt(0)
	;;#ASMEND
.LBB74_102:
	s_or_b32 exec_lo, exec_lo, s18
	v_xad_u32 v67, v77, -1, s85
	s_mov_b32 s19, 0
	v_add_nc_u32_e32 v7, 32, v67
	v_lshlrev_b64 v[9:10], 4, v[7:8]
	v_add_co_u32 v68, vcc_lo, s28, v9
	v_add_co_ci_u32_e64 v69, null, s29, v10, vcc_lo
	;;#ASMSTART
	global_load_dwordx4 v[9:12], v[68:69] off glc dlc	
s_waitcnt vmcnt(0)
	;;#ASMEND
	v_cmp_eq_u16_sdwa s36, v11, v8 src0_sel:BYTE_0 src1_sel:DWORD
	s_and_saveexec_b32 s18, s36
	s_cbranch_execz .LBB74_106
; %bb.103:
	v_mov_b32_e32 v7, 0
.LBB74_104:                             ; =>This Inner Loop Header: Depth=1
	;;#ASMSTART
	global_load_dwordx4 v[9:12], v[68:69] off glc dlc	
s_waitcnt vmcnt(0)
	;;#ASMEND
	v_cmp_ne_u16_sdwa s36, v11, v7 src0_sel:BYTE_0 src1_sel:DWORD
	s_or_b32 s19, s36, s19
	s_andn2_b32 exec_lo, exec_lo, s19
	s_cbranch_execnz .LBB74_104
; %bb.105:
	s_or_b32 exec_lo, exec_lo, s19
.LBB74_106:
	s_or_b32 exec_lo, exec_lo, s18
	v_cmp_ne_u32_e32 vcc_lo, 31, v77
	v_mov_b32_e32 v8, 2
	v_lshlrev_b32_e64 v81, v77, -1
	s_mov_b32 s42, exec_lo
	v_add_co_ci_u32_e64 v7, null, 0, v77, vcc_lo
	v_cmp_eq_u16_sdwa s18, v11, v8 src0_sel:BYTE_0 src1_sel:DWORD
	v_lshlrev_b32_e32 v80, 2, v7
	v_and_or_b32 v7, s18, v81, 0x80000000
	ds_bpermute_b32 v68, v80, v9
	ds_bpermute_b32 v69, v80, v10
	v_ffbl_b32_e32 v12, v7
	v_mov_b32_e32 v7, v9
	v_mov_b32_e32 v8, v10
	v_cmpx_lt_u32_e64 v77, v12
	s_cbranch_execz .LBB74_110
; %bb.107:
	s_waitcnt lgkmcnt(0)
	v_max_f64 v[7:8], v[68:69], v[68:69]
	v_max_f64 v[70:71], v[9:10], v[9:10]
	v_cmp_u_f64_e32 vcc_lo, v[68:69], v[68:69]
	v_cmp_u_f64_e64 s18, v[9:10], v[9:10]
	v_min_f64 v[72:73], v[7:8], v[70:71]
	v_max_f64 v[7:8], v[7:8], v[70:71]
	v_cndmask_b32_e32 v70, v73, v69, vcc_lo
	v_cndmask_b32_e32 v72, v72, v68, vcc_lo
	;; [unrolled: 1-line block ×4, first 2 shown]
	v_cndmask_b32_e64 v71, v70, v10, s18
	v_cndmask_b32_e64 v70, v72, v9, s18
	;; [unrolled: 1-line block ×4, first 2 shown]
	v_cmp_class_f64_e64 s18, v[70:71], 0x1f8
	v_cmp_neq_f64_e32 vcc_lo, v[70:71], v[7:8]
	s_or_b32 s18, vcc_lo, s18
	s_and_saveexec_b32 s43, s18
	s_cbranch_execz .LBB74_109
; %bb.108:
	v_add_f64 v[9:10], v[70:71], -v[7:8]
	s_mov_b32 s18, 0x652b82fe
	s_mov_b32 s19, 0x3ff71547
	;; [unrolled: 1-line block ×10, first 2 shown]
	v_mul_f64 v[68:69], v[9:10], s[18:19]
	s_mov_b32 s18, 0xfca7ab0c
	s_mov_b32 s19, 0x3e928af3
	v_cmp_nlt_f64_e32 vcc_lo, 0x40900000, v[9:10]
	v_rndne_f64_e32 v[68:69], v[68:69]
	v_fma_f64 v[70:71], v[68:69], s[36:37], v[9:10]
	v_cvt_i32_f64_e32 v74, v[68:69]
	s_mov_b32 s37, 0x3fe62e42
	v_fma_f64 v[70:71], v[68:69], s[38:39], v[70:71]
	s_mov_b32 s39, 0x3c7abc9e
	v_fma_f64 v[72:73], v[70:71], s[44:45], s[18:19]
	s_mov_b32 s18, 0x623fde64
	s_mov_b32 s19, 0x3ec71dee
	;; [unrolled: 1-line block ×4, first 2 shown]
	v_fma_f64 v[72:73], v[70:71], v[72:73], s[18:19]
	s_mov_b32 s18, 0x7c89e6b0
	s_mov_b32 s19, 0x3efa0199
	v_fma_f64 v[72:73], v[70:71], v[72:73], s[18:19]
	s_mov_b32 s18, 0x14761f6e
	s_mov_b32 s19, 0x3f2a01a0
	;; [unrolled: 3-line block ×7, first 2 shown]
	v_fma_f64 v[72:73], v[70:71], v[72:73], s[18:19]
	v_cmp_ngt_f64_e64 s18, 0xc090cc00, v[9:10]
	s_mov_b32 s19, 0x3fe55555
	v_fma_f64 v[72:73], v[70:71], v[72:73], 1.0
	v_fma_f64 v[68:69], v[70:71], v[72:73], 1.0
	v_ldexp_f64 v[68:69], v[68:69], v74
	v_cndmask_b32_e32 v69, 0x7ff00000, v69, vcc_lo
	s_and_b32 vcc_lo, s18, vcc_lo
	v_cndmask_b32_e32 v9, 0, v68, vcc_lo
	v_cndmask_b32_e64 v10, 0, v69, s18
	s_mov_b32 s18, 0x55555555
	v_add_f64 v[68:69], v[9:10], 1.0
	v_frexp_mant_f64_e32 v[70:71], v[68:69]
	v_frexp_exp_i32_f64_e32 v74, v[68:69]
	v_add_f64 v[72:73], v[68:69], -1.0
	v_cmp_gt_f64_e32 vcc_lo, s[18:19], v[70:71]
	s_mov_b32 s18, 0x55555780
	v_add_f64 v[70:71], v[72:73], -v[68:69]
	v_add_f64 v[72:73], v[9:10], -v[72:73]
	v_subrev_co_ci_u32_e64 v74, null, 0, v74, vcc_lo
	v_add_f64 v[70:71], v[70:71], 1.0
	v_cmp_nge_f64_e32 vcc_lo, -1.0, v[9:10]
	v_sub_nc_u32_e32 v84, 0, v74
	v_ldexp_f64 v[68:69], v[68:69], v84
	v_add_f64 v[70:71], v[72:73], v[70:71]
	v_add_f64 v[82:83], v[68:69], 1.0
	v_add_f64 v[88:89], v[68:69], -1.0
	v_ldexp_f64 v[70:71], v[70:71], v84
	v_add_f64 v[72:73], v[82:83], -1.0
	v_add_f64 v[90:91], v[88:89], 1.0
	v_add_f64 v[72:73], v[68:69], -v[72:73]
	v_add_f64 v[68:69], v[68:69], -v[90:91]
	v_add_f64 v[72:73], v[70:71], v[72:73]
	v_add_f64 v[68:69], v[70:71], v[68:69]
	v_add_f64 v[84:85], v[82:83], v[72:73]
	v_add_f64 v[90:91], v[88:89], v[68:69]
	v_rcp_f64_e32 v[86:87], v[84:85]
	v_add_f64 v[82:83], v[84:85], -v[82:83]
	v_add_f64 v[88:89], v[90:91], -v[88:89]
	;; [unrolled: 1-line block ×3, first 2 shown]
	v_fma_f64 v[92:93], -v[84:85], v[86:87], 1.0
	v_add_f64 v[68:69], v[68:69], -v[88:89]
	v_fma_f64 v[86:87], v[92:93], v[86:87], v[86:87]
	v_fma_f64 v[70:71], -v[84:85], v[86:87], 1.0
	v_fma_f64 v[70:71], v[70:71], v[86:87], v[86:87]
	v_mul_f64 v[86:87], v[90:91], v[70:71]
	v_mul_f64 v[92:93], v[84:85], v[86:87]
	v_fma_f64 v[82:83], v[86:87], v[84:85], -v[92:93]
	v_fma_f64 v[82:83], v[86:87], v[72:73], v[82:83]
	v_add_f64 v[94:95], v[92:93], v[82:83]
	v_add_f64 v[96:97], v[90:91], -v[94:95]
	v_add_f64 v[88:89], v[94:95], -v[92:93]
	;; [unrolled: 1-line block ×5, first 2 shown]
	v_add_f64 v[68:69], v[68:69], v[90:91]
	v_add_f64 v[68:69], v[82:83], v[68:69]
	;; [unrolled: 1-line block ×3, first 2 shown]
	v_mul_f64 v[88:89], v[70:71], v[82:83]
	v_add_f64 v[94:95], v[96:97], -v[82:83]
	v_mul_f64 v[90:91], v[84:85], v[88:89]
	v_add_f64 v[68:69], v[68:69], v[94:95]
	v_fma_f64 v[84:85], v[88:89], v[84:85], -v[90:91]
	v_fma_f64 v[72:73], v[88:89], v[72:73], v[84:85]
	v_add_f64 v[84:85], v[90:91], v[72:73]
	v_add_f64 v[92:93], v[82:83], -v[84:85]
	v_add_f64 v[90:91], v[84:85], -v[90:91]
	v_add_f64 v[82:83], v[82:83], -v[92:93]
	v_add_f64 v[72:73], v[90:91], -v[72:73]
	v_add_f64 v[82:83], v[82:83], -v[84:85]
	v_add_f64 v[68:69], v[68:69], v[82:83]
	v_add_f64 v[82:83], v[86:87], v[88:89]
	;; [unrolled: 1-line block ×3, first 2 shown]
	v_add_f64 v[72:73], v[82:83], -v[86:87]
	v_add_f64 v[68:69], v[92:93], v[68:69]
	v_add_f64 v[72:73], v[88:89], -v[72:73]
	v_mul_f64 v[68:69], v[70:71], v[68:69]
	v_add_f64 v[68:69], v[72:73], v[68:69]
	v_add_f64 v[70:71], v[82:83], v[68:69]
	v_mul_f64 v[72:73], v[70:71], v[70:71]
	v_fma_f64 v[84:85], v[72:73], s[46:47], s[44:45]
	s_mov_b32 s44, 0xd7f4df2e
	s_mov_b32 s45, 0x3fc7474d
	v_mul_f64 v[86:87], v[70:71], v[72:73]
	v_fma_f64 v[84:85], v[72:73], v[84:85], s[44:45]
	s_mov_b32 s44, 0x16291751
	s_mov_b32 s45, 0x3fcc71c0
	v_fma_f64 v[84:85], v[72:73], v[84:85], s[44:45]
	s_mov_b32 s44, 0x9b27acf1
	s_mov_b32 s45, 0x3fd24924
	;; [unrolled: 3-line block ×3, first 2 shown]
	v_fma_f64 v[84:85], v[72:73], v[84:85], s[44:45]
	v_fma_f64 v[72:73], v[72:73], v[84:85], s[18:19]
	v_ldexp_f64 v[84:85], v[70:71], 1
	v_add_f64 v[70:71], v[70:71], -v[82:83]
	v_cmp_neq_f64_e64 s18, 0x7ff00000, v[9:10]
	v_cmp_ngt_f64_e64 s19, -1.0, v[9:10]
	v_mul_f64 v[72:73], v[86:87], v[72:73]
	v_cvt_f64_i32_e32 v[86:87], v74
	v_add_f64 v[68:69], v[68:69], -v[70:71]
	s_and_b32 vcc_lo, vcc_lo, s18
	v_add_f64 v[82:83], v[84:85], v[72:73]
	v_mul_f64 v[88:89], v[86:87], s[36:37]
	v_ldexp_f64 v[68:69], v[68:69], 1
	v_add_f64 v[70:71], v[82:83], -v[84:85]
	v_fma_f64 v[84:85], v[86:87], s[36:37], -v[88:89]
	v_add_f64 v[70:71], v[72:73], -v[70:71]
	v_fma_f64 v[72:73], v[86:87], s[38:39], v[84:85]
	v_add_f64 v[68:69], v[68:69], v[70:71]
	v_add_f64 v[70:71], v[88:89], v[72:73]
	;; [unrolled: 1-line block ×3, first 2 shown]
	v_add_f64 v[88:89], v[70:71], -v[88:89]
	v_add_f64 v[86:87], v[70:71], v[84:85]
	v_add_f64 v[82:83], v[84:85], -v[82:83]
	v_add_f64 v[72:73], v[72:73], -v[88:89]
	;; [unrolled: 1-line block ×6, first 2 shown]
	v_add_f64 v[84:85], v[72:73], v[68:69]
	v_add_f64 v[70:71], v[70:71], -v[92:93]
	v_add_f64 v[70:71], v[82:83], v[70:71]
	v_add_f64 v[82:83], v[84:85], -v[72:73]
	;; [unrolled: 2-line block ×3, first 2 shown]
	v_add_f64 v[68:69], v[68:69], -v[82:83]
	v_add_f64 v[88:89], v[86:87], v[70:71]
	v_add_f64 v[72:73], v[72:73], -v[84:85]
	v_add_f64 v[82:83], v[88:89], -v[86:87]
	v_add_f64 v[68:69], v[68:69], v[72:73]
	v_add_f64 v[70:71], v[70:71], -v[82:83]
	v_add_f64 v[68:69], v[68:69], v[70:71]
	v_add_f64 v[68:69], v[88:89], v[68:69]
	v_cndmask_b32_e32 v68, 0, v68, vcc_lo
	v_cmp_neq_f64_e32 vcc_lo, -1.0, v[9:10]
	v_cndmask_b32_e64 v69, 0x7ff00000, v69, s18
	v_cndmask_b32_e64 v69, 0x7ff80000, v69, s19
	v_cndmask_b32_e32 v69, 0xfff00000, v69, vcc_lo
	v_add_f64 v[68:69], v[7:8], v[68:69]
.LBB74_109:
	s_or_b32 exec_lo, exec_lo, s43
	v_mov_b32_e32 v7, v68
	v_mov_b32_e32 v9, v68
	;; [unrolled: 1-line block ×4, first 2 shown]
.LBB74_110:
	s_or_b32 exec_lo, exec_lo, s42
	v_cmp_gt_u32_e32 vcc_lo, 30, v77
	v_add_nc_u32_e32 v83, 2, v77
	s_mov_b32 s42, exec_lo
	s_waitcnt lgkmcnt(1)
	v_cndmask_b32_e64 v68, 0, 2, vcc_lo
	v_add_lshl_u32 v82, v68, v77, 2
	ds_bpermute_b32 v68, v82, v9
	s_waitcnt lgkmcnt(1)
	ds_bpermute_b32 v69, v82, v10
	v_cmpx_le_u32_e64 v83, v12
	s_cbranch_execz .LBB74_114
; %bb.111:
	s_waitcnt lgkmcnt(0)
	v_max_f64 v[9:10], v[68:69], v[68:69]
	v_max_f64 v[70:71], v[7:8], v[7:8]
	v_cmp_u_f64_e32 vcc_lo, v[68:69], v[68:69]
	v_cmp_u_f64_e64 s18, v[7:8], v[7:8]
	v_min_f64 v[72:73], v[9:10], v[70:71]
	v_max_f64 v[9:10], v[9:10], v[70:71]
	v_cndmask_b32_e32 v70, v73, v69, vcc_lo
	v_cndmask_b32_e32 v71, v72, v68, vcc_lo
	;; [unrolled: 1-line block ×4, first 2 shown]
	v_cndmask_b32_e64 v10, v70, v8, s18
	v_cndmask_b32_e64 v9, v71, v7, s18
	;; [unrolled: 1-line block ×4, first 2 shown]
	v_cmp_class_f64_e64 s18, v[9:10], 0x1f8
	v_cmp_neq_f64_e32 vcc_lo, v[9:10], v[7:8]
	s_or_b32 s18, vcc_lo, s18
	s_and_saveexec_b32 s43, s18
	s_cbranch_execz .LBB74_113
; %bb.112:
	v_add_f64 v[9:10], v[9:10], -v[7:8]
	s_mov_b32 s18, 0x652b82fe
	s_mov_b32 s19, 0x3ff71547
	;; [unrolled: 1-line block ×10, first 2 shown]
	v_mul_f64 v[68:69], v[9:10], s[18:19]
	s_mov_b32 s18, 0xfca7ab0c
	s_mov_b32 s19, 0x3e928af3
	v_cmp_nlt_f64_e32 vcc_lo, 0x40900000, v[9:10]
	v_rndne_f64_e32 v[68:69], v[68:69]
	v_fma_f64 v[70:71], v[68:69], s[36:37], v[9:10]
	v_cvt_i32_f64_e32 v74, v[68:69]
	s_mov_b32 s37, 0x3fe62e42
	v_fma_f64 v[70:71], v[68:69], s[38:39], v[70:71]
	s_mov_b32 s39, 0x3c7abc9e
	v_fma_f64 v[72:73], v[70:71], s[44:45], s[18:19]
	s_mov_b32 s18, 0x623fde64
	s_mov_b32 s19, 0x3ec71dee
	;; [unrolled: 1-line block ×4, first 2 shown]
	v_fma_f64 v[72:73], v[70:71], v[72:73], s[18:19]
	s_mov_b32 s18, 0x7c89e6b0
	s_mov_b32 s19, 0x3efa0199
	v_fma_f64 v[72:73], v[70:71], v[72:73], s[18:19]
	s_mov_b32 s18, 0x14761f6e
	s_mov_b32 s19, 0x3f2a01a0
	;; [unrolled: 3-line block ×7, first 2 shown]
	v_fma_f64 v[72:73], v[70:71], v[72:73], s[18:19]
	v_cmp_ngt_f64_e64 s18, 0xc090cc00, v[9:10]
	s_mov_b32 s19, 0x3fe55555
	v_fma_f64 v[72:73], v[70:71], v[72:73], 1.0
	v_fma_f64 v[68:69], v[70:71], v[72:73], 1.0
	v_ldexp_f64 v[68:69], v[68:69], v74
	v_cndmask_b32_e32 v69, 0x7ff00000, v69, vcc_lo
	s_and_b32 vcc_lo, s18, vcc_lo
	v_cndmask_b32_e32 v9, 0, v68, vcc_lo
	v_cndmask_b32_e64 v10, 0, v69, s18
	s_mov_b32 s18, 0x55555555
	v_add_f64 v[68:69], v[9:10], 1.0
	v_frexp_mant_f64_e32 v[70:71], v[68:69]
	v_frexp_exp_i32_f64_e32 v74, v[68:69]
	v_add_f64 v[72:73], v[68:69], -1.0
	v_cmp_gt_f64_e32 vcc_lo, s[18:19], v[70:71]
	s_mov_b32 s18, 0x55555780
	v_add_f64 v[70:71], v[72:73], -v[68:69]
	v_add_f64 v[72:73], v[9:10], -v[72:73]
	v_subrev_co_ci_u32_e64 v74, null, 0, v74, vcc_lo
	v_add_f64 v[70:71], v[70:71], 1.0
	v_cmp_nge_f64_e32 vcc_lo, -1.0, v[9:10]
	v_sub_nc_u32_e32 v86, 0, v74
	v_ldexp_f64 v[68:69], v[68:69], v86
	v_add_f64 v[70:71], v[72:73], v[70:71]
	v_add_f64 v[84:85], v[68:69], 1.0
	v_add_f64 v[90:91], v[68:69], -1.0
	v_ldexp_f64 v[70:71], v[70:71], v86
	v_add_f64 v[72:73], v[84:85], -1.0
	v_add_f64 v[92:93], v[90:91], 1.0
	v_add_f64 v[72:73], v[68:69], -v[72:73]
	v_add_f64 v[68:69], v[68:69], -v[92:93]
	v_add_f64 v[72:73], v[70:71], v[72:73]
	v_add_f64 v[68:69], v[70:71], v[68:69]
	;; [unrolled: 1-line block ×4, first 2 shown]
	v_rcp_f64_e32 v[88:89], v[86:87]
	v_add_f64 v[84:85], v[86:87], -v[84:85]
	v_add_f64 v[90:91], v[92:93], -v[90:91]
	;; [unrolled: 1-line block ×3, first 2 shown]
	v_fma_f64 v[94:95], -v[86:87], v[88:89], 1.0
	v_add_f64 v[68:69], v[68:69], -v[90:91]
	v_fma_f64 v[88:89], v[94:95], v[88:89], v[88:89]
	v_fma_f64 v[70:71], -v[86:87], v[88:89], 1.0
	v_fma_f64 v[70:71], v[70:71], v[88:89], v[88:89]
	v_mul_f64 v[88:89], v[92:93], v[70:71]
	v_mul_f64 v[94:95], v[86:87], v[88:89]
	v_fma_f64 v[84:85], v[88:89], v[86:87], -v[94:95]
	v_fma_f64 v[84:85], v[88:89], v[72:73], v[84:85]
	v_add_f64 v[96:97], v[94:95], v[84:85]
	v_add_f64 v[98:99], v[92:93], -v[96:97]
	v_add_f64 v[90:91], v[96:97], -v[94:95]
	;; [unrolled: 1-line block ×5, first 2 shown]
	v_add_f64 v[68:69], v[68:69], v[92:93]
	v_add_f64 v[68:69], v[84:85], v[68:69]
	;; [unrolled: 1-line block ×3, first 2 shown]
	v_mul_f64 v[90:91], v[70:71], v[84:85]
	v_add_f64 v[96:97], v[98:99], -v[84:85]
	v_mul_f64 v[92:93], v[86:87], v[90:91]
	v_add_f64 v[68:69], v[68:69], v[96:97]
	v_fma_f64 v[86:87], v[90:91], v[86:87], -v[92:93]
	v_fma_f64 v[72:73], v[90:91], v[72:73], v[86:87]
	v_add_f64 v[86:87], v[92:93], v[72:73]
	v_add_f64 v[94:95], v[84:85], -v[86:87]
	v_add_f64 v[92:93], v[86:87], -v[92:93]
	v_add_f64 v[84:85], v[84:85], -v[94:95]
	v_add_f64 v[72:73], v[92:93], -v[72:73]
	v_add_f64 v[84:85], v[84:85], -v[86:87]
	v_add_f64 v[68:69], v[68:69], v[84:85]
	v_add_f64 v[84:85], v[88:89], v[90:91]
	;; [unrolled: 1-line block ×3, first 2 shown]
	v_add_f64 v[72:73], v[84:85], -v[88:89]
	v_add_f64 v[68:69], v[94:95], v[68:69]
	v_add_f64 v[72:73], v[90:91], -v[72:73]
	v_mul_f64 v[68:69], v[70:71], v[68:69]
	v_add_f64 v[68:69], v[72:73], v[68:69]
	v_add_f64 v[70:71], v[84:85], v[68:69]
	v_mul_f64 v[72:73], v[70:71], v[70:71]
	v_fma_f64 v[86:87], v[72:73], s[46:47], s[44:45]
	s_mov_b32 s44, 0xd7f4df2e
	s_mov_b32 s45, 0x3fc7474d
	v_mul_f64 v[88:89], v[70:71], v[72:73]
	v_fma_f64 v[86:87], v[72:73], v[86:87], s[44:45]
	s_mov_b32 s44, 0x16291751
	s_mov_b32 s45, 0x3fcc71c0
	v_fma_f64 v[86:87], v[72:73], v[86:87], s[44:45]
	s_mov_b32 s44, 0x9b27acf1
	s_mov_b32 s45, 0x3fd24924
	;; [unrolled: 3-line block ×3, first 2 shown]
	v_fma_f64 v[86:87], v[72:73], v[86:87], s[44:45]
	v_fma_f64 v[72:73], v[72:73], v[86:87], s[18:19]
	v_ldexp_f64 v[86:87], v[70:71], 1
	v_add_f64 v[70:71], v[70:71], -v[84:85]
	v_cmp_neq_f64_e64 s18, 0x7ff00000, v[9:10]
	v_cmp_ngt_f64_e64 s19, -1.0, v[9:10]
	v_mul_f64 v[72:73], v[88:89], v[72:73]
	v_cvt_f64_i32_e32 v[88:89], v74
	v_add_f64 v[68:69], v[68:69], -v[70:71]
	s_and_b32 vcc_lo, vcc_lo, s18
	v_add_f64 v[84:85], v[86:87], v[72:73]
	v_mul_f64 v[90:91], v[88:89], s[36:37]
	v_ldexp_f64 v[68:69], v[68:69], 1
	v_add_f64 v[70:71], v[84:85], -v[86:87]
	v_fma_f64 v[86:87], v[88:89], s[36:37], -v[90:91]
	v_add_f64 v[70:71], v[72:73], -v[70:71]
	v_fma_f64 v[72:73], v[88:89], s[38:39], v[86:87]
	v_add_f64 v[68:69], v[68:69], v[70:71]
	v_add_f64 v[70:71], v[90:91], v[72:73]
	;; [unrolled: 1-line block ×3, first 2 shown]
	v_add_f64 v[90:91], v[70:71], -v[90:91]
	v_add_f64 v[88:89], v[70:71], v[86:87]
	v_add_f64 v[84:85], v[86:87], -v[84:85]
	v_add_f64 v[72:73], v[72:73], -v[90:91]
	;; [unrolled: 1-line block ×6, first 2 shown]
	v_add_f64 v[86:87], v[72:73], v[68:69]
	v_add_f64 v[70:71], v[70:71], -v[94:95]
	v_add_f64 v[70:71], v[84:85], v[70:71]
	v_add_f64 v[84:85], v[86:87], -v[72:73]
	;; [unrolled: 2-line block ×3, first 2 shown]
	v_add_f64 v[68:69], v[68:69], -v[84:85]
	v_add_f64 v[90:91], v[88:89], v[70:71]
	v_add_f64 v[72:73], v[72:73], -v[86:87]
	v_add_f64 v[84:85], v[90:91], -v[88:89]
	v_add_f64 v[68:69], v[68:69], v[72:73]
	v_add_f64 v[70:71], v[70:71], -v[84:85]
	v_add_f64 v[68:69], v[68:69], v[70:71]
	v_add_f64 v[68:69], v[90:91], v[68:69]
	v_cndmask_b32_e32 v68, 0, v68, vcc_lo
	v_cmp_neq_f64_e32 vcc_lo, -1.0, v[9:10]
	v_cndmask_b32_e64 v69, 0x7ff00000, v69, s18
	v_cndmask_b32_e64 v69, 0x7ff80000, v69, s19
	v_cndmask_b32_e32 v69, 0xfff00000, v69, vcc_lo
	v_add_f64 v[68:69], v[7:8], v[68:69]
.LBB74_113:
	s_or_b32 exec_lo, exec_lo, s43
	v_mov_b32_e32 v7, v68
	v_mov_b32_e32 v9, v68
	;; [unrolled: 1-line block ×4, first 2 shown]
.LBB74_114:
	s_or_b32 exec_lo, exec_lo, s42
	v_cmp_gt_u32_e32 vcc_lo, 28, v77
	v_add_nc_u32_e32 v85, 4, v77
	s_mov_b32 s42, exec_lo
	s_waitcnt lgkmcnt(1)
	v_cndmask_b32_e64 v68, 0, 4, vcc_lo
	v_add_lshl_u32 v84, v68, v77, 2
	ds_bpermute_b32 v68, v84, v9
	s_waitcnt lgkmcnt(1)
	ds_bpermute_b32 v69, v84, v10
	v_cmpx_le_u32_e64 v85, v12
	s_cbranch_execz .LBB74_118
; %bb.115:
	s_waitcnt lgkmcnt(0)
	v_max_f64 v[9:10], v[68:69], v[68:69]
	v_max_f64 v[70:71], v[7:8], v[7:8]
	v_cmp_u_f64_e32 vcc_lo, v[68:69], v[68:69]
	v_cmp_u_f64_e64 s18, v[7:8], v[7:8]
	v_min_f64 v[72:73], v[9:10], v[70:71]
	v_max_f64 v[9:10], v[9:10], v[70:71]
	v_cndmask_b32_e32 v70, v73, v69, vcc_lo
	v_cndmask_b32_e32 v71, v72, v68, vcc_lo
	v_cndmask_b32_e32 v72, v10, v69, vcc_lo
	v_cndmask_b32_e32 v73, v9, v68, vcc_lo
	v_cndmask_b32_e64 v10, v70, v8, s18
	v_cndmask_b32_e64 v9, v71, v7, s18
	;; [unrolled: 1-line block ×4, first 2 shown]
	v_cmp_class_f64_e64 s18, v[9:10], 0x1f8
	v_cmp_neq_f64_e32 vcc_lo, v[9:10], v[7:8]
	s_or_b32 s18, vcc_lo, s18
	s_and_saveexec_b32 s43, s18
	s_cbranch_execz .LBB74_117
; %bb.116:
	v_add_f64 v[9:10], v[9:10], -v[7:8]
	s_mov_b32 s18, 0x652b82fe
	s_mov_b32 s19, 0x3ff71547
	;; [unrolled: 1-line block ×10, first 2 shown]
	v_mul_f64 v[68:69], v[9:10], s[18:19]
	s_mov_b32 s18, 0xfca7ab0c
	s_mov_b32 s19, 0x3e928af3
	v_cmp_nlt_f64_e32 vcc_lo, 0x40900000, v[9:10]
	v_rndne_f64_e32 v[68:69], v[68:69]
	v_fma_f64 v[70:71], v[68:69], s[36:37], v[9:10]
	v_cvt_i32_f64_e32 v74, v[68:69]
	s_mov_b32 s37, 0x3fe62e42
	v_fma_f64 v[70:71], v[68:69], s[38:39], v[70:71]
	s_mov_b32 s39, 0x3c7abc9e
	v_fma_f64 v[72:73], v[70:71], s[44:45], s[18:19]
	s_mov_b32 s18, 0x623fde64
	s_mov_b32 s19, 0x3ec71dee
	;; [unrolled: 1-line block ×4, first 2 shown]
	v_fma_f64 v[72:73], v[70:71], v[72:73], s[18:19]
	s_mov_b32 s18, 0x7c89e6b0
	s_mov_b32 s19, 0x3efa0199
	v_fma_f64 v[72:73], v[70:71], v[72:73], s[18:19]
	s_mov_b32 s18, 0x14761f6e
	s_mov_b32 s19, 0x3f2a01a0
	;; [unrolled: 3-line block ×7, first 2 shown]
	v_fma_f64 v[72:73], v[70:71], v[72:73], s[18:19]
	v_cmp_ngt_f64_e64 s18, 0xc090cc00, v[9:10]
	s_mov_b32 s19, 0x3fe55555
	v_fma_f64 v[72:73], v[70:71], v[72:73], 1.0
	v_fma_f64 v[68:69], v[70:71], v[72:73], 1.0
	v_ldexp_f64 v[68:69], v[68:69], v74
	v_cndmask_b32_e32 v69, 0x7ff00000, v69, vcc_lo
	s_and_b32 vcc_lo, s18, vcc_lo
	v_cndmask_b32_e32 v9, 0, v68, vcc_lo
	v_cndmask_b32_e64 v10, 0, v69, s18
	s_mov_b32 s18, 0x55555555
	v_add_f64 v[68:69], v[9:10], 1.0
	v_frexp_mant_f64_e32 v[70:71], v[68:69]
	v_frexp_exp_i32_f64_e32 v74, v[68:69]
	v_add_f64 v[72:73], v[68:69], -1.0
	v_cmp_gt_f64_e32 vcc_lo, s[18:19], v[70:71]
	s_mov_b32 s18, 0x55555780
	v_add_f64 v[70:71], v[72:73], -v[68:69]
	v_add_f64 v[72:73], v[9:10], -v[72:73]
	v_subrev_co_ci_u32_e64 v74, null, 0, v74, vcc_lo
	v_add_f64 v[70:71], v[70:71], 1.0
	v_cmp_nge_f64_e32 vcc_lo, -1.0, v[9:10]
	v_sub_nc_u32_e32 v88, 0, v74
	v_ldexp_f64 v[68:69], v[68:69], v88
	v_add_f64 v[70:71], v[72:73], v[70:71]
	v_add_f64 v[86:87], v[68:69], 1.0
	v_add_f64 v[92:93], v[68:69], -1.0
	v_ldexp_f64 v[70:71], v[70:71], v88
	v_add_f64 v[72:73], v[86:87], -1.0
	v_add_f64 v[94:95], v[92:93], 1.0
	v_add_f64 v[72:73], v[68:69], -v[72:73]
	v_add_f64 v[68:69], v[68:69], -v[94:95]
	v_add_f64 v[72:73], v[70:71], v[72:73]
	v_add_f64 v[68:69], v[70:71], v[68:69]
	;; [unrolled: 1-line block ×4, first 2 shown]
	v_rcp_f64_e32 v[90:91], v[88:89]
	v_add_f64 v[86:87], v[88:89], -v[86:87]
	v_add_f64 v[92:93], v[94:95], -v[92:93]
	;; [unrolled: 1-line block ×3, first 2 shown]
	v_fma_f64 v[96:97], -v[88:89], v[90:91], 1.0
	v_add_f64 v[68:69], v[68:69], -v[92:93]
	v_fma_f64 v[90:91], v[96:97], v[90:91], v[90:91]
	v_fma_f64 v[70:71], -v[88:89], v[90:91], 1.0
	v_fma_f64 v[70:71], v[70:71], v[90:91], v[90:91]
	v_mul_f64 v[90:91], v[94:95], v[70:71]
	v_mul_f64 v[96:97], v[88:89], v[90:91]
	v_fma_f64 v[86:87], v[90:91], v[88:89], -v[96:97]
	v_fma_f64 v[86:87], v[90:91], v[72:73], v[86:87]
	v_add_f64 v[98:99], v[96:97], v[86:87]
	v_add_f64 v[100:101], v[94:95], -v[98:99]
	v_add_f64 v[92:93], v[98:99], -v[96:97]
	;; [unrolled: 1-line block ×5, first 2 shown]
	v_add_f64 v[68:69], v[68:69], v[94:95]
	v_add_f64 v[68:69], v[86:87], v[68:69]
	;; [unrolled: 1-line block ×3, first 2 shown]
	v_mul_f64 v[92:93], v[70:71], v[86:87]
	v_add_f64 v[98:99], v[100:101], -v[86:87]
	v_mul_f64 v[94:95], v[88:89], v[92:93]
	v_add_f64 v[68:69], v[68:69], v[98:99]
	v_fma_f64 v[88:89], v[92:93], v[88:89], -v[94:95]
	v_fma_f64 v[72:73], v[92:93], v[72:73], v[88:89]
	v_add_f64 v[88:89], v[94:95], v[72:73]
	v_add_f64 v[96:97], v[86:87], -v[88:89]
	v_add_f64 v[94:95], v[88:89], -v[94:95]
	;; [unrolled: 1-line block ×5, first 2 shown]
	v_add_f64 v[68:69], v[68:69], v[86:87]
	v_add_f64 v[86:87], v[90:91], v[92:93]
	v_add_f64 v[68:69], v[72:73], v[68:69]
	v_add_f64 v[72:73], v[86:87], -v[90:91]
	v_add_f64 v[68:69], v[96:97], v[68:69]
	v_add_f64 v[72:73], v[92:93], -v[72:73]
	v_mul_f64 v[68:69], v[70:71], v[68:69]
	v_add_f64 v[68:69], v[72:73], v[68:69]
	v_add_f64 v[70:71], v[86:87], v[68:69]
	v_mul_f64 v[72:73], v[70:71], v[70:71]
	v_fma_f64 v[88:89], v[72:73], s[46:47], s[44:45]
	s_mov_b32 s44, 0xd7f4df2e
	s_mov_b32 s45, 0x3fc7474d
	v_mul_f64 v[90:91], v[70:71], v[72:73]
	v_fma_f64 v[88:89], v[72:73], v[88:89], s[44:45]
	s_mov_b32 s44, 0x16291751
	s_mov_b32 s45, 0x3fcc71c0
	v_fma_f64 v[88:89], v[72:73], v[88:89], s[44:45]
	s_mov_b32 s44, 0x9b27acf1
	s_mov_b32 s45, 0x3fd24924
	;; [unrolled: 3-line block ×3, first 2 shown]
	v_fma_f64 v[88:89], v[72:73], v[88:89], s[44:45]
	v_fma_f64 v[72:73], v[72:73], v[88:89], s[18:19]
	v_ldexp_f64 v[88:89], v[70:71], 1
	v_add_f64 v[70:71], v[70:71], -v[86:87]
	v_cmp_neq_f64_e64 s18, 0x7ff00000, v[9:10]
	v_cmp_ngt_f64_e64 s19, -1.0, v[9:10]
	v_mul_f64 v[72:73], v[90:91], v[72:73]
	v_cvt_f64_i32_e32 v[90:91], v74
	v_add_f64 v[68:69], v[68:69], -v[70:71]
	s_and_b32 vcc_lo, vcc_lo, s18
	v_add_f64 v[86:87], v[88:89], v[72:73]
	v_mul_f64 v[92:93], v[90:91], s[36:37]
	v_ldexp_f64 v[68:69], v[68:69], 1
	v_add_f64 v[70:71], v[86:87], -v[88:89]
	v_fma_f64 v[88:89], v[90:91], s[36:37], -v[92:93]
	v_add_f64 v[70:71], v[72:73], -v[70:71]
	v_fma_f64 v[72:73], v[90:91], s[38:39], v[88:89]
	v_add_f64 v[68:69], v[68:69], v[70:71]
	v_add_f64 v[70:71], v[92:93], v[72:73]
	;; [unrolled: 1-line block ×3, first 2 shown]
	v_add_f64 v[92:93], v[70:71], -v[92:93]
	v_add_f64 v[90:91], v[70:71], v[88:89]
	v_add_f64 v[86:87], v[88:89], -v[86:87]
	v_add_f64 v[72:73], v[72:73], -v[92:93]
	;; [unrolled: 1-line block ×6, first 2 shown]
	v_add_f64 v[88:89], v[72:73], v[68:69]
	v_add_f64 v[70:71], v[70:71], -v[96:97]
	v_add_f64 v[70:71], v[86:87], v[70:71]
	v_add_f64 v[86:87], v[88:89], -v[72:73]
	;; [unrolled: 2-line block ×3, first 2 shown]
	v_add_f64 v[68:69], v[68:69], -v[86:87]
	v_add_f64 v[92:93], v[90:91], v[70:71]
	v_add_f64 v[72:73], v[72:73], -v[88:89]
	v_add_f64 v[86:87], v[92:93], -v[90:91]
	v_add_f64 v[68:69], v[68:69], v[72:73]
	v_add_f64 v[70:71], v[70:71], -v[86:87]
	v_add_f64 v[68:69], v[68:69], v[70:71]
	v_add_f64 v[68:69], v[92:93], v[68:69]
	v_cndmask_b32_e32 v68, 0, v68, vcc_lo
	v_cmp_neq_f64_e32 vcc_lo, -1.0, v[9:10]
	v_cndmask_b32_e64 v69, 0x7ff00000, v69, s18
	v_cndmask_b32_e64 v69, 0x7ff80000, v69, s19
	v_cndmask_b32_e32 v69, 0xfff00000, v69, vcc_lo
	v_add_f64 v[68:69], v[7:8], v[68:69]
.LBB74_117:
	s_or_b32 exec_lo, exec_lo, s43
	v_mov_b32_e32 v7, v68
	v_mov_b32_e32 v9, v68
	;; [unrolled: 1-line block ×4, first 2 shown]
.LBB74_118:
	s_or_b32 exec_lo, exec_lo, s42
	v_cmp_gt_u32_e32 vcc_lo, 24, v77
	v_add_nc_u32_e32 v87, 8, v77
	s_mov_b32 s42, exec_lo
	s_waitcnt lgkmcnt(1)
	v_cndmask_b32_e64 v68, 0, 8, vcc_lo
	v_add_lshl_u32 v86, v68, v77, 2
	ds_bpermute_b32 v68, v86, v9
	s_waitcnt lgkmcnt(1)
	ds_bpermute_b32 v69, v86, v10
	v_cmpx_le_u32_e64 v87, v12
	s_cbranch_execz .LBB74_122
; %bb.119:
	s_waitcnt lgkmcnt(0)
	v_max_f64 v[9:10], v[68:69], v[68:69]
	v_max_f64 v[70:71], v[7:8], v[7:8]
	v_cmp_u_f64_e32 vcc_lo, v[68:69], v[68:69]
	v_cmp_u_f64_e64 s18, v[7:8], v[7:8]
	v_min_f64 v[72:73], v[9:10], v[70:71]
	v_max_f64 v[9:10], v[9:10], v[70:71]
	v_cndmask_b32_e32 v70, v73, v69, vcc_lo
	v_cndmask_b32_e32 v71, v72, v68, vcc_lo
	;; [unrolled: 1-line block ×4, first 2 shown]
	v_cndmask_b32_e64 v10, v70, v8, s18
	v_cndmask_b32_e64 v9, v71, v7, s18
	;; [unrolled: 1-line block ×4, first 2 shown]
	v_cmp_class_f64_e64 s18, v[9:10], 0x1f8
	v_cmp_neq_f64_e32 vcc_lo, v[9:10], v[7:8]
	s_or_b32 s18, vcc_lo, s18
	s_and_saveexec_b32 s43, s18
	s_cbranch_execz .LBB74_121
; %bb.120:
	v_add_f64 v[9:10], v[9:10], -v[7:8]
	s_mov_b32 s18, 0x652b82fe
	s_mov_b32 s19, 0x3ff71547
	;; [unrolled: 1-line block ×10, first 2 shown]
	v_mul_f64 v[68:69], v[9:10], s[18:19]
	s_mov_b32 s18, 0xfca7ab0c
	s_mov_b32 s19, 0x3e928af3
	v_cmp_nlt_f64_e32 vcc_lo, 0x40900000, v[9:10]
	v_rndne_f64_e32 v[68:69], v[68:69]
	v_fma_f64 v[70:71], v[68:69], s[36:37], v[9:10]
	v_cvt_i32_f64_e32 v74, v[68:69]
	s_mov_b32 s37, 0x3fe62e42
	v_fma_f64 v[70:71], v[68:69], s[38:39], v[70:71]
	s_mov_b32 s39, 0x3c7abc9e
	v_fma_f64 v[72:73], v[70:71], s[44:45], s[18:19]
	s_mov_b32 s18, 0x623fde64
	s_mov_b32 s19, 0x3ec71dee
	;; [unrolled: 1-line block ×4, first 2 shown]
	v_fma_f64 v[72:73], v[70:71], v[72:73], s[18:19]
	s_mov_b32 s18, 0x7c89e6b0
	s_mov_b32 s19, 0x3efa0199
	v_fma_f64 v[72:73], v[70:71], v[72:73], s[18:19]
	s_mov_b32 s18, 0x14761f6e
	s_mov_b32 s19, 0x3f2a01a0
	;; [unrolled: 3-line block ×7, first 2 shown]
	v_fma_f64 v[72:73], v[70:71], v[72:73], s[18:19]
	v_cmp_ngt_f64_e64 s18, 0xc090cc00, v[9:10]
	s_mov_b32 s19, 0x3fe55555
	v_fma_f64 v[72:73], v[70:71], v[72:73], 1.0
	v_fma_f64 v[68:69], v[70:71], v[72:73], 1.0
	v_ldexp_f64 v[68:69], v[68:69], v74
	v_cndmask_b32_e32 v69, 0x7ff00000, v69, vcc_lo
	s_and_b32 vcc_lo, s18, vcc_lo
	v_cndmask_b32_e32 v9, 0, v68, vcc_lo
	v_cndmask_b32_e64 v10, 0, v69, s18
	s_mov_b32 s18, 0x55555555
	v_add_f64 v[68:69], v[9:10], 1.0
	v_frexp_mant_f64_e32 v[70:71], v[68:69]
	v_frexp_exp_i32_f64_e32 v74, v[68:69]
	v_add_f64 v[72:73], v[68:69], -1.0
	v_cmp_gt_f64_e32 vcc_lo, s[18:19], v[70:71]
	s_mov_b32 s18, 0x55555780
	v_add_f64 v[70:71], v[72:73], -v[68:69]
	v_add_f64 v[72:73], v[9:10], -v[72:73]
	v_subrev_co_ci_u32_e64 v74, null, 0, v74, vcc_lo
	v_add_f64 v[70:71], v[70:71], 1.0
	v_cmp_nge_f64_e32 vcc_lo, -1.0, v[9:10]
	v_sub_nc_u32_e32 v90, 0, v74
	v_ldexp_f64 v[68:69], v[68:69], v90
	v_add_f64 v[70:71], v[72:73], v[70:71]
	v_add_f64 v[88:89], v[68:69], 1.0
	v_add_f64 v[94:95], v[68:69], -1.0
	v_ldexp_f64 v[70:71], v[70:71], v90
	v_add_f64 v[72:73], v[88:89], -1.0
	v_add_f64 v[96:97], v[94:95], 1.0
	v_add_f64 v[72:73], v[68:69], -v[72:73]
	v_add_f64 v[68:69], v[68:69], -v[96:97]
	v_add_f64 v[72:73], v[70:71], v[72:73]
	v_add_f64 v[68:69], v[70:71], v[68:69]
	;; [unrolled: 1-line block ×4, first 2 shown]
	v_rcp_f64_e32 v[92:93], v[90:91]
	v_add_f64 v[88:89], v[90:91], -v[88:89]
	v_add_f64 v[94:95], v[96:97], -v[94:95]
	;; [unrolled: 1-line block ×3, first 2 shown]
	v_fma_f64 v[98:99], -v[90:91], v[92:93], 1.0
	v_add_f64 v[68:69], v[68:69], -v[94:95]
	v_fma_f64 v[92:93], v[98:99], v[92:93], v[92:93]
	v_fma_f64 v[70:71], -v[90:91], v[92:93], 1.0
	v_fma_f64 v[70:71], v[70:71], v[92:93], v[92:93]
	v_mul_f64 v[92:93], v[96:97], v[70:71]
	v_mul_f64 v[98:99], v[90:91], v[92:93]
	v_fma_f64 v[88:89], v[92:93], v[90:91], -v[98:99]
	v_fma_f64 v[88:89], v[92:93], v[72:73], v[88:89]
	v_add_f64 v[100:101], v[98:99], v[88:89]
	v_add_f64 v[102:103], v[96:97], -v[100:101]
	v_add_f64 v[94:95], v[100:101], -v[98:99]
	;; [unrolled: 1-line block ×5, first 2 shown]
	v_add_f64 v[68:69], v[68:69], v[96:97]
	v_add_f64 v[68:69], v[88:89], v[68:69]
	;; [unrolled: 1-line block ×3, first 2 shown]
	v_mul_f64 v[94:95], v[70:71], v[88:89]
	v_add_f64 v[100:101], v[102:103], -v[88:89]
	v_mul_f64 v[96:97], v[90:91], v[94:95]
	v_add_f64 v[68:69], v[68:69], v[100:101]
	v_fma_f64 v[90:91], v[94:95], v[90:91], -v[96:97]
	v_fma_f64 v[72:73], v[94:95], v[72:73], v[90:91]
	v_add_f64 v[90:91], v[96:97], v[72:73]
	v_add_f64 v[98:99], v[88:89], -v[90:91]
	v_add_f64 v[96:97], v[90:91], -v[96:97]
	;; [unrolled: 1-line block ×5, first 2 shown]
	v_add_f64 v[68:69], v[68:69], v[88:89]
	v_add_f64 v[88:89], v[92:93], v[94:95]
	;; [unrolled: 1-line block ×3, first 2 shown]
	v_add_f64 v[72:73], v[88:89], -v[92:93]
	v_add_f64 v[68:69], v[98:99], v[68:69]
	v_add_f64 v[72:73], v[94:95], -v[72:73]
	v_mul_f64 v[68:69], v[70:71], v[68:69]
	v_add_f64 v[68:69], v[72:73], v[68:69]
	v_add_f64 v[70:71], v[88:89], v[68:69]
	v_mul_f64 v[72:73], v[70:71], v[70:71]
	v_fma_f64 v[90:91], v[72:73], s[46:47], s[44:45]
	s_mov_b32 s44, 0xd7f4df2e
	s_mov_b32 s45, 0x3fc7474d
	v_mul_f64 v[92:93], v[70:71], v[72:73]
	v_fma_f64 v[90:91], v[72:73], v[90:91], s[44:45]
	s_mov_b32 s44, 0x16291751
	s_mov_b32 s45, 0x3fcc71c0
	v_fma_f64 v[90:91], v[72:73], v[90:91], s[44:45]
	s_mov_b32 s44, 0x9b27acf1
	s_mov_b32 s45, 0x3fd24924
	;; [unrolled: 3-line block ×3, first 2 shown]
	v_fma_f64 v[90:91], v[72:73], v[90:91], s[44:45]
	v_fma_f64 v[72:73], v[72:73], v[90:91], s[18:19]
	v_ldexp_f64 v[90:91], v[70:71], 1
	v_add_f64 v[70:71], v[70:71], -v[88:89]
	v_cmp_neq_f64_e64 s18, 0x7ff00000, v[9:10]
	v_cmp_ngt_f64_e64 s19, -1.0, v[9:10]
	v_mul_f64 v[72:73], v[92:93], v[72:73]
	v_cvt_f64_i32_e32 v[92:93], v74
	v_add_f64 v[68:69], v[68:69], -v[70:71]
	s_and_b32 vcc_lo, vcc_lo, s18
	v_add_f64 v[88:89], v[90:91], v[72:73]
	v_mul_f64 v[94:95], v[92:93], s[36:37]
	v_ldexp_f64 v[68:69], v[68:69], 1
	v_add_f64 v[70:71], v[88:89], -v[90:91]
	v_fma_f64 v[90:91], v[92:93], s[36:37], -v[94:95]
	v_add_f64 v[70:71], v[72:73], -v[70:71]
	v_fma_f64 v[72:73], v[92:93], s[38:39], v[90:91]
	v_add_f64 v[68:69], v[68:69], v[70:71]
	v_add_f64 v[70:71], v[94:95], v[72:73]
	;; [unrolled: 1-line block ×3, first 2 shown]
	v_add_f64 v[94:95], v[70:71], -v[94:95]
	v_add_f64 v[92:93], v[70:71], v[90:91]
	v_add_f64 v[88:89], v[90:91], -v[88:89]
	v_add_f64 v[72:73], v[72:73], -v[94:95]
	;; [unrolled: 1-line block ×6, first 2 shown]
	v_add_f64 v[90:91], v[72:73], v[68:69]
	v_add_f64 v[70:71], v[70:71], -v[98:99]
	v_add_f64 v[70:71], v[88:89], v[70:71]
	v_add_f64 v[88:89], v[90:91], -v[72:73]
	;; [unrolled: 2-line block ×3, first 2 shown]
	v_add_f64 v[68:69], v[68:69], -v[88:89]
	v_add_f64 v[94:95], v[92:93], v[70:71]
	v_add_f64 v[72:73], v[72:73], -v[90:91]
	v_add_f64 v[88:89], v[94:95], -v[92:93]
	v_add_f64 v[68:69], v[68:69], v[72:73]
	v_add_f64 v[70:71], v[70:71], -v[88:89]
	v_add_f64 v[68:69], v[68:69], v[70:71]
	v_add_f64 v[68:69], v[94:95], v[68:69]
	v_cndmask_b32_e32 v68, 0, v68, vcc_lo
	v_cmp_neq_f64_e32 vcc_lo, -1.0, v[9:10]
	v_cndmask_b32_e64 v69, 0x7ff00000, v69, s18
	v_cndmask_b32_e64 v69, 0x7ff80000, v69, s19
	v_cndmask_b32_e32 v69, 0xfff00000, v69, vcc_lo
	v_add_f64 v[68:69], v[7:8], v[68:69]
.LBB74_121:
	s_or_b32 exec_lo, exec_lo, s43
	v_mov_b32_e32 v7, v68
	v_mov_b32_e32 v9, v68
	;; [unrolled: 1-line block ×4, first 2 shown]
.LBB74_122:
	s_or_b32 exec_lo, exec_lo, s42
	v_lshl_or_b32 v88, v77, 2, 64
	v_add_nc_u32_e32 v89, 16, v77
	s_mov_b32 s42, exec_lo
	ds_bpermute_b32 v9, v88, v9
	ds_bpermute_b32 v10, v88, v10
	v_cmpx_le_u32_e64 v89, v12
	s_cbranch_execz .LBB74_126
; %bb.123:
	s_waitcnt lgkmcnt(0)
	v_max_f64 v[68:69], v[9:10], v[9:10]
	v_max_f64 v[70:71], v[7:8], v[7:8]
	v_cmp_u_f64_e32 vcc_lo, v[9:10], v[9:10]
	v_cmp_u_f64_e64 s18, v[7:8], v[7:8]
	v_min_f64 v[72:73], v[68:69], v[70:71]
	v_max_f64 v[68:69], v[68:69], v[70:71]
	v_cndmask_b32_e32 v12, v73, v10, vcc_lo
	v_cndmask_b32_e32 v70, v72, v9, vcc_lo
	;; [unrolled: 1-line block ×4, first 2 shown]
	v_cndmask_b32_e64 v69, v12, v8, s18
	v_cndmask_b32_e64 v68, v70, v7, s18
	v_cndmask_b32_e64 v8, v71, v8, s18
	v_cndmask_b32_e64 v7, v72, v7, s18
	v_cmp_class_f64_e64 s18, v[68:69], 0x1f8
	v_cmp_neq_f64_e32 vcc_lo, v[68:69], v[7:8]
	s_or_b32 s18, vcc_lo, s18
	s_and_saveexec_b32 s43, s18
	s_cbranch_execz .LBB74_125
; %bb.124:
	v_add_f64 v[9:10], v[68:69], -v[7:8]
	s_mov_b32 s18, 0x652b82fe
	s_mov_b32 s19, 0x3ff71547
	;; [unrolled: 1-line block ×10, first 2 shown]
	v_mul_f64 v[68:69], v[9:10], s[18:19]
	s_mov_b32 s18, 0xfca7ab0c
	s_mov_b32 s19, 0x3e928af3
	v_cmp_nlt_f64_e32 vcc_lo, 0x40900000, v[9:10]
	v_rndne_f64_e32 v[68:69], v[68:69]
	v_fma_f64 v[70:71], v[68:69], s[36:37], v[9:10]
	v_cvt_i32_f64_e32 v12, v[68:69]
	s_mov_b32 s37, 0x3fe62e42
	v_fma_f64 v[70:71], v[68:69], s[38:39], v[70:71]
	s_mov_b32 s39, 0x3c7abc9e
	v_fma_f64 v[72:73], v[70:71], s[44:45], s[18:19]
	s_mov_b32 s18, 0x623fde64
	s_mov_b32 s19, 0x3ec71dee
	;; [unrolled: 1-line block ×4, first 2 shown]
	v_fma_f64 v[72:73], v[70:71], v[72:73], s[18:19]
	s_mov_b32 s18, 0x7c89e6b0
	s_mov_b32 s19, 0x3efa0199
	v_fma_f64 v[72:73], v[70:71], v[72:73], s[18:19]
	s_mov_b32 s18, 0x14761f6e
	s_mov_b32 s19, 0x3f2a01a0
	;; [unrolled: 3-line block ×7, first 2 shown]
	v_fma_f64 v[72:73], v[70:71], v[72:73], s[18:19]
	v_cmp_ngt_f64_e64 s18, 0xc090cc00, v[9:10]
	s_mov_b32 s19, 0x3fe55555
	v_fma_f64 v[72:73], v[70:71], v[72:73], 1.0
	v_fma_f64 v[68:69], v[70:71], v[72:73], 1.0
	v_ldexp_f64 v[68:69], v[68:69], v12
	v_cndmask_b32_e32 v12, 0x7ff00000, v69, vcc_lo
	s_and_b32 vcc_lo, s18, vcc_lo
	v_cndmask_b32_e32 v9, 0, v68, vcc_lo
	v_cndmask_b32_e64 v10, 0, v12, s18
	s_mov_b32 s18, 0x55555555
	v_add_f64 v[68:69], v[9:10], 1.0
	v_frexp_mant_f64_e32 v[70:71], v[68:69]
	v_frexp_exp_i32_f64_e32 v12, v[68:69]
	v_add_f64 v[72:73], v[68:69], -1.0
	v_cmp_gt_f64_e32 vcc_lo, s[18:19], v[70:71]
	s_mov_b32 s18, 0x55555780
	v_add_f64 v[70:71], v[72:73], -v[68:69]
	v_add_f64 v[72:73], v[9:10], -v[72:73]
	v_subrev_co_ci_u32_e64 v12, null, 0, v12, vcc_lo
	v_add_f64 v[70:71], v[70:71], 1.0
	v_cmp_nge_f64_e32 vcc_lo, -1.0, v[9:10]
	v_sub_nc_u32_e32 v74, 0, v12
	v_ldexp_f64 v[68:69], v[68:69], v74
	v_add_f64 v[70:71], v[72:73], v[70:71]
	v_add_f64 v[90:91], v[68:69], 1.0
	v_add_f64 v[96:97], v[68:69], -1.0
	v_ldexp_f64 v[70:71], v[70:71], v74
	v_add_f64 v[72:73], v[90:91], -1.0
	v_add_f64 v[98:99], v[96:97], 1.0
	v_add_f64 v[72:73], v[68:69], -v[72:73]
	v_add_f64 v[68:69], v[68:69], -v[98:99]
	v_add_f64 v[72:73], v[70:71], v[72:73]
	v_add_f64 v[68:69], v[70:71], v[68:69]
	;; [unrolled: 1-line block ×4, first 2 shown]
	v_rcp_f64_e32 v[94:95], v[92:93]
	v_add_f64 v[90:91], v[92:93], -v[90:91]
	v_add_f64 v[96:97], v[98:99], -v[96:97]
	;; [unrolled: 1-line block ×3, first 2 shown]
	v_fma_f64 v[100:101], -v[92:93], v[94:95], 1.0
	v_add_f64 v[68:69], v[68:69], -v[96:97]
	v_fma_f64 v[94:95], v[100:101], v[94:95], v[94:95]
	v_fma_f64 v[70:71], -v[92:93], v[94:95], 1.0
	v_fma_f64 v[70:71], v[70:71], v[94:95], v[94:95]
	v_mul_f64 v[94:95], v[98:99], v[70:71]
	v_mul_f64 v[100:101], v[92:93], v[94:95]
	v_fma_f64 v[90:91], v[94:95], v[92:93], -v[100:101]
	v_fma_f64 v[90:91], v[94:95], v[72:73], v[90:91]
	v_add_f64 v[102:103], v[100:101], v[90:91]
	v_add_f64 v[104:105], v[98:99], -v[102:103]
	v_add_f64 v[96:97], v[102:103], -v[100:101]
	;; [unrolled: 1-line block ×5, first 2 shown]
	v_add_f64 v[68:69], v[68:69], v[98:99]
	v_add_f64 v[68:69], v[90:91], v[68:69]
	;; [unrolled: 1-line block ×3, first 2 shown]
	v_mul_f64 v[96:97], v[70:71], v[90:91]
	v_add_f64 v[102:103], v[104:105], -v[90:91]
	v_mul_f64 v[98:99], v[92:93], v[96:97]
	v_add_f64 v[68:69], v[68:69], v[102:103]
	v_fma_f64 v[92:93], v[96:97], v[92:93], -v[98:99]
	v_fma_f64 v[72:73], v[96:97], v[72:73], v[92:93]
	v_add_f64 v[92:93], v[98:99], v[72:73]
	v_add_f64 v[100:101], v[90:91], -v[92:93]
	v_add_f64 v[98:99], v[92:93], -v[98:99]
	;; [unrolled: 1-line block ×5, first 2 shown]
	v_add_f64 v[68:69], v[68:69], v[90:91]
	v_add_f64 v[90:91], v[94:95], v[96:97]
	;; [unrolled: 1-line block ×3, first 2 shown]
	v_add_f64 v[72:73], v[90:91], -v[94:95]
	v_add_f64 v[68:69], v[100:101], v[68:69]
	v_add_f64 v[72:73], v[96:97], -v[72:73]
	v_mul_f64 v[68:69], v[70:71], v[68:69]
	v_add_f64 v[68:69], v[72:73], v[68:69]
	v_add_f64 v[70:71], v[90:91], v[68:69]
	v_mul_f64 v[72:73], v[70:71], v[70:71]
	v_fma_f64 v[92:93], v[72:73], s[46:47], s[44:45]
	s_mov_b32 s44, 0xd7f4df2e
	s_mov_b32 s45, 0x3fc7474d
	v_mul_f64 v[94:95], v[70:71], v[72:73]
	v_fma_f64 v[92:93], v[72:73], v[92:93], s[44:45]
	s_mov_b32 s44, 0x16291751
	s_mov_b32 s45, 0x3fcc71c0
	v_fma_f64 v[92:93], v[72:73], v[92:93], s[44:45]
	s_mov_b32 s44, 0x9b27acf1
	s_mov_b32 s45, 0x3fd24924
	;; [unrolled: 3-line block ×3, first 2 shown]
	v_fma_f64 v[92:93], v[72:73], v[92:93], s[44:45]
	v_fma_f64 v[72:73], v[72:73], v[92:93], s[18:19]
	v_ldexp_f64 v[92:93], v[70:71], 1
	v_add_f64 v[70:71], v[70:71], -v[90:91]
	v_cmp_neq_f64_e64 s18, 0x7ff00000, v[9:10]
	v_cmp_ngt_f64_e64 s19, -1.0, v[9:10]
	v_mul_f64 v[72:73], v[94:95], v[72:73]
	v_cvt_f64_i32_e32 v[94:95], v12
	v_add_f64 v[68:69], v[68:69], -v[70:71]
	s_and_b32 vcc_lo, vcc_lo, s18
	v_add_f64 v[90:91], v[92:93], v[72:73]
	v_mul_f64 v[96:97], v[94:95], s[36:37]
	v_ldexp_f64 v[68:69], v[68:69], 1
	v_add_f64 v[70:71], v[90:91], -v[92:93]
	v_fma_f64 v[92:93], v[94:95], s[36:37], -v[96:97]
	v_add_f64 v[70:71], v[72:73], -v[70:71]
	v_fma_f64 v[72:73], v[94:95], s[38:39], v[92:93]
	v_add_f64 v[68:69], v[68:69], v[70:71]
	v_add_f64 v[70:71], v[96:97], v[72:73]
	;; [unrolled: 1-line block ×3, first 2 shown]
	v_add_f64 v[96:97], v[70:71], -v[96:97]
	v_add_f64 v[94:95], v[70:71], v[92:93]
	v_add_f64 v[90:91], v[92:93], -v[90:91]
	v_add_f64 v[72:73], v[72:73], -v[96:97]
	;; [unrolled: 1-line block ×6, first 2 shown]
	v_add_f64 v[92:93], v[72:73], v[68:69]
	v_add_f64 v[70:71], v[70:71], -v[100:101]
	v_add_f64 v[70:71], v[90:91], v[70:71]
	v_add_f64 v[90:91], v[92:93], -v[72:73]
	;; [unrolled: 2-line block ×3, first 2 shown]
	v_add_f64 v[68:69], v[68:69], -v[90:91]
	v_add_f64 v[96:97], v[94:95], v[70:71]
	v_add_f64 v[72:73], v[72:73], -v[92:93]
	v_add_f64 v[90:91], v[96:97], -v[94:95]
	v_add_f64 v[68:69], v[68:69], v[72:73]
	v_add_f64 v[70:71], v[70:71], -v[90:91]
	v_add_f64 v[68:69], v[68:69], v[70:71]
	v_add_f64 v[68:69], v[96:97], v[68:69]
	v_cndmask_b32_e32 v68, 0, v68, vcc_lo
	v_cmp_neq_f64_e32 vcc_lo, -1.0, v[9:10]
	v_cndmask_b32_e64 v12, 0x7ff00000, v69, s18
	v_cndmask_b32_e64 v12, 0x7ff80000, v12, s19
	v_cndmask_b32_e32 v69, 0xfff00000, v12, vcc_lo
	v_add_f64 v[9:10], v[7:8], v[68:69]
.LBB74_125:
	s_or_b32 exec_lo, exec_lo, s43
	v_mov_b32_e32 v7, v9
	v_mov_b32_e32 v8, v10
.LBB74_126:
	s_or_b32 exec_lo, exec_lo, s42
	s_waitcnt lgkmcnt(3)
	v_mov_b32_e32 v68, 0
	v_mov_b32_e32 v90, 2
	s_mov_b32 s36, 0x652b82fe
	s_mov_b32 s38, 0xfefa39ef
	;; [unrolled: 1-line block ×43, first 2 shown]
	s_branch .LBB74_129
.LBB74_127:                             ;   in Loop: Header=BB74_129 Depth=1
	s_or_b32 exec_lo, exec_lo, s87
	v_subrev_nc_u32_e32 v67, 32, v67
	s_mov_b32 s18, 0
.LBB74_128:                             ;   in Loop: Header=BB74_129 Depth=1
	s_and_b32 vcc_lo, exec_lo, s18
	s_cbranch_vccnz .LBB74_157
.LBB74_129:                             ; =>This Loop Header: Depth=1
                                        ;     Child Loop BB74_132 Depth 2
	v_cmp_ne_u16_sdwa s18, v11, v90 src0_sel:BYTE_0 src1_sel:DWORD
	s_waitcnt lgkmcnt(2)
	v_mov_b32_e32 v70, v8
	v_mov_b32_e32 v69, v7
                                        ; implicit-def: $vgpr7_vgpr8
                                        ; implicit-def: $vgpr11
	s_cmp_lg_u32 s18, exec_lo
	s_mov_b32 s18, -1
	s_cbranch_scc1 .LBB74_128
; %bb.130:                              ;   in Loop: Header=BB74_129 Depth=1
	v_lshlrev_b64 v[7:8], 4, v[67:68]
	v_add_co_u32 v7, vcc_lo, s28, v7
	v_add_co_ci_u32_e64 v8, null, s29, v8, vcc_lo
	s_waitcnt lgkmcnt(0)
	;;#ASMSTART
	global_load_dwordx4 v[9:12], v[7:8] off glc dlc	
s_waitcnt vmcnt(0)
	;;#ASMEND
	v_cmp_eq_u16_sdwa s19, v11, v68 src0_sel:BYTE_0 src1_sel:DWORD
	s_and_saveexec_b32 s18, s19
	s_cbranch_execz .LBB74_134
; %bb.131:                              ;   in Loop: Header=BB74_129 Depth=1
	s_mov_b32 s19, 0
.LBB74_132:                             ;   Parent Loop BB74_129 Depth=1
                                        ; =>  This Inner Loop Header: Depth=2
	;;#ASMSTART
	global_load_dwordx4 v[9:12], v[7:8] off glc dlc	
s_waitcnt vmcnt(0)
	;;#ASMEND
	v_cmp_ne_u16_sdwa s79, v11, v68 src0_sel:BYTE_0 src1_sel:DWORD
	s_or_b32 s19, s79, s19
	s_andn2_b32 exec_lo, exec_lo, s19
	s_cbranch_execnz .LBB74_132
; %bb.133:                              ;   in Loop: Header=BB74_129 Depth=1
	s_or_b32 exec_lo, exec_lo, s19
.LBB74_134:                             ;   in Loop: Header=BB74_129 Depth=1
	s_or_b32 exec_lo, exec_lo, s18
	ds_bpermute_b32 v71, v80, v9
	ds_bpermute_b32 v72, v80, v10
	v_cmp_eq_u16_sdwa s18, v11, v90 src0_sel:BYTE_0 src1_sel:DWORD
	s_mov_b32 s87, exec_lo
	v_and_or_b32 v7, s18, v81, 0x80000000
	v_ffbl_b32_e32 v12, v7
	v_mov_b32_e32 v7, v9
	v_mov_b32_e32 v8, v10
	v_cmpx_lt_u32_e64 v77, v12
	s_cbranch_execz .LBB74_138
; %bb.135:                              ;   in Loop: Header=BB74_129 Depth=1
	s_waitcnt lgkmcnt(0)
	v_max_f64 v[7:8], v[71:72], v[71:72]
	v_max_f64 v[73:74], v[9:10], v[9:10]
	v_cmp_u_f64_e32 vcc_lo, v[71:72], v[71:72]
	v_cmp_u_f64_e64 s18, v[9:10], v[9:10]
	v_min_f64 v[91:92], v[7:8], v[73:74]
	v_max_f64 v[7:8], v[7:8], v[73:74]
	v_cndmask_b32_e32 v73, v92, v72, vcc_lo
	v_cndmask_b32_e32 v91, v91, v71, vcc_lo
	;; [unrolled: 1-line block ×4, first 2 shown]
	v_cndmask_b32_e64 v74, v73, v10, s18
	v_cndmask_b32_e64 v73, v91, v9, s18
	v_cndmask_b32_e64 v8, v8, v10, s18
	v_cndmask_b32_e64 v7, v7, v9, s18
	v_cmp_class_f64_e64 s18, v[73:74], 0x1f8
	v_cmp_neq_f64_e32 vcc_lo, v[73:74], v[7:8]
	s_or_b32 s18, vcc_lo, s18
	s_and_saveexec_b32 s88, s18
	s_cbranch_execz .LBB74_137
; %bb.136:                              ;   in Loop: Header=BB74_129 Depth=1
	v_add_f64 v[9:10], v[73:74], -v[7:8]
	s_mov_b32 s79, s65
	s_mov_b32 s80, s38
	s_mov_b32 s82, s42
	v_mul_f64 v[71:72], v[9:10], s[36:37]
	v_cmp_nlt_f64_e32 vcc_lo, 0x40900000, v[9:10]
	v_cmp_ngt_f64_e64 s18, 0xc090cc00, v[9:10]
	v_rndne_f64_e32 v[71:72], v[71:72]
	v_fma_f64 v[73:74], v[71:72], s[38:39], v[9:10]
	v_cvt_i32_f64_e32 v93, v[71:72]
	v_fma_f64 v[73:74], v[71:72], s[42:43], v[73:74]
	v_fma_f64 v[91:92], v[73:74], s[46:47], s[44:45]
	;; [unrolled: 1-line block ×10, first 2 shown]
	v_fma_f64 v[91:92], v[73:74], v[91:92], 1.0
	v_fma_f64 v[71:72], v[73:74], v[91:92], 1.0
	v_ldexp_f64 v[71:72], v[71:72], v93
	v_cndmask_b32_e32 v72, 0x7ff00000, v72, vcc_lo
	s_and_b32 vcc_lo, s18, vcc_lo
	v_cndmask_b32_e32 v9, 0, v71, vcc_lo
	v_cndmask_b32_e64 v10, 0, v72, s18
	v_add_f64 v[71:72], v[9:10], 1.0
	v_cmp_neq_f64_e64 s18, 0x7ff00000, v[9:10]
	v_cmp_ngt_f64_e64 s19, -1.0, v[9:10]
	v_frexp_mant_f64_e32 v[73:74], v[71:72]
	v_frexp_exp_i32_f64_e32 v93, v[71:72]
	v_add_f64 v[91:92], v[71:72], -1.0
	v_cmp_gt_f64_e32 vcc_lo, s[64:65], v[73:74]
	v_add_f64 v[73:74], v[91:92], -v[71:72]
	v_add_f64 v[91:92], v[9:10], -v[91:92]
	v_subrev_co_ci_u32_e64 v109, null, 0, v93, vcc_lo
	v_add_f64 v[73:74], v[73:74], 1.0
	v_cmp_nge_f64_e32 vcc_lo, -1.0, v[9:10]
	v_sub_nc_u32_e32 v95, 0, v109
	v_ldexp_f64 v[71:72], v[71:72], v95
	v_add_f64 v[73:74], v[91:92], v[73:74]
	s_and_b32 vcc_lo, vcc_lo, s18
	v_add_f64 v[93:94], v[71:72], 1.0
	v_add_f64 v[99:100], v[71:72], -1.0
	v_ldexp_f64 v[73:74], v[73:74], v95
	v_add_f64 v[91:92], v[93:94], -1.0
	v_add_f64 v[101:102], v[99:100], 1.0
	v_add_f64 v[91:92], v[71:72], -v[91:92]
	v_add_f64 v[71:72], v[71:72], -v[101:102]
	v_add_f64 v[91:92], v[73:74], v[91:92]
	v_add_f64 v[71:72], v[73:74], v[71:72]
	;; [unrolled: 1-line block ×4, first 2 shown]
	v_rcp_f64_e32 v[97:98], v[95:96]
	v_add_f64 v[93:94], v[95:96], -v[93:94]
	v_add_f64 v[99:100], v[101:102], -v[99:100]
	;; [unrolled: 1-line block ×3, first 2 shown]
	v_fma_f64 v[103:104], -v[95:96], v[97:98], 1.0
	v_add_f64 v[71:72], v[71:72], -v[99:100]
	v_fma_f64 v[97:98], v[103:104], v[97:98], v[97:98]
	v_fma_f64 v[73:74], -v[95:96], v[97:98], 1.0
	v_fma_f64 v[73:74], v[73:74], v[97:98], v[97:98]
	v_mul_f64 v[97:98], v[101:102], v[73:74]
	v_mul_f64 v[103:104], v[95:96], v[97:98]
	v_fma_f64 v[93:94], v[97:98], v[95:96], -v[103:104]
	v_fma_f64 v[93:94], v[97:98], v[91:92], v[93:94]
	v_add_f64 v[105:106], v[103:104], v[93:94]
	v_add_f64 v[107:108], v[101:102], -v[105:106]
	v_add_f64 v[99:100], v[105:106], -v[103:104]
	v_add_f64 v[101:102], v[101:102], -v[107:108]
	v_add_f64 v[93:94], v[99:100], -v[93:94]
	v_add_f64 v[101:102], v[101:102], -v[105:106]
	v_add_f64 v[71:72], v[71:72], v[101:102]
	v_add_f64 v[71:72], v[93:94], v[71:72]
	;; [unrolled: 1-line block ×3, first 2 shown]
	v_mul_f64 v[99:100], v[73:74], v[93:94]
	v_add_f64 v[105:106], v[107:108], -v[93:94]
	v_mul_f64 v[101:102], v[95:96], v[99:100]
	v_add_f64 v[71:72], v[71:72], v[105:106]
	v_fma_f64 v[95:96], v[99:100], v[95:96], -v[101:102]
	v_fma_f64 v[91:92], v[99:100], v[91:92], v[95:96]
	v_add_f64 v[95:96], v[101:102], v[91:92]
	v_add_f64 v[103:104], v[93:94], -v[95:96]
	v_add_f64 v[101:102], v[95:96], -v[101:102]
	;; [unrolled: 1-line block ×5, first 2 shown]
	v_add_f64 v[71:72], v[71:72], v[93:94]
	v_add_f64 v[93:94], v[97:98], v[99:100]
	;; [unrolled: 1-line block ×3, first 2 shown]
	v_add_f64 v[91:92], v[93:94], -v[97:98]
	v_add_f64 v[71:72], v[103:104], v[71:72]
	v_add_f64 v[91:92], v[99:100], -v[91:92]
	v_mul_f64 v[71:72], v[73:74], v[71:72]
	v_add_f64 v[71:72], v[91:92], v[71:72]
	v_add_f64 v[73:74], v[93:94], v[71:72]
	v_mul_f64 v[91:92], v[73:74], v[73:74]
	v_fma_f64 v[95:96], v[91:92], s[68:69], s[66:67]
	v_mul_f64 v[97:98], v[73:74], v[91:92]
	v_fma_f64 v[95:96], v[91:92], v[95:96], s[70:71]
	v_fma_f64 v[95:96], v[91:92], v[95:96], s[72:73]
	;; [unrolled: 1-line block ×5, first 2 shown]
	v_ldexp_f64 v[95:96], v[73:74], 1
	v_add_f64 v[73:74], v[73:74], -v[93:94]
	v_mul_f64 v[91:92], v[97:98], v[91:92]
	v_cvt_f64_i32_e32 v[97:98], v109
	v_add_f64 v[71:72], v[71:72], -v[73:74]
	v_add_f64 v[93:94], v[95:96], v[91:92]
	v_mul_f64 v[99:100], v[97:98], s[80:81]
	v_ldexp_f64 v[71:72], v[71:72], 1
	v_add_f64 v[73:74], v[93:94], -v[95:96]
	v_fma_f64 v[95:96], v[97:98], s[80:81], -v[99:100]
	v_add_f64 v[73:74], v[91:92], -v[73:74]
	v_fma_f64 v[91:92], v[97:98], s[82:83], v[95:96]
	v_add_f64 v[71:72], v[71:72], v[73:74]
	v_add_f64 v[73:74], v[99:100], v[91:92]
	;; [unrolled: 1-line block ×3, first 2 shown]
	v_add_f64 v[99:100], v[73:74], -v[99:100]
	v_add_f64 v[97:98], v[73:74], v[95:96]
	v_add_f64 v[93:94], v[95:96], -v[93:94]
	v_add_f64 v[91:92], v[91:92], -v[99:100]
	v_add_f64 v[101:102], v[97:98], -v[73:74]
	v_add_f64 v[71:72], v[71:72], -v[93:94]
	v_add_f64 v[103:104], v[97:98], -v[101:102]
	v_add_f64 v[93:94], v[95:96], -v[101:102]
	v_add_f64 v[95:96], v[91:92], v[71:72]
	v_add_f64 v[73:74], v[73:74], -v[103:104]
	v_add_f64 v[73:74], v[93:94], v[73:74]
	v_add_f64 v[93:94], v[95:96], -v[91:92]
	v_add_f64 v[73:74], v[95:96], v[73:74]
	v_add_f64 v[95:96], v[95:96], -v[93:94]
	v_add_f64 v[71:72], v[71:72], -v[93:94]
	v_add_f64 v[99:100], v[97:98], v[73:74]
	v_add_f64 v[91:92], v[91:92], -v[95:96]
	v_add_f64 v[93:94], v[99:100], -v[97:98]
	v_add_f64 v[71:72], v[71:72], v[91:92]
	v_add_f64 v[73:74], v[73:74], -v[93:94]
	v_add_f64 v[71:72], v[71:72], v[73:74]
	v_add_f64 v[71:72], v[99:100], v[71:72]
	v_cndmask_b32_e32 v71, 0, v71, vcc_lo
	v_cmp_neq_f64_e32 vcc_lo, -1.0, v[9:10]
	v_cndmask_b32_e64 v72, 0x7ff00000, v72, s18
	v_cndmask_b32_e64 v72, 0x7ff80000, v72, s19
	v_cndmask_b32_e32 v72, 0xfff00000, v72, vcc_lo
	v_add_f64 v[71:72], v[7:8], v[71:72]
.LBB74_137:                             ;   in Loop: Header=BB74_129 Depth=1
	s_or_b32 exec_lo, exec_lo, s88
	v_mov_b32_e32 v7, v71
	v_mov_b32_e32 v9, v71
	;; [unrolled: 1-line block ×4, first 2 shown]
.LBB74_138:                             ;   in Loop: Header=BB74_129 Depth=1
	s_or_b32 exec_lo, exec_lo, s87
	s_waitcnt lgkmcnt(1)
	ds_bpermute_b32 v71, v82, v9
	s_waitcnt lgkmcnt(1)
	ds_bpermute_b32 v72, v82, v10
	s_mov_b32 s87, exec_lo
	v_cmpx_le_u32_e64 v83, v12
	s_cbranch_execz .LBB74_142
; %bb.139:                              ;   in Loop: Header=BB74_129 Depth=1
	s_waitcnt lgkmcnt(0)
	v_max_f64 v[9:10], v[71:72], v[71:72]
	v_max_f64 v[73:74], v[7:8], v[7:8]
	v_cmp_u_f64_e32 vcc_lo, v[71:72], v[71:72]
	v_cmp_u_f64_e64 s18, v[7:8], v[7:8]
	v_min_f64 v[91:92], v[9:10], v[73:74]
	v_max_f64 v[9:10], v[9:10], v[73:74]
	v_cndmask_b32_e32 v73, v92, v72, vcc_lo
	v_cndmask_b32_e32 v74, v91, v71, vcc_lo
	;; [unrolled: 1-line block ×4, first 2 shown]
	v_cndmask_b32_e64 v10, v73, v8, s18
	v_cndmask_b32_e64 v9, v74, v7, s18
	;; [unrolled: 1-line block ×4, first 2 shown]
	v_cmp_class_f64_e64 s18, v[9:10], 0x1f8
	v_cmp_neq_f64_e32 vcc_lo, v[9:10], v[7:8]
	s_or_b32 s18, vcc_lo, s18
	s_and_saveexec_b32 s88, s18
	s_cbranch_execz .LBB74_141
; %bb.140:                              ;   in Loop: Header=BB74_129 Depth=1
	v_add_f64 v[9:10], v[9:10], -v[7:8]
	s_mov_b32 s79, s65
	s_mov_b32 s80, s38
	s_mov_b32 s82, s42
	v_mul_f64 v[71:72], v[9:10], s[36:37]
	v_cmp_nlt_f64_e32 vcc_lo, 0x40900000, v[9:10]
	v_cmp_ngt_f64_e64 s18, 0xc090cc00, v[9:10]
	v_rndne_f64_e32 v[71:72], v[71:72]
	v_fma_f64 v[73:74], v[71:72], s[38:39], v[9:10]
	v_cvt_i32_f64_e32 v93, v[71:72]
	v_fma_f64 v[73:74], v[71:72], s[42:43], v[73:74]
	v_fma_f64 v[91:92], v[73:74], s[46:47], s[44:45]
	;; [unrolled: 1-line block ×10, first 2 shown]
	v_fma_f64 v[91:92], v[73:74], v[91:92], 1.0
	v_fma_f64 v[71:72], v[73:74], v[91:92], 1.0
	v_ldexp_f64 v[71:72], v[71:72], v93
	v_cndmask_b32_e32 v72, 0x7ff00000, v72, vcc_lo
	s_and_b32 vcc_lo, s18, vcc_lo
	v_cndmask_b32_e32 v9, 0, v71, vcc_lo
	v_cndmask_b32_e64 v10, 0, v72, s18
	v_add_f64 v[71:72], v[9:10], 1.0
	v_cmp_neq_f64_e64 s18, 0x7ff00000, v[9:10]
	v_cmp_ngt_f64_e64 s19, -1.0, v[9:10]
	v_frexp_mant_f64_e32 v[73:74], v[71:72]
	v_frexp_exp_i32_f64_e32 v93, v[71:72]
	v_add_f64 v[91:92], v[71:72], -1.0
	v_cmp_gt_f64_e32 vcc_lo, s[64:65], v[73:74]
	v_add_f64 v[73:74], v[91:92], -v[71:72]
	v_add_f64 v[91:92], v[9:10], -v[91:92]
	v_subrev_co_ci_u32_e64 v109, null, 0, v93, vcc_lo
	v_add_f64 v[73:74], v[73:74], 1.0
	v_cmp_nge_f64_e32 vcc_lo, -1.0, v[9:10]
	v_sub_nc_u32_e32 v95, 0, v109
	v_ldexp_f64 v[71:72], v[71:72], v95
	v_add_f64 v[73:74], v[91:92], v[73:74]
	s_and_b32 vcc_lo, vcc_lo, s18
	v_add_f64 v[93:94], v[71:72], 1.0
	v_add_f64 v[99:100], v[71:72], -1.0
	v_ldexp_f64 v[73:74], v[73:74], v95
	v_add_f64 v[91:92], v[93:94], -1.0
	v_add_f64 v[101:102], v[99:100], 1.0
	v_add_f64 v[91:92], v[71:72], -v[91:92]
	v_add_f64 v[71:72], v[71:72], -v[101:102]
	v_add_f64 v[91:92], v[73:74], v[91:92]
	v_add_f64 v[71:72], v[73:74], v[71:72]
	;; [unrolled: 1-line block ×4, first 2 shown]
	v_rcp_f64_e32 v[97:98], v[95:96]
	v_add_f64 v[93:94], v[95:96], -v[93:94]
	v_add_f64 v[99:100], v[101:102], -v[99:100]
	;; [unrolled: 1-line block ×3, first 2 shown]
	v_fma_f64 v[103:104], -v[95:96], v[97:98], 1.0
	v_add_f64 v[71:72], v[71:72], -v[99:100]
	v_fma_f64 v[97:98], v[103:104], v[97:98], v[97:98]
	v_fma_f64 v[73:74], -v[95:96], v[97:98], 1.0
	v_fma_f64 v[73:74], v[73:74], v[97:98], v[97:98]
	v_mul_f64 v[97:98], v[101:102], v[73:74]
	v_mul_f64 v[103:104], v[95:96], v[97:98]
	v_fma_f64 v[93:94], v[97:98], v[95:96], -v[103:104]
	v_fma_f64 v[93:94], v[97:98], v[91:92], v[93:94]
	v_add_f64 v[105:106], v[103:104], v[93:94]
	v_add_f64 v[107:108], v[101:102], -v[105:106]
	v_add_f64 v[99:100], v[105:106], -v[103:104]
	v_add_f64 v[101:102], v[101:102], -v[107:108]
	v_add_f64 v[93:94], v[99:100], -v[93:94]
	v_add_f64 v[101:102], v[101:102], -v[105:106]
	v_add_f64 v[71:72], v[71:72], v[101:102]
	v_add_f64 v[71:72], v[93:94], v[71:72]
	;; [unrolled: 1-line block ×3, first 2 shown]
	v_mul_f64 v[99:100], v[73:74], v[93:94]
	v_add_f64 v[105:106], v[107:108], -v[93:94]
	v_mul_f64 v[101:102], v[95:96], v[99:100]
	v_add_f64 v[71:72], v[71:72], v[105:106]
	v_fma_f64 v[95:96], v[99:100], v[95:96], -v[101:102]
	v_fma_f64 v[91:92], v[99:100], v[91:92], v[95:96]
	v_add_f64 v[95:96], v[101:102], v[91:92]
	v_add_f64 v[103:104], v[93:94], -v[95:96]
	v_add_f64 v[101:102], v[95:96], -v[101:102]
	;; [unrolled: 1-line block ×5, first 2 shown]
	v_add_f64 v[71:72], v[71:72], v[93:94]
	v_add_f64 v[93:94], v[97:98], v[99:100]
	;; [unrolled: 1-line block ×3, first 2 shown]
	v_add_f64 v[91:92], v[93:94], -v[97:98]
	v_add_f64 v[71:72], v[103:104], v[71:72]
	v_add_f64 v[91:92], v[99:100], -v[91:92]
	v_mul_f64 v[71:72], v[73:74], v[71:72]
	v_add_f64 v[71:72], v[91:92], v[71:72]
	v_add_f64 v[73:74], v[93:94], v[71:72]
	v_mul_f64 v[91:92], v[73:74], v[73:74]
	v_fma_f64 v[95:96], v[91:92], s[68:69], s[66:67]
	v_mul_f64 v[97:98], v[73:74], v[91:92]
	v_fma_f64 v[95:96], v[91:92], v[95:96], s[70:71]
	v_fma_f64 v[95:96], v[91:92], v[95:96], s[72:73]
	;; [unrolled: 1-line block ×5, first 2 shown]
	v_ldexp_f64 v[95:96], v[73:74], 1
	v_add_f64 v[73:74], v[73:74], -v[93:94]
	v_mul_f64 v[91:92], v[97:98], v[91:92]
	v_cvt_f64_i32_e32 v[97:98], v109
	v_add_f64 v[71:72], v[71:72], -v[73:74]
	v_add_f64 v[93:94], v[95:96], v[91:92]
	v_mul_f64 v[99:100], v[97:98], s[80:81]
	v_ldexp_f64 v[71:72], v[71:72], 1
	v_add_f64 v[73:74], v[93:94], -v[95:96]
	v_fma_f64 v[95:96], v[97:98], s[80:81], -v[99:100]
	v_add_f64 v[73:74], v[91:92], -v[73:74]
	v_fma_f64 v[91:92], v[97:98], s[82:83], v[95:96]
	v_add_f64 v[71:72], v[71:72], v[73:74]
	v_add_f64 v[73:74], v[99:100], v[91:92]
	;; [unrolled: 1-line block ×3, first 2 shown]
	v_add_f64 v[99:100], v[73:74], -v[99:100]
	v_add_f64 v[97:98], v[73:74], v[95:96]
	v_add_f64 v[93:94], v[95:96], -v[93:94]
	v_add_f64 v[91:92], v[91:92], -v[99:100]
	;; [unrolled: 1-line block ×6, first 2 shown]
	v_add_f64 v[95:96], v[91:92], v[71:72]
	v_add_f64 v[73:74], v[73:74], -v[103:104]
	v_add_f64 v[73:74], v[93:94], v[73:74]
	v_add_f64 v[93:94], v[95:96], -v[91:92]
	;; [unrolled: 2-line block ×3, first 2 shown]
	v_add_f64 v[71:72], v[71:72], -v[93:94]
	v_add_f64 v[99:100], v[97:98], v[73:74]
	v_add_f64 v[91:92], v[91:92], -v[95:96]
	v_add_f64 v[93:94], v[99:100], -v[97:98]
	v_add_f64 v[71:72], v[71:72], v[91:92]
	v_add_f64 v[73:74], v[73:74], -v[93:94]
	v_add_f64 v[71:72], v[71:72], v[73:74]
	v_add_f64 v[71:72], v[99:100], v[71:72]
	v_cndmask_b32_e32 v71, 0, v71, vcc_lo
	v_cmp_neq_f64_e32 vcc_lo, -1.0, v[9:10]
	v_cndmask_b32_e64 v72, 0x7ff00000, v72, s18
	v_cndmask_b32_e64 v72, 0x7ff80000, v72, s19
	v_cndmask_b32_e32 v72, 0xfff00000, v72, vcc_lo
	v_add_f64 v[71:72], v[7:8], v[71:72]
.LBB74_141:                             ;   in Loop: Header=BB74_129 Depth=1
	s_or_b32 exec_lo, exec_lo, s88
	v_mov_b32_e32 v7, v71
	v_mov_b32_e32 v9, v71
	v_mov_b32_e32 v10, v72
	v_mov_b32_e32 v8, v72
.LBB74_142:                             ;   in Loop: Header=BB74_129 Depth=1
	s_or_b32 exec_lo, exec_lo, s87
	s_waitcnt lgkmcnt(1)
	ds_bpermute_b32 v71, v84, v9
	s_waitcnt lgkmcnt(1)
	ds_bpermute_b32 v72, v84, v10
	s_mov_b32 s87, exec_lo
	v_cmpx_le_u32_e64 v85, v12
	s_cbranch_execz .LBB74_146
; %bb.143:                              ;   in Loop: Header=BB74_129 Depth=1
	s_waitcnt lgkmcnt(0)
	v_max_f64 v[9:10], v[71:72], v[71:72]
	v_max_f64 v[73:74], v[7:8], v[7:8]
	v_cmp_u_f64_e32 vcc_lo, v[71:72], v[71:72]
	v_cmp_u_f64_e64 s18, v[7:8], v[7:8]
	v_min_f64 v[91:92], v[9:10], v[73:74]
	v_max_f64 v[9:10], v[9:10], v[73:74]
	v_cndmask_b32_e32 v73, v92, v72, vcc_lo
	v_cndmask_b32_e32 v74, v91, v71, vcc_lo
	;; [unrolled: 1-line block ×4, first 2 shown]
	v_cndmask_b32_e64 v10, v73, v8, s18
	v_cndmask_b32_e64 v9, v74, v7, s18
	;; [unrolled: 1-line block ×4, first 2 shown]
	v_cmp_class_f64_e64 s18, v[9:10], 0x1f8
	v_cmp_neq_f64_e32 vcc_lo, v[9:10], v[7:8]
	s_or_b32 s18, vcc_lo, s18
	s_and_saveexec_b32 s88, s18
	s_cbranch_execz .LBB74_145
; %bb.144:                              ;   in Loop: Header=BB74_129 Depth=1
	v_add_f64 v[9:10], v[9:10], -v[7:8]
	s_mov_b32 s79, s65
	s_mov_b32 s80, s38
	;; [unrolled: 1-line block ×3, first 2 shown]
	v_mul_f64 v[71:72], v[9:10], s[36:37]
	v_cmp_nlt_f64_e32 vcc_lo, 0x40900000, v[9:10]
	v_cmp_ngt_f64_e64 s18, 0xc090cc00, v[9:10]
	v_rndne_f64_e32 v[71:72], v[71:72]
	v_fma_f64 v[73:74], v[71:72], s[38:39], v[9:10]
	v_cvt_i32_f64_e32 v93, v[71:72]
	v_fma_f64 v[73:74], v[71:72], s[42:43], v[73:74]
	v_fma_f64 v[91:92], v[73:74], s[46:47], s[44:45]
	;; [unrolled: 1-line block ×10, first 2 shown]
	v_fma_f64 v[91:92], v[73:74], v[91:92], 1.0
	v_fma_f64 v[71:72], v[73:74], v[91:92], 1.0
	v_ldexp_f64 v[71:72], v[71:72], v93
	v_cndmask_b32_e32 v72, 0x7ff00000, v72, vcc_lo
	s_and_b32 vcc_lo, s18, vcc_lo
	v_cndmask_b32_e32 v9, 0, v71, vcc_lo
	v_cndmask_b32_e64 v10, 0, v72, s18
	v_add_f64 v[71:72], v[9:10], 1.0
	v_cmp_neq_f64_e64 s18, 0x7ff00000, v[9:10]
	v_cmp_ngt_f64_e64 s19, -1.0, v[9:10]
	v_frexp_mant_f64_e32 v[73:74], v[71:72]
	v_frexp_exp_i32_f64_e32 v93, v[71:72]
	v_add_f64 v[91:92], v[71:72], -1.0
	v_cmp_gt_f64_e32 vcc_lo, s[64:65], v[73:74]
	v_add_f64 v[73:74], v[91:92], -v[71:72]
	v_add_f64 v[91:92], v[9:10], -v[91:92]
	v_subrev_co_ci_u32_e64 v109, null, 0, v93, vcc_lo
	v_add_f64 v[73:74], v[73:74], 1.0
	v_cmp_nge_f64_e32 vcc_lo, -1.0, v[9:10]
	v_sub_nc_u32_e32 v95, 0, v109
	v_ldexp_f64 v[71:72], v[71:72], v95
	v_add_f64 v[73:74], v[91:92], v[73:74]
	s_and_b32 vcc_lo, vcc_lo, s18
	v_add_f64 v[93:94], v[71:72], 1.0
	v_add_f64 v[99:100], v[71:72], -1.0
	v_ldexp_f64 v[73:74], v[73:74], v95
	v_add_f64 v[91:92], v[93:94], -1.0
	v_add_f64 v[101:102], v[99:100], 1.0
	v_add_f64 v[91:92], v[71:72], -v[91:92]
	v_add_f64 v[71:72], v[71:72], -v[101:102]
	v_add_f64 v[91:92], v[73:74], v[91:92]
	v_add_f64 v[71:72], v[73:74], v[71:72]
	;; [unrolled: 1-line block ×4, first 2 shown]
	v_rcp_f64_e32 v[97:98], v[95:96]
	v_add_f64 v[93:94], v[95:96], -v[93:94]
	v_add_f64 v[99:100], v[101:102], -v[99:100]
	;; [unrolled: 1-line block ×3, first 2 shown]
	v_fma_f64 v[103:104], -v[95:96], v[97:98], 1.0
	v_add_f64 v[71:72], v[71:72], -v[99:100]
	v_fma_f64 v[97:98], v[103:104], v[97:98], v[97:98]
	v_fma_f64 v[73:74], -v[95:96], v[97:98], 1.0
	v_fma_f64 v[73:74], v[73:74], v[97:98], v[97:98]
	v_mul_f64 v[97:98], v[101:102], v[73:74]
	v_mul_f64 v[103:104], v[95:96], v[97:98]
	v_fma_f64 v[93:94], v[97:98], v[95:96], -v[103:104]
	v_fma_f64 v[93:94], v[97:98], v[91:92], v[93:94]
	v_add_f64 v[105:106], v[103:104], v[93:94]
	v_add_f64 v[107:108], v[101:102], -v[105:106]
	v_add_f64 v[99:100], v[105:106], -v[103:104]
	;; [unrolled: 1-line block ×5, first 2 shown]
	v_add_f64 v[71:72], v[71:72], v[101:102]
	v_add_f64 v[71:72], v[93:94], v[71:72]
	;; [unrolled: 1-line block ×3, first 2 shown]
	v_mul_f64 v[99:100], v[73:74], v[93:94]
	v_add_f64 v[105:106], v[107:108], -v[93:94]
	v_mul_f64 v[101:102], v[95:96], v[99:100]
	v_add_f64 v[71:72], v[71:72], v[105:106]
	v_fma_f64 v[95:96], v[99:100], v[95:96], -v[101:102]
	v_fma_f64 v[91:92], v[99:100], v[91:92], v[95:96]
	v_add_f64 v[95:96], v[101:102], v[91:92]
	v_add_f64 v[103:104], v[93:94], -v[95:96]
	v_add_f64 v[101:102], v[95:96], -v[101:102]
	;; [unrolled: 1-line block ×5, first 2 shown]
	v_add_f64 v[71:72], v[71:72], v[93:94]
	v_add_f64 v[93:94], v[97:98], v[99:100]
	;; [unrolled: 1-line block ×3, first 2 shown]
	v_add_f64 v[91:92], v[93:94], -v[97:98]
	v_add_f64 v[71:72], v[103:104], v[71:72]
	v_add_f64 v[91:92], v[99:100], -v[91:92]
	v_mul_f64 v[71:72], v[73:74], v[71:72]
	v_add_f64 v[71:72], v[91:92], v[71:72]
	v_add_f64 v[73:74], v[93:94], v[71:72]
	v_mul_f64 v[91:92], v[73:74], v[73:74]
	v_fma_f64 v[95:96], v[91:92], s[68:69], s[66:67]
	v_mul_f64 v[97:98], v[73:74], v[91:92]
	v_fma_f64 v[95:96], v[91:92], v[95:96], s[70:71]
	v_fma_f64 v[95:96], v[91:92], v[95:96], s[72:73]
	v_fma_f64 v[95:96], v[91:92], v[95:96], s[74:75]
	v_fma_f64 v[95:96], v[91:92], v[95:96], s[76:77]
	v_fma_f64 v[91:92], v[91:92], v[95:96], s[78:79]
	v_ldexp_f64 v[95:96], v[73:74], 1
	v_add_f64 v[73:74], v[73:74], -v[93:94]
	v_mul_f64 v[91:92], v[97:98], v[91:92]
	v_cvt_f64_i32_e32 v[97:98], v109
	v_add_f64 v[71:72], v[71:72], -v[73:74]
	v_add_f64 v[93:94], v[95:96], v[91:92]
	v_mul_f64 v[99:100], v[97:98], s[80:81]
	v_ldexp_f64 v[71:72], v[71:72], 1
	v_add_f64 v[73:74], v[93:94], -v[95:96]
	v_fma_f64 v[95:96], v[97:98], s[80:81], -v[99:100]
	v_add_f64 v[73:74], v[91:92], -v[73:74]
	v_fma_f64 v[91:92], v[97:98], s[82:83], v[95:96]
	v_add_f64 v[71:72], v[71:72], v[73:74]
	v_add_f64 v[73:74], v[99:100], v[91:92]
	;; [unrolled: 1-line block ×3, first 2 shown]
	v_add_f64 v[99:100], v[73:74], -v[99:100]
	v_add_f64 v[97:98], v[73:74], v[95:96]
	v_add_f64 v[93:94], v[95:96], -v[93:94]
	v_add_f64 v[91:92], v[91:92], -v[99:100]
	;; [unrolled: 1-line block ×6, first 2 shown]
	v_add_f64 v[95:96], v[91:92], v[71:72]
	v_add_f64 v[73:74], v[73:74], -v[103:104]
	v_add_f64 v[73:74], v[93:94], v[73:74]
	v_add_f64 v[93:94], v[95:96], -v[91:92]
	;; [unrolled: 2-line block ×3, first 2 shown]
	v_add_f64 v[71:72], v[71:72], -v[93:94]
	v_add_f64 v[99:100], v[97:98], v[73:74]
	v_add_f64 v[91:92], v[91:92], -v[95:96]
	v_add_f64 v[93:94], v[99:100], -v[97:98]
	v_add_f64 v[71:72], v[71:72], v[91:92]
	v_add_f64 v[73:74], v[73:74], -v[93:94]
	v_add_f64 v[71:72], v[71:72], v[73:74]
	v_add_f64 v[71:72], v[99:100], v[71:72]
	v_cndmask_b32_e32 v71, 0, v71, vcc_lo
	v_cmp_neq_f64_e32 vcc_lo, -1.0, v[9:10]
	v_cndmask_b32_e64 v72, 0x7ff00000, v72, s18
	v_cndmask_b32_e64 v72, 0x7ff80000, v72, s19
	v_cndmask_b32_e32 v72, 0xfff00000, v72, vcc_lo
	v_add_f64 v[71:72], v[7:8], v[71:72]
.LBB74_145:                             ;   in Loop: Header=BB74_129 Depth=1
	s_or_b32 exec_lo, exec_lo, s88
	v_mov_b32_e32 v7, v71
	v_mov_b32_e32 v9, v71
	;; [unrolled: 1-line block ×4, first 2 shown]
.LBB74_146:                             ;   in Loop: Header=BB74_129 Depth=1
	s_or_b32 exec_lo, exec_lo, s87
	s_waitcnt lgkmcnt(1)
	ds_bpermute_b32 v71, v86, v9
	s_waitcnt lgkmcnt(1)
	ds_bpermute_b32 v72, v86, v10
	s_mov_b32 s87, exec_lo
	v_cmpx_le_u32_e64 v87, v12
	s_cbranch_execz .LBB74_150
; %bb.147:                              ;   in Loop: Header=BB74_129 Depth=1
	s_waitcnt lgkmcnt(0)
	v_max_f64 v[9:10], v[71:72], v[71:72]
	v_max_f64 v[73:74], v[7:8], v[7:8]
	v_cmp_u_f64_e32 vcc_lo, v[71:72], v[71:72]
	v_cmp_u_f64_e64 s18, v[7:8], v[7:8]
	v_min_f64 v[91:92], v[9:10], v[73:74]
	v_max_f64 v[9:10], v[9:10], v[73:74]
	v_cndmask_b32_e32 v73, v92, v72, vcc_lo
	v_cndmask_b32_e32 v74, v91, v71, vcc_lo
	v_cndmask_b32_e32 v91, v10, v72, vcc_lo
	v_cndmask_b32_e32 v92, v9, v71, vcc_lo
	v_cndmask_b32_e64 v10, v73, v8, s18
	v_cndmask_b32_e64 v9, v74, v7, s18
	;; [unrolled: 1-line block ×4, first 2 shown]
	v_cmp_class_f64_e64 s18, v[9:10], 0x1f8
	v_cmp_neq_f64_e32 vcc_lo, v[9:10], v[7:8]
	s_or_b32 s18, vcc_lo, s18
	s_and_saveexec_b32 s88, s18
	s_cbranch_execz .LBB74_149
; %bb.148:                              ;   in Loop: Header=BB74_129 Depth=1
	v_add_f64 v[9:10], v[9:10], -v[7:8]
	s_mov_b32 s79, s65
	s_mov_b32 s80, s38
	;; [unrolled: 1-line block ×3, first 2 shown]
	v_mul_f64 v[71:72], v[9:10], s[36:37]
	v_cmp_nlt_f64_e32 vcc_lo, 0x40900000, v[9:10]
	v_cmp_ngt_f64_e64 s18, 0xc090cc00, v[9:10]
	v_rndne_f64_e32 v[71:72], v[71:72]
	v_fma_f64 v[73:74], v[71:72], s[38:39], v[9:10]
	v_cvt_i32_f64_e32 v93, v[71:72]
	v_fma_f64 v[73:74], v[71:72], s[42:43], v[73:74]
	v_fma_f64 v[91:92], v[73:74], s[46:47], s[44:45]
	v_fma_f64 v[91:92], v[73:74], v[91:92], s[48:49]
	v_fma_f64 v[91:92], v[73:74], v[91:92], s[50:51]
	v_fma_f64 v[91:92], v[73:74], v[91:92], s[52:53]
	v_fma_f64 v[91:92], v[73:74], v[91:92], s[54:55]
	v_fma_f64 v[91:92], v[73:74], v[91:92], s[56:57]
	v_fma_f64 v[91:92], v[73:74], v[91:92], s[58:59]
	v_fma_f64 v[91:92], v[73:74], v[91:92], s[60:61]
	v_fma_f64 v[91:92], v[73:74], v[91:92], s[62:63]
	v_fma_f64 v[91:92], v[73:74], v[91:92], 1.0
	v_fma_f64 v[71:72], v[73:74], v[91:92], 1.0
	v_ldexp_f64 v[71:72], v[71:72], v93
	v_cndmask_b32_e32 v72, 0x7ff00000, v72, vcc_lo
	s_and_b32 vcc_lo, s18, vcc_lo
	v_cndmask_b32_e32 v9, 0, v71, vcc_lo
	v_cndmask_b32_e64 v10, 0, v72, s18
	v_add_f64 v[71:72], v[9:10], 1.0
	v_cmp_neq_f64_e64 s18, 0x7ff00000, v[9:10]
	v_cmp_ngt_f64_e64 s19, -1.0, v[9:10]
	v_frexp_mant_f64_e32 v[73:74], v[71:72]
	v_frexp_exp_i32_f64_e32 v93, v[71:72]
	v_add_f64 v[91:92], v[71:72], -1.0
	v_cmp_gt_f64_e32 vcc_lo, s[64:65], v[73:74]
	v_add_f64 v[73:74], v[91:92], -v[71:72]
	v_add_f64 v[91:92], v[9:10], -v[91:92]
	v_subrev_co_ci_u32_e64 v109, null, 0, v93, vcc_lo
	v_add_f64 v[73:74], v[73:74], 1.0
	v_cmp_nge_f64_e32 vcc_lo, -1.0, v[9:10]
	v_sub_nc_u32_e32 v95, 0, v109
	v_ldexp_f64 v[71:72], v[71:72], v95
	v_add_f64 v[73:74], v[91:92], v[73:74]
	s_and_b32 vcc_lo, vcc_lo, s18
	v_add_f64 v[93:94], v[71:72], 1.0
	v_add_f64 v[99:100], v[71:72], -1.0
	v_ldexp_f64 v[73:74], v[73:74], v95
	v_add_f64 v[91:92], v[93:94], -1.0
	v_add_f64 v[101:102], v[99:100], 1.0
	v_add_f64 v[91:92], v[71:72], -v[91:92]
	v_add_f64 v[71:72], v[71:72], -v[101:102]
	v_add_f64 v[91:92], v[73:74], v[91:92]
	v_add_f64 v[71:72], v[73:74], v[71:72]
	;; [unrolled: 1-line block ×4, first 2 shown]
	v_rcp_f64_e32 v[97:98], v[95:96]
	v_add_f64 v[93:94], v[95:96], -v[93:94]
	v_add_f64 v[99:100], v[101:102], -v[99:100]
	v_add_f64 v[91:92], v[91:92], -v[93:94]
	v_fma_f64 v[103:104], -v[95:96], v[97:98], 1.0
	v_add_f64 v[71:72], v[71:72], -v[99:100]
	v_fma_f64 v[97:98], v[103:104], v[97:98], v[97:98]
	v_fma_f64 v[73:74], -v[95:96], v[97:98], 1.0
	v_fma_f64 v[73:74], v[73:74], v[97:98], v[97:98]
	v_mul_f64 v[97:98], v[101:102], v[73:74]
	v_mul_f64 v[103:104], v[95:96], v[97:98]
	v_fma_f64 v[93:94], v[97:98], v[95:96], -v[103:104]
	v_fma_f64 v[93:94], v[97:98], v[91:92], v[93:94]
	v_add_f64 v[105:106], v[103:104], v[93:94]
	v_add_f64 v[107:108], v[101:102], -v[105:106]
	v_add_f64 v[99:100], v[105:106], -v[103:104]
	;; [unrolled: 1-line block ×5, first 2 shown]
	v_add_f64 v[71:72], v[71:72], v[101:102]
	v_add_f64 v[71:72], v[93:94], v[71:72]
	;; [unrolled: 1-line block ×3, first 2 shown]
	v_mul_f64 v[99:100], v[73:74], v[93:94]
	v_add_f64 v[105:106], v[107:108], -v[93:94]
	v_mul_f64 v[101:102], v[95:96], v[99:100]
	v_add_f64 v[71:72], v[71:72], v[105:106]
	v_fma_f64 v[95:96], v[99:100], v[95:96], -v[101:102]
	v_fma_f64 v[91:92], v[99:100], v[91:92], v[95:96]
	v_add_f64 v[95:96], v[101:102], v[91:92]
	v_add_f64 v[103:104], v[93:94], -v[95:96]
	v_add_f64 v[101:102], v[95:96], -v[101:102]
	;; [unrolled: 1-line block ×5, first 2 shown]
	v_add_f64 v[71:72], v[71:72], v[93:94]
	v_add_f64 v[93:94], v[97:98], v[99:100]
	;; [unrolled: 1-line block ×3, first 2 shown]
	v_add_f64 v[91:92], v[93:94], -v[97:98]
	v_add_f64 v[71:72], v[103:104], v[71:72]
	v_add_f64 v[91:92], v[99:100], -v[91:92]
	v_mul_f64 v[71:72], v[73:74], v[71:72]
	v_add_f64 v[71:72], v[91:92], v[71:72]
	v_add_f64 v[73:74], v[93:94], v[71:72]
	v_mul_f64 v[91:92], v[73:74], v[73:74]
	v_fma_f64 v[95:96], v[91:92], s[68:69], s[66:67]
	v_mul_f64 v[97:98], v[73:74], v[91:92]
	v_fma_f64 v[95:96], v[91:92], v[95:96], s[70:71]
	v_fma_f64 v[95:96], v[91:92], v[95:96], s[72:73]
	;; [unrolled: 1-line block ×5, first 2 shown]
	v_ldexp_f64 v[95:96], v[73:74], 1
	v_add_f64 v[73:74], v[73:74], -v[93:94]
	v_mul_f64 v[91:92], v[97:98], v[91:92]
	v_cvt_f64_i32_e32 v[97:98], v109
	v_add_f64 v[71:72], v[71:72], -v[73:74]
	v_add_f64 v[93:94], v[95:96], v[91:92]
	v_mul_f64 v[99:100], v[97:98], s[80:81]
	v_ldexp_f64 v[71:72], v[71:72], 1
	v_add_f64 v[73:74], v[93:94], -v[95:96]
	v_fma_f64 v[95:96], v[97:98], s[80:81], -v[99:100]
	v_add_f64 v[73:74], v[91:92], -v[73:74]
	v_fma_f64 v[91:92], v[97:98], s[82:83], v[95:96]
	v_add_f64 v[71:72], v[71:72], v[73:74]
	v_add_f64 v[73:74], v[99:100], v[91:92]
	;; [unrolled: 1-line block ×3, first 2 shown]
	v_add_f64 v[99:100], v[73:74], -v[99:100]
	v_add_f64 v[97:98], v[73:74], v[95:96]
	v_add_f64 v[93:94], v[95:96], -v[93:94]
	v_add_f64 v[91:92], v[91:92], -v[99:100]
	;; [unrolled: 1-line block ×6, first 2 shown]
	v_add_f64 v[95:96], v[91:92], v[71:72]
	v_add_f64 v[73:74], v[73:74], -v[103:104]
	v_add_f64 v[73:74], v[93:94], v[73:74]
	v_add_f64 v[93:94], v[95:96], -v[91:92]
	;; [unrolled: 2-line block ×3, first 2 shown]
	v_add_f64 v[71:72], v[71:72], -v[93:94]
	v_add_f64 v[99:100], v[97:98], v[73:74]
	v_add_f64 v[91:92], v[91:92], -v[95:96]
	v_add_f64 v[93:94], v[99:100], -v[97:98]
	v_add_f64 v[71:72], v[71:72], v[91:92]
	v_add_f64 v[73:74], v[73:74], -v[93:94]
	v_add_f64 v[71:72], v[71:72], v[73:74]
	v_add_f64 v[71:72], v[99:100], v[71:72]
	v_cndmask_b32_e32 v71, 0, v71, vcc_lo
	v_cmp_neq_f64_e32 vcc_lo, -1.0, v[9:10]
	v_cndmask_b32_e64 v72, 0x7ff00000, v72, s18
	v_cndmask_b32_e64 v72, 0x7ff80000, v72, s19
	v_cndmask_b32_e32 v72, 0xfff00000, v72, vcc_lo
	v_add_f64 v[71:72], v[7:8], v[71:72]
.LBB74_149:                             ;   in Loop: Header=BB74_129 Depth=1
	s_or_b32 exec_lo, exec_lo, s88
	v_mov_b32_e32 v7, v71
	v_mov_b32_e32 v9, v71
	;; [unrolled: 1-line block ×4, first 2 shown]
.LBB74_150:                             ;   in Loop: Header=BB74_129 Depth=1
	s_or_b32 exec_lo, exec_lo, s87
	ds_bpermute_b32 v9, v88, v9
	ds_bpermute_b32 v10, v88, v10
	s_mov_b32 s87, exec_lo
	v_cmpx_le_u32_e64 v89, v12
	s_cbranch_execz .LBB74_154
; %bb.151:                              ;   in Loop: Header=BB74_129 Depth=1
	s_waitcnt lgkmcnt(0)
	v_max_f64 v[71:72], v[9:10], v[9:10]
	v_max_f64 v[73:74], v[7:8], v[7:8]
	v_cmp_u_f64_e32 vcc_lo, v[9:10], v[9:10]
	v_cmp_u_f64_e64 s18, v[7:8], v[7:8]
	v_min_f64 v[91:92], v[71:72], v[73:74]
	v_max_f64 v[71:72], v[71:72], v[73:74]
	v_cndmask_b32_e32 v12, v92, v10, vcc_lo
	v_cndmask_b32_e32 v73, v91, v9, vcc_lo
	;; [unrolled: 1-line block ×4, first 2 shown]
	v_cndmask_b32_e64 v72, v12, v8, s18
	v_cndmask_b32_e64 v71, v73, v7, s18
	;; [unrolled: 1-line block ×4, first 2 shown]
	v_cmp_class_f64_e64 s18, v[71:72], 0x1f8
	v_cmp_neq_f64_e32 vcc_lo, v[71:72], v[7:8]
	s_or_b32 s18, vcc_lo, s18
	s_and_saveexec_b32 s88, s18
	s_cbranch_execz .LBB74_153
; %bb.152:                              ;   in Loop: Header=BB74_129 Depth=1
	v_add_f64 v[9:10], v[71:72], -v[7:8]
	s_mov_b32 s79, s65
	s_mov_b32 s80, s38
	;; [unrolled: 1-line block ×3, first 2 shown]
	v_mul_f64 v[71:72], v[9:10], s[36:37]
	v_cmp_nlt_f64_e32 vcc_lo, 0x40900000, v[9:10]
	v_cmp_ngt_f64_e64 s18, 0xc090cc00, v[9:10]
	v_rndne_f64_e32 v[71:72], v[71:72]
	v_fma_f64 v[73:74], v[71:72], s[38:39], v[9:10]
	v_cvt_i32_f64_e32 v12, v[71:72]
	v_fma_f64 v[73:74], v[71:72], s[42:43], v[73:74]
	v_fma_f64 v[91:92], v[73:74], s[46:47], s[44:45]
	;; [unrolled: 1-line block ×10, first 2 shown]
	v_fma_f64 v[91:92], v[73:74], v[91:92], 1.0
	v_fma_f64 v[71:72], v[73:74], v[91:92], 1.0
	v_ldexp_f64 v[71:72], v[71:72], v12
	v_cndmask_b32_e32 v12, 0x7ff00000, v72, vcc_lo
	s_and_b32 vcc_lo, s18, vcc_lo
	v_cndmask_b32_e32 v9, 0, v71, vcc_lo
	v_cndmask_b32_e64 v10, 0, v12, s18
	v_add_f64 v[71:72], v[9:10], 1.0
	v_cmp_neq_f64_e64 s18, 0x7ff00000, v[9:10]
	v_cmp_ngt_f64_e64 s19, -1.0, v[9:10]
	v_frexp_mant_f64_e32 v[73:74], v[71:72]
	v_frexp_exp_i32_f64_e32 v12, v[71:72]
	v_add_f64 v[91:92], v[71:72], -1.0
	v_cmp_gt_f64_e32 vcc_lo, s[64:65], v[73:74]
	v_add_f64 v[73:74], v[91:92], -v[71:72]
	v_add_f64 v[91:92], v[9:10], -v[91:92]
	v_subrev_co_ci_u32_e64 v12, null, 0, v12, vcc_lo
	v_add_f64 v[73:74], v[73:74], 1.0
	v_cmp_nge_f64_e32 vcc_lo, -1.0, v[9:10]
	v_sub_nc_u32_e32 v95, 0, v12
	v_ldexp_f64 v[71:72], v[71:72], v95
	v_add_f64 v[73:74], v[91:92], v[73:74]
	s_and_b32 vcc_lo, vcc_lo, s18
	v_add_f64 v[93:94], v[71:72], 1.0
	v_add_f64 v[99:100], v[71:72], -1.0
	v_ldexp_f64 v[73:74], v[73:74], v95
	v_add_f64 v[91:92], v[93:94], -1.0
	v_add_f64 v[101:102], v[99:100], 1.0
	v_add_f64 v[91:92], v[71:72], -v[91:92]
	v_add_f64 v[71:72], v[71:72], -v[101:102]
	v_add_f64 v[91:92], v[73:74], v[91:92]
	v_add_f64 v[71:72], v[73:74], v[71:72]
	;; [unrolled: 1-line block ×4, first 2 shown]
	v_rcp_f64_e32 v[97:98], v[95:96]
	v_add_f64 v[93:94], v[95:96], -v[93:94]
	v_add_f64 v[99:100], v[101:102], -v[99:100]
	;; [unrolled: 1-line block ×3, first 2 shown]
	v_fma_f64 v[103:104], -v[95:96], v[97:98], 1.0
	v_add_f64 v[71:72], v[71:72], -v[99:100]
	v_fma_f64 v[97:98], v[103:104], v[97:98], v[97:98]
	v_fma_f64 v[73:74], -v[95:96], v[97:98], 1.0
	v_fma_f64 v[73:74], v[73:74], v[97:98], v[97:98]
	v_mul_f64 v[97:98], v[101:102], v[73:74]
	v_mul_f64 v[103:104], v[95:96], v[97:98]
	v_fma_f64 v[93:94], v[97:98], v[95:96], -v[103:104]
	v_fma_f64 v[93:94], v[97:98], v[91:92], v[93:94]
	v_add_f64 v[105:106], v[103:104], v[93:94]
	v_add_f64 v[107:108], v[101:102], -v[105:106]
	v_add_f64 v[99:100], v[105:106], -v[103:104]
	;; [unrolled: 1-line block ×5, first 2 shown]
	v_add_f64 v[71:72], v[71:72], v[101:102]
	v_add_f64 v[71:72], v[93:94], v[71:72]
	;; [unrolled: 1-line block ×3, first 2 shown]
	v_mul_f64 v[99:100], v[73:74], v[93:94]
	v_add_f64 v[105:106], v[107:108], -v[93:94]
	v_mul_f64 v[101:102], v[95:96], v[99:100]
	v_add_f64 v[71:72], v[71:72], v[105:106]
	v_fma_f64 v[95:96], v[99:100], v[95:96], -v[101:102]
	v_fma_f64 v[91:92], v[99:100], v[91:92], v[95:96]
	v_add_f64 v[95:96], v[101:102], v[91:92]
	v_add_f64 v[103:104], v[93:94], -v[95:96]
	v_add_f64 v[101:102], v[95:96], -v[101:102]
	;; [unrolled: 1-line block ×5, first 2 shown]
	v_add_f64 v[71:72], v[71:72], v[93:94]
	v_add_f64 v[93:94], v[97:98], v[99:100]
	;; [unrolled: 1-line block ×3, first 2 shown]
	v_add_f64 v[91:92], v[93:94], -v[97:98]
	v_add_f64 v[71:72], v[103:104], v[71:72]
	v_add_f64 v[91:92], v[99:100], -v[91:92]
	v_mul_f64 v[71:72], v[73:74], v[71:72]
	v_add_f64 v[71:72], v[91:92], v[71:72]
	v_add_f64 v[73:74], v[93:94], v[71:72]
	v_mul_f64 v[91:92], v[73:74], v[73:74]
	v_fma_f64 v[95:96], v[91:92], s[68:69], s[66:67]
	v_mul_f64 v[97:98], v[73:74], v[91:92]
	v_fma_f64 v[95:96], v[91:92], v[95:96], s[70:71]
	v_fma_f64 v[95:96], v[91:92], v[95:96], s[72:73]
	;; [unrolled: 1-line block ×5, first 2 shown]
	v_ldexp_f64 v[95:96], v[73:74], 1
	v_add_f64 v[73:74], v[73:74], -v[93:94]
	v_mul_f64 v[91:92], v[97:98], v[91:92]
	v_cvt_f64_i32_e32 v[97:98], v12
	v_add_f64 v[71:72], v[71:72], -v[73:74]
	v_add_f64 v[93:94], v[95:96], v[91:92]
	v_mul_f64 v[99:100], v[97:98], s[80:81]
	v_ldexp_f64 v[71:72], v[71:72], 1
	v_add_f64 v[73:74], v[93:94], -v[95:96]
	v_fma_f64 v[95:96], v[97:98], s[80:81], -v[99:100]
	v_add_f64 v[73:74], v[91:92], -v[73:74]
	v_fma_f64 v[91:92], v[97:98], s[82:83], v[95:96]
	v_add_f64 v[71:72], v[71:72], v[73:74]
	v_add_f64 v[73:74], v[99:100], v[91:92]
	v_add_f64 v[95:96], v[93:94], v[71:72]
	v_add_f64 v[99:100], v[73:74], -v[99:100]
	v_add_f64 v[97:98], v[73:74], v[95:96]
	v_add_f64 v[93:94], v[95:96], -v[93:94]
	v_add_f64 v[91:92], v[91:92], -v[99:100]
	v_add_f64 v[101:102], v[97:98], -v[73:74]
	v_add_f64 v[71:72], v[71:72], -v[93:94]
	v_add_f64 v[103:104], v[97:98], -v[101:102]
	v_add_f64 v[93:94], v[95:96], -v[101:102]
	v_add_f64 v[95:96], v[91:92], v[71:72]
	v_add_f64 v[73:74], v[73:74], -v[103:104]
	v_add_f64 v[73:74], v[93:94], v[73:74]
	v_add_f64 v[93:94], v[95:96], -v[91:92]
	;; [unrolled: 2-line block ×3, first 2 shown]
	v_add_f64 v[71:72], v[71:72], -v[93:94]
	v_add_f64 v[99:100], v[97:98], v[73:74]
	v_add_f64 v[91:92], v[91:92], -v[95:96]
	v_add_f64 v[93:94], v[99:100], -v[97:98]
	v_add_f64 v[71:72], v[71:72], v[91:92]
	v_add_f64 v[73:74], v[73:74], -v[93:94]
	v_add_f64 v[71:72], v[71:72], v[73:74]
	v_add_f64 v[71:72], v[99:100], v[71:72]
	v_cndmask_b32_e32 v71, 0, v71, vcc_lo
	v_cmp_neq_f64_e32 vcc_lo, -1.0, v[9:10]
	v_cndmask_b32_e64 v12, 0x7ff00000, v72, s18
	v_cndmask_b32_e64 v12, 0x7ff80000, v12, s19
	v_cndmask_b32_e32 v72, 0xfff00000, v12, vcc_lo
	v_add_f64 v[9:10], v[7:8], v[71:72]
.LBB74_153:                             ;   in Loop: Header=BB74_129 Depth=1
	s_or_b32 exec_lo, exec_lo, s88
	v_mov_b32_e32 v7, v9
	v_mov_b32_e32 v8, v10
.LBB74_154:                             ;   in Loop: Header=BB74_129 Depth=1
	s_or_b32 exec_lo, exec_lo, s87
	s_waitcnt lgkmcnt(0)
	v_max_f64 v[9:10], v[69:70], v[69:70]
	v_max_f64 v[71:72], v[7:8], v[7:8]
	v_cmp_u_f64_e32 vcc_lo, v[7:8], v[7:8]
	v_cmp_u_f64_e64 s18, v[69:70], v[69:70]
	v_min_f64 v[73:74], v[71:72], v[9:10]
	v_max_f64 v[9:10], v[71:72], v[9:10]
	v_cndmask_b32_e32 v12, v73, v7, vcc_lo
	v_cndmask_b32_e32 v71, v74, v8, vcc_lo
	;; [unrolled: 1-line block ×4, first 2 shown]
	v_cndmask_b32_e64 v72, v71, v70, s18
	v_cndmask_b32_e64 v71, v12, v69, s18
	;; [unrolled: 1-line block ×4, first 2 shown]
	v_cmp_class_f64_e64 s18, v[71:72], 0x1f8
	v_cmp_neq_f64_e32 vcc_lo, v[71:72], v[9:10]
	s_or_b32 s18, vcc_lo, s18
	s_and_saveexec_b32 s19, s18
	s_xor_b32 s87, exec_lo, s19
	s_cbranch_execz .LBB74_127
; %bb.155:                              ;   in Loop: Header=BB74_129 Depth=1
	v_add_f64 v[7:8], v[71:72], -v[9:10]
	s_mov_b32 s79, s65
	s_mov_b32 s80, s38
	;; [unrolled: 1-line block ×3, first 2 shown]
	v_mul_f64 v[71:72], v[7:8], s[36:37]
	v_cmp_nlt_f64_e32 vcc_lo, 0x40900000, v[7:8]
	v_cmp_ngt_f64_e64 s18, 0xc090cc00, v[7:8]
	v_rndne_f64_e32 v[71:72], v[71:72]
	v_fma_f64 v[73:74], v[71:72], s[38:39], v[7:8]
	v_cvt_i32_f64_e32 v12, v[71:72]
	v_fma_f64 v[73:74], v[71:72], s[42:43], v[73:74]
	v_fma_f64 v[91:92], v[73:74], s[46:47], s[44:45]
	;; [unrolled: 1-line block ×10, first 2 shown]
	v_fma_f64 v[91:92], v[73:74], v[91:92], 1.0
	v_fma_f64 v[71:72], v[73:74], v[91:92], 1.0
	v_ldexp_f64 v[71:72], v[71:72], v12
	v_cndmask_b32_e32 v12, 0x7ff00000, v72, vcc_lo
	s_and_b32 vcc_lo, s18, vcc_lo
	v_cndmask_b32_e32 v7, 0, v71, vcc_lo
	v_cndmask_b32_e64 v8, 0, v12, s18
	v_add_f64 v[71:72], v[7:8], 1.0
	v_cmp_neq_f64_e64 s18, 0x7ff00000, v[7:8]
	v_cmp_ngt_f64_e64 s19, -1.0, v[7:8]
	v_frexp_mant_f64_e32 v[73:74], v[71:72]
	v_frexp_exp_i32_f64_e32 v12, v[71:72]
	v_add_f64 v[91:92], v[71:72], -1.0
	v_cmp_gt_f64_e32 vcc_lo, s[64:65], v[73:74]
	v_add_f64 v[73:74], v[91:92], -v[71:72]
	v_add_f64 v[91:92], v[7:8], -v[91:92]
	v_subrev_co_ci_u32_e64 v12, null, 0, v12, vcc_lo
	v_add_f64 v[73:74], v[73:74], 1.0
	v_cmp_nge_f64_e32 vcc_lo, -1.0, v[7:8]
	v_sub_nc_u32_e32 v95, 0, v12
	v_ldexp_f64 v[71:72], v[71:72], v95
	v_add_f64 v[73:74], v[91:92], v[73:74]
	s_and_b32 vcc_lo, vcc_lo, s18
	v_add_f64 v[93:94], v[71:72], 1.0
	v_add_f64 v[99:100], v[71:72], -1.0
	v_ldexp_f64 v[73:74], v[73:74], v95
	v_add_f64 v[91:92], v[93:94], -1.0
	v_add_f64 v[101:102], v[99:100], 1.0
	v_add_f64 v[91:92], v[71:72], -v[91:92]
	v_add_f64 v[71:72], v[71:72], -v[101:102]
	v_add_f64 v[91:92], v[73:74], v[91:92]
	v_add_f64 v[71:72], v[73:74], v[71:72]
	;; [unrolled: 1-line block ×4, first 2 shown]
	v_rcp_f64_e32 v[97:98], v[95:96]
	v_add_f64 v[93:94], v[95:96], -v[93:94]
	v_add_f64 v[99:100], v[101:102], -v[99:100]
	;; [unrolled: 1-line block ×3, first 2 shown]
	v_fma_f64 v[103:104], -v[95:96], v[97:98], 1.0
	v_add_f64 v[71:72], v[71:72], -v[99:100]
	v_fma_f64 v[97:98], v[103:104], v[97:98], v[97:98]
	v_fma_f64 v[73:74], -v[95:96], v[97:98], 1.0
	v_fma_f64 v[73:74], v[73:74], v[97:98], v[97:98]
	v_mul_f64 v[97:98], v[101:102], v[73:74]
	v_mul_f64 v[103:104], v[95:96], v[97:98]
	v_fma_f64 v[93:94], v[97:98], v[95:96], -v[103:104]
	v_fma_f64 v[93:94], v[97:98], v[91:92], v[93:94]
	v_add_f64 v[105:106], v[103:104], v[93:94]
	v_add_f64 v[107:108], v[101:102], -v[105:106]
	v_add_f64 v[99:100], v[105:106], -v[103:104]
	;; [unrolled: 1-line block ×5, first 2 shown]
	v_add_f64 v[71:72], v[71:72], v[101:102]
	v_add_f64 v[71:72], v[93:94], v[71:72]
	;; [unrolled: 1-line block ×3, first 2 shown]
	v_mul_f64 v[99:100], v[73:74], v[93:94]
	v_add_f64 v[105:106], v[107:108], -v[93:94]
	v_mul_f64 v[101:102], v[95:96], v[99:100]
	v_add_f64 v[71:72], v[71:72], v[105:106]
	v_fma_f64 v[95:96], v[99:100], v[95:96], -v[101:102]
	v_fma_f64 v[91:92], v[99:100], v[91:92], v[95:96]
	v_add_f64 v[95:96], v[101:102], v[91:92]
	v_add_f64 v[103:104], v[93:94], -v[95:96]
	v_add_f64 v[101:102], v[95:96], -v[101:102]
	;; [unrolled: 1-line block ×5, first 2 shown]
	v_add_f64 v[71:72], v[71:72], v[93:94]
	v_add_f64 v[93:94], v[97:98], v[99:100]
	v_add_f64 v[71:72], v[91:92], v[71:72]
	v_add_f64 v[91:92], v[93:94], -v[97:98]
	v_add_f64 v[71:72], v[103:104], v[71:72]
	v_add_f64 v[91:92], v[99:100], -v[91:92]
	v_mul_f64 v[71:72], v[73:74], v[71:72]
	v_add_f64 v[71:72], v[91:92], v[71:72]
	v_add_f64 v[73:74], v[93:94], v[71:72]
	v_mul_f64 v[91:92], v[73:74], v[73:74]
	v_fma_f64 v[95:96], v[91:92], s[68:69], s[66:67]
	v_mul_f64 v[97:98], v[73:74], v[91:92]
	v_fma_f64 v[95:96], v[91:92], v[95:96], s[70:71]
	v_fma_f64 v[95:96], v[91:92], v[95:96], s[72:73]
	;; [unrolled: 1-line block ×5, first 2 shown]
	v_ldexp_f64 v[95:96], v[73:74], 1
	v_add_f64 v[73:74], v[73:74], -v[93:94]
	v_mul_f64 v[91:92], v[97:98], v[91:92]
	v_cvt_f64_i32_e32 v[97:98], v12
	v_add_f64 v[71:72], v[71:72], -v[73:74]
	v_add_f64 v[93:94], v[95:96], v[91:92]
	v_mul_f64 v[99:100], v[97:98], s[80:81]
	v_ldexp_f64 v[71:72], v[71:72], 1
	v_add_f64 v[73:74], v[93:94], -v[95:96]
	v_fma_f64 v[95:96], v[97:98], s[80:81], -v[99:100]
	v_add_f64 v[73:74], v[91:92], -v[73:74]
	v_fma_f64 v[91:92], v[97:98], s[82:83], v[95:96]
	v_add_f64 v[71:72], v[71:72], v[73:74]
	v_add_f64 v[73:74], v[99:100], v[91:92]
	;; [unrolled: 1-line block ×3, first 2 shown]
	v_add_f64 v[99:100], v[73:74], -v[99:100]
	v_add_f64 v[97:98], v[73:74], v[95:96]
	v_add_f64 v[93:94], v[95:96], -v[93:94]
	v_add_f64 v[91:92], v[91:92], -v[99:100]
	;; [unrolled: 1-line block ×6, first 2 shown]
	v_add_f64 v[95:96], v[91:92], v[71:72]
	v_add_f64 v[73:74], v[73:74], -v[103:104]
	v_add_f64 v[73:74], v[93:94], v[73:74]
	v_add_f64 v[93:94], v[95:96], -v[91:92]
	;; [unrolled: 2-line block ×3, first 2 shown]
	v_add_f64 v[71:72], v[71:72], -v[93:94]
	v_add_f64 v[99:100], v[97:98], v[73:74]
	v_add_f64 v[91:92], v[91:92], -v[95:96]
	v_add_f64 v[93:94], v[99:100], -v[97:98]
	v_add_f64 v[71:72], v[71:72], v[91:92]
	v_add_f64 v[73:74], v[73:74], -v[93:94]
	v_add_f64 v[71:72], v[71:72], v[73:74]
	v_add_f64 v[71:72], v[99:100], v[71:72]
	v_cndmask_b32_e32 v71, 0, v71, vcc_lo
	v_cmp_neq_f64_e32 vcc_lo, -1.0, v[7:8]
	v_cndmask_b32_e64 v12, 0x7ff00000, v72, s18
	v_cndmask_b32_e64 v12, 0x7ff80000, v12, s19
	v_cndmask_b32_e32 v72, 0xfff00000, v12, vcc_lo
	v_add_f64 v[7:8], v[9:10], v[71:72]
	s_branch .LBB74_127
.LBB74_156:
                                        ; implicit-def: $vgpr5_vgpr6_vgpr7_vgpr8_vgpr9_vgpr10_vgpr11_vgpr12_vgpr13_vgpr14_vgpr15_vgpr16_vgpr17_vgpr18_vgpr19_vgpr20_vgpr21_vgpr22_vgpr23_vgpr24_vgpr25_vgpr26_vgpr27_vgpr28_vgpr29_vgpr30_vgpr31_vgpr32_vgpr33_vgpr34_vgpr35_vgpr36
	s_cbranch_execnz .LBB74_196
	s_branch .LBB74_295
.LBB74_157:
	s_and_saveexec_b32 s42, s17
	s_cbranch_execz .LBB74_161
; %bb.158:
	v_max_f64 v[7:8], v[5:6], v[5:6]
	s_waitcnt lgkmcnt(0)
	v_max_f64 v[9:10], v[69:70], v[69:70]
	v_cmp_u_f64_e32 vcc_lo, v[69:70], v[69:70]
	v_cmp_u_f64_e64 s18, v[5:6], v[5:6]
	v_min_f64 v[11:12], v[9:10], v[7:8]
	v_max_f64 v[7:8], v[9:10], v[7:8]
	v_cndmask_b32_e32 v9, v11, v69, vcc_lo
	v_cndmask_b32_e32 v10, v12, v70, vcc_lo
	v_cndmask_b32_e32 v8, v8, v70, vcc_lo
	v_cndmask_b32_e32 v7, v7, v69, vcc_lo
	v_cndmask_b32_e64 v9, v9, v5, s18
	v_cndmask_b32_e64 v10, v10, v6, s18
	;; [unrolled: 1-line block ×4, first 2 shown]
	v_mov_b32_e32 v5, v69
	v_mov_b32_e32 v6, v70
	v_cmp_class_f64_e64 s18, v[9:10], 0x1f8
	v_cmp_neq_f64_e32 vcc_lo, v[9:10], v[7:8]
	s_or_b32 s18, vcc_lo, s18
	s_and_saveexec_b32 s43, s18
	s_cbranch_execz .LBB74_160
; %bb.159:
	v_add_f64 v[5:6], v[9:10], -v[7:8]
	s_mov_b32 s18, 0x652b82fe
	s_mov_b32 s19, 0x3ff71547
	;; [unrolled: 1-line block ×10, first 2 shown]
	v_mul_f64 v[9:10], v[5:6], s[18:19]
	s_mov_b32 s18, 0xfca7ab0c
	s_mov_b32 s19, 0x3e928af3
	v_cmp_nlt_f64_e32 vcc_lo, 0x40900000, v[5:6]
	v_rndne_f64_e32 v[9:10], v[9:10]
	v_fma_f64 v[11:12], v[9:10], s[36:37], v[5:6]
	v_cvt_i32_f64_e32 v71, v[9:10]
	s_mov_b32 s37, 0x3fe62e42
	v_fma_f64 v[11:12], v[9:10], s[38:39], v[11:12]
	s_mov_b32 s39, 0x3c7abc9e
	v_fma_f64 v[67:68], v[11:12], s[44:45], s[18:19]
	s_mov_b32 s18, 0x623fde64
	s_mov_b32 s19, 0x3ec71dee
	s_mov_b32 s44, 0x6b47b09a
	s_mov_b32 s45, 0x3fc38538
	v_fma_f64 v[67:68], v[11:12], v[67:68], s[18:19]
	s_mov_b32 s18, 0x7c89e6b0
	s_mov_b32 s19, 0x3efa0199
	v_fma_f64 v[67:68], v[11:12], v[67:68], s[18:19]
	s_mov_b32 s18, 0x14761f6e
	s_mov_b32 s19, 0x3f2a01a0
	;; [unrolled: 3-line block ×7, first 2 shown]
	v_fma_f64 v[67:68], v[11:12], v[67:68], s[18:19]
	v_cmp_ngt_f64_e64 s18, 0xc090cc00, v[5:6]
	s_mov_b32 s19, 0x3fe55555
	v_fma_f64 v[67:68], v[11:12], v[67:68], 1.0
	v_fma_f64 v[9:10], v[11:12], v[67:68], 1.0
	v_ldexp_f64 v[9:10], v[9:10], v71
	v_cndmask_b32_e32 v10, 0x7ff00000, v10, vcc_lo
	s_and_b32 vcc_lo, s18, vcc_lo
	v_cndmask_b32_e32 v5, 0, v9, vcc_lo
	v_cndmask_b32_e64 v6, 0, v10, s18
	s_mov_b32 s18, 0x55555555
	v_add_f64 v[9:10], v[5:6], 1.0
	v_frexp_mant_f64_e32 v[11:12], v[9:10]
	v_frexp_exp_i32_f64_e32 v71, v[9:10]
	v_add_f64 v[67:68], v[9:10], -1.0
	v_cmp_gt_f64_e32 vcc_lo, s[18:19], v[11:12]
	s_mov_b32 s18, 0x55555780
	v_add_f64 v[11:12], v[67:68], -v[9:10]
	v_add_f64 v[67:68], v[5:6], -v[67:68]
	v_subrev_co_ci_u32_e64 v77, null, 0, v71, vcc_lo
	v_add_f64 v[11:12], v[11:12], 1.0
	v_cmp_nge_f64_e32 vcc_lo, -1.0, v[5:6]
	v_sub_nc_u32_e32 v73, 0, v77
	v_ldexp_f64 v[9:10], v[9:10], v73
	v_add_f64 v[11:12], v[67:68], v[11:12]
	v_add_f64 v[71:72], v[9:10], 1.0
	v_add_f64 v[82:83], v[9:10], -1.0
	v_ldexp_f64 v[11:12], v[11:12], v73
	v_add_f64 v[67:68], v[71:72], -1.0
	v_add_f64 v[84:85], v[82:83], 1.0
	v_add_f64 v[67:68], v[9:10], -v[67:68]
	v_add_f64 v[9:10], v[9:10], -v[84:85]
	v_add_f64 v[67:68], v[11:12], v[67:68]
	v_add_f64 v[9:10], v[11:12], v[9:10]
	v_add_f64 v[73:74], v[71:72], v[67:68]
	v_add_f64 v[84:85], v[82:83], v[9:10]
	v_rcp_f64_e32 v[80:81], v[73:74]
	v_add_f64 v[71:72], v[73:74], -v[71:72]
	v_add_f64 v[82:83], v[84:85], -v[82:83]
	;; [unrolled: 1-line block ×3, first 2 shown]
	v_fma_f64 v[86:87], -v[73:74], v[80:81], 1.0
	v_add_f64 v[9:10], v[9:10], -v[82:83]
	v_fma_f64 v[80:81], v[86:87], v[80:81], v[80:81]
	v_fma_f64 v[11:12], -v[73:74], v[80:81], 1.0
	v_fma_f64 v[11:12], v[11:12], v[80:81], v[80:81]
	v_mul_f64 v[80:81], v[84:85], v[11:12]
	v_mul_f64 v[86:87], v[73:74], v[80:81]
	v_fma_f64 v[71:72], v[80:81], v[73:74], -v[86:87]
	v_fma_f64 v[71:72], v[80:81], v[67:68], v[71:72]
	v_add_f64 v[88:89], v[86:87], v[71:72]
	v_add_f64 v[90:91], v[84:85], -v[88:89]
	v_add_f64 v[82:83], v[88:89], -v[86:87]
	;; [unrolled: 1-line block ×5, first 2 shown]
	v_add_f64 v[9:10], v[9:10], v[84:85]
	v_add_f64 v[9:10], v[71:72], v[9:10]
	;; [unrolled: 1-line block ×3, first 2 shown]
	v_mul_f64 v[82:83], v[11:12], v[71:72]
	v_add_f64 v[88:89], v[90:91], -v[71:72]
	v_mul_f64 v[84:85], v[73:74], v[82:83]
	v_add_f64 v[9:10], v[9:10], v[88:89]
	v_fma_f64 v[73:74], v[82:83], v[73:74], -v[84:85]
	v_fma_f64 v[67:68], v[82:83], v[67:68], v[73:74]
	v_add_f64 v[73:74], v[84:85], v[67:68]
	v_add_f64 v[86:87], v[71:72], -v[73:74]
	v_add_f64 v[84:85], v[73:74], -v[84:85]
	v_add_f64 v[71:72], v[71:72], -v[86:87]
	v_add_f64 v[67:68], v[84:85], -v[67:68]
	v_add_f64 v[71:72], v[71:72], -v[73:74]
	v_add_f64 v[9:10], v[9:10], v[71:72]
	v_add_f64 v[71:72], v[80:81], v[82:83]
	;; [unrolled: 1-line block ×3, first 2 shown]
	v_add_f64 v[67:68], v[71:72], -v[80:81]
	v_add_f64 v[9:10], v[86:87], v[9:10]
	v_add_f64 v[67:68], v[82:83], -v[67:68]
	v_mul_f64 v[9:10], v[11:12], v[9:10]
	v_add_f64 v[9:10], v[67:68], v[9:10]
	v_add_f64 v[11:12], v[71:72], v[9:10]
	v_mul_f64 v[67:68], v[11:12], v[11:12]
	v_fma_f64 v[73:74], v[67:68], s[46:47], s[44:45]
	s_mov_b32 s44, 0xd7f4df2e
	s_mov_b32 s45, 0x3fc7474d
	v_mul_f64 v[80:81], v[11:12], v[67:68]
	v_fma_f64 v[73:74], v[67:68], v[73:74], s[44:45]
	s_mov_b32 s44, 0x16291751
	s_mov_b32 s45, 0x3fcc71c0
	v_fma_f64 v[73:74], v[67:68], v[73:74], s[44:45]
	s_mov_b32 s44, 0x9b27acf1
	s_mov_b32 s45, 0x3fd24924
	;; [unrolled: 3-line block ×3, first 2 shown]
	v_fma_f64 v[73:74], v[67:68], v[73:74], s[44:45]
	v_fma_f64 v[67:68], v[67:68], v[73:74], s[18:19]
	v_ldexp_f64 v[73:74], v[11:12], 1
	v_add_f64 v[11:12], v[11:12], -v[71:72]
	v_cmp_neq_f64_e64 s18, 0x7ff00000, v[5:6]
	v_cmp_ngt_f64_e64 s19, -1.0, v[5:6]
	v_mul_f64 v[67:68], v[80:81], v[67:68]
	v_cvt_f64_i32_e32 v[80:81], v77
	v_add_f64 v[9:10], v[9:10], -v[11:12]
	s_and_b32 vcc_lo, vcc_lo, s18
	v_add_f64 v[71:72], v[73:74], v[67:68]
	v_mul_f64 v[82:83], v[80:81], s[36:37]
	v_ldexp_f64 v[9:10], v[9:10], 1
	v_add_f64 v[11:12], v[71:72], -v[73:74]
	v_fma_f64 v[73:74], v[80:81], s[36:37], -v[82:83]
	v_add_f64 v[11:12], v[67:68], -v[11:12]
	v_fma_f64 v[67:68], v[80:81], s[38:39], v[73:74]
	v_add_f64 v[9:10], v[9:10], v[11:12]
	v_add_f64 v[11:12], v[82:83], v[67:68]
	;; [unrolled: 1-line block ×3, first 2 shown]
	v_add_f64 v[82:83], v[11:12], -v[82:83]
	v_add_f64 v[80:81], v[11:12], v[73:74]
	v_add_f64 v[71:72], v[73:74], -v[71:72]
	v_add_f64 v[67:68], v[67:68], -v[82:83]
	;; [unrolled: 1-line block ×6, first 2 shown]
	v_add_f64 v[73:74], v[67:68], v[9:10]
	v_add_f64 v[11:12], v[11:12], -v[86:87]
	v_add_f64 v[11:12], v[71:72], v[11:12]
	v_add_f64 v[71:72], v[73:74], -v[67:68]
	;; [unrolled: 2-line block ×3, first 2 shown]
	v_add_f64 v[9:10], v[9:10], -v[71:72]
	v_add_f64 v[82:83], v[80:81], v[11:12]
	v_add_f64 v[67:68], v[67:68], -v[73:74]
	v_add_f64 v[71:72], v[82:83], -v[80:81]
	v_add_f64 v[9:10], v[9:10], v[67:68]
	v_add_f64 v[11:12], v[11:12], -v[71:72]
	v_add_f64 v[9:10], v[9:10], v[11:12]
	v_add_f64 v[9:10], v[82:83], v[9:10]
	v_cndmask_b32_e32 v9, 0, v9, vcc_lo
	v_cmp_neq_f64_e32 vcc_lo, -1.0, v[5:6]
	v_cndmask_b32_e64 v10, 0x7ff00000, v10, s18
	v_cndmask_b32_e64 v10, 0x7ff80000, v10, s19
	v_cndmask_b32_e32 v10, 0xfff00000, v10, vcc_lo
	v_add_f64 v[5:6], v[7:8], v[9:10]
.LBB74_160:
	s_or_b32 exec_lo, exec_lo, s43
	s_add_i32 s18, s85, 32
	s_mov_b32 s19, 0
	v_mov_b32_e32 v7, 2
	s_lshl_b64 s[18:19], s[18:19], 4
	v_mov_b32_e32 v8, 0
	s_add_u32 s18, s28, s18
	s_addc_u32 s19, s29, s19
	v_mov_b32_e32 v9, s18
	v_mov_b32_e32 v10, s19
	;;#ASMSTART
	global_store_dwordx4 v[9:10], v[5:8] off	
s_waitcnt vmcnt(0)
	;;#ASMEND
.LBB74_161:
	s_or_b32 exec_lo, exec_lo, s42
	s_and_b32 exec_lo, exec_lo, s2
; %bb.162:
	v_mov_b32_e32 v5, 0
	ds_write_b64 v5, v[69:70] offset:24
.LBB74_163:
	s_or_b32 exec_lo, exec_lo, s86
	v_mov_b32_e32 v5, 0
	s_waitcnt lgkmcnt(0)
	s_barrier
	buffer_gl0_inv
	v_mov_b32_e32 v10, v2
	ds_read_b64 v[5:6], v5 offset:24
	v_mov_b32_e32 v9, v1
	s_and_saveexec_b32 s38, s1
	s_cbranch_execz .LBB74_167
; %bb.164:
	v_cndmask_b32_e64 v9, v78, v65, s17
	v_cndmask_b32_e64 v10, v79, v66, s17
	v_max_f64 v[7:8], v[9:10], v[9:10]
	v_cmp_u_f64_e32 vcc_lo, v[9:10], v[9:10]
	v_min_f64 v[11:12], v[7:8], v[63:64]
	v_max_f64 v[7:8], v[7:8], v[63:64]
	v_cndmask_b32_e32 v11, v11, v9, vcc_lo
	v_cndmask_b32_e32 v12, v12, v10, vcc_lo
	;; [unrolled: 1-line block ×4, first 2 shown]
	v_cndmask_b32_e64 v11, v11, v1, s16
	v_cndmask_b32_e64 v12, v12, v2, s16
	;; [unrolled: 1-line block ×4, first 2 shown]
	v_cmp_class_f64_e64 s16, v[11:12], 0x1f8
	v_cmp_neq_f64_e32 vcc_lo, v[11:12], v[7:8]
	s_or_b32 s16, vcc_lo, s16
	s_and_saveexec_b32 s39, s16
	s_cbranch_execz .LBB74_166
; %bb.165:
	v_add_f64 v[9:10], v[11:12], -v[7:8]
	s_mov_b32 s16, 0x652b82fe
	s_mov_b32 s17, 0x3ff71547
	s_mov_b32 s19, 0xbfe62e42
	s_mov_b32 s18, 0xfefa39ef
	s_mov_b32 s37, 0xbc7abc9e
	s_mov_b32 s36, 0x3b39803f
	s_mov_b32 s42, 0x6a5dcb37
	s_mov_b32 s43, 0x3e5ade15
	s_mov_b32 s44, 0xbf559e2b
	s_mov_b32 s45, 0x3fc3ab76
	v_mul_f64 v[11:12], v[9:10], s[16:17]
	s_mov_b32 s16, 0xfca7ab0c
	s_mov_b32 s17, 0x3e928af3
	v_cmp_nlt_f64_e32 vcc_lo, 0x40900000, v[9:10]
	v_rndne_f64_e32 v[11:12], v[11:12]
	v_fma_f64 v[63:64], v[11:12], s[18:19], v[9:10]
	v_cvt_i32_f64_e32 v67, v[11:12]
	s_mov_b32 s19, 0x3fe62e42
	v_fma_f64 v[63:64], v[11:12], s[36:37], v[63:64]
	s_mov_b32 s37, 0x3c7abc9e
	v_fma_f64 v[65:66], v[63:64], s[42:43], s[16:17]
	s_mov_b32 s16, 0x623fde64
	s_mov_b32 s17, 0x3ec71dee
	s_mov_b32 s42, 0x6b47b09a
	s_mov_b32 s43, 0x3fc38538
	v_fma_f64 v[65:66], v[63:64], v[65:66], s[16:17]
	s_mov_b32 s16, 0x7c89e6b0
	s_mov_b32 s17, 0x3efa0199
	v_fma_f64 v[65:66], v[63:64], v[65:66], s[16:17]
	s_mov_b32 s16, 0x14761f6e
	s_mov_b32 s17, 0x3f2a01a0
	;; [unrolled: 3-line block ×7, first 2 shown]
	v_fma_f64 v[65:66], v[63:64], v[65:66], s[16:17]
	v_cmp_ngt_f64_e64 s16, 0xc090cc00, v[9:10]
	s_mov_b32 s17, 0x3fe55555
	v_fma_f64 v[65:66], v[63:64], v[65:66], 1.0
	v_fma_f64 v[11:12], v[63:64], v[65:66], 1.0
	v_ldexp_f64 v[11:12], v[11:12], v67
	v_cndmask_b32_e32 v12, 0x7ff00000, v12, vcc_lo
	s_and_b32 vcc_lo, s16, vcc_lo
	v_cndmask_b32_e32 v9, 0, v11, vcc_lo
	v_cndmask_b32_e64 v10, 0, v12, s16
	s_mov_b32 s16, 0x55555555
	v_add_f64 v[11:12], v[9:10], 1.0
	v_frexp_mant_f64_e32 v[63:64], v[11:12]
	v_frexp_exp_i32_f64_e32 v67, v[11:12]
	v_add_f64 v[65:66], v[11:12], -1.0
	v_cmp_gt_f64_e32 vcc_lo, s[16:17], v[63:64]
	s_mov_b32 s16, 0x55555780
	v_add_f64 v[63:64], v[65:66], -v[11:12]
	v_add_f64 v[65:66], v[9:10], -v[65:66]
	v_subrev_co_ci_u32_e64 v85, null, 0, v67, vcc_lo
	v_add_f64 v[63:64], v[63:64], 1.0
	v_cmp_nge_f64_e32 vcc_lo, -1.0, v[9:10]
	v_sub_nc_u32_e32 v69, 0, v85
	v_ldexp_f64 v[11:12], v[11:12], v69
	v_add_f64 v[63:64], v[65:66], v[63:64]
	v_add_f64 v[67:68], v[11:12], 1.0
	v_add_f64 v[73:74], v[11:12], -1.0
	v_ldexp_f64 v[63:64], v[63:64], v69
	v_add_f64 v[65:66], v[67:68], -1.0
	v_add_f64 v[77:78], v[73:74], 1.0
	v_add_f64 v[65:66], v[11:12], -v[65:66]
	v_add_f64 v[11:12], v[11:12], -v[77:78]
	v_add_f64 v[65:66], v[63:64], v[65:66]
	v_add_f64 v[11:12], v[63:64], v[11:12]
	v_add_f64 v[69:70], v[67:68], v[65:66]
	v_add_f64 v[77:78], v[73:74], v[11:12]
	v_rcp_f64_e32 v[71:72], v[69:70]
	v_add_f64 v[67:68], v[69:70], -v[67:68]
	v_add_f64 v[73:74], v[77:78], -v[73:74]
	v_add_f64 v[65:66], v[65:66], -v[67:68]
	v_fma_f64 v[79:80], -v[69:70], v[71:72], 1.0
	v_add_f64 v[11:12], v[11:12], -v[73:74]
	v_fma_f64 v[71:72], v[79:80], v[71:72], v[71:72]
	v_fma_f64 v[63:64], -v[69:70], v[71:72], 1.0
	v_fma_f64 v[63:64], v[63:64], v[71:72], v[71:72]
	v_mul_f64 v[71:72], v[77:78], v[63:64]
	v_mul_f64 v[79:80], v[69:70], v[71:72]
	v_fma_f64 v[67:68], v[71:72], v[69:70], -v[79:80]
	v_fma_f64 v[67:68], v[71:72], v[65:66], v[67:68]
	v_add_f64 v[81:82], v[79:80], v[67:68]
	v_add_f64 v[83:84], v[77:78], -v[81:82]
	v_add_f64 v[73:74], v[81:82], -v[79:80]
	v_add_f64 v[77:78], v[77:78], -v[83:84]
	v_add_f64 v[67:68], v[73:74], -v[67:68]
	v_add_f64 v[77:78], v[77:78], -v[81:82]
	v_add_f64 v[11:12], v[11:12], v[77:78]
	v_add_f64 v[11:12], v[67:68], v[11:12]
	;; [unrolled: 1-line block ×3, first 2 shown]
	v_mul_f64 v[73:74], v[63:64], v[67:68]
	v_add_f64 v[81:82], v[83:84], -v[67:68]
	v_mul_f64 v[77:78], v[69:70], v[73:74]
	v_add_f64 v[11:12], v[11:12], v[81:82]
	v_fma_f64 v[69:70], v[73:74], v[69:70], -v[77:78]
	v_fma_f64 v[65:66], v[73:74], v[65:66], v[69:70]
	v_add_f64 v[69:70], v[77:78], v[65:66]
	v_add_f64 v[79:80], v[67:68], -v[69:70]
	v_add_f64 v[77:78], v[69:70], -v[77:78]
	;; [unrolled: 1-line block ×5, first 2 shown]
	v_add_f64 v[11:12], v[11:12], v[67:68]
	v_add_f64 v[67:68], v[71:72], v[73:74]
	;; [unrolled: 1-line block ×3, first 2 shown]
	v_add_f64 v[65:66], v[67:68], -v[71:72]
	v_add_f64 v[11:12], v[79:80], v[11:12]
	v_add_f64 v[65:66], v[73:74], -v[65:66]
	v_mul_f64 v[11:12], v[63:64], v[11:12]
	v_add_f64 v[11:12], v[65:66], v[11:12]
	v_add_f64 v[63:64], v[67:68], v[11:12]
	v_mul_f64 v[65:66], v[63:64], v[63:64]
	v_fma_f64 v[69:70], v[65:66], s[44:45], s[42:43]
	s_mov_b32 s42, 0xd7f4df2e
	s_mov_b32 s43, 0x3fc7474d
	v_mul_f64 v[71:72], v[63:64], v[65:66]
	v_fma_f64 v[69:70], v[65:66], v[69:70], s[42:43]
	s_mov_b32 s42, 0x16291751
	s_mov_b32 s43, 0x3fcc71c0
	v_fma_f64 v[69:70], v[65:66], v[69:70], s[42:43]
	s_mov_b32 s42, 0x9b27acf1
	s_mov_b32 s43, 0x3fd24924
	;; [unrolled: 3-line block ×3, first 2 shown]
	v_fma_f64 v[69:70], v[65:66], v[69:70], s[42:43]
	v_fma_f64 v[65:66], v[65:66], v[69:70], s[16:17]
	v_ldexp_f64 v[69:70], v[63:64], 1
	v_add_f64 v[63:64], v[63:64], -v[67:68]
	v_cmp_neq_f64_e64 s16, 0x7ff00000, v[9:10]
	v_cmp_ngt_f64_e64 s17, -1.0, v[9:10]
	v_mul_f64 v[65:66], v[71:72], v[65:66]
	v_cvt_f64_i32_e32 v[71:72], v85
	v_add_f64 v[11:12], v[11:12], -v[63:64]
	s_and_b32 vcc_lo, vcc_lo, s16
	v_add_f64 v[67:68], v[69:70], v[65:66]
	v_mul_f64 v[73:74], v[71:72], s[18:19]
	v_ldexp_f64 v[11:12], v[11:12], 1
	v_add_f64 v[63:64], v[67:68], -v[69:70]
	v_fma_f64 v[69:70], v[71:72], s[18:19], -v[73:74]
	v_add_f64 v[63:64], v[65:66], -v[63:64]
	v_fma_f64 v[65:66], v[71:72], s[36:37], v[69:70]
	v_add_f64 v[11:12], v[11:12], v[63:64]
	v_add_f64 v[63:64], v[73:74], v[65:66]
	v_add_f64 v[69:70], v[67:68], v[11:12]
	v_add_f64 v[73:74], v[63:64], -v[73:74]
	v_add_f64 v[71:72], v[63:64], v[69:70]
	v_add_f64 v[67:68], v[69:70], -v[67:68]
	v_add_f64 v[65:66], v[65:66], -v[73:74]
	;; [unrolled: 1-line block ×6, first 2 shown]
	v_add_f64 v[69:70], v[65:66], v[11:12]
	v_add_f64 v[63:64], v[63:64], -v[79:80]
	v_add_f64 v[63:64], v[67:68], v[63:64]
	v_add_f64 v[67:68], v[69:70], -v[65:66]
	;; [unrolled: 2-line block ×3, first 2 shown]
	v_add_f64 v[11:12], v[11:12], -v[67:68]
	v_add_f64 v[73:74], v[71:72], v[63:64]
	v_add_f64 v[65:66], v[65:66], -v[69:70]
	v_add_f64 v[67:68], v[73:74], -v[71:72]
	v_add_f64 v[11:12], v[11:12], v[65:66]
	v_add_f64 v[63:64], v[63:64], -v[67:68]
	v_add_f64 v[11:12], v[11:12], v[63:64]
	v_add_f64 v[11:12], v[73:74], v[11:12]
	v_cndmask_b32_e32 v11, 0, v11, vcc_lo
	v_cmp_neq_f64_e32 vcc_lo, -1.0, v[9:10]
	v_cndmask_b32_e64 v12, 0x7ff00000, v12, s16
	v_cndmask_b32_e64 v12, 0x7ff80000, v12, s17
	v_cndmask_b32_e32 v12, 0xfff00000, v12, vcc_lo
	v_add_f64 v[9:10], v[7:8], v[11:12]
.LBB74_166:
	s_or_b32 exec_lo, exec_lo, s39
.LBB74_167:
	s_or_b32 exec_lo, exec_lo, s38
	v_max_f64 v[7:8], v[9:10], v[9:10]
	s_waitcnt lgkmcnt(0)
	v_max_f64 v[11:12], v[5:6], v[5:6]
	v_cmp_u_f64_e32 vcc_lo, v[5:6], v[5:6]
	v_cmp_u_f64_e64 s16, v[9:10], v[9:10]
	v_min_f64 v[63:64], v[11:12], v[7:8]
	v_max_f64 v[7:8], v[11:12], v[7:8]
	v_cndmask_b32_e32 v11, v63, v5, vcc_lo
	v_cndmask_b32_e32 v12, v64, v6, vcc_lo
	;; [unrolled: 1-line block ×4, first 2 shown]
	v_cndmask_b32_e64 v11, v11, v9, s16
	v_cndmask_b32_e64 v12, v12, v10, s16
	;; [unrolled: 1-line block ×4, first 2 shown]
	v_cmp_class_f64_e64 s16, v[11:12], 0x1f8
	v_cmp_neq_f64_e32 vcc_lo, v[11:12], v[7:8]
	s_or_b32 s16, vcc_lo, s16
	s_and_saveexec_b32 s38, s16
	s_cbranch_execz .LBB74_169
; %bb.168:
	v_add_f64 v[5:6], v[11:12], -v[7:8]
	s_mov_b32 s16, 0x652b82fe
	s_mov_b32 s17, 0x3ff71547
	;; [unrolled: 1-line block ×10, first 2 shown]
	v_mul_f64 v[9:10], v[5:6], s[16:17]
	s_mov_b32 s16, 0xfca7ab0c
	s_mov_b32 s17, 0x3e928af3
	v_cmp_nlt_f64_e32 vcc_lo, 0x40900000, v[5:6]
	v_rndne_f64_e32 v[9:10], v[9:10]
	v_fma_f64 v[11:12], v[9:10], s[18:19], v[5:6]
	v_cvt_i32_f64_e32 v65, v[9:10]
	s_mov_b32 s19, 0x3fe62e42
	v_fma_f64 v[11:12], v[9:10], s[36:37], v[11:12]
	s_mov_b32 s37, 0x3c7abc9e
	v_fma_f64 v[63:64], v[11:12], s[42:43], s[16:17]
	s_mov_b32 s16, 0x623fde64
	s_mov_b32 s17, 0x3ec71dee
	;; [unrolled: 1-line block ×4, first 2 shown]
	v_fma_f64 v[63:64], v[11:12], v[63:64], s[16:17]
	s_mov_b32 s16, 0x7c89e6b0
	s_mov_b32 s17, 0x3efa0199
	v_fma_f64 v[63:64], v[11:12], v[63:64], s[16:17]
	s_mov_b32 s16, 0x14761f6e
	s_mov_b32 s17, 0x3f2a01a0
	;; [unrolled: 3-line block ×7, first 2 shown]
	v_fma_f64 v[63:64], v[11:12], v[63:64], s[16:17]
	v_cmp_ngt_f64_e64 s16, 0xc090cc00, v[5:6]
	s_mov_b32 s17, 0x3fe55555
	v_fma_f64 v[63:64], v[11:12], v[63:64], 1.0
	v_fma_f64 v[9:10], v[11:12], v[63:64], 1.0
	v_ldexp_f64 v[9:10], v[9:10], v65
	v_cndmask_b32_e32 v10, 0x7ff00000, v10, vcc_lo
	s_and_b32 vcc_lo, s16, vcc_lo
	v_cndmask_b32_e32 v5, 0, v9, vcc_lo
	v_cndmask_b32_e64 v6, 0, v10, s16
	s_mov_b32 s16, 0x55555555
	v_add_f64 v[9:10], v[5:6], 1.0
	v_frexp_mant_f64_e32 v[11:12], v[9:10]
	v_frexp_exp_i32_f64_e32 v65, v[9:10]
	v_add_f64 v[63:64], v[9:10], -1.0
	v_cmp_gt_f64_e32 vcc_lo, s[16:17], v[11:12]
	s_mov_b32 s16, 0x55555780
	v_add_f64 v[11:12], v[63:64], -v[9:10]
	v_add_f64 v[63:64], v[5:6], -v[63:64]
	v_subrev_co_ci_u32_e64 v83, null, 0, v65, vcc_lo
	v_add_f64 v[11:12], v[11:12], 1.0
	v_cmp_nge_f64_e32 vcc_lo, -1.0, v[5:6]
	v_sub_nc_u32_e32 v67, 0, v83
	v_ldexp_f64 v[9:10], v[9:10], v67
	v_add_f64 v[11:12], v[63:64], v[11:12]
	v_add_f64 v[65:66], v[9:10], 1.0
	v_add_f64 v[71:72], v[9:10], -1.0
	v_ldexp_f64 v[11:12], v[11:12], v67
	v_add_f64 v[63:64], v[65:66], -1.0
	v_add_f64 v[73:74], v[71:72], 1.0
	v_add_f64 v[63:64], v[9:10], -v[63:64]
	v_add_f64 v[9:10], v[9:10], -v[73:74]
	v_add_f64 v[63:64], v[11:12], v[63:64]
	v_add_f64 v[9:10], v[11:12], v[9:10]
	;; [unrolled: 1-line block ×4, first 2 shown]
	v_rcp_f64_e32 v[69:70], v[67:68]
	v_add_f64 v[65:66], v[67:68], -v[65:66]
	v_add_f64 v[71:72], v[73:74], -v[71:72]
	;; [unrolled: 1-line block ×3, first 2 shown]
	v_fma_f64 v[77:78], -v[67:68], v[69:70], 1.0
	v_add_f64 v[9:10], v[9:10], -v[71:72]
	v_fma_f64 v[69:70], v[77:78], v[69:70], v[69:70]
	v_fma_f64 v[11:12], -v[67:68], v[69:70], 1.0
	v_fma_f64 v[11:12], v[11:12], v[69:70], v[69:70]
	v_mul_f64 v[69:70], v[73:74], v[11:12]
	v_mul_f64 v[77:78], v[67:68], v[69:70]
	v_fma_f64 v[65:66], v[69:70], v[67:68], -v[77:78]
	v_fma_f64 v[65:66], v[69:70], v[63:64], v[65:66]
	v_add_f64 v[79:80], v[77:78], v[65:66]
	v_add_f64 v[81:82], v[73:74], -v[79:80]
	v_add_f64 v[71:72], v[79:80], -v[77:78]
	v_add_f64 v[73:74], v[73:74], -v[81:82]
	v_add_f64 v[65:66], v[71:72], -v[65:66]
	v_add_f64 v[73:74], v[73:74], -v[79:80]
	v_add_f64 v[9:10], v[9:10], v[73:74]
	v_add_f64 v[9:10], v[65:66], v[9:10]
	;; [unrolled: 1-line block ×3, first 2 shown]
	v_mul_f64 v[71:72], v[11:12], v[65:66]
	v_add_f64 v[79:80], v[81:82], -v[65:66]
	v_mul_f64 v[73:74], v[67:68], v[71:72]
	v_add_f64 v[9:10], v[9:10], v[79:80]
	v_fma_f64 v[67:68], v[71:72], v[67:68], -v[73:74]
	v_fma_f64 v[63:64], v[71:72], v[63:64], v[67:68]
	v_add_f64 v[67:68], v[73:74], v[63:64]
	v_add_f64 v[77:78], v[65:66], -v[67:68]
	v_add_f64 v[73:74], v[67:68], -v[73:74]
	;; [unrolled: 1-line block ×5, first 2 shown]
	v_add_f64 v[9:10], v[9:10], v[65:66]
	v_add_f64 v[65:66], v[69:70], v[71:72]
	v_add_f64 v[9:10], v[63:64], v[9:10]
	v_add_f64 v[63:64], v[65:66], -v[69:70]
	v_add_f64 v[9:10], v[77:78], v[9:10]
	v_add_f64 v[63:64], v[71:72], -v[63:64]
	v_mul_f64 v[9:10], v[11:12], v[9:10]
	v_add_f64 v[9:10], v[63:64], v[9:10]
	v_add_f64 v[11:12], v[65:66], v[9:10]
	v_mul_f64 v[63:64], v[11:12], v[11:12]
	v_fma_f64 v[67:68], v[63:64], s[44:45], s[42:43]
	s_mov_b32 s42, 0xd7f4df2e
	s_mov_b32 s43, 0x3fc7474d
	v_mul_f64 v[69:70], v[11:12], v[63:64]
	v_fma_f64 v[67:68], v[63:64], v[67:68], s[42:43]
	s_mov_b32 s42, 0x16291751
	s_mov_b32 s43, 0x3fcc71c0
	v_fma_f64 v[67:68], v[63:64], v[67:68], s[42:43]
	s_mov_b32 s42, 0x9b27acf1
	s_mov_b32 s43, 0x3fd24924
	;; [unrolled: 3-line block ×3, first 2 shown]
	v_fma_f64 v[67:68], v[63:64], v[67:68], s[42:43]
	v_fma_f64 v[63:64], v[63:64], v[67:68], s[16:17]
	v_ldexp_f64 v[67:68], v[11:12], 1
	v_add_f64 v[11:12], v[11:12], -v[65:66]
	v_cmp_neq_f64_e64 s16, 0x7ff00000, v[5:6]
	v_cmp_ngt_f64_e64 s17, -1.0, v[5:6]
	v_mul_f64 v[63:64], v[69:70], v[63:64]
	v_cvt_f64_i32_e32 v[69:70], v83
	v_add_f64 v[9:10], v[9:10], -v[11:12]
	s_and_b32 vcc_lo, vcc_lo, s16
	v_add_f64 v[65:66], v[67:68], v[63:64]
	v_mul_f64 v[71:72], v[69:70], s[18:19]
	v_ldexp_f64 v[9:10], v[9:10], 1
	v_add_f64 v[11:12], v[65:66], -v[67:68]
	v_fma_f64 v[67:68], v[69:70], s[18:19], -v[71:72]
	v_add_f64 v[11:12], v[63:64], -v[11:12]
	v_fma_f64 v[63:64], v[69:70], s[36:37], v[67:68]
	v_add_f64 v[9:10], v[9:10], v[11:12]
	v_add_f64 v[11:12], v[71:72], v[63:64]
	;; [unrolled: 1-line block ×3, first 2 shown]
	v_add_f64 v[71:72], v[11:12], -v[71:72]
	v_add_f64 v[69:70], v[11:12], v[67:68]
	v_add_f64 v[65:66], v[67:68], -v[65:66]
	v_add_f64 v[63:64], v[63:64], -v[71:72]
	v_add_f64 v[73:74], v[69:70], -v[11:12]
	v_add_f64 v[9:10], v[9:10], -v[65:66]
	v_add_f64 v[77:78], v[69:70], -v[73:74]
	v_add_f64 v[65:66], v[67:68], -v[73:74]
	v_add_f64 v[67:68], v[63:64], v[9:10]
	v_add_f64 v[11:12], v[11:12], -v[77:78]
	v_add_f64 v[11:12], v[65:66], v[11:12]
	v_add_f64 v[65:66], v[67:68], -v[63:64]
	;; [unrolled: 2-line block ×3, first 2 shown]
	v_add_f64 v[9:10], v[9:10], -v[65:66]
	v_add_f64 v[71:72], v[69:70], v[11:12]
	v_add_f64 v[63:64], v[63:64], -v[67:68]
	v_add_f64 v[65:66], v[71:72], -v[69:70]
	v_add_f64 v[9:10], v[9:10], v[63:64]
	v_add_f64 v[11:12], v[11:12], -v[65:66]
	v_add_f64 v[9:10], v[9:10], v[11:12]
	v_add_f64 v[9:10], v[71:72], v[9:10]
	v_cndmask_b32_e32 v9, 0, v9, vcc_lo
	v_cmp_neq_f64_e32 vcc_lo, -1.0, v[5:6]
	v_cndmask_b32_e64 v10, 0x7ff00000, v10, s16
	v_cndmask_b32_e64 v10, 0x7ff80000, v10, s17
	v_cndmask_b32_e32 v10, 0xfff00000, v10, vcc_lo
	v_add_f64 v[5:6], v[7:8], v[9:10]
.LBB74_169:
	s_or_b32 exec_lo, exec_lo, s38
	v_max_f64 v[7:8], v[5:6], v[5:6]
	v_cmp_u_f64_e32 vcc_lo, v[5:6], v[5:6]
	v_min_f64 v[9:10], v[7:8], v[61:62]
	v_max_f64 v[7:8], v[7:8], v[61:62]
	v_cndmask_b32_e32 v9, v9, v5, vcc_lo
	v_cndmask_b32_e32 v10, v10, v6, vcc_lo
	;; [unrolled: 1-line block ×4, first 2 shown]
	v_cndmask_b32_e64 v11, v9, v3, s3
	v_cndmask_b32_e64 v12, v10, v4, s3
	;; [unrolled: 1-line block ×4, first 2 shown]
	v_mov_b32_e32 v8, v6
	v_mov_b32_e32 v7, v5
	v_cmp_class_f64_e64 s3, v[11:12], 0x1f8
	v_cmp_neq_f64_e32 vcc_lo, v[11:12], v[9:10]
	s_or_b32 s3, vcc_lo, s3
	s_and_saveexec_b32 s38, s3
	s_cbranch_execz .LBB74_171
; %bb.170:
	v_add_f64 v[7:8], v[11:12], -v[9:10]
	s_mov_b32 s16, 0x652b82fe
	s_mov_b32 s17, 0x3ff71547
	;; [unrolled: 1-line block ×10, first 2 shown]
	v_mul_f64 v[11:12], v[7:8], s[16:17]
	s_mov_b32 s17, 0xbfe62e42
	s_mov_b32 s16, 0xfefa39ef
	v_cmp_nlt_f64_e32 vcc_lo, 0x40900000, v[7:8]
	v_cmp_ngt_f64_e64 s3, 0xc090cc00, v[7:8]
	v_rndne_f64_e32 v[11:12], v[11:12]
	v_fma_f64 v[63:64], v[11:12], s[16:17], v[7:8]
	v_cvt_i32_f64_e32 v67, v[11:12]
	s_mov_b32 s17, 0x3fe62e42
	v_fma_f64 v[63:64], v[11:12], s[18:19], v[63:64]
	s_mov_b32 s19, 0x3c7abc9e
	v_fma_f64 v[65:66], v[63:64], s[42:43], s[36:37]
	s_mov_b32 s36, 0x623fde64
	s_mov_b32 s37, 0x3ec71dee
	;; [unrolled: 1-line block ×4, first 2 shown]
	v_fma_f64 v[65:66], v[63:64], v[65:66], s[36:37]
	s_mov_b32 s36, 0x7c89e6b0
	s_mov_b32 s37, 0x3efa0199
	v_fma_f64 v[65:66], v[63:64], v[65:66], s[36:37]
	s_mov_b32 s36, 0x14761f6e
	s_mov_b32 s37, 0x3f2a01a0
	;; [unrolled: 3-line block ×8, first 2 shown]
	v_fma_f64 v[65:66], v[63:64], v[65:66], 1.0
	v_fma_f64 v[11:12], v[63:64], v[65:66], 1.0
	v_ldexp_f64 v[11:12], v[11:12], v67
	v_cndmask_b32_e32 v12, 0x7ff00000, v12, vcc_lo
	s_and_b32 vcc_lo, s3, vcc_lo
	v_cndmask_b32_e32 v7, 0, v11, vcc_lo
	v_cndmask_b32_e64 v8, 0, v12, s3
	v_add_f64 v[11:12], v[7:8], 1.0
	v_cmp_neq_f64_e64 s3, 0x7ff00000, v[7:8]
	v_frexp_mant_f64_e32 v[63:64], v[11:12]
	v_frexp_exp_i32_f64_e32 v67, v[11:12]
	v_add_f64 v[65:66], v[11:12], -1.0
	v_cmp_gt_f64_e32 vcc_lo, s[36:37], v[63:64]
	s_mov_b32 s36, 0x55555780
	v_add_f64 v[63:64], v[65:66], -v[11:12]
	v_add_f64 v[65:66], v[7:8], -v[65:66]
	v_subrev_co_ci_u32_e64 v85, null, 0, v67, vcc_lo
	v_add_f64 v[63:64], v[63:64], 1.0
	v_cmp_nge_f64_e32 vcc_lo, -1.0, v[7:8]
	v_sub_nc_u32_e32 v69, 0, v85
	v_ldexp_f64 v[11:12], v[11:12], v69
	v_add_f64 v[63:64], v[65:66], v[63:64]
	s_and_b32 vcc_lo, vcc_lo, s3
	v_add_f64 v[67:68], v[11:12], 1.0
	v_add_f64 v[73:74], v[11:12], -1.0
	v_ldexp_f64 v[63:64], v[63:64], v69
	v_add_f64 v[65:66], v[67:68], -1.0
	v_add_f64 v[77:78], v[73:74], 1.0
	v_add_f64 v[65:66], v[11:12], -v[65:66]
	v_add_f64 v[11:12], v[11:12], -v[77:78]
	v_add_f64 v[65:66], v[63:64], v[65:66]
	v_add_f64 v[11:12], v[63:64], v[11:12]
	;; [unrolled: 1-line block ×4, first 2 shown]
	v_rcp_f64_e32 v[71:72], v[69:70]
	v_add_f64 v[67:68], v[69:70], -v[67:68]
	v_add_f64 v[73:74], v[77:78], -v[73:74]
	;; [unrolled: 1-line block ×3, first 2 shown]
	v_fma_f64 v[79:80], -v[69:70], v[71:72], 1.0
	v_add_f64 v[11:12], v[11:12], -v[73:74]
	v_fma_f64 v[71:72], v[79:80], v[71:72], v[71:72]
	v_fma_f64 v[63:64], -v[69:70], v[71:72], 1.0
	v_fma_f64 v[63:64], v[63:64], v[71:72], v[71:72]
	v_mul_f64 v[71:72], v[77:78], v[63:64]
	v_mul_f64 v[79:80], v[69:70], v[71:72]
	v_fma_f64 v[67:68], v[71:72], v[69:70], -v[79:80]
	v_fma_f64 v[67:68], v[71:72], v[65:66], v[67:68]
	v_add_f64 v[81:82], v[79:80], v[67:68]
	v_add_f64 v[83:84], v[77:78], -v[81:82]
	v_add_f64 v[73:74], v[81:82], -v[79:80]
	;; [unrolled: 1-line block ×5, first 2 shown]
	v_add_f64 v[11:12], v[11:12], v[77:78]
	v_add_f64 v[11:12], v[67:68], v[11:12]
	;; [unrolled: 1-line block ×3, first 2 shown]
	v_mul_f64 v[73:74], v[63:64], v[67:68]
	v_add_f64 v[81:82], v[83:84], -v[67:68]
	v_mul_f64 v[77:78], v[69:70], v[73:74]
	v_add_f64 v[11:12], v[11:12], v[81:82]
	v_fma_f64 v[69:70], v[73:74], v[69:70], -v[77:78]
	v_fma_f64 v[65:66], v[73:74], v[65:66], v[69:70]
	v_add_f64 v[69:70], v[77:78], v[65:66]
	v_add_f64 v[79:80], v[67:68], -v[69:70]
	v_add_f64 v[77:78], v[69:70], -v[77:78]
	;; [unrolled: 1-line block ×5, first 2 shown]
	v_add_f64 v[11:12], v[11:12], v[67:68]
	v_add_f64 v[67:68], v[71:72], v[73:74]
	;; [unrolled: 1-line block ×3, first 2 shown]
	v_add_f64 v[65:66], v[67:68], -v[71:72]
	v_add_f64 v[11:12], v[79:80], v[11:12]
	v_add_f64 v[65:66], v[73:74], -v[65:66]
	v_mul_f64 v[11:12], v[63:64], v[11:12]
	v_add_f64 v[11:12], v[65:66], v[11:12]
	v_add_f64 v[63:64], v[67:68], v[11:12]
	v_mul_f64 v[65:66], v[63:64], v[63:64]
	v_fma_f64 v[69:70], v[65:66], s[44:45], s[42:43]
	s_mov_b32 s42, 0xd7f4df2e
	s_mov_b32 s43, 0x3fc7474d
	v_mul_f64 v[71:72], v[63:64], v[65:66]
	v_fma_f64 v[69:70], v[65:66], v[69:70], s[42:43]
	s_mov_b32 s42, 0x16291751
	s_mov_b32 s43, 0x3fcc71c0
	v_fma_f64 v[69:70], v[65:66], v[69:70], s[42:43]
	s_mov_b32 s42, 0x9b27acf1
	s_mov_b32 s43, 0x3fd24924
	;; [unrolled: 3-line block ×3, first 2 shown]
	v_fma_f64 v[69:70], v[65:66], v[69:70], s[42:43]
	v_fma_f64 v[65:66], v[65:66], v[69:70], s[36:37]
	v_ldexp_f64 v[69:70], v[63:64], 1
	v_add_f64 v[63:64], v[63:64], -v[67:68]
	v_mul_f64 v[65:66], v[71:72], v[65:66]
	v_cvt_f64_i32_e32 v[71:72], v85
	v_add_f64 v[11:12], v[11:12], -v[63:64]
	v_add_f64 v[67:68], v[69:70], v[65:66]
	v_mul_f64 v[73:74], v[71:72], s[16:17]
	v_ldexp_f64 v[11:12], v[11:12], 1
	v_add_f64 v[63:64], v[67:68], -v[69:70]
	v_fma_f64 v[69:70], v[71:72], s[16:17], -v[73:74]
	v_cmp_ngt_f64_e64 s16, -1.0, v[7:8]
	v_add_f64 v[63:64], v[65:66], -v[63:64]
	v_fma_f64 v[65:66], v[71:72], s[18:19], v[69:70]
	v_add_f64 v[11:12], v[11:12], v[63:64]
	v_add_f64 v[63:64], v[73:74], v[65:66]
	;; [unrolled: 1-line block ×3, first 2 shown]
	v_add_f64 v[73:74], v[63:64], -v[73:74]
	v_add_f64 v[71:72], v[63:64], v[69:70]
	v_add_f64 v[67:68], v[69:70], -v[67:68]
	v_add_f64 v[65:66], v[65:66], -v[73:74]
	;; [unrolled: 1-line block ×6, first 2 shown]
	v_add_f64 v[69:70], v[65:66], v[11:12]
	v_add_f64 v[63:64], v[63:64], -v[79:80]
	v_add_f64 v[63:64], v[67:68], v[63:64]
	v_add_f64 v[67:68], v[69:70], -v[65:66]
	;; [unrolled: 2-line block ×3, first 2 shown]
	v_add_f64 v[11:12], v[11:12], -v[67:68]
	v_add_f64 v[73:74], v[71:72], v[63:64]
	v_add_f64 v[65:66], v[65:66], -v[69:70]
	v_add_f64 v[67:68], v[73:74], -v[71:72]
	v_add_f64 v[11:12], v[11:12], v[65:66]
	v_add_f64 v[63:64], v[63:64], -v[67:68]
	v_add_f64 v[11:12], v[11:12], v[63:64]
	v_add_f64 v[11:12], v[73:74], v[11:12]
	v_cndmask_b32_e32 v11, 0, v11, vcc_lo
	v_cmp_neq_f64_e32 vcc_lo, -1.0, v[7:8]
	v_cndmask_b32_e64 v12, 0x7ff00000, v12, s3
	v_cndmask_b32_e64 v12, 0x7ff80000, v12, s16
	v_cndmask_b32_e32 v12, 0xfff00000, v12, vcc_lo
	v_add_f64 v[7:8], v[9:10], v[11:12]
.LBB74_171:
	s_or_b32 exec_lo, exec_lo, s38
	v_max_f64 v[9:10], v[7:8], v[7:8]
	v_cmp_u_f64_e32 vcc_lo, v[7:8], v[7:8]
	v_min_f64 v[11:12], v[9:10], v[13:14]
	v_max_f64 v[9:10], v[9:10], v[13:14]
	v_cndmask_b32_e32 v11, v11, v7, vcc_lo
	v_cndmask_b32_e32 v12, v12, v8, vcc_lo
	v_cndmask_b32_e32 v10, v10, v8, vcc_lo
	v_cndmask_b32_e32 v9, v9, v7, vcc_lo
	v_cndmask_b32_e64 v13, v11, v57, s4
	v_cndmask_b32_e64 v14, v12, v58, s4
	;; [unrolled: 1-line block ×4, first 2 shown]
	v_mov_b32_e32 v10, v8
	v_mov_b32_e32 v9, v7
	v_cmp_class_f64_e64 s3, v[13:14], 0x1f8
	v_cmp_neq_f64_e32 vcc_lo, v[13:14], v[11:12]
	s_or_b32 s3, vcc_lo, s3
	s_and_saveexec_b32 s38, s3
	s_cbranch_execz .LBB74_173
; %bb.172:
	v_add_f64 v[9:10], v[13:14], -v[11:12]
	s_mov_b32 s16, 0x652b82fe
	s_mov_b32 s17, 0x3ff71547
	;; [unrolled: 1-line block ×10, first 2 shown]
	v_mul_f64 v[13:14], v[9:10], s[16:17]
	s_mov_b32 s17, 0xbfe62e42
	s_mov_b32 s16, 0xfefa39ef
	v_cmp_nlt_f64_e32 vcc_lo, 0x40900000, v[9:10]
	v_cmp_ngt_f64_e64 s3, 0xc090cc00, v[9:10]
	v_rndne_f64_e32 v[13:14], v[13:14]
	v_fma_f64 v[63:64], v[13:14], s[16:17], v[9:10]
	v_cvt_i32_f64_e32 v67, v[13:14]
	s_mov_b32 s17, 0x3fe62e42
	v_fma_f64 v[63:64], v[13:14], s[18:19], v[63:64]
	s_mov_b32 s19, 0x3c7abc9e
	v_fma_f64 v[65:66], v[63:64], s[42:43], s[36:37]
	s_mov_b32 s36, 0x623fde64
	s_mov_b32 s37, 0x3ec71dee
	;; [unrolled: 1-line block ×4, first 2 shown]
	v_fma_f64 v[65:66], v[63:64], v[65:66], s[36:37]
	s_mov_b32 s36, 0x7c89e6b0
	s_mov_b32 s37, 0x3efa0199
	v_fma_f64 v[65:66], v[63:64], v[65:66], s[36:37]
	s_mov_b32 s36, 0x14761f6e
	s_mov_b32 s37, 0x3f2a01a0
	;; [unrolled: 3-line block ×8, first 2 shown]
	v_fma_f64 v[65:66], v[63:64], v[65:66], 1.0
	v_fma_f64 v[13:14], v[63:64], v[65:66], 1.0
	v_ldexp_f64 v[13:14], v[13:14], v67
	v_cndmask_b32_e32 v14, 0x7ff00000, v14, vcc_lo
	s_and_b32 vcc_lo, s3, vcc_lo
	v_cndmask_b32_e32 v9, 0, v13, vcc_lo
	v_cndmask_b32_e64 v10, 0, v14, s3
	v_add_f64 v[13:14], v[9:10], 1.0
	v_cmp_neq_f64_e64 s3, 0x7ff00000, v[9:10]
	v_cmp_ngt_f64_e64 s4, -1.0, v[9:10]
	v_frexp_mant_f64_e32 v[63:64], v[13:14]
	v_frexp_exp_i32_f64_e32 v67, v[13:14]
	v_add_f64 v[65:66], v[13:14], -1.0
	v_cmp_gt_f64_e32 vcc_lo, s[36:37], v[63:64]
	s_mov_b32 s36, 0x55555780
	v_add_f64 v[63:64], v[65:66], -v[13:14]
	v_add_f64 v[65:66], v[9:10], -v[65:66]
	v_subrev_co_ci_u32_e64 v85, null, 0, v67, vcc_lo
	v_add_f64 v[63:64], v[63:64], 1.0
	v_cmp_nge_f64_e32 vcc_lo, -1.0, v[9:10]
	v_sub_nc_u32_e32 v69, 0, v85
	v_ldexp_f64 v[13:14], v[13:14], v69
	v_add_f64 v[63:64], v[65:66], v[63:64]
	s_and_b32 vcc_lo, vcc_lo, s3
	v_add_f64 v[67:68], v[13:14], 1.0
	v_add_f64 v[73:74], v[13:14], -1.0
	v_ldexp_f64 v[63:64], v[63:64], v69
	v_add_f64 v[65:66], v[67:68], -1.0
	v_add_f64 v[77:78], v[73:74], 1.0
	v_add_f64 v[65:66], v[13:14], -v[65:66]
	v_add_f64 v[13:14], v[13:14], -v[77:78]
	v_add_f64 v[65:66], v[63:64], v[65:66]
	v_add_f64 v[13:14], v[63:64], v[13:14]
	;; [unrolled: 1-line block ×4, first 2 shown]
	v_rcp_f64_e32 v[71:72], v[69:70]
	v_add_f64 v[67:68], v[69:70], -v[67:68]
	v_add_f64 v[73:74], v[77:78], -v[73:74]
	v_add_f64 v[65:66], v[65:66], -v[67:68]
	v_fma_f64 v[79:80], -v[69:70], v[71:72], 1.0
	v_add_f64 v[13:14], v[13:14], -v[73:74]
	v_fma_f64 v[71:72], v[79:80], v[71:72], v[71:72]
	v_fma_f64 v[63:64], -v[69:70], v[71:72], 1.0
	v_fma_f64 v[63:64], v[63:64], v[71:72], v[71:72]
	v_mul_f64 v[71:72], v[77:78], v[63:64]
	v_mul_f64 v[79:80], v[69:70], v[71:72]
	v_fma_f64 v[67:68], v[71:72], v[69:70], -v[79:80]
	v_fma_f64 v[67:68], v[71:72], v[65:66], v[67:68]
	v_add_f64 v[81:82], v[79:80], v[67:68]
	v_add_f64 v[83:84], v[77:78], -v[81:82]
	v_add_f64 v[73:74], v[81:82], -v[79:80]
	;; [unrolled: 1-line block ×5, first 2 shown]
	v_add_f64 v[13:14], v[13:14], v[77:78]
	v_add_f64 v[13:14], v[67:68], v[13:14]
	;; [unrolled: 1-line block ×3, first 2 shown]
	v_mul_f64 v[73:74], v[63:64], v[67:68]
	v_add_f64 v[81:82], v[83:84], -v[67:68]
	v_mul_f64 v[77:78], v[69:70], v[73:74]
	v_add_f64 v[13:14], v[13:14], v[81:82]
	v_fma_f64 v[69:70], v[73:74], v[69:70], -v[77:78]
	v_fma_f64 v[65:66], v[73:74], v[65:66], v[69:70]
	v_add_f64 v[69:70], v[77:78], v[65:66]
	v_add_f64 v[79:80], v[67:68], -v[69:70]
	v_add_f64 v[77:78], v[69:70], -v[77:78]
	;; [unrolled: 1-line block ×5, first 2 shown]
	v_add_f64 v[13:14], v[13:14], v[67:68]
	v_add_f64 v[67:68], v[71:72], v[73:74]
	;; [unrolled: 1-line block ×3, first 2 shown]
	v_add_f64 v[65:66], v[67:68], -v[71:72]
	v_add_f64 v[13:14], v[79:80], v[13:14]
	v_add_f64 v[65:66], v[73:74], -v[65:66]
	v_mul_f64 v[13:14], v[63:64], v[13:14]
	v_add_f64 v[13:14], v[65:66], v[13:14]
	v_add_f64 v[63:64], v[67:68], v[13:14]
	v_mul_f64 v[65:66], v[63:64], v[63:64]
	v_fma_f64 v[69:70], v[65:66], s[44:45], s[42:43]
	s_mov_b32 s42, 0xd7f4df2e
	s_mov_b32 s43, 0x3fc7474d
	v_mul_f64 v[71:72], v[63:64], v[65:66]
	v_fma_f64 v[69:70], v[65:66], v[69:70], s[42:43]
	s_mov_b32 s42, 0x16291751
	s_mov_b32 s43, 0x3fcc71c0
	v_fma_f64 v[69:70], v[65:66], v[69:70], s[42:43]
	s_mov_b32 s42, 0x9b27acf1
	s_mov_b32 s43, 0x3fd24924
	;; [unrolled: 3-line block ×3, first 2 shown]
	v_fma_f64 v[69:70], v[65:66], v[69:70], s[42:43]
	v_fma_f64 v[65:66], v[65:66], v[69:70], s[36:37]
	v_ldexp_f64 v[69:70], v[63:64], 1
	v_add_f64 v[63:64], v[63:64], -v[67:68]
	v_mul_f64 v[65:66], v[71:72], v[65:66]
	v_cvt_f64_i32_e32 v[71:72], v85
	v_add_f64 v[13:14], v[13:14], -v[63:64]
	v_add_f64 v[67:68], v[69:70], v[65:66]
	v_mul_f64 v[73:74], v[71:72], s[16:17]
	v_ldexp_f64 v[13:14], v[13:14], 1
	v_add_f64 v[63:64], v[67:68], -v[69:70]
	v_fma_f64 v[69:70], v[71:72], s[16:17], -v[73:74]
	v_add_f64 v[63:64], v[65:66], -v[63:64]
	v_fma_f64 v[65:66], v[71:72], s[18:19], v[69:70]
	v_add_f64 v[13:14], v[13:14], v[63:64]
	v_add_f64 v[63:64], v[73:74], v[65:66]
	v_add_f64 v[69:70], v[67:68], v[13:14]
	v_add_f64 v[73:74], v[63:64], -v[73:74]
	v_add_f64 v[71:72], v[63:64], v[69:70]
	v_add_f64 v[67:68], v[69:70], -v[67:68]
	v_add_f64 v[65:66], v[65:66], -v[73:74]
	;; [unrolled: 1-line block ×6, first 2 shown]
	v_add_f64 v[69:70], v[65:66], v[13:14]
	v_add_f64 v[63:64], v[63:64], -v[79:80]
	v_add_f64 v[63:64], v[67:68], v[63:64]
	v_add_f64 v[67:68], v[69:70], -v[65:66]
	;; [unrolled: 2-line block ×3, first 2 shown]
	v_add_f64 v[13:14], v[13:14], -v[67:68]
	v_add_f64 v[73:74], v[71:72], v[63:64]
	v_add_f64 v[65:66], v[65:66], -v[69:70]
	v_add_f64 v[67:68], v[73:74], -v[71:72]
	v_add_f64 v[13:14], v[13:14], v[65:66]
	v_add_f64 v[63:64], v[63:64], -v[67:68]
	v_add_f64 v[13:14], v[13:14], v[63:64]
	v_add_f64 v[13:14], v[73:74], v[13:14]
	v_cndmask_b32_e32 v13, 0, v13, vcc_lo
	v_cmp_neq_f64_e32 vcc_lo, -1.0, v[9:10]
	v_cndmask_b32_e64 v14, 0x7ff00000, v14, s3
	v_cndmask_b32_e64 v14, 0x7ff80000, v14, s4
	v_cndmask_b32_e32 v14, 0xfff00000, v14, vcc_lo
	v_add_f64 v[9:10], v[11:12], v[13:14]
.LBB74_173:
	s_or_b32 exec_lo, exec_lo, s38
	v_max_f64 v[11:12], v[9:10], v[9:10]
	v_cmp_u_f64_e32 vcc_lo, v[9:10], v[9:10]
	v_min_f64 v[13:14], v[11:12], v[15:16]
	v_max_f64 v[11:12], v[11:12], v[15:16]
	v_cndmask_b32_e32 v13, v13, v9, vcc_lo
	v_cndmask_b32_e32 v14, v14, v10, vcc_lo
	;; [unrolled: 1-line block ×4, first 2 shown]
	v_cndmask_b32_e64 v15, v13, v59, s5
	v_cndmask_b32_e64 v16, v14, v60, s5
	;; [unrolled: 1-line block ×4, first 2 shown]
	v_mov_b32_e32 v12, v10
	v_mov_b32_e32 v11, v9
	v_cmp_class_f64_e64 s3, v[15:16], 0x1f8
	v_cmp_neq_f64_e32 vcc_lo, v[15:16], v[13:14]
	s_or_b32 s3, vcc_lo, s3
	s_and_saveexec_b32 s36, s3
	s_cbranch_execz .LBB74_175
; %bb.174:
	v_add_f64 v[11:12], v[15:16], -v[13:14]
	s_mov_b32 s4, 0x652b82fe
	s_mov_b32 s5, 0x3ff71547
	;; [unrolled: 1-line block ×10, first 2 shown]
	v_mul_f64 v[15:16], v[11:12], s[4:5]
	s_mov_b32 s5, 0xbfe62e42
	s_mov_b32 s4, 0xfefa39ef
	v_cmp_nlt_f64_e32 vcc_lo, 0x40900000, v[11:12]
	v_cmp_ngt_f64_e64 s3, 0xc090cc00, v[11:12]
	v_rndne_f64_e32 v[15:16], v[15:16]
	v_fma_f64 v[63:64], v[15:16], s[4:5], v[11:12]
	v_cvt_i32_f64_e32 v67, v[15:16]
	s_mov_b32 s5, 0x3fe62e42
	v_fma_f64 v[63:64], v[15:16], s[16:17], v[63:64]
	s_mov_b32 s17, 0x3c7abc9e
	v_fma_f64 v[65:66], v[63:64], s[38:39], s[18:19]
	s_mov_b32 s18, 0x623fde64
	s_mov_b32 s19, 0x3ec71dee
	;; [unrolled: 1-line block ×4, first 2 shown]
	v_fma_f64 v[65:66], v[63:64], v[65:66], s[18:19]
	s_mov_b32 s18, 0x7c89e6b0
	s_mov_b32 s19, 0x3efa0199
	v_fma_f64 v[65:66], v[63:64], v[65:66], s[18:19]
	s_mov_b32 s18, 0x14761f6e
	s_mov_b32 s19, 0x3f2a01a0
	;; [unrolled: 3-line block ×8, first 2 shown]
	v_fma_f64 v[65:66], v[63:64], v[65:66], 1.0
	v_fma_f64 v[15:16], v[63:64], v[65:66], 1.0
	v_ldexp_f64 v[15:16], v[15:16], v67
	v_cndmask_b32_e32 v16, 0x7ff00000, v16, vcc_lo
	s_and_b32 vcc_lo, s3, vcc_lo
	v_cndmask_b32_e32 v11, 0, v15, vcc_lo
	v_cndmask_b32_e64 v12, 0, v16, s3
	v_add_f64 v[15:16], v[11:12], 1.0
	v_cmp_neq_f64_e64 s3, 0x7ff00000, v[11:12]
	v_frexp_mant_f64_e32 v[63:64], v[15:16]
	v_frexp_exp_i32_f64_e32 v67, v[15:16]
	v_add_f64 v[65:66], v[15:16], -1.0
	v_cmp_gt_f64_e32 vcc_lo, s[18:19], v[63:64]
	s_mov_b32 s18, 0x55555780
	v_add_f64 v[63:64], v[65:66], -v[15:16]
	v_add_f64 v[65:66], v[11:12], -v[65:66]
	v_subrev_co_ci_u32_e64 v85, null, 0, v67, vcc_lo
	v_add_f64 v[63:64], v[63:64], 1.0
	v_cmp_nge_f64_e32 vcc_lo, -1.0, v[11:12]
	v_sub_nc_u32_e32 v69, 0, v85
	v_ldexp_f64 v[15:16], v[15:16], v69
	v_add_f64 v[63:64], v[65:66], v[63:64]
	s_and_b32 vcc_lo, vcc_lo, s3
	v_add_f64 v[67:68], v[15:16], 1.0
	v_add_f64 v[73:74], v[15:16], -1.0
	v_ldexp_f64 v[63:64], v[63:64], v69
	v_add_f64 v[65:66], v[67:68], -1.0
	v_add_f64 v[77:78], v[73:74], 1.0
	v_add_f64 v[65:66], v[15:16], -v[65:66]
	v_add_f64 v[15:16], v[15:16], -v[77:78]
	v_add_f64 v[65:66], v[63:64], v[65:66]
	v_add_f64 v[15:16], v[63:64], v[15:16]
	;; [unrolled: 1-line block ×4, first 2 shown]
	v_rcp_f64_e32 v[71:72], v[69:70]
	v_add_f64 v[67:68], v[69:70], -v[67:68]
	v_add_f64 v[73:74], v[77:78], -v[73:74]
	;; [unrolled: 1-line block ×3, first 2 shown]
	v_fma_f64 v[79:80], -v[69:70], v[71:72], 1.0
	v_add_f64 v[15:16], v[15:16], -v[73:74]
	v_fma_f64 v[71:72], v[79:80], v[71:72], v[71:72]
	v_fma_f64 v[63:64], -v[69:70], v[71:72], 1.0
	v_fma_f64 v[63:64], v[63:64], v[71:72], v[71:72]
	v_mul_f64 v[71:72], v[77:78], v[63:64]
	v_mul_f64 v[79:80], v[69:70], v[71:72]
	v_fma_f64 v[67:68], v[71:72], v[69:70], -v[79:80]
	v_fma_f64 v[67:68], v[71:72], v[65:66], v[67:68]
	v_add_f64 v[81:82], v[79:80], v[67:68]
	v_add_f64 v[83:84], v[77:78], -v[81:82]
	v_add_f64 v[73:74], v[81:82], -v[79:80]
	;; [unrolled: 1-line block ×5, first 2 shown]
	v_add_f64 v[15:16], v[15:16], v[77:78]
	v_add_f64 v[15:16], v[67:68], v[15:16]
	;; [unrolled: 1-line block ×3, first 2 shown]
	v_mul_f64 v[73:74], v[63:64], v[67:68]
	v_add_f64 v[81:82], v[83:84], -v[67:68]
	v_mul_f64 v[77:78], v[69:70], v[73:74]
	v_add_f64 v[15:16], v[15:16], v[81:82]
	v_fma_f64 v[69:70], v[73:74], v[69:70], -v[77:78]
	v_fma_f64 v[65:66], v[73:74], v[65:66], v[69:70]
	v_add_f64 v[69:70], v[77:78], v[65:66]
	v_add_f64 v[79:80], v[67:68], -v[69:70]
	v_add_f64 v[77:78], v[69:70], -v[77:78]
	;; [unrolled: 1-line block ×5, first 2 shown]
	v_add_f64 v[15:16], v[15:16], v[67:68]
	v_add_f64 v[67:68], v[71:72], v[73:74]
	;; [unrolled: 1-line block ×3, first 2 shown]
	v_add_f64 v[65:66], v[67:68], -v[71:72]
	v_add_f64 v[15:16], v[79:80], v[15:16]
	v_add_f64 v[65:66], v[73:74], -v[65:66]
	v_mul_f64 v[15:16], v[63:64], v[15:16]
	v_add_f64 v[15:16], v[65:66], v[15:16]
	v_add_f64 v[63:64], v[67:68], v[15:16]
	v_mul_f64 v[65:66], v[63:64], v[63:64]
	v_fma_f64 v[69:70], v[65:66], s[42:43], s[38:39]
	s_mov_b32 s38, 0xd7f4df2e
	s_mov_b32 s39, 0x3fc7474d
	v_mul_f64 v[71:72], v[63:64], v[65:66]
	v_fma_f64 v[69:70], v[65:66], v[69:70], s[38:39]
	s_mov_b32 s38, 0x16291751
	s_mov_b32 s39, 0x3fcc71c0
	v_fma_f64 v[69:70], v[65:66], v[69:70], s[38:39]
	s_mov_b32 s38, 0x9b27acf1
	s_mov_b32 s39, 0x3fd24924
	;; [unrolled: 3-line block ×3, first 2 shown]
	v_fma_f64 v[69:70], v[65:66], v[69:70], s[38:39]
	v_fma_f64 v[65:66], v[65:66], v[69:70], s[18:19]
	v_ldexp_f64 v[69:70], v[63:64], 1
	v_add_f64 v[63:64], v[63:64], -v[67:68]
	v_mul_f64 v[65:66], v[71:72], v[65:66]
	v_cvt_f64_i32_e32 v[71:72], v85
	v_add_f64 v[15:16], v[15:16], -v[63:64]
	v_add_f64 v[67:68], v[69:70], v[65:66]
	v_mul_f64 v[73:74], v[71:72], s[4:5]
	v_ldexp_f64 v[15:16], v[15:16], 1
	v_add_f64 v[63:64], v[67:68], -v[69:70]
	v_fma_f64 v[69:70], v[71:72], s[4:5], -v[73:74]
	v_cmp_ngt_f64_e64 s4, -1.0, v[11:12]
	v_add_f64 v[63:64], v[65:66], -v[63:64]
	v_fma_f64 v[65:66], v[71:72], s[16:17], v[69:70]
	v_add_f64 v[15:16], v[15:16], v[63:64]
	v_add_f64 v[63:64], v[73:74], v[65:66]
	;; [unrolled: 1-line block ×3, first 2 shown]
	v_add_f64 v[73:74], v[63:64], -v[73:74]
	v_add_f64 v[71:72], v[63:64], v[69:70]
	v_add_f64 v[67:68], v[69:70], -v[67:68]
	v_add_f64 v[65:66], v[65:66], -v[73:74]
	;; [unrolled: 1-line block ×6, first 2 shown]
	v_add_f64 v[69:70], v[65:66], v[15:16]
	v_add_f64 v[63:64], v[63:64], -v[79:80]
	v_add_f64 v[63:64], v[67:68], v[63:64]
	v_add_f64 v[67:68], v[69:70], -v[65:66]
	;; [unrolled: 2-line block ×3, first 2 shown]
	v_add_f64 v[15:16], v[15:16], -v[67:68]
	v_add_f64 v[73:74], v[71:72], v[63:64]
	v_add_f64 v[65:66], v[65:66], -v[69:70]
	v_add_f64 v[67:68], v[73:74], -v[71:72]
	v_add_f64 v[15:16], v[15:16], v[65:66]
	v_add_f64 v[63:64], v[63:64], -v[67:68]
	v_add_f64 v[15:16], v[15:16], v[63:64]
	v_add_f64 v[15:16], v[73:74], v[15:16]
	v_cndmask_b32_e32 v15, 0, v15, vcc_lo
	v_cmp_neq_f64_e32 vcc_lo, -1.0, v[11:12]
	v_cndmask_b32_e64 v16, 0x7ff00000, v16, s3
	v_cndmask_b32_e64 v16, 0x7ff80000, v16, s4
	v_cndmask_b32_e32 v16, 0xfff00000, v16, vcc_lo
	v_add_f64 v[11:12], v[13:14], v[15:16]
.LBB74_175:
	s_or_b32 exec_lo, exec_lo, s36
	v_max_f64 v[13:14], v[11:12], v[11:12]
	v_cmp_u_f64_e32 vcc_lo, v[11:12], v[11:12]
	v_min_f64 v[15:16], v[13:14], v[17:18]
	v_max_f64 v[13:14], v[13:14], v[17:18]
	v_cndmask_b32_e32 v15, v15, v11, vcc_lo
	v_cndmask_b32_e32 v16, v16, v12, vcc_lo
	;; [unrolled: 1-line block ×4, first 2 shown]
	v_cndmask_b32_e64 v17, v15, v53, s6
	v_cndmask_b32_e64 v18, v16, v54, s6
	;; [unrolled: 1-line block ×4, first 2 shown]
	v_mov_b32_e32 v14, v12
	v_mov_b32_e32 v13, v11
	v_cmp_class_f64_e64 s3, v[17:18], 0x1f8
	v_cmp_neq_f64_e32 vcc_lo, v[17:18], v[15:16]
	s_or_b32 s3, vcc_lo, s3
	s_and_saveexec_b32 s6, s3
	s_cbranch_execz .LBB74_177
; %bb.176:
	v_add_f64 v[13:14], v[17:18], -v[15:16]
	s_mov_b32 s4, 0x652b82fe
	s_mov_b32 s5, 0x3ff71547
	;; [unrolled: 1-line block ×10, first 2 shown]
	v_mul_f64 v[17:18], v[13:14], s[4:5]
	s_mov_b32 s5, 0xbfe62e42
	s_mov_b32 s4, 0xfefa39ef
	v_cmp_nlt_f64_e32 vcc_lo, 0x40900000, v[13:14]
	v_cmp_ngt_f64_e64 s3, 0xc090cc00, v[13:14]
	v_rndne_f64_e32 v[17:18], v[17:18]
	v_fma_f64 v[63:64], v[17:18], s[4:5], v[13:14]
	v_cvt_i32_f64_e32 v67, v[17:18]
	s_mov_b32 s5, 0x3fe62e42
	v_fma_f64 v[63:64], v[17:18], s[16:17], v[63:64]
	s_mov_b32 s17, 0x3c7abc9e
	v_fma_f64 v[65:66], v[63:64], s[36:37], s[18:19]
	s_mov_b32 s18, 0x623fde64
	s_mov_b32 s19, 0x3ec71dee
	s_mov_b32 s36, 0x6b47b09a
	s_mov_b32 s37, 0x3fc38538
	v_fma_f64 v[65:66], v[63:64], v[65:66], s[18:19]
	s_mov_b32 s18, 0x7c89e6b0
	s_mov_b32 s19, 0x3efa0199
	v_fma_f64 v[65:66], v[63:64], v[65:66], s[18:19]
	s_mov_b32 s18, 0x14761f6e
	s_mov_b32 s19, 0x3f2a01a0
	;; [unrolled: 3-line block ×8, first 2 shown]
	v_fma_f64 v[65:66], v[63:64], v[65:66], 1.0
	v_fma_f64 v[17:18], v[63:64], v[65:66], 1.0
	v_ldexp_f64 v[17:18], v[17:18], v67
	v_cndmask_b32_e32 v18, 0x7ff00000, v18, vcc_lo
	s_and_b32 vcc_lo, s3, vcc_lo
	v_cndmask_b32_e32 v13, 0, v17, vcc_lo
	v_cndmask_b32_e64 v14, 0, v18, s3
	v_add_f64 v[17:18], v[13:14], 1.0
	v_cmp_neq_f64_e64 s3, 0x7ff00000, v[13:14]
	v_frexp_mant_f64_e32 v[63:64], v[17:18]
	v_frexp_exp_i32_f64_e32 v67, v[17:18]
	v_add_f64 v[65:66], v[17:18], -1.0
	v_cmp_gt_f64_e32 vcc_lo, s[18:19], v[63:64]
	s_mov_b32 s18, 0x55555780
	v_add_f64 v[63:64], v[65:66], -v[17:18]
	v_add_f64 v[65:66], v[13:14], -v[65:66]
	v_subrev_co_ci_u32_e64 v85, null, 0, v67, vcc_lo
	v_add_f64 v[63:64], v[63:64], 1.0
	v_cmp_nge_f64_e32 vcc_lo, -1.0, v[13:14]
	v_sub_nc_u32_e32 v69, 0, v85
	v_ldexp_f64 v[17:18], v[17:18], v69
	v_add_f64 v[63:64], v[65:66], v[63:64]
	s_and_b32 vcc_lo, vcc_lo, s3
	v_add_f64 v[67:68], v[17:18], 1.0
	v_add_f64 v[73:74], v[17:18], -1.0
	v_ldexp_f64 v[63:64], v[63:64], v69
	v_add_f64 v[65:66], v[67:68], -1.0
	v_add_f64 v[77:78], v[73:74], 1.0
	v_add_f64 v[65:66], v[17:18], -v[65:66]
	v_add_f64 v[17:18], v[17:18], -v[77:78]
	v_add_f64 v[65:66], v[63:64], v[65:66]
	v_add_f64 v[17:18], v[63:64], v[17:18]
	;; [unrolled: 1-line block ×4, first 2 shown]
	v_rcp_f64_e32 v[71:72], v[69:70]
	v_add_f64 v[67:68], v[69:70], -v[67:68]
	v_add_f64 v[73:74], v[77:78], -v[73:74]
	v_add_f64 v[65:66], v[65:66], -v[67:68]
	v_fma_f64 v[79:80], -v[69:70], v[71:72], 1.0
	v_add_f64 v[17:18], v[17:18], -v[73:74]
	v_fma_f64 v[71:72], v[79:80], v[71:72], v[71:72]
	v_fma_f64 v[63:64], -v[69:70], v[71:72], 1.0
	v_fma_f64 v[63:64], v[63:64], v[71:72], v[71:72]
	v_mul_f64 v[71:72], v[77:78], v[63:64]
	v_mul_f64 v[79:80], v[69:70], v[71:72]
	v_fma_f64 v[67:68], v[71:72], v[69:70], -v[79:80]
	v_fma_f64 v[67:68], v[71:72], v[65:66], v[67:68]
	v_add_f64 v[81:82], v[79:80], v[67:68]
	v_add_f64 v[83:84], v[77:78], -v[81:82]
	v_add_f64 v[73:74], v[81:82], -v[79:80]
	;; [unrolled: 1-line block ×5, first 2 shown]
	v_add_f64 v[17:18], v[17:18], v[77:78]
	v_add_f64 v[17:18], v[67:68], v[17:18]
	;; [unrolled: 1-line block ×3, first 2 shown]
	v_mul_f64 v[73:74], v[63:64], v[67:68]
	v_add_f64 v[81:82], v[83:84], -v[67:68]
	v_mul_f64 v[77:78], v[69:70], v[73:74]
	v_add_f64 v[17:18], v[17:18], v[81:82]
	v_fma_f64 v[69:70], v[73:74], v[69:70], -v[77:78]
	v_fma_f64 v[65:66], v[73:74], v[65:66], v[69:70]
	v_add_f64 v[69:70], v[77:78], v[65:66]
	v_add_f64 v[79:80], v[67:68], -v[69:70]
	v_add_f64 v[77:78], v[69:70], -v[77:78]
	;; [unrolled: 1-line block ×5, first 2 shown]
	v_add_f64 v[17:18], v[17:18], v[67:68]
	v_add_f64 v[67:68], v[71:72], v[73:74]
	;; [unrolled: 1-line block ×3, first 2 shown]
	v_add_f64 v[65:66], v[67:68], -v[71:72]
	v_add_f64 v[17:18], v[79:80], v[17:18]
	v_add_f64 v[65:66], v[73:74], -v[65:66]
	v_mul_f64 v[17:18], v[63:64], v[17:18]
	v_add_f64 v[17:18], v[65:66], v[17:18]
	v_add_f64 v[63:64], v[67:68], v[17:18]
	v_mul_f64 v[65:66], v[63:64], v[63:64]
	v_fma_f64 v[69:70], v[65:66], s[38:39], s[36:37]
	s_mov_b32 s36, 0xd7f4df2e
	s_mov_b32 s37, 0x3fc7474d
	v_mul_f64 v[71:72], v[63:64], v[65:66]
	v_fma_f64 v[69:70], v[65:66], v[69:70], s[36:37]
	s_mov_b32 s36, 0x16291751
	s_mov_b32 s37, 0x3fcc71c0
	v_fma_f64 v[69:70], v[65:66], v[69:70], s[36:37]
	s_mov_b32 s36, 0x9b27acf1
	s_mov_b32 s37, 0x3fd24924
	;; [unrolled: 3-line block ×3, first 2 shown]
	v_fma_f64 v[69:70], v[65:66], v[69:70], s[36:37]
	v_fma_f64 v[65:66], v[65:66], v[69:70], s[18:19]
	v_ldexp_f64 v[69:70], v[63:64], 1
	v_add_f64 v[63:64], v[63:64], -v[67:68]
	v_mul_f64 v[65:66], v[71:72], v[65:66]
	v_cvt_f64_i32_e32 v[71:72], v85
	v_add_f64 v[17:18], v[17:18], -v[63:64]
	v_add_f64 v[67:68], v[69:70], v[65:66]
	v_mul_f64 v[73:74], v[71:72], s[4:5]
	v_ldexp_f64 v[17:18], v[17:18], 1
	v_add_f64 v[63:64], v[67:68], -v[69:70]
	v_fma_f64 v[69:70], v[71:72], s[4:5], -v[73:74]
	v_cmp_ngt_f64_e64 s4, -1.0, v[13:14]
	v_add_f64 v[63:64], v[65:66], -v[63:64]
	v_fma_f64 v[65:66], v[71:72], s[16:17], v[69:70]
	v_add_f64 v[17:18], v[17:18], v[63:64]
	v_add_f64 v[63:64], v[73:74], v[65:66]
	;; [unrolled: 1-line block ×3, first 2 shown]
	v_add_f64 v[73:74], v[63:64], -v[73:74]
	v_add_f64 v[71:72], v[63:64], v[69:70]
	v_add_f64 v[67:68], v[69:70], -v[67:68]
	v_add_f64 v[65:66], v[65:66], -v[73:74]
	;; [unrolled: 1-line block ×6, first 2 shown]
	v_add_f64 v[69:70], v[65:66], v[17:18]
	v_add_f64 v[63:64], v[63:64], -v[79:80]
	v_add_f64 v[63:64], v[67:68], v[63:64]
	v_add_f64 v[67:68], v[69:70], -v[65:66]
	;; [unrolled: 2-line block ×3, first 2 shown]
	v_add_f64 v[17:18], v[17:18], -v[67:68]
	v_add_f64 v[73:74], v[71:72], v[63:64]
	v_add_f64 v[65:66], v[65:66], -v[69:70]
	v_add_f64 v[67:68], v[73:74], -v[71:72]
	v_add_f64 v[17:18], v[17:18], v[65:66]
	v_add_f64 v[63:64], v[63:64], -v[67:68]
	v_add_f64 v[17:18], v[17:18], v[63:64]
	v_add_f64 v[17:18], v[73:74], v[17:18]
	v_cndmask_b32_e32 v17, 0, v17, vcc_lo
	v_cmp_neq_f64_e32 vcc_lo, -1.0, v[13:14]
	v_cndmask_b32_e64 v18, 0x7ff00000, v18, s3
	v_cndmask_b32_e64 v18, 0x7ff80000, v18, s4
	v_cndmask_b32_e32 v18, 0xfff00000, v18, vcc_lo
	v_add_f64 v[13:14], v[15:16], v[17:18]
.LBB74_177:
	s_or_b32 exec_lo, exec_lo, s6
	v_max_f64 v[15:16], v[13:14], v[13:14]
	v_cmp_u_f64_e32 vcc_lo, v[13:14], v[13:14]
	v_min_f64 v[17:18], v[15:16], v[19:20]
	v_max_f64 v[15:16], v[15:16], v[19:20]
	v_cndmask_b32_e32 v17, v17, v13, vcc_lo
	v_cndmask_b32_e32 v18, v18, v14, vcc_lo
	;; [unrolled: 1-line block ×4, first 2 shown]
	v_cndmask_b32_e64 v19, v17, v55, s7
	v_cndmask_b32_e64 v20, v18, v56, s7
	v_cndmask_b32_e64 v18, v16, v56, s7
	v_cndmask_b32_e64 v17, v15, v55, s7
	v_mov_b32_e32 v16, v14
	v_mov_b32_e32 v15, v13
	v_cmp_class_f64_e64 s3, v[19:20], 0x1f8
	v_cmp_neq_f64_e32 vcc_lo, v[19:20], v[17:18]
	s_or_b32 s3, vcc_lo, s3
	s_and_saveexec_b32 s18, s3
	s_cbranch_execz .LBB74_179
; %bb.178:
	v_add_f64 v[15:16], v[19:20], -v[17:18]
	s_mov_b32 s4, 0x652b82fe
	s_mov_b32 s5, 0x3ff71547
	;; [unrolled: 1-line block ×10, first 2 shown]
	v_mul_f64 v[19:20], v[15:16], s[4:5]
	s_mov_b32 s5, 0xbfe62e42
	s_mov_b32 s4, 0xfefa39ef
	v_cmp_nlt_f64_e32 vcc_lo, 0x40900000, v[15:16]
	v_cmp_ngt_f64_e64 s3, 0xc090cc00, v[15:16]
	v_rndne_f64_e32 v[19:20], v[19:20]
	v_fma_f64 v[63:64], v[19:20], s[4:5], v[15:16]
	v_cvt_i32_f64_e32 v67, v[19:20]
	s_mov_b32 s5, 0x3fe62e42
	v_fma_f64 v[63:64], v[19:20], s[6:7], v[63:64]
	s_mov_b32 s7, 0x3c7abc9e
	v_fma_f64 v[65:66], v[63:64], s[36:37], s[16:17]
	s_mov_b32 s16, 0x623fde64
	s_mov_b32 s17, 0x3ec71dee
	;; [unrolled: 1-line block ×4, first 2 shown]
	v_fma_f64 v[65:66], v[63:64], v[65:66], s[16:17]
	s_mov_b32 s16, 0x7c89e6b0
	s_mov_b32 s17, 0x3efa0199
	v_fma_f64 v[65:66], v[63:64], v[65:66], s[16:17]
	s_mov_b32 s16, 0x14761f6e
	s_mov_b32 s17, 0x3f2a01a0
	;; [unrolled: 3-line block ×8, first 2 shown]
	v_fma_f64 v[65:66], v[63:64], v[65:66], 1.0
	v_fma_f64 v[19:20], v[63:64], v[65:66], 1.0
	v_ldexp_f64 v[19:20], v[19:20], v67
	v_cndmask_b32_e32 v20, 0x7ff00000, v20, vcc_lo
	s_and_b32 vcc_lo, s3, vcc_lo
	v_cndmask_b32_e32 v15, 0, v19, vcc_lo
	v_cndmask_b32_e64 v16, 0, v20, s3
	v_add_f64 v[19:20], v[15:16], 1.0
	v_cmp_neq_f64_e64 s3, 0x7ff00000, v[15:16]
	v_frexp_mant_f64_e32 v[63:64], v[19:20]
	v_frexp_exp_i32_f64_e32 v67, v[19:20]
	v_add_f64 v[65:66], v[19:20], -1.0
	v_cmp_gt_f64_e32 vcc_lo, s[16:17], v[63:64]
	s_mov_b32 s16, 0x55555780
	v_add_f64 v[63:64], v[65:66], -v[19:20]
	v_add_f64 v[65:66], v[15:16], -v[65:66]
	v_subrev_co_ci_u32_e64 v85, null, 0, v67, vcc_lo
	v_add_f64 v[63:64], v[63:64], 1.0
	v_cmp_nge_f64_e32 vcc_lo, -1.0, v[15:16]
	v_sub_nc_u32_e32 v69, 0, v85
	v_ldexp_f64 v[19:20], v[19:20], v69
	v_add_f64 v[63:64], v[65:66], v[63:64]
	s_and_b32 vcc_lo, vcc_lo, s3
	v_add_f64 v[67:68], v[19:20], 1.0
	v_add_f64 v[73:74], v[19:20], -1.0
	v_ldexp_f64 v[63:64], v[63:64], v69
	v_add_f64 v[65:66], v[67:68], -1.0
	v_add_f64 v[77:78], v[73:74], 1.0
	v_add_f64 v[65:66], v[19:20], -v[65:66]
	v_add_f64 v[19:20], v[19:20], -v[77:78]
	v_add_f64 v[65:66], v[63:64], v[65:66]
	v_add_f64 v[19:20], v[63:64], v[19:20]
	;; [unrolled: 1-line block ×4, first 2 shown]
	v_rcp_f64_e32 v[71:72], v[69:70]
	v_add_f64 v[67:68], v[69:70], -v[67:68]
	v_add_f64 v[73:74], v[77:78], -v[73:74]
	;; [unrolled: 1-line block ×3, first 2 shown]
	v_fma_f64 v[79:80], -v[69:70], v[71:72], 1.0
	v_add_f64 v[19:20], v[19:20], -v[73:74]
	v_fma_f64 v[71:72], v[79:80], v[71:72], v[71:72]
	v_fma_f64 v[63:64], -v[69:70], v[71:72], 1.0
	v_fma_f64 v[63:64], v[63:64], v[71:72], v[71:72]
	v_mul_f64 v[71:72], v[77:78], v[63:64]
	v_mul_f64 v[79:80], v[69:70], v[71:72]
	v_fma_f64 v[67:68], v[71:72], v[69:70], -v[79:80]
	v_fma_f64 v[67:68], v[71:72], v[65:66], v[67:68]
	v_add_f64 v[81:82], v[79:80], v[67:68]
	v_add_f64 v[83:84], v[77:78], -v[81:82]
	v_add_f64 v[73:74], v[81:82], -v[79:80]
	;; [unrolled: 1-line block ×5, first 2 shown]
	v_add_f64 v[19:20], v[19:20], v[77:78]
	v_add_f64 v[19:20], v[67:68], v[19:20]
	;; [unrolled: 1-line block ×3, first 2 shown]
	v_mul_f64 v[73:74], v[63:64], v[67:68]
	v_add_f64 v[81:82], v[83:84], -v[67:68]
	v_mul_f64 v[77:78], v[69:70], v[73:74]
	v_add_f64 v[19:20], v[19:20], v[81:82]
	v_fma_f64 v[69:70], v[73:74], v[69:70], -v[77:78]
	v_fma_f64 v[65:66], v[73:74], v[65:66], v[69:70]
	v_add_f64 v[69:70], v[77:78], v[65:66]
	v_add_f64 v[79:80], v[67:68], -v[69:70]
	v_add_f64 v[77:78], v[69:70], -v[77:78]
	;; [unrolled: 1-line block ×5, first 2 shown]
	v_add_f64 v[19:20], v[19:20], v[67:68]
	v_add_f64 v[67:68], v[71:72], v[73:74]
	;; [unrolled: 1-line block ×3, first 2 shown]
	v_add_f64 v[65:66], v[67:68], -v[71:72]
	v_add_f64 v[19:20], v[79:80], v[19:20]
	v_add_f64 v[65:66], v[73:74], -v[65:66]
	v_mul_f64 v[19:20], v[63:64], v[19:20]
	v_add_f64 v[19:20], v[65:66], v[19:20]
	v_add_f64 v[63:64], v[67:68], v[19:20]
	v_mul_f64 v[65:66], v[63:64], v[63:64]
	v_fma_f64 v[69:70], v[65:66], s[38:39], s[36:37]
	s_mov_b32 s36, 0xd7f4df2e
	s_mov_b32 s37, 0x3fc7474d
	v_mul_f64 v[71:72], v[63:64], v[65:66]
	v_fma_f64 v[69:70], v[65:66], v[69:70], s[36:37]
	s_mov_b32 s36, 0x16291751
	s_mov_b32 s37, 0x3fcc71c0
	v_fma_f64 v[69:70], v[65:66], v[69:70], s[36:37]
	s_mov_b32 s36, 0x9b27acf1
	s_mov_b32 s37, 0x3fd24924
	;; [unrolled: 3-line block ×3, first 2 shown]
	v_fma_f64 v[69:70], v[65:66], v[69:70], s[36:37]
	v_fma_f64 v[65:66], v[65:66], v[69:70], s[16:17]
	v_ldexp_f64 v[69:70], v[63:64], 1
	v_add_f64 v[63:64], v[63:64], -v[67:68]
	v_mul_f64 v[65:66], v[71:72], v[65:66]
	v_cvt_f64_i32_e32 v[71:72], v85
	v_add_f64 v[19:20], v[19:20], -v[63:64]
	v_add_f64 v[67:68], v[69:70], v[65:66]
	v_mul_f64 v[73:74], v[71:72], s[4:5]
	v_ldexp_f64 v[19:20], v[19:20], 1
	v_add_f64 v[63:64], v[67:68], -v[69:70]
	v_fma_f64 v[69:70], v[71:72], s[4:5], -v[73:74]
	v_cmp_ngt_f64_e64 s4, -1.0, v[15:16]
	v_add_f64 v[63:64], v[65:66], -v[63:64]
	v_fma_f64 v[65:66], v[71:72], s[6:7], v[69:70]
	v_add_f64 v[19:20], v[19:20], v[63:64]
	v_add_f64 v[63:64], v[73:74], v[65:66]
	;; [unrolled: 1-line block ×3, first 2 shown]
	v_add_f64 v[73:74], v[63:64], -v[73:74]
	v_add_f64 v[71:72], v[63:64], v[69:70]
	v_add_f64 v[67:68], v[69:70], -v[67:68]
	v_add_f64 v[65:66], v[65:66], -v[73:74]
	;; [unrolled: 1-line block ×6, first 2 shown]
	v_add_f64 v[69:70], v[65:66], v[19:20]
	v_add_f64 v[63:64], v[63:64], -v[79:80]
	v_add_f64 v[63:64], v[67:68], v[63:64]
	v_add_f64 v[67:68], v[69:70], -v[65:66]
	;; [unrolled: 2-line block ×3, first 2 shown]
	v_add_f64 v[19:20], v[19:20], -v[67:68]
	v_add_f64 v[73:74], v[71:72], v[63:64]
	v_add_f64 v[65:66], v[65:66], -v[69:70]
	v_add_f64 v[67:68], v[73:74], -v[71:72]
	v_add_f64 v[19:20], v[19:20], v[65:66]
	v_add_f64 v[63:64], v[63:64], -v[67:68]
	v_add_f64 v[19:20], v[19:20], v[63:64]
	v_add_f64 v[19:20], v[73:74], v[19:20]
	v_cndmask_b32_e32 v19, 0, v19, vcc_lo
	v_cmp_neq_f64_e32 vcc_lo, -1.0, v[15:16]
	v_cndmask_b32_e64 v20, 0x7ff00000, v20, s3
	v_cndmask_b32_e64 v20, 0x7ff80000, v20, s4
	v_cndmask_b32_e32 v20, 0xfff00000, v20, vcc_lo
	v_add_f64 v[15:16], v[17:18], v[19:20]
.LBB74_179:
	s_or_b32 exec_lo, exec_lo, s18
	v_max_f64 v[17:18], v[15:16], v[15:16]
	v_cmp_u_f64_e32 vcc_lo, v[15:16], v[15:16]
	v_min_f64 v[19:20], v[17:18], v[21:22]
	v_max_f64 v[17:18], v[17:18], v[21:22]
	v_cndmask_b32_e32 v19, v19, v15, vcc_lo
	v_cndmask_b32_e32 v20, v20, v16, vcc_lo
	v_cndmask_b32_e32 v18, v18, v16, vcc_lo
	v_cndmask_b32_e32 v17, v17, v15, vcc_lo
	v_cndmask_b32_e64 v21, v19, v49, s8
	v_cndmask_b32_e64 v22, v20, v50, s8
	;; [unrolled: 1-line block ×4, first 2 shown]
	v_mov_b32_e32 v18, v16
	v_mov_b32_e32 v17, v15
	v_cmp_class_f64_e64 s3, v[21:22], 0x1f8
	v_cmp_neq_f64_e32 vcc_lo, v[21:22], v[19:20]
	s_or_b32 s3, vcc_lo, s3
	s_and_saveexec_b32 s8, s3
	s_cbranch_execz .LBB74_181
; %bb.180:
	v_add_f64 v[17:18], v[21:22], -v[19:20]
	s_mov_b32 s4, 0x652b82fe
	s_mov_b32 s5, 0x3ff71547
	;; [unrolled: 1-line block ×10, first 2 shown]
	v_mul_f64 v[21:22], v[17:18], s[4:5]
	s_mov_b32 s5, 0xbfe62e42
	s_mov_b32 s4, 0xfefa39ef
	v_cmp_nlt_f64_e32 vcc_lo, 0x40900000, v[17:18]
	v_cmp_ngt_f64_e64 s3, 0xc090cc00, v[17:18]
	v_rndne_f64_e32 v[21:22], v[21:22]
	v_fma_f64 v[63:64], v[21:22], s[4:5], v[17:18]
	v_cvt_i32_f64_e32 v67, v[21:22]
	s_mov_b32 s5, 0x3fe62e42
	v_fma_f64 v[63:64], v[21:22], s[6:7], v[63:64]
	s_mov_b32 s7, 0x3c7abc9e
	v_fma_f64 v[65:66], v[63:64], s[18:19], s[16:17]
	s_mov_b32 s16, 0x623fde64
	s_mov_b32 s17, 0x3ec71dee
	s_mov_b32 s18, 0x6b47b09a
	s_mov_b32 s19, 0x3fc38538
	v_fma_f64 v[65:66], v[63:64], v[65:66], s[16:17]
	s_mov_b32 s16, 0x7c89e6b0
	s_mov_b32 s17, 0x3efa0199
	v_fma_f64 v[65:66], v[63:64], v[65:66], s[16:17]
	s_mov_b32 s16, 0x14761f6e
	s_mov_b32 s17, 0x3f2a01a0
	;; [unrolled: 3-line block ×8, first 2 shown]
	v_fma_f64 v[65:66], v[63:64], v[65:66], 1.0
	v_fma_f64 v[21:22], v[63:64], v[65:66], 1.0
	v_ldexp_f64 v[21:22], v[21:22], v67
	v_cndmask_b32_e32 v22, 0x7ff00000, v22, vcc_lo
	s_and_b32 vcc_lo, s3, vcc_lo
	v_cndmask_b32_e32 v17, 0, v21, vcc_lo
	v_cndmask_b32_e64 v18, 0, v22, s3
	v_add_f64 v[21:22], v[17:18], 1.0
	v_cmp_neq_f64_e64 s3, 0x7ff00000, v[17:18]
	v_frexp_mant_f64_e32 v[63:64], v[21:22]
	v_frexp_exp_i32_f64_e32 v67, v[21:22]
	v_add_f64 v[65:66], v[21:22], -1.0
	v_cmp_gt_f64_e32 vcc_lo, s[16:17], v[63:64]
	s_mov_b32 s16, 0x55555780
	v_add_f64 v[63:64], v[65:66], -v[21:22]
	v_add_f64 v[65:66], v[17:18], -v[65:66]
	v_subrev_co_ci_u32_e64 v85, null, 0, v67, vcc_lo
	v_add_f64 v[63:64], v[63:64], 1.0
	v_cmp_nge_f64_e32 vcc_lo, -1.0, v[17:18]
	v_sub_nc_u32_e32 v69, 0, v85
	v_ldexp_f64 v[21:22], v[21:22], v69
	v_add_f64 v[63:64], v[65:66], v[63:64]
	s_and_b32 vcc_lo, vcc_lo, s3
	v_add_f64 v[67:68], v[21:22], 1.0
	v_add_f64 v[73:74], v[21:22], -1.0
	v_ldexp_f64 v[63:64], v[63:64], v69
	v_add_f64 v[65:66], v[67:68], -1.0
	v_add_f64 v[77:78], v[73:74], 1.0
	v_add_f64 v[65:66], v[21:22], -v[65:66]
	v_add_f64 v[21:22], v[21:22], -v[77:78]
	v_add_f64 v[65:66], v[63:64], v[65:66]
	v_add_f64 v[21:22], v[63:64], v[21:22]
	;; [unrolled: 1-line block ×4, first 2 shown]
	v_rcp_f64_e32 v[71:72], v[69:70]
	v_add_f64 v[67:68], v[69:70], -v[67:68]
	v_add_f64 v[73:74], v[77:78], -v[73:74]
	;; [unrolled: 1-line block ×3, first 2 shown]
	v_fma_f64 v[79:80], -v[69:70], v[71:72], 1.0
	v_add_f64 v[21:22], v[21:22], -v[73:74]
	v_fma_f64 v[71:72], v[79:80], v[71:72], v[71:72]
	v_fma_f64 v[63:64], -v[69:70], v[71:72], 1.0
	v_fma_f64 v[63:64], v[63:64], v[71:72], v[71:72]
	v_mul_f64 v[71:72], v[77:78], v[63:64]
	v_mul_f64 v[79:80], v[69:70], v[71:72]
	v_fma_f64 v[67:68], v[71:72], v[69:70], -v[79:80]
	v_fma_f64 v[67:68], v[71:72], v[65:66], v[67:68]
	v_add_f64 v[81:82], v[79:80], v[67:68]
	v_add_f64 v[83:84], v[77:78], -v[81:82]
	v_add_f64 v[73:74], v[81:82], -v[79:80]
	;; [unrolled: 1-line block ×5, first 2 shown]
	v_add_f64 v[21:22], v[21:22], v[77:78]
	v_add_f64 v[21:22], v[67:68], v[21:22]
	;; [unrolled: 1-line block ×3, first 2 shown]
	v_mul_f64 v[73:74], v[63:64], v[67:68]
	v_add_f64 v[81:82], v[83:84], -v[67:68]
	v_mul_f64 v[77:78], v[69:70], v[73:74]
	v_add_f64 v[21:22], v[21:22], v[81:82]
	v_fma_f64 v[69:70], v[73:74], v[69:70], -v[77:78]
	v_fma_f64 v[65:66], v[73:74], v[65:66], v[69:70]
	v_add_f64 v[69:70], v[77:78], v[65:66]
	v_add_f64 v[79:80], v[67:68], -v[69:70]
	v_add_f64 v[77:78], v[69:70], -v[77:78]
	;; [unrolled: 1-line block ×5, first 2 shown]
	v_add_f64 v[21:22], v[21:22], v[67:68]
	v_add_f64 v[67:68], v[71:72], v[73:74]
	;; [unrolled: 1-line block ×3, first 2 shown]
	v_add_f64 v[65:66], v[67:68], -v[71:72]
	v_add_f64 v[21:22], v[79:80], v[21:22]
	v_add_f64 v[65:66], v[73:74], -v[65:66]
	v_mul_f64 v[21:22], v[63:64], v[21:22]
	v_add_f64 v[21:22], v[65:66], v[21:22]
	v_add_f64 v[63:64], v[67:68], v[21:22]
	v_mul_f64 v[65:66], v[63:64], v[63:64]
	v_fma_f64 v[69:70], v[65:66], s[36:37], s[18:19]
	s_mov_b32 s18, 0xd7f4df2e
	s_mov_b32 s19, 0x3fc7474d
	v_mul_f64 v[71:72], v[63:64], v[65:66]
	v_fma_f64 v[69:70], v[65:66], v[69:70], s[18:19]
	s_mov_b32 s18, 0x16291751
	s_mov_b32 s19, 0x3fcc71c0
	v_fma_f64 v[69:70], v[65:66], v[69:70], s[18:19]
	s_mov_b32 s18, 0x9b27acf1
	s_mov_b32 s19, 0x3fd24924
	;; [unrolled: 3-line block ×3, first 2 shown]
	v_fma_f64 v[69:70], v[65:66], v[69:70], s[18:19]
	v_fma_f64 v[65:66], v[65:66], v[69:70], s[16:17]
	v_ldexp_f64 v[69:70], v[63:64], 1
	v_add_f64 v[63:64], v[63:64], -v[67:68]
	v_mul_f64 v[65:66], v[71:72], v[65:66]
	v_cvt_f64_i32_e32 v[71:72], v85
	v_add_f64 v[21:22], v[21:22], -v[63:64]
	v_add_f64 v[67:68], v[69:70], v[65:66]
	v_mul_f64 v[73:74], v[71:72], s[4:5]
	v_ldexp_f64 v[21:22], v[21:22], 1
	v_add_f64 v[63:64], v[67:68], -v[69:70]
	v_fma_f64 v[69:70], v[71:72], s[4:5], -v[73:74]
	v_cmp_ngt_f64_e64 s4, -1.0, v[17:18]
	v_add_f64 v[63:64], v[65:66], -v[63:64]
	v_fma_f64 v[65:66], v[71:72], s[6:7], v[69:70]
	v_add_f64 v[21:22], v[21:22], v[63:64]
	v_add_f64 v[63:64], v[73:74], v[65:66]
	;; [unrolled: 1-line block ×3, first 2 shown]
	v_add_f64 v[73:74], v[63:64], -v[73:74]
	v_add_f64 v[71:72], v[63:64], v[69:70]
	v_add_f64 v[67:68], v[69:70], -v[67:68]
	v_add_f64 v[65:66], v[65:66], -v[73:74]
	v_add_f64 v[77:78], v[71:72], -v[63:64]
	v_add_f64 v[21:22], v[21:22], -v[67:68]
	v_add_f64 v[79:80], v[71:72], -v[77:78]
	v_add_f64 v[67:68], v[69:70], -v[77:78]
	v_add_f64 v[69:70], v[65:66], v[21:22]
	v_add_f64 v[63:64], v[63:64], -v[79:80]
	v_add_f64 v[63:64], v[67:68], v[63:64]
	v_add_f64 v[67:68], v[69:70], -v[65:66]
	;; [unrolled: 2-line block ×3, first 2 shown]
	v_add_f64 v[21:22], v[21:22], -v[67:68]
	v_add_f64 v[73:74], v[71:72], v[63:64]
	v_add_f64 v[65:66], v[65:66], -v[69:70]
	v_add_f64 v[67:68], v[73:74], -v[71:72]
	v_add_f64 v[21:22], v[21:22], v[65:66]
	v_add_f64 v[63:64], v[63:64], -v[67:68]
	v_add_f64 v[21:22], v[21:22], v[63:64]
	v_add_f64 v[21:22], v[73:74], v[21:22]
	v_cndmask_b32_e32 v21, 0, v21, vcc_lo
	v_cmp_neq_f64_e32 vcc_lo, -1.0, v[17:18]
	v_cndmask_b32_e64 v22, 0x7ff00000, v22, s3
	v_cndmask_b32_e64 v22, 0x7ff80000, v22, s4
	v_cndmask_b32_e32 v22, 0xfff00000, v22, vcc_lo
	v_add_f64 v[17:18], v[19:20], v[21:22]
.LBB74_181:
	s_or_b32 exec_lo, exec_lo, s8
	v_max_f64 v[19:20], v[17:18], v[17:18]
	v_cmp_u_f64_e32 vcc_lo, v[17:18], v[17:18]
	v_min_f64 v[21:22], v[19:20], v[23:24]
	v_max_f64 v[19:20], v[19:20], v[23:24]
	v_cndmask_b32_e32 v21, v21, v17, vcc_lo
	v_cndmask_b32_e32 v22, v22, v18, vcc_lo
	;; [unrolled: 1-line block ×4, first 2 shown]
	v_cndmask_b32_e64 v23, v21, v51, s9
	v_cndmask_b32_e64 v24, v22, v52, s9
	;; [unrolled: 1-line block ×4, first 2 shown]
	v_mov_b32_e32 v20, v18
	v_mov_b32_e32 v19, v17
	v_cmp_class_f64_e64 s3, v[23:24], 0x1f8
	v_cmp_neq_f64_e32 vcc_lo, v[23:24], v[21:22]
	s_or_b32 s3, vcc_lo, s3
	s_and_saveexec_b32 s16, s3
	s_cbranch_execz .LBB74_183
; %bb.182:
	v_add_f64 v[19:20], v[23:24], -v[21:22]
	s_mov_b32 s4, 0x652b82fe
	s_mov_b32 s5, 0x3ff71547
	;; [unrolled: 1-line block ×10, first 2 shown]
	v_mul_f64 v[23:24], v[19:20], s[4:5]
	s_mov_b32 s5, 0xbfe62e42
	s_mov_b32 s4, 0xfefa39ef
	v_cmp_nlt_f64_e32 vcc_lo, 0x40900000, v[19:20]
	v_cmp_ngt_f64_e64 s3, 0xc090cc00, v[19:20]
	v_rndne_f64_e32 v[23:24], v[23:24]
	v_fma_f64 v[63:64], v[23:24], s[4:5], v[19:20]
	v_cvt_i32_f64_e32 v67, v[23:24]
	s_mov_b32 s5, 0x3fe62e42
	v_fma_f64 v[63:64], v[23:24], s[6:7], v[63:64]
	s_mov_b32 s7, 0x3c7abc9e
	v_fma_f64 v[65:66], v[63:64], s[18:19], s[8:9]
	s_mov_b32 s8, 0x623fde64
	s_mov_b32 s9, 0x3ec71dee
	;; [unrolled: 1-line block ×4, first 2 shown]
	v_fma_f64 v[65:66], v[63:64], v[65:66], s[8:9]
	s_mov_b32 s8, 0x7c89e6b0
	s_mov_b32 s9, 0x3efa0199
	v_fma_f64 v[65:66], v[63:64], v[65:66], s[8:9]
	s_mov_b32 s8, 0x14761f6e
	s_mov_b32 s9, 0x3f2a01a0
	;; [unrolled: 3-line block ×8, first 2 shown]
	v_fma_f64 v[65:66], v[63:64], v[65:66], 1.0
	v_fma_f64 v[23:24], v[63:64], v[65:66], 1.0
	v_ldexp_f64 v[23:24], v[23:24], v67
	v_cndmask_b32_e32 v24, 0x7ff00000, v24, vcc_lo
	s_and_b32 vcc_lo, s3, vcc_lo
	v_cndmask_b32_e32 v19, 0, v23, vcc_lo
	v_cndmask_b32_e64 v20, 0, v24, s3
	v_add_f64 v[23:24], v[19:20], 1.0
	v_cmp_neq_f64_e64 s3, 0x7ff00000, v[19:20]
	v_frexp_mant_f64_e32 v[63:64], v[23:24]
	v_frexp_exp_i32_f64_e32 v67, v[23:24]
	v_add_f64 v[65:66], v[23:24], -1.0
	v_cmp_gt_f64_e32 vcc_lo, s[8:9], v[63:64]
	s_mov_b32 s8, 0x55555780
	v_add_f64 v[63:64], v[65:66], -v[23:24]
	v_add_f64 v[65:66], v[19:20], -v[65:66]
	v_subrev_co_ci_u32_e64 v85, null, 0, v67, vcc_lo
	v_add_f64 v[63:64], v[63:64], 1.0
	v_cmp_nge_f64_e32 vcc_lo, -1.0, v[19:20]
	v_sub_nc_u32_e32 v69, 0, v85
	v_ldexp_f64 v[23:24], v[23:24], v69
	v_add_f64 v[63:64], v[65:66], v[63:64]
	s_and_b32 vcc_lo, vcc_lo, s3
	v_add_f64 v[67:68], v[23:24], 1.0
	v_add_f64 v[73:74], v[23:24], -1.0
	v_ldexp_f64 v[63:64], v[63:64], v69
	v_add_f64 v[65:66], v[67:68], -1.0
	v_add_f64 v[77:78], v[73:74], 1.0
	v_add_f64 v[65:66], v[23:24], -v[65:66]
	v_add_f64 v[23:24], v[23:24], -v[77:78]
	v_add_f64 v[65:66], v[63:64], v[65:66]
	v_add_f64 v[23:24], v[63:64], v[23:24]
	;; [unrolled: 1-line block ×4, first 2 shown]
	v_rcp_f64_e32 v[71:72], v[69:70]
	v_add_f64 v[67:68], v[69:70], -v[67:68]
	v_add_f64 v[73:74], v[77:78], -v[73:74]
	v_add_f64 v[65:66], v[65:66], -v[67:68]
	v_fma_f64 v[79:80], -v[69:70], v[71:72], 1.0
	v_add_f64 v[23:24], v[23:24], -v[73:74]
	v_fma_f64 v[71:72], v[79:80], v[71:72], v[71:72]
	v_fma_f64 v[63:64], -v[69:70], v[71:72], 1.0
	v_fma_f64 v[63:64], v[63:64], v[71:72], v[71:72]
	v_mul_f64 v[71:72], v[77:78], v[63:64]
	v_mul_f64 v[79:80], v[69:70], v[71:72]
	v_fma_f64 v[67:68], v[71:72], v[69:70], -v[79:80]
	v_fma_f64 v[67:68], v[71:72], v[65:66], v[67:68]
	v_add_f64 v[81:82], v[79:80], v[67:68]
	v_add_f64 v[83:84], v[77:78], -v[81:82]
	v_add_f64 v[73:74], v[81:82], -v[79:80]
	;; [unrolled: 1-line block ×5, first 2 shown]
	v_add_f64 v[23:24], v[23:24], v[77:78]
	v_add_f64 v[23:24], v[67:68], v[23:24]
	;; [unrolled: 1-line block ×3, first 2 shown]
	v_mul_f64 v[73:74], v[63:64], v[67:68]
	v_add_f64 v[81:82], v[83:84], -v[67:68]
	v_mul_f64 v[77:78], v[69:70], v[73:74]
	v_add_f64 v[23:24], v[23:24], v[81:82]
	v_fma_f64 v[69:70], v[73:74], v[69:70], -v[77:78]
	v_fma_f64 v[65:66], v[73:74], v[65:66], v[69:70]
	v_add_f64 v[69:70], v[77:78], v[65:66]
	v_add_f64 v[79:80], v[67:68], -v[69:70]
	v_add_f64 v[77:78], v[69:70], -v[77:78]
	;; [unrolled: 1-line block ×5, first 2 shown]
	v_add_f64 v[23:24], v[23:24], v[67:68]
	v_add_f64 v[67:68], v[71:72], v[73:74]
	;; [unrolled: 1-line block ×3, first 2 shown]
	v_add_f64 v[65:66], v[67:68], -v[71:72]
	v_add_f64 v[23:24], v[79:80], v[23:24]
	v_add_f64 v[65:66], v[73:74], -v[65:66]
	v_mul_f64 v[23:24], v[63:64], v[23:24]
	v_add_f64 v[23:24], v[65:66], v[23:24]
	v_add_f64 v[63:64], v[67:68], v[23:24]
	v_mul_f64 v[65:66], v[63:64], v[63:64]
	v_fma_f64 v[69:70], v[65:66], s[36:37], s[18:19]
	s_mov_b32 s18, 0xd7f4df2e
	s_mov_b32 s19, 0x3fc7474d
	v_mul_f64 v[71:72], v[63:64], v[65:66]
	v_fma_f64 v[69:70], v[65:66], v[69:70], s[18:19]
	s_mov_b32 s18, 0x16291751
	s_mov_b32 s19, 0x3fcc71c0
	v_fma_f64 v[69:70], v[65:66], v[69:70], s[18:19]
	s_mov_b32 s18, 0x9b27acf1
	s_mov_b32 s19, 0x3fd24924
	;; [unrolled: 3-line block ×3, first 2 shown]
	v_fma_f64 v[69:70], v[65:66], v[69:70], s[18:19]
	v_fma_f64 v[65:66], v[65:66], v[69:70], s[8:9]
	v_ldexp_f64 v[69:70], v[63:64], 1
	v_add_f64 v[63:64], v[63:64], -v[67:68]
	v_mul_f64 v[65:66], v[71:72], v[65:66]
	v_cvt_f64_i32_e32 v[71:72], v85
	v_add_f64 v[23:24], v[23:24], -v[63:64]
	v_add_f64 v[67:68], v[69:70], v[65:66]
	v_mul_f64 v[73:74], v[71:72], s[4:5]
	v_ldexp_f64 v[23:24], v[23:24], 1
	v_add_f64 v[63:64], v[67:68], -v[69:70]
	v_fma_f64 v[69:70], v[71:72], s[4:5], -v[73:74]
	v_cmp_ngt_f64_e64 s4, -1.0, v[19:20]
	v_add_f64 v[63:64], v[65:66], -v[63:64]
	v_fma_f64 v[65:66], v[71:72], s[6:7], v[69:70]
	v_add_f64 v[23:24], v[23:24], v[63:64]
	v_add_f64 v[63:64], v[73:74], v[65:66]
	;; [unrolled: 1-line block ×3, first 2 shown]
	v_add_f64 v[73:74], v[63:64], -v[73:74]
	v_add_f64 v[71:72], v[63:64], v[69:70]
	v_add_f64 v[67:68], v[69:70], -v[67:68]
	v_add_f64 v[65:66], v[65:66], -v[73:74]
	;; [unrolled: 1-line block ×6, first 2 shown]
	v_add_f64 v[69:70], v[65:66], v[23:24]
	v_add_f64 v[63:64], v[63:64], -v[79:80]
	v_add_f64 v[63:64], v[67:68], v[63:64]
	v_add_f64 v[67:68], v[69:70], -v[65:66]
	;; [unrolled: 2-line block ×3, first 2 shown]
	v_add_f64 v[23:24], v[23:24], -v[67:68]
	v_add_f64 v[73:74], v[71:72], v[63:64]
	v_add_f64 v[65:66], v[65:66], -v[69:70]
	v_add_f64 v[67:68], v[73:74], -v[71:72]
	v_add_f64 v[23:24], v[23:24], v[65:66]
	v_add_f64 v[63:64], v[63:64], -v[67:68]
	v_add_f64 v[23:24], v[23:24], v[63:64]
	v_add_f64 v[23:24], v[73:74], v[23:24]
	v_cndmask_b32_e32 v23, 0, v23, vcc_lo
	v_cmp_neq_f64_e32 vcc_lo, -1.0, v[19:20]
	v_cndmask_b32_e64 v24, 0x7ff00000, v24, s3
	v_cndmask_b32_e64 v24, 0x7ff80000, v24, s4
	v_cndmask_b32_e32 v24, 0xfff00000, v24, vcc_lo
	v_add_f64 v[19:20], v[21:22], v[23:24]
.LBB74_183:
	s_or_b32 exec_lo, exec_lo, s16
	v_max_f64 v[21:22], v[19:20], v[19:20]
	v_cmp_u_f64_e32 vcc_lo, v[19:20], v[19:20]
	v_min_f64 v[23:24], v[21:22], v[25:26]
	v_max_f64 v[21:22], v[21:22], v[25:26]
	v_cndmask_b32_e32 v23, v23, v19, vcc_lo
	v_cndmask_b32_e32 v24, v24, v20, vcc_lo
	;; [unrolled: 1-line block ×4, first 2 shown]
	v_cndmask_b32_e64 v25, v23, v45, s10
	v_cndmask_b32_e64 v26, v24, v46, s10
	;; [unrolled: 1-line block ×4, first 2 shown]
	v_mov_b32_e32 v22, v20
	v_mov_b32_e32 v21, v19
	v_cmp_class_f64_e64 s3, v[25:26], 0x1f8
	v_cmp_neq_f64_e32 vcc_lo, v[25:26], v[23:24]
	s_or_b32 s3, vcc_lo, s3
	s_and_saveexec_b32 s10, s3
	s_cbranch_execz .LBB74_185
; %bb.184:
	v_add_f64 v[21:22], v[25:26], -v[23:24]
	s_mov_b32 s4, 0x652b82fe
	s_mov_b32 s5, 0x3ff71547
	;; [unrolled: 1-line block ×10, first 2 shown]
	v_mul_f64 v[25:26], v[21:22], s[4:5]
	s_mov_b32 s5, 0xbfe62e42
	s_mov_b32 s4, 0xfefa39ef
	v_cmp_nlt_f64_e32 vcc_lo, 0x40900000, v[21:22]
	v_cmp_ngt_f64_e64 s3, 0xc090cc00, v[21:22]
	v_rndne_f64_e32 v[25:26], v[25:26]
	v_fma_f64 v[63:64], v[25:26], s[4:5], v[21:22]
	v_cvt_i32_f64_e32 v67, v[25:26]
	s_mov_b32 s5, 0x3fe62e42
	v_fma_f64 v[63:64], v[25:26], s[6:7], v[63:64]
	s_mov_b32 s7, 0x3c7abc9e
	v_fma_f64 v[65:66], v[63:64], s[16:17], s[8:9]
	s_mov_b32 s8, 0x623fde64
	s_mov_b32 s9, 0x3ec71dee
	;; [unrolled: 1-line block ×4, first 2 shown]
	v_fma_f64 v[65:66], v[63:64], v[65:66], s[8:9]
	s_mov_b32 s8, 0x7c89e6b0
	s_mov_b32 s9, 0x3efa0199
	v_fma_f64 v[65:66], v[63:64], v[65:66], s[8:9]
	s_mov_b32 s8, 0x14761f6e
	s_mov_b32 s9, 0x3f2a01a0
	;; [unrolled: 3-line block ×8, first 2 shown]
	v_fma_f64 v[65:66], v[63:64], v[65:66], 1.0
	v_fma_f64 v[25:26], v[63:64], v[65:66], 1.0
	v_ldexp_f64 v[25:26], v[25:26], v67
	v_cndmask_b32_e32 v26, 0x7ff00000, v26, vcc_lo
	s_and_b32 vcc_lo, s3, vcc_lo
	v_cndmask_b32_e32 v21, 0, v25, vcc_lo
	v_cndmask_b32_e64 v22, 0, v26, s3
	v_add_f64 v[25:26], v[21:22], 1.0
	v_cmp_neq_f64_e64 s3, 0x7ff00000, v[21:22]
	v_frexp_mant_f64_e32 v[63:64], v[25:26]
	v_frexp_exp_i32_f64_e32 v67, v[25:26]
	v_add_f64 v[65:66], v[25:26], -1.0
	v_cmp_gt_f64_e32 vcc_lo, s[8:9], v[63:64]
	s_mov_b32 s8, 0x55555780
	v_add_f64 v[63:64], v[65:66], -v[25:26]
	v_add_f64 v[65:66], v[21:22], -v[65:66]
	v_subrev_co_ci_u32_e64 v85, null, 0, v67, vcc_lo
	v_add_f64 v[63:64], v[63:64], 1.0
	v_cmp_nge_f64_e32 vcc_lo, -1.0, v[21:22]
	v_sub_nc_u32_e32 v69, 0, v85
	v_ldexp_f64 v[25:26], v[25:26], v69
	v_add_f64 v[63:64], v[65:66], v[63:64]
	s_and_b32 vcc_lo, vcc_lo, s3
	v_add_f64 v[67:68], v[25:26], 1.0
	v_add_f64 v[73:74], v[25:26], -1.0
	v_ldexp_f64 v[63:64], v[63:64], v69
	v_add_f64 v[65:66], v[67:68], -1.0
	v_add_f64 v[77:78], v[73:74], 1.0
	v_add_f64 v[65:66], v[25:26], -v[65:66]
	v_add_f64 v[25:26], v[25:26], -v[77:78]
	v_add_f64 v[65:66], v[63:64], v[65:66]
	v_add_f64 v[25:26], v[63:64], v[25:26]
	;; [unrolled: 1-line block ×4, first 2 shown]
	v_rcp_f64_e32 v[71:72], v[69:70]
	v_add_f64 v[67:68], v[69:70], -v[67:68]
	v_add_f64 v[73:74], v[77:78], -v[73:74]
	;; [unrolled: 1-line block ×3, first 2 shown]
	v_fma_f64 v[79:80], -v[69:70], v[71:72], 1.0
	v_add_f64 v[25:26], v[25:26], -v[73:74]
	v_fma_f64 v[71:72], v[79:80], v[71:72], v[71:72]
	v_fma_f64 v[63:64], -v[69:70], v[71:72], 1.0
	v_fma_f64 v[63:64], v[63:64], v[71:72], v[71:72]
	v_mul_f64 v[71:72], v[77:78], v[63:64]
	v_mul_f64 v[79:80], v[69:70], v[71:72]
	v_fma_f64 v[67:68], v[71:72], v[69:70], -v[79:80]
	v_fma_f64 v[67:68], v[71:72], v[65:66], v[67:68]
	v_add_f64 v[81:82], v[79:80], v[67:68]
	v_add_f64 v[83:84], v[77:78], -v[81:82]
	v_add_f64 v[73:74], v[81:82], -v[79:80]
	;; [unrolled: 1-line block ×5, first 2 shown]
	v_add_f64 v[25:26], v[25:26], v[77:78]
	v_add_f64 v[25:26], v[67:68], v[25:26]
	v_add_f64 v[67:68], v[83:84], v[25:26]
	v_mul_f64 v[73:74], v[63:64], v[67:68]
	v_add_f64 v[81:82], v[83:84], -v[67:68]
	v_mul_f64 v[77:78], v[69:70], v[73:74]
	v_add_f64 v[25:26], v[25:26], v[81:82]
	v_fma_f64 v[69:70], v[73:74], v[69:70], -v[77:78]
	v_fma_f64 v[65:66], v[73:74], v[65:66], v[69:70]
	v_add_f64 v[69:70], v[77:78], v[65:66]
	v_add_f64 v[79:80], v[67:68], -v[69:70]
	v_add_f64 v[77:78], v[69:70], -v[77:78]
	v_add_f64 v[67:68], v[67:68], -v[79:80]
	v_add_f64 v[65:66], v[77:78], -v[65:66]
	v_add_f64 v[67:68], v[67:68], -v[69:70]
	v_add_f64 v[25:26], v[25:26], v[67:68]
	v_add_f64 v[67:68], v[71:72], v[73:74]
	;; [unrolled: 1-line block ×3, first 2 shown]
	v_add_f64 v[65:66], v[67:68], -v[71:72]
	v_add_f64 v[25:26], v[79:80], v[25:26]
	v_add_f64 v[65:66], v[73:74], -v[65:66]
	v_mul_f64 v[25:26], v[63:64], v[25:26]
	v_add_f64 v[25:26], v[65:66], v[25:26]
	v_add_f64 v[63:64], v[67:68], v[25:26]
	v_mul_f64 v[65:66], v[63:64], v[63:64]
	v_fma_f64 v[69:70], v[65:66], s[18:19], s[16:17]
	s_mov_b32 s16, 0xd7f4df2e
	s_mov_b32 s17, 0x3fc7474d
	v_mul_f64 v[71:72], v[63:64], v[65:66]
	v_fma_f64 v[69:70], v[65:66], v[69:70], s[16:17]
	s_mov_b32 s16, 0x16291751
	s_mov_b32 s17, 0x3fcc71c0
	v_fma_f64 v[69:70], v[65:66], v[69:70], s[16:17]
	s_mov_b32 s16, 0x9b27acf1
	s_mov_b32 s17, 0x3fd24924
	;; [unrolled: 3-line block ×3, first 2 shown]
	v_fma_f64 v[69:70], v[65:66], v[69:70], s[16:17]
	v_fma_f64 v[65:66], v[65:66], v[69:70], s[8:9]
	v_ldexp_f64 v[69:70], v[63:64], 1
	v_add_f64 v[63:64], v[63:64], -v[67:68]
	v_mul_f64 v[65:66], v[71:72], v[65:66]
	v_cvt_f64_i32_e32 v[71:72], v85
	v_add_f64 v[25:26], v[25:26], -v[63:64]
	v_add_f64 v[67:68], v[69:70], v[65:66]
	v_mul_f64 v[73:74], v[71:72], s[4:5]
	v_ldexp_f64 v[25:26], v[25:26], 1
	v_add_f64 v[63:64], v[67:68], -v[69:70]
	v_fma_f64 v[69:70], v[71:72], s[4:5], -v[73:74]
	v_cmp_ngt_f64_e64 s4, -1.0, v[21:22]
	v_add_f64 v[63:64], v[65:66], -v[63:64]
	v_fma_f64 v[65:66], v[71:72], s[6:7], v[69:70]
	v_add_f64 v[25:26], v[25:26], v[63:64]
	v_add_f64 v[63:64], v[73:74], v[65:66]
	;; [unrolled: 1-line block ×3, first 2 shown]
	v_add_f64 v[73:74], v[63:64], -v[73:74]
	v_add_f64 v[71:72], v[63:64], v[69:70]
	v_add_f64 v[67:68], v[69:70], -v[67:68]
	v_add_f64 v[65:66], v[65:66], -v[73:74]
	;; [unrolled: 1-line block ×6, first 2 shown]
	v_add_f64 v[69:70], v[65:66], v[25:26]
	v_add_f64 v[63:64], v[63:64], -v[79:80]
	v_add_f64 v[63:64], v[67:68], v[63:64]
	v_add_f64 v[67:68], v[69:70], -v[65:66]
	;; [unrolled: 2-line block ×3, first 2 shown]
	v_add_f64 v[25:26], v[25:26], -v[67:68]
	v_add_f64 v[73:74], v[71:72], v[63:64]
	v_add_f64 v[65:66], v[65:66], -v[69:70]
	v_add_f64 v[67:68], v[73:74], -v[71:72]
	v_add_f64 v[25:26], v[25:26], v[65:66]
	v_add_f64 v[63:64], v[63:64], -v[67:68]
	v_add_f64 v[25:26], v[25:26], v[63:64]
	v_add_f64 v[25:26], v[73:74], v[25:26]
	v_cndmask_b32_e32 v25, 0, v25, vcc_lo
	v_cmp_neq_f64_e32 vcc_lo, -1.0, v[21:22]
	v_cndmask_b32_e64 v26, 0x7ff00000, v26, s3
	v_cndmask_b32_e64 v26, 0x7ff80000, v26, s4
	v_cndmask_b32_e32 v26, 0xfff00000, v26, vcc_lo
	v_add_f64 v[21:22], v[23:24], v[25:26]
.LBB74_185:
	s_or_b32 exec_lo, exec_lo, s10
	v_max_f64 v[23:24], v[21:22], v[21:22]
	v_cmp_u_f64_e32 vcc_lo, v[21:22], v[21:22]
	v_min_f64 v[25:26], v[23:24], v[27:28]
	v_max_f64 v[23:24], v[23:24], v[27:28]
	v_cndmask_b32_e32 v25, v25, v21, vcc_lo
	v_cndmask_b32_e32 v26, v26, v22, vcc_lo
	v_cndmask_b32_e32 v24, v24, v22, vcc_lo
	v_cndmask_b32_e32 v23, v23, v21, vcc_lo
	v_cndmask_b32_e64 v27, v25, v47, s11
	v_cndmask_b32_e64 v28, v26, v48, s11
	;; [unrolled: 1-line block ×4, first 2 shown]
	v_mov_b32_e32 v24, v22
	v_mov_b32_e32 v23, v21
	v_cmp_class_f64_e64 s3, v[27:28], 0x1f8
	v_cmp_neq_f64_e32 vcc_lo, v[27:28], v[25:26]
	s_or_b32 s3, vcc_lo, s3
	s_and_saveexec_b32 s10, s3
	s_cbranch_execz .LBB74_187
; %bb.186:
	v_add_f64 v[23:24], v[27:28], -v[25:26]
	s_mov_b32 s4, 0x652b82fe
	s_mov_b32 s5, 0x3ff71547
	;; [unrolled: 1-line block ×10, first 2 shown]
	v_mul_f64 v[27:28], v[23:24], s[4:5]
	s_mov_b32 s5, 0xbfe62e42
	s_mov_b32 s4, 0xfefa39ef
	v_cmp_nlt_f64_e32 vcc_lo, 0x40900000, v[23:24]
	v_cmp_ngt_f64_e64 s3, 0xc090cc00, v[23:24]
	v_rndne_f64_e32 v[27:28], v[27:28]
	v_fma_f64 v[63:64], v[27:28], s[4:5], v[23:24]
	v_cvt_i32_f64_e32 v67, v[27:28]
	s_mov_b32 s5, 0x3fe62e42
	v_fma_f64 v[63:64], v[27:28], s[6:7], v[63:64]
	s_mov_b32 s7, 0x3c7abc9e
	v_fma_f64 v[65:66], v[63:64], s[16:17], s[8:9]
	s_mov_b32 s8, 0x623fde64
	s_mov_b32 s9, 0x3ec71dee
	;; [unrolled: 1-line block ×4, first 2 shown]
	v_fma_f64 v[65:66], v[63:64], v[65:66], s[8:9]
	s_mov_b32 s8, 0x7c89e6b0
	s_mov_b32 s9, 0x3efa0199
	v_fma_f64 v[65:66], v[63:64], v[65:66], s[8:9]
	s_mov_b32 s8, 0x14761f6e
	s_mov_b32 s9, 0x3f2a01a0
	;; [unrolled: 3-line block ×8, first 2 shown]
	v_fma_f64 v[65:66], v[63:64], v[65:66], 1.0
	v_fma_f64 v[27:28], v[63:64], v[65:66], 1.0
	v_ldexp_f64 v[27:28], v[27:28], v67
	v_cndmask_b32_e32 v28, 0x7ff00000, v28, vcc_lo
	s_and_b32 vcc_lo, s3, vcc_lo
	v_cndmask_b32_e32 v23, 0, v27, vcc_lo
	v_cndmask_b32_e64 v24, 0, v28, s3
	v_add_f64 v[27:28], v[23:24], 1.0
	v_cmp_neq_f64_e64 s3, 0x7ff00000, v[23:24]
	v_frexp_mant_f64_e32 v[63:64], v[27:28]
	v_frexp_exp_i32_f64_e32 v67, v[27:28]
	v_add_f64 v[65:66], v[27:28], -1.0
	v_cmp_gt_f64_e32 vcc_lo, s[8:9], v[63:64]
	s_mov_b32 s8, 0x55555780
	v_add_f64 v[63:64], v[65:66], -v[27:28]
	v_add_f64 v[65:66], v[23:24], -v[65:66]
	v_subrev_co_ci_u32_e64 v85, null, 0, v67, vcc_lo
	v_add_f64 v[63:64], v[63:64], 1.0
	v_cmp_nge_f64_e32 vcc_lo, -1.0, v[23:24]
	v_sub_nc_u32_e32 v69, 0, v85
	v_ldexp_f64 v[27:28], v[27:28], v69
	v_add_f64 v[63:64], v[65:66], v[63:64]
	s_and_b32 vcc_lo, vcc_lo, s3
	v_add_f64 v[67:68], v[27:28], 1.0
	v_add_f64 v[73:74], v[27:28], -1.0
	v_ldexp_f64 v[63:64], v[63:64], v69
	v_add_f64 v[65:66], v[67:68], -1.0
	v_add_f64 v[77:78], v[73:74], 1.0
	v_add_f64 v[65:66], v[27:28], -v[65:66]
	v_add_f64 v[27:28], v[27:28], -v[77:78]
	v_add_f64 v[65:66], v[63:64], v[65:66]
	v_add_f64 v[27:28], v[63:64], v[27:28]
	;; [unrolled: 1-line block ×4, first 2 shown]
	v_rcp_f64_e32 v[71:72], v[69:70]
	v_add_f64 v[67:68], v[69:70], -v[67:68]
	v_add_f64 v[73:74], v[77:78], -v[73:74]
	;; [unrolled: 1-line block ×3, first 2 shown]
	v_fma_f64 v[79:80], -v[69:70], v[71:72], 1.0
	v_add_f64 v[27:28], v[27:28], -v[73:74]
	v_fma_f64 v[71:72], v[79:80], v[71:72], v[71:72]
	v_fma_f64 v[63:64], -v[69:70], v[71:72], 1.0
	v_fma_f64 v[63:64], v[63:64], v[71:72], v[71:72]
	v_mul_f64 v[71:72], v[77:78], v[63:64]
	v_mul_f64 v[79:80], v[69:70], v[71:72]
	v_fma_f64 v[67:68], v[71:72], v[69:70], -v[79:80]
	v_fma_f64 v[67:68], v[71:72], v[65:66], v[67:68]
	v_add_f64 v[81:82], v[79:80], v[67:68]
	v_add_f64 v[83:84], v[77:78], -v[81:82]
	v_add_f64 v[73:74], v[81:82], -v[79:80]
	;; [unrolled: 1-line block ×5, first 2 shown]
	v_add_f64 v[27:28], v[27:28], v[77:78]
	v_add_f64 v[27:28], v[67:68], v[27:28]
	v_add_f64 v[67:68], v[83:84], v[27:28]
	v_mul_f64 v[73:74], v[63:64], v[67:68]
	v_add_f64 v[81:82], v[83:84], -v[67:68]
	v_mul_f64 v[77:78], v[69:70], v[73:74]
	v_add_f64 v[27:28], v[27:28], v[81:82]
	v_fma_f64 v[69:70], v[73:74], v[69:70], -v[77:78]
	v_fma_f64 v[65:66], v[73:74], v[65:66], v[69:70]
	v_add_f64 v[69:70], v[77:78], v[65:66]
	v_add_f64 v[79:80], v[67:68], -v[69:70]
	v_add_f64 v[77:78], v[69:70], -v[77:78]
	;; [unrolled: 1-line block ×5, first 2 shown]
	v_add_f64 v[27:28], v[27:28], v[67:68]
	v_add_f64 v[67:68], v[71:72], v[73:74]
	;; [unrolled: 1-line block ×3, first 2 shown]
	v_add_f64 v[65:66], v[67:68], -v[71:72]
	v_add_f64 v[27:28], v[79:80], v[27:28]
	v_add_f64 v[65:66], v[73:74], -v[65:66]
	v_mul_f64 v[27:28], v[63:64], v[27:28]
	v_add_f64 v[27:28], v[65:66], v[27:28]
	v_add_f64 v[63:64], v[67:68], v[27:28]
	v_mul_f64 v[65:66], v[63:64], v[63:64]
	v_fma_f64 v[69:70], v[65:66], s[18:19], s[16:17]
	s_mov_b32 s16, 0xd7f4df2e
	s_mov_b32 s17, 0x3fc7474d
	v_mul_f64 v[71:72], v[63:64], v[65:66]
	v_fma_f64 v[69:70], v[65:66], v[69:70], s[16:17]
	s_mov_b32 s16, 0x16291751
	s_mov_b32 s17, 0x3fcc71c0
	v_fma_f64 v[69:70], v[65:66], v[69:70], s[16:17]
	s_mov_b32 s16, 0x9b27acf1
	s_mov_b32 s17, 0x3fd24924
	;; [unrolled: 3-line block ×3, first 2 shown]
	v_fma_f64 v[69:70], v[65:66], v[69:70], s[16:17]
	v_fma_f64 v[65:66], v[65:66], v[69:70], s[8:9]
	v_ldexp_f64 v[69:70], v[63:64], 1
	v_add_f64 v[63:64], v[63:64], -v[67:68]
	v_mul_f64 v[65:66], v[71:72], v[65:66]
	v_cvt_f64_i32_e32 v[71:72], v85
	v_add_f64 v[27:28], v[27:28], -v[63:64]
	v_add_f64 v[67:68], v[69:70], v[65:66]
	v_mul_f64 v[73:74], v[71:72], s[4:5]
	v_ldexp_f64 v[27:28], v[27:28], 1
	v_add_f64 v[63:64], v[67:68], -v[69:70]
	v_fma_f64 v[69:70], v[71:72], s[4:5], -v[73:74]
	v_cmp_ngt_f64_e64 s4, -1.0, v[23:24]
	v_add_f64 v[63:64], v[65:66], -v[63:64]
	v_fma_f64 v[65:66], v[71:72], s[6:7], v[69:70]
	v_add_f64 v[27:28], v[27:28], v[63:64]
	v_add_f64 v[63:64], v[73:74], v[65:66]
	v_add_f64 v[69:70], v[67:68], v[27:28]
	v_add_f64 v[73:74], v[63:64], -v[73:74]
	v_add_f64 v[71:72], v[63:64], v[69:70]
	v_add_f64 v[67:68], v[69:70], -v[67:68]
	v_add_f64 v[65:66], v[65:66], -v[73:74]
	;; [unrolled: 1-line block ×6, first 2 shown]
	v_add_f64 v[69:70], v[65:66], v[27:28]
	v_add_f64 v[63:64], v[63:64], -v[79:80]
	v_add_f64 v[63:64], v[67:68], v[63:64]
	v_add_f64 v[67:68], v[69:70], -v[65:66]
	;; [unrolled: 2-line block ×3, first 2 shown]
	v_add_f64 v[27:28], v[27:28], -v[67:68]
	v_add_f64 v[73:74], v[71:72], v[63:64]
	v_add_f64 v[65:66], v[65:66], -v[69:70]
	v_add_f64 v[67:68], v[73:74], -v[71:72]
	v_add_f64 v[27:28], v[27:28], v[65:66]
	v_add_f64 v[63:64], v[63:64], -v[67:68]
	v_add_f64 v[27:28], v[27:28], v[63:64]
	v_add_f64 v[27:28], v[73:74], v[27:28]
	v_cndmask_b32_e32 v27, 0, v27, vcc_lo
	v_cmp_neq_f64_e32 vcc_lo, -1.0, v[23:24]
	v_cndmask_b32_e64 v28, 0x7ff00000, v28, s3
	v_cndmask_b32_e64 v28, 0x7ff80000, v28, s4
	v_cndmask_b32_e32 v28, 0xfff00000, v28, vcc_lo
	v_add_f64 v[23:24], v[25:26], v[27:28]
.LBB74_187:
	s_or_b32 exec_lo, exec_lo, s10
	v_max_f64 v[25:26], v[23:24], v[23:24]
	v_cmp_u_f64_e32 vcc_lo, v[23:24], v[23:24]
	v_min_f64 v[27:28], v[25:26], v[29:30]
	v_max_f64 v[25:26], v[25:26], v[29:30]
	v_cndmask_b32_e32 v27, v27, v23, vcc_lo
	v_cndmask_b32_e32 v28, v28, v24, vcc_lo
	;; [unrolled: 1-line block ×4, first 2 shown]
	v_cndmask_b32_e64 v29, v27, v41, s12
	v_cndmask_b32_e64 v30, v28, v42, s12
	;; [unrolled: 1-line block ×4, first 2 shown]
	v_mov_b32_e32 v26, v24
	v_mov_b32_e32 v25, v23
	v_cmp_class_f64_e64 s3, v[29:30], 0x1f8
	v_cmp_neq_f64_e32 vcc_lo, v[29:30], v[27:28]
	s_or_b32 s3, vcc_lo, s3
	s_and_saveexec_b32 s10, s3
	s_cbranch_execz .LBB74_189
; %bb.188:
	v_add_f64 v[25:26], v[29:30], -v[27:28]
	s_mov_b32 s4, 0x652b82fe
	s_mov_b32 s5, 0x3ff71547
	;; [unrolled: 1-line block ×10, first 2 shown]
	v_mul_f64 v[29:30], v[25:26], s[4:5]
	s_mov_b32 s5, 0xbfe62e42
	s_mov_b32 s4, 0xfefa39ef
	v_cmp_nlt_f64_e32 vcc_lo, 0x40900000, v[25:26]
	v_cmp_ngt_f64_e64 s3, 0xc090cc00, v[25:26]
	v_rndne_f64_e32 v[29:30], v[29:30]
	v_fma_f64 v[63:64], v[29:30], s[4:5], v[25:26]
	v_cvt_i32_f64_e32 v67, v[29:30]
	s_mov_b32 s5, 0x3fe62e42
	v_fma_f64 v[63:64], v[29:30], s[6:7], v[63:64]
	s_mov_b32 s7, 0x3c7abc9e
	v_fma_f64 v[65:66], v[63:64], s[16:17], s[8:9]
	s_mov_b32 s8, 0x623fde64
	s_mov_b32 s9, 0x3ec71dee
	s_mov_b32 s16, 0x6b47b09a
	s_mov_b32 s17, 0x3fc38538
	v_fma_f64 v[65:66], v[63:64], v[65:66], s[8:9]
	s_mov_b32 s8, 0x7c89e6b0
	s_mov_b32 s9, 0x3efa0199
	v_fma_f64 v[65:66], v[63:64], v[65:66], s[8:9]
	s_mov_b32 s8, 0x14761f6e
	s_mov_b32 s9, 0x3f2a01a0
	;; [unrolled: 3-line block ×8, first 2 shown]
	v_fma_f64 v[65:66], v[63:64], v[65:66], 1.0
	v_fma_f64 v[29:30], v[63:64], v[65:66], 1.0
	v_ldexp_f64 v[29:30], v[29:30], v67
	v_cndmask_b32_e32 v30, 0x7ff00000, v30, vcc_lo
	s_and_b32 vcc_lo, s3, vcc_lo
	v_cndmask_b32_e32 v25, 0, v29, vcc_lo
	v_cndmask_b32_e64 v26, 0, v30, s3
	v_add_f64 v[29:30], v[25:26], 1.0
	v_cmp_neq_f64_e64 s3, 0x7ff00000, v[25:26]
	v_frexp_mant_f64_e32 v[63:64], v[29:30]
	v_frexp_exp_i32_f64_e32 v67, v[29:30]
	v_add_f64 v[65:66], v[29:30], -1.0
	v_cmp_gt_f64_e32 vcc_lo, s[8:9], v[63:64]
	s_mov_b32 s8, 0x55555780
	v_add_f64 v[63:64], v[65:66], -v[29:30]
	v_add_f64 v[65:66], v[25:26], -v[65:66]
	v_subrev_co_ci_u32_e64 v85, null, 0, v67, vcc_lo
	v_add_f64 v[63:64], v[63:64], 1.0
	v_cmp_nge_f64_e32 vcc_lo, -1.0, v[25:26]
	v_sub_nc_u32_e32 v69, 0, v85
	v_ldexp_f64 v[29:30], v[29:30], v69
	v_add_f64 v[63:64], v[65:66], v[63:64]
	s_and_b32 vcc_lo, vcc_lo, s3
	v_add_f64 v[67:68], v[29:30], 1.0
	v_add_f64 v[73:74], v[29:30], -1.0
	v_ldexp_f64 v[63:64], v[63:64], v69
	v_add_f64 v[65:66], v[67:68], -1.0
	v_add_f64 v[77:78], v[73:74], 1.0
	v_add_f64 v[65:66], v[29:30], -v[65:66]
	v_add_f64 v[29:30], v[29:30], -v[77:78]
	v_add_f64 v[65:66], v[63:64], v[65:66]
	v_add_f64 v[29:30], v[63:64], v[29:30]
	;; [unrolled: 1-line block ×4, first 2 shown]
	v_rcp_f64_e32 v[71:72], v[69:70]
	v_add_f64 v[67:68], v[69:70], -v[67:68]
	v_add_f64 v[73:74], v[77:78], -v[73:74]
	;; [unrolled: 1-line block ×3, first 2 shown]
	v_fma_f64 v[79:80], -v[69:70], v[71:72], 1.0
	v_add_f64 v[29:30], v[29:30], -v[73:74]
	v_fma_f64 v[71:72], v[79:80], v[71:72], v[71:72]
	v_fma_f64 v[63:64], -v[69:70], v[71:72], 1.0
	v_fma_f64 v[63:64], v[63:64], v[71:72], v[71:72]
	v_mul_f64 v[71:72], v[77:78], v[63:64]
	v_mul_f64 v[79:80], v[69:70], v[71:72]
	v_fma_f64 v[67:68], v[71:72], v[69:70], -v[79:80]
	v_fma_f64 v[67:68], v[71:72], v[65:66], v[67:68]
	v_add_f64 v[81:82], v[79:80], v[67:68]
	v_add_f64 v[83:84], v[77:78], -v[81:82]
	v_add_f64 v[73:74], v[81:82], -v[79:80]
	;; [unrolled: 1-line block ×5, first 2 shown]
	v_add_f64 v[29:30], v[29:30], v[77:78]
	v_add_f64 v[29:30], v[67:68], v[29:30]
	;; [unrolled: 1-line block ×3, first 2 shown]
	v_mul_f64 v[73:74], v[63:64], v[67:68]
	v_add_f64 v[81:82], v[83:84], -v[67:68]
	v_mul_f64 v[77:78], v[69:70], v[73:74]
	v_add_f64 v[29:30], v[29:30], v[81:82]
	v_fma_f64 v[69:70], v[73:74], v[69:70], -v[77:78]
	v_fma_f64 v[65:66], v[73:74], v[65:66], v[69:70]
	v_add_f64 v[69:70], v[77:78], v[65:66]
	v_add_f64 v[79:80], v[67:68], -v[69:70]
	v_add_f64 v[77:78], v[69:70], -v[77:78]
	;; [unrolled: 1-line block ×5, first 2 shown]
	v_add_f64 v[29:30], v[29:30], v[67:68]
	v_add_f64 v[67:68], v[71:72], v[73:74]
	;; [unrolled: 1-line block ×3, first 2 shown]
	v_add_f64 v[65:66], v[67:68], -v[71:72]
	v_add_f64 v[29:30], v[79:80], v[29:30]
	v_add_f64 v[65:66], v[73:74], -v[65:66]
	v_mul_f64 v[29:30], v[63:64], v[29:30]
	v_add_f64 v[29:30], v[65:66], v[29:30]
	v_add_f64 v[63:64], v[67:68], v[29:30]
	v_mul_f64 v[65:66], v[63:64], v[63:64]
	v_fma_f64 v[69:70], v[65:66], s[18:19], s[16:17]
	s_mov_b32 s16, 0xd7f4df2e
	s_mov_b32 s17, 0x3fc7474d
	v_mul_f64 v[71:72], v[63:64], v[65:66]
	v_fma_f64 v[69:70], v[65:66], v[69:70], s[16:17]
	s_mov_b32 s16, 0x16291751
	s_mov_b32 s17, 0x3fcc71c0
	v_fma_f64 v[69:70], v[65:66], v[69:70], s[16:17]
	s_mov_b32 s16, 0x9b27acf1
	s_mov_b32 s17, 0x3fd24924
	;; [unrolled: 3-line block ×3, first 2 shown]
	v_fma_f64 v[69:70], v[65:66], v[69:70], s[16:17]
	v_fma_f64 v[65:66], v[65:66], v[69:70], s[8:9]
	v_ldexp_f64 v[69:70], v[63:64], 1
	v_add_f64 v[63:64], v[63:64], -v[67:68]
	v_mul_f64 v[65:66], v[71:72], v[65:66]
	v_cvt_f64_i32_e32 v[71:72], v85
	v_add_f64 v[29:30], v[29:30], -v[63:64]
	v_add_f64 v[67:68], v[69:70], v[65:66]
	v_mul_f64 v[73:74], v[71:72], s[4:5]
	v_ldexp_f64 v[29:30], v[29:30], 1
	v_add_f64 v[63:64], v[67:68], -v[69:70]
	v_fma_f64 v[69:70], v[71:72], s[4:5], -v[73:74]
	v_cmp_ngt_f64_e64 s4, -1.0, v[25:26]
	v_add_f64 v[63:64], v[65:66], -v[63:64]
	v_fma_f64 v[65:66], v[71:72], s[6:7], v[69:70]
	v_add_f64 v[29:30], v[29:30], v[63:64]
	v_add_f64 v[63:64], v[73:74], v[65:66]
	v_add_f64 v[69:70], v[67:68], v[29:30]
	v_add_f64 v[73:74], v[63:64], -v[73:74]
	v_add_f64 v[71:72], v[63:64], v[69:70]
	v_add_f64 v[67:68], v[69:70], -v[67:68]
	v_add_f64 v[65:66], v[65:66], -v[73:74]
	;; [unrolled: 1-line block ×6, first 2 shown]
	v_add_f64 v[69:70], v[65:66], v[29:30]
	v_add_f64 v[63:64], v[63:64], -v[79:80]
	v_add_f64 v[63:64], v[67:68], v[63:64]
	v_add_f64 v[67:68], v[69:70], -v[65:66]
	;; [unrolled: 2-line block ×3, first 2 shown]
	v_add_f64 v[29:30], v[29:30], -v[67:68]
	v_add_f64 v[73:74], v[71:72], v[63:64]
	v_add_f64 v[65:66], v[65:66], -v[69:70]
	v_add_f64 v[67:68], v[73:74], -v[71:72]
	v_add_f64 v[29:30], v[29:30], v[65:66]
	v_add_f64 v[63:64], v[63:64], -v[67:68]
	v_add_f64 v[29:30], v[29:30], v[63:64]
	v_add_f64 v[29:30], v[73:74], v[29:30]
	v_cndmask_b32_e32 v29, 0, v29, vcc_lo
	v_cmp_neq_f64_e32 vcc_lo, -1.0, v[25:26]
	v_cndmask_b32_e64 v30, 0x7ff00000, v30, s3
	v_cndmask_b32_e64 v30, 0x7ff80000, v30, s4
	v_cndmask_b32_e32 v30, 0xfff00000, v30, vcc_lo
	v_add_f64 v[25:26], v[27:28], v[29:30]
.LBB74_189:
	s_or_b32 exec_lo, exec_lo, s10
	v_max_f64 v[27:28], v[25:26], v[25:26]
	v_cmp_u_f64_e32 vcc_lo, v[25:26], v[25:26]
	v_min_f64 v[29:30], v[27:28], v[31:32]
	v_max_f64 v[27:28], v[27:28], v[31:32]
	v_cndmask_b32_e32 v29, v29, v25, vcc_lo
	v_cndmask_b32_e32 v30, v30, v26, vcc_lo
	;; [unrolled: 1-line block ×4, first 2 shown]
	v_cndmask_b32_e64 v31, v29, v43, s13
	v_cndmask_b32_e64 v32, v30, v44, s13
	;; [unrolled: 1-line block ×4, first 2 shown]
	v_mov_b32_e32 v28, v26
	v_mov_b32_e32 v27, v25
	v_cmp_class_f64_e64 s3, v[31:32], 0x1f8
	v_cmp_neq_f64_e32 vcc_lo, v[31:32], v[29:30]
	s_or_b32 s3, vcc_lo, s3
	s_and_saveexec_b32 s10, s3
	s_cbranch_execz .LBB74_191
; %bb.190:
	v_add_f64 v[27:28], v[31:32], -v[29:30]
	s_mov_b32 s4, 0x652b82fe
	s_mov_b32 s5, 0x3ff71547
	;; [unrolled: 1-line block ×10, first 2 shown]
	v_mul_f64 v[31:32], v[27:28], s[4:5]
	s_mov_b32 s5, 0xbfe62e42
	s_mov_b32 s4, 0xfefa39ef
	v_cmp_nlt_f64_e32 vcc_lo, 0x40900000, v[27:28]
	v_cmp_ngt_f64_e64 s3, 0xc090cc00, v[27:28]
	v_rndne_f64_e32 v[31:32], v[31:32]
	v_fma_f64 v[63:64], v[31:32], s[4:5], v[27:28]
	v_cvt_i32_f64_e32 v67, v[31:32]
	s_mov_b32 s5, 0x3fe62e42
	v_fma_f64 v[63:64], v[31:32], s[6:7], v[63:64]
	s_mov_b32 s7, 0x3c7abc9e
	v_fma_f64 v[65:66], v[63:64], s[12:13], s[8:9]
	s_mov_b32 s8, 0x623fde64
	s_mov_b32 s9, 0x3ec71dee
	;; [unrolled: 1-line block ×4, first 2 shown]
	v_fma_f64 v[65:66], v[63:64], v[65:66], s[8:9]
	s_mov_b32 s8, 0x7c89e6b0
	s_mov_b32 s9, 0x3efa0199
	v_fma_f64 v[65:66], v[63:64], v[65:66], s[8:9]
	s_mov_b32 s8, 0x14761f6e
	s_mov_b32 s9, 0x3f2a01a0
	;; [unrolled: 3-line block ×8, first 2 shown]
	v_fma_f64 v[65:66], v[63:64], v[65:66], 1.0
	v_fma_f64 v[31:32], v[63:64], v[65:66], 1.0
	v_ldexp_f64 v[31:32], v[31:32], v67
	v_cndmask_b32_e32 v32, 0x7ff00000, v32, vcc_lo
	s_and_b32 vcc_lo, s3, vcc_lo
	v_cndmask_b32_e32 v27, 0, v31, vcc_lo
	v_cndmask_b32_e64 v28, 0, v32, s3
	v_add_f64 v[31:32], v[27:28], 1.0
	v_cmp_neq_f64_e64 s3, 0x7ff00000, v[27:28]
	v_frexp_mant_f64_e32 v[63:64], v[31:32]
	v_frexp_exp_i32_f64_e32 v67, v[31:32]
	v_add_f64 v[65:66], v[31:32], -1.0
	v_cmp_gt_f64_e32 vcc_lo, s[8:9], v[63:64]
	s_mov_b32 s8, 0x55555780
	v_add_f64 v[63:64], v[65:66], -v[31:32]
	v_add_f64 v[65:66], v[27:28], -v[65:66]
	v_subrev_co_ci_u32_e64 v85, null, 0, v67, vcc_lo
	v_add_f64 v[63:64], v[63:64], 1.0
	v_cmp_nge_f64_e32 vcc_lo, -1.0, v[27:28]
	v_sub_nc_u32_e32 v69, 0, v85
	v_ldexp_f64 v[31:32], v[31:32], v69
	v_add_f64 v[63:64], v[65:66], v[63:64]
	s_and_b32 vcc_lo, vcc_lo, s3
	v_add_f64 v[67:68], v[31:32], 1.0
	v_add_f64 v[73:74], v[31:32], -1.0
	v_ldexp_f64 v[63:64], v[63:64], v69
	v_add_f64 v[65:66], v[67:68], -1.0
	v_add_f64 v[77:78], v[73:74], 1.0
	v_add_f64 v[65:66], v[31:32], -v[65:66]
	v_add_f64 v[31:32], v[31:32], -v[77:78]
	v_add_f64 v[65:66], v[63:64], v[65:66]
	v_add_f64 v[31:32], v[63:64], v[31:32]
	;; [unrolled: 1-line block ×4, first 2 shown]
	v_rcp_f64_e32 v[71:72], v[69:70]
	v_add_f64 v[67:68], v[69:70], -v[67:68]
	v_add_f64 v[73:74], v[77:78], -v[73:74]
	v_add_f64 v[65:66], v[65:66], -v[67:68]
	v_fma_f64 v[79:80], -v[69:70], v[71:72], 1.0
	v_add_f64 v[31:32], v[31:32], -v[73:74]
	v_fma_f64 v[71:72], v[79:80], v[71:72], v[71:72]
	v_fma_f64 v[63:64], -v[69:70], v[71:72], 1.0
	v_fma_f64 v[63:64], v[63:64], v[71:72], v[71:72]
	v_mul_f64 v[71:72], v[77:78], v[63:64]
	v_mul_f64 v[79:80], v[69:70], v[71:72]
	v_fma_f64 v[67:68], v[71:72], v[69:70], -v[79:80]
	v_fma_f64 v[67:68], v[71:72], v[65:66], v[67:68]
	v_add_f64 v[81:82], v[79:80], v[67:68]
	v_add_f64 v[83:84], v[77:78], -v[81:82]
	v_add_f64 v[73:74], v[81:82], -v[79:80]
	;; [unrolled: 1-line block ×5, first 2 shown]
	v_add_f64 v[31:32], v[31:32], v[77:78]
	v_add_f64 v[31:32], v[67:68], v[31:32]
	;; [unrolled: 1-line block ×3, first 2 shown]
	v_mul_f64 v[73:74], v[63:64], v[67:68]
	v_add_f64 v[81:82], v[83:84], -v[67:68]
	v_mul_f64 v[77:78], v[69:70], v[73:74]
	v_add_f64 v[31:32], v[31:32], v[81:82]
	v_fma_f64 v[69:70], v[73:74], v[69:70], -v[77:78]
	v_fma_f64 v[65:66], v[73:74], v[65:66], v[69:70]
	v_add_f64 v[69:70], v[77:78], v[65:66]
	v_add_f64 v[79:80], v[67:68], -v[69:70]
	v_add_f64 v[77:78], v[69:70], -v[77:78]
	;; [unrolled: 1-line block ×5, first 2 shown]
	v_add_f64 v[31:32], v[31:32], v[67:68]
	v_add_f64 v[67:68], v[71:72], v[73:74]
	;; [unrolled: 1-line block ×3, first 2 shown]
	v_add_f64 v[65:66], v[67:68], -v[71:72]
	v_add_f64 v[31:32], v[79:80], v[31:32]
	v_add_f64 v[65:66], v[73:74], -v[65:66]
	v_mul_f64 v[31:32], v[63:64], v[31:32]
	v_add_f64 v[31:32], v[65:66], v[31:32]
	v_add_f64 v[63:64], v[67:68], v[31:32]
	v_mul_f64 v[65:66], v[63:64], v[63:64]
	v_fma_f64 v[69:70], v[65:66], s[16:17], s[12:13]
	s_mov_b32 s12, 0xd7f4df2e
	s_mov_b32 s13, 0x3fc7474d
	v_mul_f64 v[71:72], v[63:64], v[65:66]
	v_fma_f64 v[69:70], v[65:66], v[69:70], s[12:13]
	s_mov_b32 s12, 0x16291751
	s_mov_b32 s13, 0x3fcc71c0
	v_fma_f64 v[69:70], v[65:66], v[69:70], s[12:13]
	s_mov_b32 s12, 0x9b27acf1
	s_mov_b32 s13, 0x3fd24924
	;; [unrolled: 3-line block ×3, first 2 shown]
	v_fma_f64 v[69:70], v[65:66], v[69:70], s[12:13]
	v_fma_f64 v[65:66], v[65:66], v[69:70], s[8:9]
	v_ldexp_f64 v[69:70], v[63:64], 1
	v_add_f64 v[63:64], v[63:64], -v[67:68]
	v_mul_f64 v[65:66], v[71:72], v[65:66]
	v_cvt_f64_i32_e32 v[71:72], v85
	v_add_f64 v[31:32], v[31:32], -v[63:64]
	v_add_f64 v[67:68], v[69:70], v[65:66]
	v_mul_f64 v[73:74], v[71:72], s[4:5]
	v_ldexp_f64 v[31:32], v[31:32], 1
	v_add_f64 v[63:64], v[67:68], -v[69:70]
	v_fma_f64 v[69:70], v[71:72], s[4:5], -v[73:74]
	v_cmp_ngt_f64_e64 s4, -1.0, v[27:28]
	v_add_f64 v[63:64], v[65:66], -v[63:64]
	v_fma_f64 v[65:66], v[71:72], s[6:7], v[69:70]
	v_add_f64 v[31:32], v[31:32], v[63:64]
	v_add_f64 v[63:64], v[73:74], v[65:66]
	;; [unrolled: 1-line block ×3, first 2 shown]
	v_add_f64 v[73:74], v[63:64], -v[73:74]
	v_add_f64 v[71:72], v[63:64], v[69:70]
	v_add_f64 v[67:68], v[69:70], -v[67:68]
	v_add_f64 v[65:66], v[65:66], -v[73:74]
	;; [unrolled: 1-line block ×6, first 2 shown]
	v_add_f64 v[69:70], v[65:66], v[31:32]
	v_add_f64 v[63:64], v[63:64], -v[79:80]
	v_add_f64 v[63:64], v[67:68], v[63:64]
	v_add_f64 v[67:68], v[69:70], -v[65:66]
	v_add_f64 v[63:64], v[69:70], v[63:64]
	v_add_f64 v[69:70], v[69:70], -v[67:68]
	v_add_f64 v[31:32], v[31:32], -v[67:68]
	v_add_f64 v[73:74], v[71:72], v[63:64]
	v_add_f64 v[65:66], v[65:66], -v[69:70]
	v_add_f64 v[67:68], v[73:74], -v[71:72]
	v_add_f64 v[31:32], v[31:32], v[65:66]
	v_add_f64 v[63:64], v[63:64], -v[67:68]
	v_add_f64 v[31:32], v[31:32], v[63:64]
	v_add_f64 v[31:32], v[73:74], v[31:32]
	v_cndmask_b32_e32 v31, 0, v31, vcc_lo
	v_cmp_neq_f64_e32 vcc_lo, -1.0, v[27:28]
	v_cndmask_b32_e64 v32, 0x7ff00000, v32, s3
	v_cndmask_b32_e64 v32, 0x7ff80000, v32, s4
	v_cndmask_b32_e32 v32, 0xfff00000, v32, vcc_lo
	v_add_f64 v[27:28], v[29:30], v[31:32]
.LBB74_191:
	s_or_b32 exec_lo, exec_lo, s10
	v_max_f64 v[29:30], v[27:28], v[27:28]
	v_cmp_u_f64_e32 vcc_lo, v[27:28], v[27:28]
	v_min_f64 v[31:32], v[29:30], v[33:34]
	v_max_f64 v[29:30], v[29:30], v[33:34]
	v_cndmask_b32_e32 v31, v31, v27, vcc_lo
	v_cndmask_b32_e32 v32, v32, v28, vcc_lo
	;; [unrolled: 1-line block ×4, first 2 shown]
	v_cndmask_b32_e64 v33, v31, v37, s14
	v_cndmask_b32_e64 v34, v32, v38, s14
	;; [unrolled: 1-line block ×4, first 2 shown]
	v_mov_b32_e32 v30, v28
	v_mov_b32_e32 v29, v27
	v_cmp_class_f64_e64 s3, v[33:34], 0x1f8
	v_cmp_neq_f64_e32 vcc_lo, v[33:34], v[31:32]
	s_or_b32 s3, vcc_lo, s3
	s_and_saveexec_b32 s10, s3
	s_cbranch_execz .LBB74_193
; %bb.192:
	v_add_f64 v[29:30], v[33:34], -v[31:32]
	s_mov_b32 s4, 0x652b82fe
	s_mov_b32 s5, 0x3ff71547
	;; [unrolled: 1-line block ×10, first 2 shown]
	v_mul_f64 v[33:34], v[29:30], s[4:5]
	s_mov_b32 s5, 0xbfe62e42
	s_mov_b32 s4, 0xfefa39ef
	v_cmp_nlt_f64_e32 vcc_lo, 0x40900000, v[29:30]
	v_cmp_ngt_f64_e64 s3, 0xc090cc00, v[29:30]
	v_rndne_f64_e32 v[33:34], v[33:34]
	v_fma_f64 v[63:64], v[33:34], s[4:5], v[29:30]
	v_cvt_i32_f64_e32 v67, v[33:34]
	s_mov_b32 s5, 0x3fe62e42
	v_fma_f64 v[63:64], v[33:34], s[6:7], v[63:64]
	s_mov_b32 s7, 0x3c7abc9e
	v_fma_f64 v[65:66], v[63:64], s[12:13], s[8:9]
	s_mov_b32 s8, 0x623fde64
	s_mov_b32 s9, 0x3ec71dee
	;; [unrolled: 1-line block ×4, first 2 shown]
	v_fma_f64 v[65:66], v[63:64], v[65:66], s[8:9]
	s_mov_b32 s8, 0x7c89e6b0
	s_mov_b32 s9, 0x3efa0199
	v_fma_f64 v[65:66], v[63:64], v[65:66], s[8:9]
	s_mov_b32 s8, 0x14761f6e
	s_mov_b32 s9, 0x3f2a01a0
	v_fma_f64 v[65:66], v[63:64], v[65:66], s[8:9]
	s_mov_b32 s8, 0x1852b7b0
	s_mov_b32 s9, 0x3f56c16c
	v_fma_f64 v[65:66], v[63:64], v[65:66], s[8:9]
	s_mov_b32 s8, 0x11122322
	s_mov_b32 s9, 0x3f811111
	v_fma_f64 v[65:66], v[63:64], v[65:66], s[8:9]
	s_mov_b32 s8, 0x555502a1
	s_mov_b32 s9, 0x3fa55555
	v_fma_f64 v[65:66], v[63:64], v[65:66], s[8:9]
	s_mov_b32 s8, 0x55555511
	s_mov_b32 s9, 0x3fc55555
	v_fma_f64 v[65:66], v[63:64], v[65:66], s[8:9]
	s_mov_b32 s8, 11
	s_mov_b32 s9, 0x3fe00000
	v_fma_f64 v[65:66], v[63:64], v[65:66], s[8:9]
	s_mov_b32 s9, 0x3fe55555
	s_mov_b32 s8, 0x55555555
	v_fma_f64 v[65:66], v[63:64], v[65:66], 1.0
	v_fma_f64 v[33:34], v[63:64], v[65:66], 1.0
	v_ldexp_f64 v[33:34], v[33:34], v67
	v_cndmask_b32_e32 v34, 0x7ff00000, v34, vcc_lo
	s_and_b32 vcc_lo, s3, vcc_lo
	v_cndmask_b32_e32 v29, 0, v33, vcc_lo
	v_cndmask_b32_e64 v30, 0, v34, s3
	v_add_f64 v[33:34], v[29:30], 1.0
	v_cmp_neq_f64_e64 s3, 0x7ff00000, v[29:30]
	v_frexp_mant_f64_e32 v[63:64], v[33:34]
	v_frexp_exp_i32_f64_e32 v67, v[33:34]
	v_add_f64 v[65:66], v[33:34], -1.0
	v_cmp_gt_f64_e32 vcc_lo, s[8:9], v[63:64]
	s_mov_b32 s8, 0x55555780
	v_add_f64 v[63:64], v[65:66], -v[33:34]
	v_add_f64 v[65:66], v[29:30], -v[65:66]
	v_subrev_co_ci_u32_e64 v85, null, 0, v67, vcc_lo
	v_add_f64 v[63:64], v[63:64], 1.0
	v_cmp_nge_f64_e32 vcc_lo, -1.0, v[29:30]
	v_sub_nc_u32_e32 v69, 0, v85
	v_ldexp_f64 v[33:34], v[33:34], v69
	v_add_f64 v[63:64], v[65:66], v[63:64]
	s_and_b32 vcc_lo, vcc_lo, s3
	v_add_f64 v[67:68], v[33:34], 1.0
	v_add_f64 v[73:74], v[33:34], -1.0
	v_ldexp_f64 v[63:64], v[63:64], v69
	v_add_f64 v[65:66], v[67:68], -1.0
	v_add_f64 v[77:78], v[73:74], 1.0
	v_add_f64 v[65:66], v[33:34], -v[65:66]
	v_add_f64 v[33:34], v[33:34], -v[77:78]
	v_add_f64 v[65:66], v[63:64], v[65:66]
	v_add_f64 v[33:34], v[63:64], v[33:34]
	;; [unrolled: 1-line block ×4, first 2 shown]
	v_rcp_f64_e32 v[71:72], v[69:70]
	v_add_f64 v[67:68], v[69:70], -v[67:68]
	v_add_f64 v[73:74], v[77:78], -v[73:74]
	;; [unrolled: 1-line block ×3, first 2 shown]
	v_fma_f64 v[79:80], -v[69:70], v[71:72], 1.0
	v_add_f64 v[33:34], v[33:34], -v[73:74]
	v_fma_f64 v[71:72], v[79:80], v[71:72], v[71:72]
	v_fma_f64 v[63:64], -v[69:70], v[71:72], 1.0
	v_fma_f64 v[63:64], v[63:64], v[71:72], v[71:72]
	v_mul_f64 v[71:72], v[77:78], v[63:64]
	v_mul_f64 v[79:80], v[69:70], v[71:72]
	v_fma_f64 v[67:68], v[71:72], v[69:70], -v[79:80]
	v_fma_f64 v[67:68], v[71:72], v[65:66], v[67:68]
	v_add_f64 v[81:82], v[79:80], v[67:68]
	v_add_f64 v[83:84], v[77:78], -v[81:82]
	v_add_f64 v[73:74], v[81:82], -v[79:80]
	;; [unrolled: 1-line block ×5, first 2 shown]
	v_add_f64 v[33:34], v[33:34], v[77:78]
	v_add_f64 v[33:34], v[67:68], v[33:34]
	;; [unrolled: 1-line block ×3, first 2 shown]
	v_mul_f64 v[73:74], v[63:64], v[67:68]
	v_add_f64 v[81:82], v[83:84], -v[67:68]
	v_mul_f64 v[77:78], v[69:70], v[73:74]
	v_add_f64 v[33:34], v[33:34], v[81:82]
	v_fma_f64 v[69:70], v[73:74], v[69:70], -v[77:78]
	v_fma_f64 v[65:66], v[73:74], v[65:66], v[69:70]
	v_add_f64 v[69:70], v[77:78], v[65:66]
	v_add_f64 v[79:80], v[67:68], -v[69:70]
	v_add_f64 v[77:78], v[69:70], -v[77:78]
	v_add_f64 v[67:68], v[67:68], -v[79:80]
	v_add_f64 v[65:66], v[77:78], -v[65:66]
	v_add_f64 v[67:68], v[67:68], -v[69:70]
	v_add_f64 v[33:34], v[33:34], v[67:68]
	v_add_f64 v[67:68], v[71:72], v[73:74]
	;; [unrolled: 1-line block ×3, first 2 shown]
	v_add_f64 v[65:66], v[67:68], -v[71:72]
	v_add_f64 v[33:34], v[79:80], v[33:34]
	v_add_f64 v[65:66], v[73:74], -v[65:66]
	v_mul_f64 v[33:34], v[63:64], v[33:34]
	v_add_f64 v[33:34], v[65:66], v[33:34]
	v_add_f64 v[63:64], v[67:68], v[33:34]
	v_mul_f64 v[65:66], v[63:64], v[63:64]
	v_fma_f64 v[69:70], v[65:66], s[16:17], s[12:13]
	s_mov_b32 s12, 0xd7f4df2e
	s_mov_b32 s13, 0x3fc7474d
	v_mul_f64 v[71:72], v[63:64], v[65:66]
	v_fma_f64 v[69:70], v[65:66], v[69:70], s[12:13]
	s_mov_b32 s12, 0x16291751
	s_mov_b32 s13, 0x3fcc71c0
	v_fma_f64 v[69:70], v[65:66], v[69:70], s[12:13]
	s_mov_b32 s12, 0x9b27acf1
	s_mov_b32 s13, 0x3fd24924
	v_fma_f64 v[69:70], v[65:66], v[69:70], s[12:13]
	s_mov_b32 s12, 0x998ef7b6
	s_mov_b32 s13, 0x3fd99999
	v_fma_f64 v[69:70], v[65:66], v[69:70], s[12:13]
	v_fma_f64 v[65:66], v[65:66], v[69:70], s[8:9]
	v_ldexp_f64 v[69:70], v[63:64], 1
	v_add_f64 v[63:64], v[63:64], -v[67:68]
	v_mul_f64 v[65:66], v[71:72], v[65:66]
	v_cvt_f64_i32_e32 v[71:72], v85
	v_add_f64 v[33:34], v[33:34], -v[63:64]
	v_add_f64 v[67:68], v[69:70], v[65:66]
	v_mul_f64 v[73:74], v[71:72], s[4:5]
	v_ldexp_f64 v[33:34], v[33:34], 1
	v_add_f64 v[63:64], v[67:68], -v[69:70]
	v_fma_f64 v[69:70], v[71:72], s[4:5], -v[73:74]
	v_cmp_ngt_f64_e64 s4, -1.0, v[29:30]
	v_add_f64 v[63:64], v[65:66], -v[63:64]
	v_fma_f64 v[65:66], v[71:72], s[6:7], v[69:70]
	v_add_f64 v[33:34], v[33:34], v[63:64]
	v_add_f64 v[63:64], v[73:74], v[65:66]
	;; [unrolled: 1-line block ×3, first 2 shown]
	v_add_f64 v[73:74], v[63:64], -v[73:74]
	v_add_f64 v[71:72], v[63:64], v[69:70]
	v_add_f64 v[67:68], v[69:70], -v[67:68]
	v_add_f64 v[65:66], v[65:66], -v[73:74]
	;; [unrolled: 1-line block ×6, first 2 shown]
	v_add_f64 v[69:70], v[65:66], v[33:34]
	v_add_f64 v[63:64], v[63:64], -v[79:80]
	v_add_f64 v[63:64], v[67:68], v[63:64]
	v_add_f64 v[67:68], v[69:70], -v[65:66]
	;; [unrolled: 2-line block ×3, first 2 shown]
	v_add_f64 v[33:34], v[33:34], -v[67:68]
	v_add_f64 v[73:74], v[71:72], v[63:64]
	v_add_f64 v[65:66], v[65:66], -v[69:70]
	v_add_f64 v[67:68], v[73:74], -v[71:72]
	v_add_f64 v[33:34], v[33:34], v[65:66]
	v_add_f64 v[63:64], v[63:64], -v[67:68]
	v_add_f64 v[33:34], v[33:34], v[63:64]
	v_add_f64 v[33:34], v[73:74], v[33:34]
	v_cndmask_b32_e32 v33, 0, v33, vcc_lo
	v_cmp_neq_f64_e32 vcc_lo, -1.0, v[29:30]
	v_cndmask_b32_e64 v34, 0x7ff00000, v34, s3
	v_cndmask_b32_e64 v34, 0x7ff80000, v34, s4
	v_cndmask_b32_e32 v34, 0xfff00000, v34, vcc_lo
	v_add_f64 v[29:30], v[31:32], v[33:34]
.LBB74_193:
	s_or_b32 exec_lo, exec_lo, s10
	v_max_f64 v[31:32], v[29:30], v[29:30]
	v_cmp_u_f64_e32 vcc_lo, v[29:30], v[29:30]
	v_min_f64 v[33:34], v[31:32], v[35:36]
	v_max_f64 v[31:32], v[31:32], v[35:36]
	v_cndmask_b32_e32 v33, v33, v29, vcc_lo
	v_cndmask_b32_e32 v34, v34, v30, vcc_lo
	;; [unrolled: 1-line block ×4, first 2 shown]
	v_cndmask_b32_e64 v35, v33, v39, s15
	v_cndmask_b32_e64 v36, v34, v40, s15
	;; [unrolled: 1-line block ×4, first 2 shown]
	v_mov_b32_e32 v32, v30
	v_mov_b32_e32 v31, v29
	v_cmp_class_f64_e64 s3, v[35:36], 0x1f8
	v_cmp_neq_f64_e32 vcc_lo, v[35:36], v[33:34]
	s_or_b32 s3, vcc_lo, s3
	s_and_saveexec_b32 s10, s3
	s_cbranch_execz .LBB74_195
; %bb.194:
	v_add_f64 v[31:32], v[35:36], -v[33:34]
	s_mov_b32 s4, 0x652b82fe
	s_mov_b32 s5, 0x3ff71547
	;; [unrolled: 1-line block ×10, first 2 shown]
	v_mul_f64 v[35:36], v[31:32], s[4:5]
	s_mov_b32 s5, 0xbfe62e42
	s_mov_b32 s4, 0xfefa39ef
	v_cmp_nlt_f64_e32 vcc_lo, 0x40900000, v[31:32]
	v_cmp_ngt_f64_e64 s3, 0xc090cc00, v[31:32]
	v_rndne_f64_e32 v[35:36], v[35:36]
	v_fma_f64 v[63:64], v[35:36], s[4:5], v[31:32]
	v_cvt_i32_f64_e32 v67, v[35:36]
	s_mov_b32 s5, 0x3fe62e42
	v_fma_f64 v[63:64], v[35:36], s[6:7], v[63:64]
	s_mov_b32 s7, 0x3c7abc9e
	v_fma_f64 v[65:66], v[63:64], s[12:13], s[8:9]
	s_mov_b32 s8, 0x623fde64
	s_mov_b32 s9, 0x3ec71dee
	s_mov_b32 s12, 0x6b47b09a
	s_mov_b32 s13, 0x3fc38538
	v_fma_f64 v[65:66], v[63:64], v[65:66], s[8:9]
	s_mov_b32 s8, 0x7c89e6b0
	s_mov_b32 s9, 0x3efa0199
	v_fma_f64 v[65:66], v[63:64], v[65:66], s[8:9]
	s_mov_b32 s8, 0x14761f6e
	s_mov_b32 s9, 0x3f2a01a0
	;; [unrolled: 3-line block ×8, first 2 shown]
	v_fma_f64 v[65:66], v[63:64], v[65:66], 1.0
	v_fma_f64 v[35:36], v[63:64], v[65:66], 1.0
	v_ldexp_f64 v[35:36], v[35:36], v67
	v_cndmask_b32_e32 v36, 0x7ff00000, v36, vcc_lo
	s_and_b32 vcc_lo, s3, vcc_lo
	v_cndmask_b32_e32 v31, 0, v35, vcc_lo
	v_cndmask_b32_e64 v32, 0, v36, s3
	v_add_f64 v[35:36], v[31:32], 1.0
	v_cmp_neq_f64_e64 s3, 0x7ff00000, v[31:32]
	v_frexp_mant_f64_e32 v[63:64], v[35:36]
	v_frexp_exp_i32_f64_e32 v67, v[35:36]
	v_add_f64 v[65:66], v[35:36], -1.0
	v_cmp_gt_f64_e32 vcc_lo, s[8:9], v[63:64]
	s_mov_b32 s8, 0x55555780
	v_add_f64 v[63:64], v[65:66], -v[35:36]
	v_add_f64 v[65:66], v[31:32], -v[65:66]
	v_subrev_co_ci_u32_e64 v85, null, 0, v67, vcc_lo
	v_add_f64 v[63:64], v[63:64], 1.0
	v_cmp_nge_f64_e32 vcc_lo, -1.0, v[31:32]
	v_sub_nc_u32_e32 v69, 0, v85
	v_ldexp_f64 v[35:36], v[35:36], v69
	v_add_f64 v[63:64], v[65:66], v[63:64]
	s_and_b32 vcc_lo, vcc_lo, s3
	v_add_f64 v[67:68], v[35:36], 1.0
	v_add_f64 v[73:74], v[35:36], -1.0
	v_ldexp_f64 v[63:64], v[63:64], v69
	v_add_f64 v[65:66], v[67:68], -1.0
	v_add_f64 v[77:78], v[73:74], 1.0
	v_add_f64 v[65:66], v[35:36], -v[65:66]
	v_add_f64 v[35:36], v[35:36], -v[77:78]
	v_add_f64 v[65:66], v[63:64], v[65:66]
	v_add_f64 v[35:36], v[63:64], v[35:36]
	;; [unrolled: 1-line block ×4, first 2 shown]
	v_rcp_f64_e32 v[71:72], v[69:70]
	v_add_f64 v[67:68], v[69:70], -v[67:68]
	v_add_f64 v[73:74], v[77:78], -v[73:74]
	;; [unrolled: 1-line block ×3, first 2 shown]
	v_fma_f64 v[79:80], -v[69:70], v[71:72], 1.0
	v_add_f64 v[35:36], v[35:36], -v[73:74]
	v_fma_f64 v[71:72], v[79:80], v[71:72], v[71:72]
	v_fma_f64 v[63:64], -v[69:70], v[71:72], 1.0
	v_fma_f64 v[63:64], v[63:64], v[71:72], v[71:72]
	v_mul_f64 v[71:72], v[77:78], v[63:64]
	v_mul_f64 v[79:80], v[69:70], v[71:72]
	v_fma_f64 v[67:68], v[71:72], v[69:70], -v[79:80]
	v_fma_f64 v[67:68], v[71:72], v[65:66], v[67:68]
	v_add_f64 v[81:82], v[79:80], v[67:68]
	v_add_f64 v[83:84], v[77:78], -v[81:82]
	v_add_f64 v[73:74], v[81:82], -v[79:80]
	v_add_f64 v[77:78], v[77:78], -v[83:84]
	v_add_f64 v[67:68], v[73:74], -v[67:68]
	v_add_f64 v[77:78], v[77:78], -v[81:82]
	v_add_f64 v[35:36], v[35:36], v[77:78]
	v_add_f64 v[35:36], v[67:68], v[35:36]
	;; [unrolled: 1-line block ×3, first 2 shown]
	v_mul_f64 v[73:74], v[63:64], v[67:68]
	v_add_f64 v[81:82], v[83:84], -v[67:68]
	v_mul_f64 v[77:78], v[69:70], v[73:74]
	v_add_f64 v[35:36], v[35:36], v[81:82]
	v_fma_f64 v[69:70], v[73:74], v[69:70], -v[77:78]
	v_fma_f64 v[65:66], v[73:74], v[65:66], v[69:70]
	v_add_f64 v[69:70], v[77:78], v[65:66]
	v_add_f64 v[79:80], v[67:68], -v[69:70]
	v_add_f64 v[77:78], v[69:70], -v[77:78]
	;; [unrolled: 1-line block ×5, first 2 shown]
	v_add_f64 v[35:36], v[35:36], v[67:68]
	v_add_f64 v[67:68], v[71:72], v[73:74]
	;; [unrolled: 1-line block ×3, first 2 shown]
	v_add_f64 v[65:66], v[67:68], -v[71:72]
	v_add_f64 v[35:36], v[79:80], v[35:36]
	v_add_f64 v[65:66], v[73:74], -v[65:66]
	v_mul_f64 v[35:36], v[63:64], v[35:36]
	v_add_f64 v[35:36], v[65:66], v[35:36]
	v_add_f64 v[63:64], v[67:68], v[35:36]
	v_mul_f64 v[65:66], v[63:64], v[63:64]
	v_fma_f64 v[69:70], v[65:66], s[14:15], s[12:13]
	s_mov_b32 s12, 0xd7f4df2e
	s_mov_b32 s13, 0x3fc7474d
	v_mul_f64 v[71:72], v[63:64], v[65:66]
	v_fma_f64 v[69:70], v[65:66], v[69:70], s[12:13]
	s_mov_b32 s12, 0x16291751
	s_mov_b32 s13, 0x3fcc71c0
	v_fma_f64 v[69:70], v[65:66], v[69:70], s[12:13]
	s_mov_b32 s12, 0x9b27acf1
	s_mov_b32 s13, 0x3fd24924
	;; [unrolled: 3-line block ×3, first 2 shown]
	v_fma_f64 v[69:70], v[65:66], v[69:70], s[12:13]
	v_fma_f64 v[65:66], v[65:66], v[69:70], s[8:9]
	v_ldexp_f64 v[69:70], v[63:64], 1
	v_add_f64 v[63:64], v[63:64], -v[67:68]
	v_mul_f64 v[65:66], v[71:72], v[65:66]
	v_cvt_f64_i32_e32 v[71:72], v85
	v_add_f64 v[35:36], v[35:36], -v[63:64]
	v_add_f64 v[67:68], v[69:70], v[65:66]
	v_mul_f64 v[73:74], v[71:72], s[4:5]
	v_ldexp_f64 v[35:36], v[35:36], 1
	v_add_f64 v[63:64], v[67:68], -v[69:70]
	v_fma_f64 v[69:70], v[71:72], s[4:5], -v[73:74]
	v_cmp_ngt_f64_e64 s4, -1.0, v[31:32]
	v_add_f64 v[63:64], v[65:66], -v[63:64]
	v_fma_f64 v[65:66], v[71:72], s[6:7], v[69:70]
	v_add_f64 v[35:36], v[35:36], v[63:64]
	v_add_f64 v[63:64], v[73:74], v[65:66]
	;; [unrolled: 1-line block ×3, first 2 shown]
	v_add_f64 v[73:74], v[63:64], -v[73:74]
	v_add_f64 v[71:72], v[63:64], v[69:70]
	v_add_f64 v[67:68], v[69:70], -v[67:68]
	v_add_f64 v[65:66], v[65:66], -v[73:74]
	;; [unrolled: 1-line block ×6, first 2 shown]
	v_add_f64 v[69:70], v[65:66], v[35:36]
	v_add_f64 v[63:64], v[63:64], -v[79:80]
	v_add_f64 v[63:64], v[67:68], v[63:64]
	v_add_f64 v[67:68], v[69:70], -v[65:66]
	;; [unrolled: 2-line block ×3, first 2 shown]
	v_add_f64 v[35:36], v[35:36], -v[67:68]
	v_add_f64 v[73:74], v[71:72], v[63:64]
	v_add_f64 v[65:66], v[65:66], -v[69:70]
	v_add_f64 v[67:68], v[73:74], -v[71:72]
	v_add_f64 v[35:36], v[35:36], v[65:66]
	v_add_f64 v[63:64], v[63:64], -v[67:68]
	v_add_f64 v[35:36], v[35:36], v[63:64]
	v_add_f64 v[35:36], v[73:74], v[35:36]
	v_cndmask_b32_e32 v35, 0, v35, vcc_lo
	v_cmp_neq_f64_e32 vcc_lo, -1.0, v[31:32]
	v_cndmask_b32_e64 v36, 0x7ff00000, v36, s3
	v_cndmask_b32_e64 v36, 0x7ff80000, v36, s4
	v_cndmask_b32_e32 v36, 0xfff00000, v36, vcc_lo
	v_add_f64 v[31:32], v[33:34], v[35:36]
.LBB74_195:
	s_or_b32 exec_lo, exec_lo, s10
	s_branch .LBB74_295
.LBB74_196:
	s_cmp_lg_u64 s[24:25], 0
	s_cselect_b32 s3, -1, 0
	s_and_b32 s2, s2, s3
	s_and_saveexec_b32 s8, s2
	s_cbranch_execz .LBB74_200
; %bb.197:
	v_mov_b32_e32 v5, 0
	v_max_f64 v[7:8], v[1:2], v[1:2]
	v_cmp_u_f64_e64 s2, v[1:2], v[1:2]
	global_load_dwordx2 v[5:6], v5, s[20:21]
	s_waitcnt vmcnt(0)
	v_max_f64 v[9:10], v[5:6], v[5:6]
	v_cmp_u_f64_e32 vcc_lo, v[5:6], v[5:6]
	v_min_f64 v[11:12], v[9:10], v[7:8]
	v_max_f64 v[7:8], v[9:10], v[7:8]
	v_cndmask_b32_e32 v9, v11, v5, vcc_lo
	v_cndmask_b32_e32 v10, v12, v6, vcc_lo
	;; [unrolled: 1-line block ×4, first 2 shown]
	v_cndmask_b32_e64 v7, v9, v1, s2
	v_cndmask_b32_e64 v8, v10, v2, s2
	v_cndmask_b32_e64 v2, v11, v2, s2
	v_cndmask_b32_e64 v1, v12, v1, s2
	v_cmp_class_f64_e64 s2, v[7:8], 0x1f8
	v_cmp_neq_f64_e32 vcc_lo, v[7:8], v[1:2]
	s_or_b32 s2, vcc_lo, s2
	s_and_saveexec_b32 s9, s2
	s_cbranch_execz .LBB74_199
; %bb.198:
	v_add_f64 v[5:6], v[7:8], -v[1:2]
	s_mov_b32 s2, 0x652b82fe
	s_mov_b32 s3, 0x3ff71547
	s_mov_b32 s5, 0xbfe62e42
	s_mov_b32 s4, 0xfefa39ef
	s_mov_b32 s7, 0xbc7abc9e
	s_mov_b32 s6, 0x3b39803f
	s_mov_b32 s10, 0x6a5dcb37
	s_mov_b32 s11, 0x3e5ade15
	s_mov_b32 s12, 0xbf559e2b
	s_mov_b32 s13, 0x3fc3ab76
	v_mul_f64 v[7:8], v[5:6], s[2:3]
	s_mov_b32 s2, 0xfca7ab0c
	s_mov_b32 s3, 0x3e928af3
	v_cmp_nlt_f64_e32 vcc_lo, 0x40900000, v[5:6]
	v_rndne_f64_e32 v[7:8], v[7:8]
	v_fma_f64 v[9:10], v[7:8], s[4:5], v[5:6]
	v_cvt_i32_f64_e32 v13, v[7:8]
	s_mov_b32 s5, 0x3fe62e42
	v_fma_f64 v[9:10], v[7:8], s[6:7], v[9:10]
	s_mov_b32 s7, 0x3c7abc9e
	v_fma_f64 v[11:12], v[9:10], s[10:11], s[2:3]
	s_mov_b32 s2, 0x623fde64
	s_mov_b32 s3, 0x3ec71dee
	;; [unrolled: 1-line block ×4, first 2 shown]
	v_fma_f64 v[11:12], v[9:10], v[11:12], s[2:3]
	s_mov_b32 s2, 0x7c89e6b0
	s_mov_b32 s3, 0x3efa0199
	v_fma_f64 v[11:12], v[9:10], v[11:12], s[2:3]
	s_mov_b32 s2, 0x14761f6e
	s_mov_b32 s3, 0x3f2a01a0
	;; [unrolled: 3-line block ×7, first 2 shown]
	v_fma_f64 v[11:12], v[9:10], v[11:12], s[2:3]
	v_cmp_ngt_f64_e64 s2, 0xc090cc00, v[5:6]
	s_mov_b32 s3, 0x3fe55555
	v_fma_f64 v[11:12], v[9:10], v[11:12], 1.0
	v_fma_f64 v[7:8], v[9:10], v[11:12], 1.0
	v_ldexp_f64 v[7:8], v[7:8], v13
	v_cndmask_b32_e32 v8, 0x7ff00000, v8, vcc_lo
	s_and_b32 vcc_lo, s2, vcc_lo
	v_cndmask_b32_e32 v5, 0, v7, vcc_lo
	v_cndmask_b32_e64 v6, 0, v8, s2
	s_mov_b32 s2, 0x55555555
	v_add_f64 v[7:8], v[5:6], 1.0
	v_frexp_mant_f64_e32 v[9:10], v[7:8]
	v_frexp_exp_i32_f64_e32 v13, v[7:8]
	v_add_f64 v[11:12], v[7:8], -1.0
	v_cmp_gt_f64_e32 vcc_lo, s[2:3], v[9:10]
	s_mov_b32 s2, 0x55555780
	v_add_f64 v[9:10], v[11:12], -v[7:8]
	v_add_f64 v[11:12], v[5:6], -v[11:12]
	v_subrev_co_ci_u32_e64 v29, null, 0, v13, vcc_lo
	v_add_f64 v[9:10], v[9:10], 1.0
	v_cmp_nge_f64_e32 vcc_lo, -1.0, v[5:6]
	v_sub_nc_u32_e32 v15, 0, v29
	v_ldexp_f64 v[7:8], v[7:8], v15
	v_add_f64 v[9:10], v[11:12], v[9:10]
	v_add_f64 v[13:14], v[7:8], 1.0
	v_add_f64 v[19:20], v[7:8], -1.0
	v_ldexp_f64 v[9:10], v[9:10], v15
	v_add_f64 v[11:12], v[13:14], -1.0
	v_add_f64 v[21:22], v[19:20], 1.0
	v_add_f64 v[11:12], v[7:8], -v[11:12]
	v_add_f64 v[7:8], v[7:8], -v[21:22]
	v_add_f64 v[11:12], v[9:10], v[11:12]
	v_add_f64 v[7:8], v[9:10], v[7:8]
	;; [unrolled: 1-line block ×4, first 2 shown]
	v_rcp_f64_e32 v[17:18], v[15:16]
	v_add_f64 v[13:14], v[15:16], -v[13:14]
	v_add_f64 v[19:20], v[21:22], -v[19:20]
	;; [unrolled: 1-line block ×3, first 2 shown]
	v_fma_f64 v[23:24], -v[15:16], v[17:18], 1.0
	v_add_f64 v[7:8], v[7:8], -v[19:20]
	v_fma_f64 v[17:18], v[23:24], v[17:18], v[17:18]
	v_fma_f64 v[9:10], -v[15:16], v[17:18], 1.0
	v_fma_f64 v[9:10], v[9:10], v[17:18], v[17:18]
	v_mul_f64 v[17:18], v[21:22], v[9:10]
	v_mul_f64 v[23:24], v[15:16], v[17:18]
	v_fma_f64 v[13:14], v[17:18], v[15:16], -v[23:24]
	v_fma_f64 v[13:14], v[17:18], v[11:12], v[13:14]
	v_add_f64 v[25:26], v[23:24], v[13:14]
	v_add_f64 v[27:28], v[21:22], -v[25:26]
	v_add_f64 v[19:20], v[25:26], -v[23:24]
	;; [unrolled: 1-line block ×5, first 2 shown]
	v_add_f64 v[7:8], v[7:8], v[21:22]
	v_add_f64 v[7:8], v[13:14], v[7:8]
	;; [unrolled: 1-line block ×3, first 2 shown]
	v_mul_f64 v[19:20], v[9:10], v[13:14]
	v_add_f64 v[25:26], v[27:28], -v[13:14]
	v_mul_f64 v[21:22], v[15:16], v[19:20]
	v_add_f64 v[7:8], v[7:8], v[25:26]
	v_fma_f64 v[15:16], v[19:20], v[15:16], -v[21:22]
	v_fma_f64 v[11:12], v[19:20], v[11:12], v[15:16]
	v_add_f64 v[15:16], v[21:22], v[11:12]
	v_add_f64 v[23:24], v[13:14], -v[15:16]
	v_add_f64 v[21:22], v[15:16], -v[21:22]
	;; [unrolled: 1-line block ×5, first 2 shown]
	v_add_f64 v[7:8], v[7:8], v[13:14]
	v_add_f64 v[13:14], v[17:18], v[19:20]
	;; [unrolled: 1-line block ×3, first 2 shown]
	v_add_f64 v[11:12], v[13:14], -v[17:18]
	v_add_f64 v[7:8], v[23:24], v[7:8]
	v_add_f64 v[11:12], v[19:20], -v[11:12]
	v_mul_f64 v[7:8], v[9:10], v[7:8]
	v_add_f64 v[7:8], v[11:12], v[7:8]
	v_add_f64 v[9:10], v[13:14], v[7:8]
	v_mul_f64 v[11:12], v[9:10], v[9:10]
	v_fma_f64 v[15:16], v[11:12], s[12:13], s[10:11]
	s_mov_b32 s10, 0xd7f4df2e
	s_mov_b32 s11, 0x3fc7474d
	v_mul_f64 v[17:18], v[9:10], v[11:12]
	v_fma_f64 v[15:16], v[11:12], v[15:16], s[10:11]
	s_mov_b32 s10, 0x16291751
	s_mov_b32 s11, 0x3fcc71c0
	v_fma_f64 v[15:16], v[11:12], v[15:16], s[10:11]
	s_mov_b32 s10, 0x9b27acf1
	s_mov_b32 s11, 0x3fd24924
	;; [unrolled: 3-line block ×3, first 2 shown]
	v_fma_f64 v[15:16], v[11:12], v[15:16], s[10:11]
	v_fma_f64 v[11:12], v[11:12], v[15:16], s[2:3]
	v_ldexp_f64 v[15:16], v[9:10], 1
	v_add_f64 v[9:10], v[9:10], -v[13:14]
	v_cmp_neq_f64_e64 s2, 0x7ff00000, v[5:6]
	v_cmp_ngt_f64_e64 s3, -1.0, v[5:6]
	v_mul_f64 v[11:12], v[17:18], v[11:12]
	v_cvt_f64_i32_e32 v[17:18], v29
	v_add_f64 v[7:8], v[7:8], -v[9:10]
	s_and_b32 vcc_lo, vcc_lo, s2
	v_add_f64 v[13:14], v[15:16], v[11:12]
	v_mul_f64 v[19:20], v[17:18], s[4:5]
	v_ldexp_f64 v[7:8], v[7:8], 1
	v_add_f64 v[9:10], v[13:14], -v[15:16]
	v_fma_f64 v[15:16], v[17:18], s[4:5], -v[19:20]
	v_add_f64 v[9:10], v[11:12], -v[9:10]
	v_fma_f64 v[11:12], v[17:18], s[6:7], v[15:16]
	v_add_f64 v[7:8], v[7:8], v[9:10]
	v_add_f64 v[9:10], v[19:20], v[11:12]
	;; [unrolled: 1-line block ×3, first 2 shown]
	v_add_f64 v[19:20], v[9:10], -v[19:20]
	v_add_f64 v[17:18], v[9:10], v[15:16]
	v_add_f64 v[13:14], v[15:16], -v[13:14]
	v_add_f64 v[11:12], v[11:12], -v[19:20]
	;; [unrolled: 1-line block ×6, first 2 shown]
	v_add_f64 v[15:16], v[11:12], v[7:8]
	v_add_f64 v[9:10], v[9:10], -v[23:24]
	v_add_f64 v[9:10], v[13:14], v[9:10]
	v_add_f64 v[13:14], v[15:16], -v[11:12]
	;; [unrolled: 2-line block ×3, first 2 shown]
	v_add_f64 v[7:8], v[7:8], -v[13:14]
	v_add_f64 v[19:20], v[17:18], v[9:10]
	v_add_f64 v[11:12], v[11:12], -v[15:16]
	v_add_f64 v[13:14], v[19:20], -v[17:18]
	v_add_f64 v[7:8], v[7:8], v[11:12]
	v_add_f64 v[9:10], v[9:10], -v[13:14]
	v_add_f64 v[7:8], v[7:8], v[9:10]
	v_add_f64 v[7:8], v[19:20], v[7:8]
	v_cndmask_b32_e32 v7, 0, v7, vcc_lo
	v_cmp_neq_f64_e32 vcc_lo, -1.0, v[5:6]
	v_cndmask_b32_e64 v8, 0x7ff00000, v8, s2
	v_cndmask_b32_e64 v8, 0x7ff80000, v8, s3
	v_cndmask_b32_e32 v8, 0xfff00000, v8, vcc_lo
	v_add_f64 v[5:6], v[1:2], v[7:8]
.LBB74_199:
	s_or_b32 exec_lo, exec_lo, s9
	v_mov_b32_e32 v1, v5
	v_mov_b32_e32 v2, v6
.LBB74_200:
	s_or_b32 exec_lo, exec_lo, s8
	v_max_f64 v[29:30], v[1:2], v[1:2]
	v_cmp_u_f64_e64 s14, v[1:2], v[1:2]
	v_cmp_u_f64_e32 vcc_lo, v[3:4], v[3:4]
	v_mov_b32_e32 v36, v2
	v_mov_b32_e32 v35, v1
	v_min_f64 v[31:32], v[29:30], v[61:62]
	v_max_f64 v[33:34], v[29:30], v[61:62]
	v_cndmask_b32_e64 v5, v31, v1, s14
	v_cndmask_b32_e64 v6, v32, v2, s14
	;; [unrolled: 1-line block ×4, first 2 shown]
	v_cndmask_b32_e32 v7, v5, v3, vcc_lo
	v_cndmask_b32_e32 v8, v6, v4, vcc_lo
	;; [unrolled: 1-line block ×4, first 2 shown]
	v_cmp_class_f64_e64 s3, v[7:8], 0x1f8
	v_cmp_neq_f64_e64 s2, v[7:8], v[5:6]
	s_or_b32 s2, s2, s3
	s_and_saveexec_b32 s8, s2
	s_cbranch_execz .LBB74_202
; %bb.201:
	v_add_f64 v[7:8], v[7:8], -v[5:6]
	s_mov_b32 s2, 0x652b82fe
	s_mov_b32 s3, 0x3ff71547
	;; [unrolled: 1-line block ×10, first 2 shown]
	v_mul_f64 v[9:10], v[7:8], s[2:3]
	s_mov_b32 s2, 0xfca7ab0c
	s_mov_b32 s3, 0x3e928af3
	v_rndne_f64_e32 v[9:10], v[9:10]
	v_fma_f64 v[11:12], v[9:10], s[4:5], v[7:8]
	v_cvt_i32_f64_e32 v15, v[9:10]
	s_mov_b32 s5, 0x3fe62e42
	v_fma_f64 v[11:12], v[9:10], s[6:7], v[11:12]
	s_mov_b32 s7, 0x3c7abc9e
	v_fma_f64 v[13:14], v[11:12], s[10:11], s[2:3]
	s_mov_b32 s2, 0x623fde64
	s_mov_b32 s3, 0x3ec71dee
	;; [unrolled: 1-line block ×4, first 2 shown]
	v_fma_f64 v[13:14], v[11:12], v[13:14], s[2:3]
	s_mov_b32 s2, 0x7c89e6b0
	s_mov_b32 s3, 0x3efa0199
	v_fma_f64 v[13:14], v[11:12], v[13:14], s[2:3]
	s_mov_b32 s2, 0x14761f6e
	s_mov_b32 s3, 0x3f2a01a0
	;; [unrolled: 3-line block ×7, first 2 shown]
	v_fma_f64 v[13:14], v[11:12], v[13:14], s[2:3]
	v_cmp_nlt_f64_e64 s2, 0x40900000, v[7:8]
	v_cmp_ngt_f64_e64 s3, 0xc090cc00, v[7:8]
	v_fma_f64 v[13:14], v[11:12], v[13:14], 1.0
	v_fma_f64 v[9:10], v[11:12], v[13:14], 1.0
	v_ldexp_f64 v[9:10], v[9:10], v15
	v_cndmask_b32_e64 v10, 0x7ff00000, v10, s2
	s_and_b32 s2, s3, s2
	v_cndmask_b32_e64 v7, 0, v9, s2
	s_mov_b32 s2, 0x55555555
	v_cndmask_b32_e64 v8, 0, v10, s3
	s_mov_b32 s3, 0x3fe55555
	v_add_f64 v[9:10], v[7:8], 1.0
	v_frexp_mant_f64_e32 v[11:12], v[9:10]
	v_frexp_exp_i32_f64_e32 v15, v[9:10]
	v_add_f64 v[13:14], v[9:10], -1.0
	v_cmp_gt_f64_e64 s2, s[2:3], v[11:12]
	v_add_f64 v[11:12], v[13:14], -v[9:10]
	v_add_f64 v[13:14], v[7:8], -v[13:14]
	v_subrev_co_ci_u32_e64 v63, null, 0, v15, s2
	v_add_f64 v[11:12], v[11:12], 1.0
	s_mov_b32 s2, 0x55555780
	v_sub_nc_u32_e32 v17, 0, v63
	v_ldexp_f64 v[9:10], v[9:10], v17
	v_add_f64 v[11:12], v[13:14], v[11:12]
	v_add_f64 v[15:16], v[9:10], 1.0
	v_add_f64 v[21:22], v[9:10], -1.0
	v_ldexp_f64 v[11:12], v[11:12], v17
	v_add_f64 v[13:14], v[15:16], -1.0
	v_add_f64 v[23:24], v[21:22], 1.0
	v_add_f64 v[13:14], v[9:10], -v[13:14]
	v_add_f64 v[9:10], v[9:10], -v[23:24]
	v_add_f64 v[13:14], v[11:12], v[13:14]
	v_add_f64 v[9:10], v[11:12], v[9:10]
	;; [unrolled: 1-line block ×4, first 2 shown]
	v_rcp_f64_e32 v[19:20], v[17:18]
	v_add_f64 v[15:16], v[17:18], -v[15:16]
	v_add_f64 v[21:22], v[23:24], -v[21:22]
	;; [unrolled: 1-line block ×3, first 2 shown]
	v_fma_f64 v[25:26], -v[17:18], v[19:20], 1.0
	v_add_f64 v[9:10], v[9:10], -v[21:22]
	v_fma_f64 v[19:20], v[25:26], v[19:20], v[19:20]
	v_fma_f64 v[11:12], -v[17:18], v[19:20], 1.0
	v_fma_f64 v[11:12], v[11:12], v[19:20], v[19:20]
	v_mul_f64 v[19:20], v[23:24], v[11:12]
	v_mul_f64 v[25:26], v[17:18], v[19:20]
	v_fma_f64 v[15:16], v[19:20], v[17:18], -v[25:26]
	v_fma_f64 v[15:16], v[19:20], v[13:14], v[15:16]
	v_add_f64 v[27:28], v[25:26], v[15:16]
	v_add_f64 v[35:36], v[23:24], -v[27:28]
	v_add_f64 v[21:22], v[27:28], -v[25:26]
	;; [unrolled: 1-line block ×5, first 2 shown]
	v_add_f64 v[9:10], v[9:10], v[23:24]
	v_add_f64 v[9:10], v[15:16], v[9:10]
	;; [unrolled: 1-line block ×3, first 2 shown]
	v_mul_f64 v[21:22], v[11:12], v[15:16]
	v_add_f64 v[27:28], v[35:36], -v[15:16]
	v_mul_f64 v[23:24], v[17:18], v[21:22]
	v_add_f64 v[9:10], v[9:10], v[27:28]
	v_fma_f64 v[17:18], v[21:22], v[17:18], -v[23:24]
	v_fma_f64 v[13:14], v[21:22], v[13:14], v[17:18]
	v_add_f64 v[17:18], v[23:24], v[13:14]
	v_add_f64 v[25:26], v[15:16], -v[17:18]
	v_add_f64 v[23:24], v[17:18], -v[23:24]
	;; [unrolled: 1-line block ×5, first 2 shown]
	v_add_f64 v[9:10], v[9:10], v[15:16]
	v_add_f64 v[15:16], v[19:20], v[21:22]
	;; [unrolled: 1-line block ×3, first 2 shown]
	v_add_f64 v[13:14], v[15:16], -v[19:20]
	v_add_f64 v[9:10], v[25:26], v[9:10]
	v_add_f64 v[13:14], v[21:22], -v[13:14]
	v_mul_f64 v[9:10], v[11:12], v[9:10]
	v_add_f64 v[9:10], v[13:14], v[9:10]
	v_add_f64 v[11:12], v[15:16], v[9:10]
	v_mul_f64 v[13:14], v[11:12], v[11:12]
	v_fma_f64 v[17:18], v[13:14], s[12:13], s[10:11]
	s_mov_b32 s10, 0xd7f4df2e
	s_mov_b32 s11, 0x3fc7474d
	v_mul_f64 v[19:20], v[11:12], v[13:14]
	v_fma_f64 v[17:18], v[13:14], v[17:18], s[10:11]
	s_mov_b32 s10, 0x16291751
	s_mov_b32 s11, 0x3fcc71c0
	v_fma_f64 v[17:18], v[13:14], v[17:18], s[10:11]
	s_mov_b32 s10, 0x9b27acf1
	s_mov_b32 s11, 0x3fd24924
	;; [unrolled: 3-line block ×3, first 2 shown]
	v_fma_f64 v[17:18], v[13:14], v[17:18], s[10:11]
	v_fma_f64 v[13:14], v[13:14], v[17:18], s[2:3]
	v_ldexp_f64 v[17:18], v[11:12], 1
	v_add_f64 v[11:12], v[11:12], -v[15:16]
	v_cmp_nge_f64_e64 s2, -1.0, v[7:8]
	v_cmp_neq_f64_e64 s3, 0x7ff00000, v[7:8]
	v_mul_f64 v[13:14], v[19:20], v[13:14]
	v_cvt_f64_i32_e32 v[19:20], v63
	v_add_f64 v[9:10], v[9:10], -v[11:12]
	s_and_b32 s2, s2, s3
	v_add_f64 v[15:16], v[17:18], v[13:14]
	v_mul_f64 v[21:22], v[19:20], s[4:5]
	v_ldexp_f64 v[9:10], v[9:10], 1
	v_add_f64 v[11:12], v[15:16], -v[17:18]
	v_fma_f64 v[17:18], v[19:20], s[4:5], -v[21:22]
	v_cmp_ngt_f64_e64 s4, -1.0, v[7:8]
	v_add_f64 v[11:12], v[13:14], -v[11:12]
	v_fma_f64 v[13:14], v[19:20], s[6:7], v[17:18]
	v_add_f64 v[9:10], v[9:10], v[11:12]
	v_add_f64 v[11:12], v[21:22], v[13:14]
	;; [unrolled: 1-line block ×3, first 2 shown]
	v_add_f64 v[21:22], v[11:12], -v[21:22]
	v_add_f64 v[19:20], v[11:12], v[17:18]
	v_add_f64 v[15:16], v[17:18], -v[15:16]
	v_add_f64 v[13:14], v[13:14], -v[21:22]
	;; [unrolled: 1-line block ×6, first 2 shown]
	v_add_f64 v[17:18], v[13:14], v[9:10]
	v_add_f64 v[11:12], v[11:12], -v[25:26]
	v_add_f64 v[11:12], v[15:16], v[11:12]
	v_add_f64 v[15:16], v[17:18], -v[13:14]
	;; [unrolled: 2-line block ×3, first 2 shown]
	v_add_f64 v[9:10], v[9:10], -v[15:16]
	v_add_f64 v[21:22], v[19:20], v[11:12]
	v_add_f64 v[13:14], v[13:14], -v[17:18]
	v_add_f64 v[15:16], v[21:22], -v[19:20]
	v_add_f64 v[9:10], v[9:10], v[13:14]
	v_add_f64 v[11:12], v[11:12], -v[15:16]
	v_add_f64 v[9:10], v[9:10], v[11:12]
	v_add_f64 v[9:10], v[21:22], v[9:10]
	v_cndmask_b32_e64 v9, 0, v9, s2
	v_cmp_neq_f64_e64 s2, -1.0, v[7:8]
	v_cndmask_b32_e64 v10, 0x7ff00000, v10, s3
	v_cndmask_b32_e64 v10, 0x7ff80000, v10, s4
	;; [unrolled: 1-line block ×3, first 2 shown]
	v_add_f64 v[35:36], v[5:6], v[9:10]
.LBB74_202:
	s_or_b32 exec_lo, exec_lo, s8
	v_max_f64 v[5:6], v[57:58], v[57:58]
	v_max_f64 v[7:8], v[35:36], v[35:36]
	v_cmp_u_f64_e64 s3, v[35:36], v[35:36]
	v_cmp_u_f64_e64 s2, v[57:58], v[57:58]
	v_min_f64 v[9:10], v[7:8], v[5:6]
	v_max_f64 v[7:8], v[7:8], v[5:6]
	v_cndmask_b32_e64 v9, v9, v35, s3
	v_cndmask_b32_e64 v10, v10, v36, s3
	v_cndmask_b32_e64 v8, v8, v36, s3
	v_cndmask_b32_e64 v7, v7, v35, s3
	v_cndmask_b32_e64 v9, v9, v57, s2
	v_cndmask_b32_e64 v10, v10, v58, s2
	v_cndmask_b32_e64 v8, v8, v58, s2
	v_cndmask_b32_e64 v7, v7, v57, s2
	v_cmp_class_f64_e64 s4, v[9:10], 0x1f8
	v_cmp_neq_f64_e64 s3, v[9:10], v[7:8]
	s_or_b32 s3, s3, s4
	s_and_saveexec_b32 s10, s3
	s_cbranch_execz .LBB74_204
; %bb.203:
	v_add_f64 v[9:10], v[9:10], -v[7:8]
	s_mov_b32 s4, 0x652b82fe
	s_mov_b32 s5, 0x3ff71547
	;; [unrolled: 1-line block ×10, first 2 shown]
	v_mul_f64 v[11:12], v[9:10], s[4:5]
	s_mov_b32 s4, 0xfca7ab0c
	s_mov_b32 s5, 0x3e928af3
	v_cmp_nlt_f64_e64 s3, 0x40900000, v[9:10]
	v_rndne_f64_e32 v[11:12], v[11:12]
	v_fma_f64 v[13:14], v[11:12], s[6:7], v[9:10]
	v_cvt_i32_f64_e32 v17, v[11:12]
	s_mov_b32 s7, 0x3fe62e42
	v_fma_f64 v[13:14], v[11:12], s[8:9], v[13:14]
	s_mov_b32 s9, 0x3c7abc9e
	v_fma_f64 v[15:16], v[13:14], s[12:13], s[4:5]
	s_mov_b32 s4, 0x623fde64
	s_mov_b32 s5, 0x3ec71dee
	;; [unrolled: 1-line block ×4, first 2 shown]
	v_fma_f64 v[15:16], v[13:14], v[15:16], s[4:5]
	s_mov_b32 s4, 0x7c89e6b0
	s_mov_b32 s5, 0x3efa0199
	v_fma_f64 v[15:16], v[13:14], v[15:16], s[4:5]
	s_mov_b32 s4, 0x14761f6e
	s_mov_b32 s5, 0x3f2a01a0
	;; [unrolled: 3-line block ×7, first 2 shown]
	v_fma_f64 v[15:16], v[13:14], v[15:16], s[4:5]
	v_cmp_ngt_f64_e64 s4, 0xc090cc00, v[9:10]
	s_mov_b32 s5, 0x3fe55555
	v_fma_f64 v[15:16], v[13:14], v[15:16], 1.0
	v_fma_f64 v[11:12], v[13:14], v[15:16], 1.0
	v_ldexp_f64 v[11:12], v[11:12], v17
	v_cndmask_b32_e64 v12, 0x7ff00000, v12, s3
	s_and_b32 s3, s4, s3
	v_cndmask_b32_e64 v9, 0, v11, s3
	v_cndmask_b32_e64 v10, 0, v12, s4
	s_mov_b32 s4, 0x55555555
	v_add_f64 v[11:12], v[9:10], 1.0
	v_frexp_mant_f64_e32 v[13:14], v[11:12]
	v_frexp_exp_i32_f64_e32 v17, v[11:12]
	v_add_f64 v[15:16], v[11:12], -1.0
	v_cmp_gt_f64_e64 s3, s[4:5], v[13:14]
	s_mov_b32 s4, 0x55555780
	v_add_f64 v[13:14], v[15:16], -v[11:12]
	v_add_f64 v[15:16], v[9:10], -v[15:16]
	v_subrev_co_ci_u32_e64 v65, null, 0, v17, s3
	v_add_f64 v[13:14], v[13:14], 1.0
	v_cmp_nge_f64_e64 s3, -1.0, v[9:10]
	v_sub_nc_u32_e32 v19, 0, v65
	v_ldexp_f64 v[11:12], v[11:12], v19
	v_add_f64 v[13:14], v[15:16], v[13:14]
	v_add_f64 v[17:18], v[11:12], 1.0
	v_add_f64 v[23:24], v[11:12], -1.0
	v_ldexp_f64 v[13:14], v[13:14], v19
	v_add_f64 v[15:16], v[17:18], -1.0
	v_add_f64 v[25:26], v[23:24], 1.0
	v_add_f64 v[15:16], v[11:12], -v[15:16]
	v_add_f64 v[11:12], v[11:12], -v[25:26]
	v_add_f64 v[15:16], v[13:14], v[15:16]
	v_add_f64 v[11:12], v[13:14], v[11:12]
	;; [unrolled: 1-line block ×4, first 2 shown]
	v_rcp_f64_e32 v[21:22], v[19:20]
	v_add_f64 v[17:18], v[19:20], -v[17:18]
	v_add_f64 v[23:24], v[25:26], -v[23:24]
	v_add_f64 v[15:16], v[15:16], -v[17:18]
	v_fma_f64 v[27:28], -v[19:20], v[21:22], 1.0
	v_add_f64 v[11:12], v[11:12], -v[23:24]
	v_fma_f64 v[21:22], v[27:28], v[21:22], v[21:22]
	v_fma_f64 v[13:14], -v[19:20], v[21:22], 1.0
	v_fma_f64 v[13:14], v[13:14], v[21:22], v[21:22]
	v_mul_f64 v[21:22], v[25:26], v[13:14]
	v_mul_f64 v[27:28], v[19:20], v[21:22]
	v_fma_f64 v[17:18], v[21:22], v[19:20], -v[27:28]
	v_fma_f64 v[17:18], v[21:22], v[15:16], v[17:18]
	v_add_f64 v[35:36], v[27:28], v[17:18]
	v_add_f64 v[63:64], v[25:26], -v[35:36]
	v_add_f64 v[23:24], v[35:36], -v[27:28]
	;; [unrolled: 1-line block ×5, first 2 shown]
	v_add_f64 v[11:12], v[11:12], v[25:26]
	v_add_f64 v[11:12], v[17:18], v[11:12]
	;; [unrolled: 1-line block ×3, first 2 shown]
	v_mul_f64 v[23:24], v[13:14], v[17:18]
	v_add_f64 v[35:36], v[63:64], -v[17:18]
	v_mul_f64 v[25:26], v[19:20], v[23:24]
	v_add_f64 v[11:12], v[11:12], v[35:36]
	v_fma_f64 v[19:20], v[23:24], v[19:20], -v[25:26]
	v_fma_f64 v[15:16], v[23:24], v[15:16], v[19:20]
	v_add_f64 v[19:20], v[25:26], v[15:16]
	v_add_f64 v[27:28], v[17:18], -v[19:20]
	v_add_f64 v[25:26], v[19:20], -v[25:26]
	v_add_f64 v[17:18], v[17:18], -v[27:28]
	v_add_f64 v[15:16], v[25:26], -v[15:16]
	v_add_f64 v[17:18], v[17:18], -v[19:20]
	v_add_f64 v[11:12], v[11:12], v[17:18]
	v_add_f64 v[17:18], v[21:22], v[23:24]
	;; [unrolled: 1-line block ×3, first 2 shown]
	v_add_f64 v[15:16], v[17:18], -v[21:22]
	v_add_f64 v[11:12], v[27:28], v[11:12]
	v_add_f64 v[15:16], v[23:24], -v[15:16]
	v_mul_f64 v[11:12], v[13:14], v[11:12]
	v_add_f64 v[11:12], v[15:16], v[11:12]
	v_add_f64 v[13:14], v[17:18], v[11:12]
	v_mul_f64 v[15:16], v[13:14], v[13:14]
	v_fma_f64 v[19:20], v[15:16], s[16:17], s[12:13]
	s_mov_b32 s12, 0xd7f4df2e
	s_mov_b32 s13, 0x3fc7474d
	v_mul_f64 v[21:22], v[13:14], v[15:16]
	v_fma_f64 v[19:20], v[15:16], v[19:20], s[12:13]
	s_mov_b32 s12, 0x16291751
	s_mov_b32 s13, 0x3fcc71c0
	v_fma_f64 v[19:20], v[15:16], v[19:20], s[12:13]
	s_mov_b32 s12, 0x9b27acf1
	s_mov_b32 s13, 0x3fd24924
	;; [unrolled: 3-line block ×3, first 2 shown]
	v_fma_f64 v[19:20], v[15:16], v[19:20], s[12:13]
	v_fma_f64 v[15:16], v[15:16], v[19:20], s[4:5]
	v_ldexp_f64 v[19:20], v[13:14], 1
	v_add_f64 v[13:14], v[13:14], -v[17:18]
	v_cmp_neq_f64_e64 s4, 0x7ff00000, v[9:10]
	v_cmp_ngt_f64_e64 s5, -1.0, v[9:10]
	v_mul_f64 v[15:16], v[21:22], v[15:16]
	v_cvt_f64_i32_e32 v[21:22], v65
	v_add_f64 v[11:12], v[11:12], -v[13:14]
	s_and_b32 s3, s3, s4
	v_add_f64 v[17:18], v[19:20], v[15:16]
	v_mul_f64 v[23:24], v[21:22], s[6:7]
	v_ldexp_f64 v[11:12], v[11:12], 1
	v_add_f64 v[13:14], v[17:18], -v[19:20]
	v_fma_f64 v[19:20], v[21:22], s[6:7], -v[23:24]
	v_add_f64 v[13:14], v[15:16], -v[13:14]
	v_fma_f64 v[15:16], v[21:22], s[8:9], v[19:20]
	v_add_f64 v[11:12], v[11:12], v[13:14]
	v_add_f64 v[13:14], v[23:24], v[15:16]
	;; [unrolled: 1-line block ×3, first 2 shown]
	v_add_f64 v[23:24], v[13:14], -v[23:24]
	v_add_f64 v[21:22], v[13:14], v[19:20]
	v_add_f64 v[17:18], v[19:20], -v[17:18]
	v_add_f64 v[15:16], v[15:16], -v[23:24]
	;; [unrolled: 1-line block ×6, first 2 shown]
	v_add_f64 v[19:20], v[15:16], v[11:12]
	v_add_f64 v[13:14], v[13:14], -v[27:28]
	v_add_f64 v[13:14], v[17:18], v[13:14]
	v_add_f64 v[17:18], v[19:20], -v[15:16]
	;; [unrolled: 2-line block ×3, first 2 shown]
	v_add_f64 v[11:12], v[11:12], -v[17:18]
	v_add_f64 v[23:24], v[21:22], v[13:14]
	v_add_f64 v[15:16], v[15:16], -v[19:20]
	v_add_f64 v[17:18], v[23:24], -v[21:22]
	v_add_f64 v[11:12], v[11:12], v[15:16]
	v_add_f64 v[13:14], v[13:14], -v[17:18]
	v_add_f64 v[11:12], v[11:12], v[13:14]
	v_add_f64 v[11:12], v[23:24], v[11:12]
	v_cndmask_b32_e64 v11, 0, v11, s3
	v_cmp_neq_f64_e64 s3, -1.0, v[9:10]
	v_cndmask_b32_e64 v12, 0x7ff00000, v12, s4
	v_cndmask_b32_e64 v12, 0x7ff80000, v12, s5
	;; [unrolled: 1-line block ×3, first 2 shown]
	v_add_f64 v[35:36], v[7:8], v[11:12]
.LBB74_204:
	s_or_b32 exec_lo, exec_lo, s10
	v_max_f64 v[7:8], v[59:60], v[59:60]
	v_max_f64 v[9:10], v[35:36], v[35:36]
	v_cmp_u_f64_e64 s4, v[35:36], v[35:36]
	v_cmp_u_f64_e64 s3, v[59:60], v[59:60]
	v_min_f64 v[11:12], v[9:10], v[7:8]
	v_max_f64 v[9:10], v[9:10], v[7:8]
	v_cndmask_b32_e64 v11, v11, v35, s4
	v_cndmask_b32_e64 v12, v12, v36, s4
	;; [unrolled: 1-line block ×8, first 2 shown]
	v_cmp_class_f64_e64 s5, v[11:12], 0x1f8
	v_cmp_neq_f64_e64 s4, v[11:12], v[9:10]
	s_or_b32 s4, s4, s5
	s_and_saveexec_b32 s10, s4
	s_cbranch_execz .LBB74_206
; %bb.205:
	v_add_f64 v[11:12], v[11:12], -v[9:10]
	s_mov_b32 s4, 0x652b82fe
	s_mov_b32 s5, 0x3ff71547
	s_mov_b32 s7, 0xbfe62e42
	s_mov_b32 s6, 0xfefa39ef
	s_mov_b32 s9, 0xbc7abc9e
	s_mov_b32 s8, 0x3b39803f
	s_mov_b32 s12, 0x6a5dcb37
	s_mov_b32 s13, 0x3e5ade15
	s_mov_b32 s16, 0xbf559e2b
	s_mov_b32 s17, 0x3fc3ab76
	v_mul_f64 v[13:14], v[11:12], s[4:5]
	s_mov_b32 s4, 0xfca7ab0c
	s_mov_b32 s5, 0x3e928af3
	v_rndne_f64_e32 v[13:14], v[13:14]
	v_fma_f64 v[15:16], v[13:14], s[6:7], v[11:12]
	v_cvt_i32_f64_e32 v19, v[13:14]
	s_mov_b32 s7, 0x3fe62e42
	v_fma_f64 v[15:16], v[13:14], s[8:9], v[15:16]
	s_mov_b32 s9, 0x3c7abc9e
	v_fma_f64 v[17:18], v[15:16], s[12:13], s[4:5]
	s_mov_b32 s4, 0x623fde64
	s_mov_b32 s5, 0x3ec71dee
	;; [unrolled: 1-line block ×4, first 2 shown]
	v_fma_f64 v[17:18], v[15:16], v[17:18], s[4:5]
	s_mov_b32 s4, 0x7c89e6b0
	s_mov_b32 s5, 0x3efa0199
	v_fma_f64 v[17:18], v[15:16], v[17:18], s[4:5]
	s_mov_b32 s4, 0x14761f6e
	s_mov_b32 s5, 0x3f2a01a0
	;; [unrolled: 3-line block ×7, first 2 shown]
	v_fma_f64 v[17:18], v[15:16], v[17:18], s[4:5]
	v_cmp_nlt_f64_e64 s4, 0x40900000, v[11:12]
	v_cmp_ngt_f64_e64 s5, 0xc090cc00, v[11:12]
	v_fma_f64 v[17:18], v[15:16], v[17:18], 1.0
	v_fma_f64 v[13:14], v[15:16], v[17:18], 1.0
	v_ldexp_f64 v[13:14], v[13:14], v19
	v_cndmask_b32_e64 v14, 0x7ff00000, v14, s4
	s_and_b32 s4, s5, s4
	v_cndmask_b32_e64 v11, 0, v13, s4
	s_mov_b32 s4, 0x55555555
	v_cndmask_b32_e64 v12, 0, v14, s5
	s_mov_b32 s5, 0x3fe55555
	v_add_f64 v[13:14], v[11:12], 1.0
	v_frexp_mant_f64_e32 v[15:16], v[13:14]
	v_frexp_exp_i32_f64_e32 v19, v[13:14]
	v_add_f64 v[17:18], v[13:14], -1.0
	v_cmp_gt_f64_e64 s4, s[4:5], v[15:16]
	v_add_f64 v[15:16], v[17:18], -v[13:14]
	v_add_f64 v[17:18], v[11:12], -v[17:18]
	v_subrev_co_ci_u32_e64 v67, null, 0, v19, s4
	v_add_f64 v[15:16], v[15:16], 1.0
	s_mov_b32 s4, 0x55555780
	v_sub_nc_u32_e32 v21, 0, v67
	v_ldexp_f64 v[13:14], v[13:14], v21
	v_add_f64 v[15:16], v[17:18], v[15:16]
	v_add_f64 v[19:20], v[13:14], 1.0
	v_add_f64 v[25:26], v[13:14], -1.0
	v_ldexp_f64 v[15:16], v[15:16], v21
	v_add_f64 v[17:18], v[19:20], -1.0
	v_add_f64 v[27:28], v[25:26], 1.0
	v_add_f64 v[17:18], v[13:14], -v[17:18]
	v_add_f64 v[13:14], v[13:14], -v[27:28]
	v_add_f64 v[17:18], v[15:16], v[17:18]
	v_add_f64 v[13:14], v[15:16], v[13:14]
	;; [unrolled: 1-line block ×4, first 2 shown]
	v_rcp_f64_e32 v[23:24], v[21:22]
	v_add_f64 v[19:20], v[21:22], -v[19:20]
	v_add_f64 v[25:26], v[27:28], -v[25:26]
	;; [unrolled: 1-line block ×3, first 2 shown]
	v_fma_f64 v[35:36], -v[21:22], v[23:24], 1.0
	v_add_f64 v[13:14], v[13:14], -v[25:26]
	v_fma_f64 v[23:24], v[35:36], v[23:24], v[23:24]
	v_fma_f64 v[15:16], -v[21:22], v[23:24], 1.0
	v_fma_f64 v[15:16], v[15:16], v[23:24], v[23:24]
	v_mul_f64 v[23:24], v[27:28], v[15:16]
	v_mul_f64 v[35:36], v[21:22], v[23:24]
	v_fma_f64 v[19:20], v[23:24], v[21:22], -v[35:36]
	v_fma_f64 v[19:20], v[23:24], v[17:18], v[19:20]
	v_add_f64 v[63:64], v[35:36], v[19:20]
	v_add_f64 v[65:66], v[27:28], -v[63:64]
	v_add_f64 v[25:26], v[63:64], -v[35:36]
	;; [unrolled: 1-line block ×5, first 2 shown]
	v_add_f64 v[13:14], v[13:14], v[27:28]
	v_add_f64 v[13:14], v[19:20], v[13:14]
	;; [unrolled: 1-line block ×3, first 2 shown]
	v_mul_f64 v[25:26], v[15:16], v[19:20]
	v_add_f64 v[63:64], v[65:66], -v[19:20]
	v_mul_f64 v[27:28], v[21:22], v[25:26]
	v_add_f64 v[13:14], v[13:14], v[63:64]
	v_fma_f64 v[21:22], v[25:26], v[21:22], -v[27:28]
	v_fma_f64 v[17:18], v[25:26], v[17:18], v[21:22]
	v_add_f64 v[21:22], v[27:28], v[17:18]
	v_add_f64 v[35:36], v[19:20], -v[21:22]
	v_add_f64 v[27:28], v[21:22], -v[27:28]
	;; [unrolled: 1-line block ×5, first 2 shown]
	v_add_f64 v[13:14], v[13:14], v[19:20]
	v_add_f64 v[19:20], v[23:24], v[25:26]
	;; [unrolled: 1-line block ×3, first 2 shown]
	v_add_f64 v[17:18], v[19:20], -v[23:24]
	v_add_f64 v[13:14], v[35:36], v[13:14]
	v_add_f64 v[17:18], v[25:26], -v[17:18]
	v_mul_f64 v[13:14], v[15:16], v[13:14]
	v_add_f64 v[13:14], v[17:18], v[13:14]
	v_add_f64 v[15:16], v[19:20], v[13:14]
	v_mul_f64 v[17:18], v[15:16], v[15:16]
	v_fma_f64 v[21:22], v[17:18], s[16:17], s[12:13]
	s_mov_b32 s12, 0xd7f4df2e
	s_mov_b32 s13, 0x3fc7474d
	v_mul_f64 v[23:24], v[15:16], v[17:18]
	v_fma_f64 v[21:22], v[17:18], v[21:22], s[12:13]
	s_mov_b32 s12, 0x16291751
	s_mov_b32 s13, 0x3fcc71c0
	v_fma_f64 v[21:22], v[17:18], v[21:22], s[12:13]
	s_mov_b32 s12, 0x9b27acf1
	s_mov_b32 s13, 0x3fd24924
	;; [unrolled: 3-line block ×3, first 2 shown]
	v_fma_f64 v[21:22], v[17:18], v[21:22], s[12:13]
	v_fma_f64 v[17:18], v[17:18], v[21:22], s[4:5]
	v_ldexp_f64 v[21:22], v[15:16], 1
	v_add_f64 v[15:16], v[15:16], -v[19:20]
	v_cmp_nge_f64_e64 s4, -1.0, v[11:12]
	v_cmp_neq_f64_e64 s5, 0x7ff00000, v[11:12]
	v_mul_f64 v[17:18], v[23:24], v[17:18]
	v_cvt_f64_i32_e32 v[23:24], v67
	v_add_f64 v[13:14], v[13:14], -v[15:16]
	s_and_b32 s4, s4, s5
	v_add_f64 v[19:20], v[21:22], v[17:18]
	v_mul_f64 v[25:26], v[23:24], s[6:7]
	v_ldexp_f64 v[13:14], v[13:14], 1
	v_add_f64 v[15:16], v[19:20], -v[21:22]
	v_fma_f64 v[21:22], v[23:24], s[6:7], -v[25:26]
	v_cmp_ngt_f64_e64 s6, -1.0, v[11:12]
	v_add_f64 v[15:16], v[17:18], -v[15:16]
	v_fma_f64 v[17:18], v[23:24], s[8:9], v[21:22]
	v_add_f64 v[13:14], v[13:14], v[15:16]
	v_add_f64 v[15:16], v[25:26], v[17:18]
	;; [unrolled: 1-line block ×3, first 2 shown]
	v_add_f64 v[25:26], v[15:16], -v[25:26]
	v_add_f64 v[23:24], v[15:16], v[21:22]
	v_add_f64 v[19:20], v[21:22], -v[19:20]
	v_add_f64 v[17:18], v[17:18], -v[25:26]
	;; [unrolled: 1-line block ×6, first 2 shown]
	v_add_f64 v[21:22], v[17:18], v[13:14]
	v_add_f64 v[15:16], v[15:16], -v[35:36]
	v_add_f64 v[15:16], v[19:20], v[15:16]
	v_add_f64 v[19:20], v[21:22], -v[17:18]
	;; [unrolled: 2-line block ×3, first 2 shown]
	v_add_f64 v[13:14], v[13:14], -v[19:20]
	v_add_f64 v[25:26], v[23:24], v[15:16]
	v_add_f64 v[17:18], v[17:18], -v[21:22]
	v_add_f64 v[19:20], v[25:26], -v[23:24]
	v_add_f64 v[13:14], v[13:14], v[17:18]
	v_add_f64 v[15:16], v[15:16], -v[19:20]
	v_add_f64 v[13:14], v[13:14], v[15:16]
	v_add_f64 v[13:14], v[25:26], v[13:14]
	v_cndmask_b32_e64 v13, 0, v13, s4
	v_cmp_neq_f64_e64 s4, -1.0, v[11:12]
	v_cndmask_b32_e64 v14, 0x7ff00000, v14, s5
	v_cndmask_b32_e64 v14, 0x7ff80000, v14, s6
	;; [unrolled: 1-line block ×3, first 2 shown]
	v_add_f64 v[35:36], v[9:10], v[13:14]
.LBB74_206:
	s_or_b32 exec_lo, exec_lo, s10
	v_max_f64 v[9:10], v[53:54], v[53:54]
	v_max_f64 v[11:12], v[35:36], v[35:36]
	v_cmp_u_f64_e64 s5, v[35:36], v[35:36]
	v_cmp_u_f64_e64 s4, v[53:54], v[53:54]
	v_min_f64 v[13:14], v[11:12], v[9:10]
	v_max_f64 v[11:12], v[11:12], v[9:10]
	v_cndmask_b32_e64 v13, v13, v35, s5
	v_cndmask_b32_e64 v14, v14, v36, s5
	;; [unrolled: 1-line block ×8, first 2 shown]
	v_cmp_class_f64_e64 s6, v[13:14], 0x1f8
	v_cmp_neq_f64_e64 s5, v[13:14], v[11:12]
	s_or_b32 s5, s5, s6
	s_and_saveexec_b32 s12, s5
	s_cbranch_execz .LBB74_208
; %bb.207:
	v_add_f64 v[13:14], v[13:14], -v[11:12]
	s_mov_b32 s6, 0x652b82fe
	s_mov_b32 s7, 0x3ff71547
	;; [unrolled: 1-line block ×10, first 2 shown]
	v_mul_f64 v[15:16], v[13:14], s[6:7]
	s_mov_b32 s6, 0xfca7ab0c
	s_mov_b32 s7, 0x3e928af3
	v_cmp_nlt_f64_e64 s5, 0x40900000, v[13:14]
	v_rndne_f64_e32 v[15:16], v[15:16]
	v_fma_f64 v[17:18], v[15:16], s[8:9], v[13:14]
	v_cvt_i32_f64_e32 v21, v[15:16]
	s_mov_b32 s9, 0x3fe62e42
	v_fma_f64 v[17:18], v[15:16], s[10:11], v[17:18]
	s_mov_b32 s11, 0x3c7abc9e
	v_fma_f64 v[19:20], v[17:18], s[16:17], s[6:7]
	s_mov_b32 s6, 0x623fde64
	s_mov_b32 s7, 0x3ec71dee
	;; [unrolled: 1-line block ×4, first 2 shown]
	v_fma_f64 v[19:20], v[17:18], v[19:20], s[6:7]
	s_mov_b32 s6, 0x7c89e6b0
	s_mov_b32 s7, 0x3efa0199
	v_fma_f64 v[19:20], v[17:18], v[19:20], s[6:7]
	s_mov_b32 s6, 0x14761f6e
	s_mov_b32 s7, 0x3f2a01a0
	;; [unrolled: 3-line block ×7, first 2 shown]
	v_fma_f64 v[19:20], v[17:18], v[19:20], s[6:7]
	v_cmp_ngt_f64_e64 s6, 0xc090cc00, v[13:14]
	s_mov_b32 s7, 0x3fe55555
	v_fma_f64 v[19:20], v[17:18], v[19:20], 1.0
	v_fma_f64 v[15:16], v[17:18], v[19:20], 1.0
	v_ldexp_f64 v[15:16], v[15:16], v21
	v_cndmask_b32_e64 v16, 0x7ff00000, v16, s5
	s_and_b32 s5, s6, s5
	v_cndmask_b32_e64 v13, 0, v15, s5
	v_cndmask_b32_e64 v14, 0, v16, s6
	s_mov_b32 s6, 0x55555555
	v_add_f64 v[15:16], v[13:14], 1.0
	v_frexp_mant_f64_e32 v[17:18], v[15:16]
	v_frexp_exp_i32_f64_e32 v21, v[15:16]
	v_add_f64 v[19:20], v[15:16], -1.0
	v_cmp_gt_f64_e64 s5, s[6:7], v[17:18]
	s_mov_b32 s6, 0x55555780
	v_add_f64 v[17:18], v[19:20], -v[15:16]
	v_add_f64 v[19:20], v[13:14], -v[19:20]
	v_subrev_co_ci_u32_e64 v69, null, 0, v21, s5
	v_add_f64 v[17:18], v[17:18], 1.0
	v_cmp_nge_f64_e64 s5, -1.0, v[13:14]
	v_sub_nc_u32_e32 v23, 0, v69
	v_ldexp_f64 v[15:16], v[15:16], v23
	v_add_f64 v[17:18], v[19:20], v[17:18]
	v_add_f64 v[21:22], v[15:16], 1.0
	v_add_f64 v[27:28], v[15:16], -1.0
	v_ldexp_f64 v[17:18], v[17:18], v23
	v_add_f64 v[19:20], v[21:22], -1.0
	v_add_f64 v[35:36], v[27:28], 1.0
	v_add_f64 v[19:20], v[15:16], -v[19:20]
	v_add_f64 v[15:16], v[15:16], -v[35:36]
	v_add_f64 v[19:20], v[17:18], v[19:20]
	v_add_f64 v[15:16], v[17:18], v[15:16]
	;; [unrolled: 1-line block ×4, first 2 shown]
	v_rcp_f64_e32 v[25:26], v[23:24]
	v_add_f64 v[21:22], v[23:24], -v[21:22]
	v_add_f64 v[27:28], v[35:36], -v[27:28]
	;; [unrolled: 1-line block ×3, first 2 shown]
	v_fma_f64 v[63:64], -v[23:24], v[25:26], 1.0
	v_add_f64 v[15:16], v[15:16], -v[27:28]
	v_fma_f64 v[25:26], v[63:64], v[25:26], v[25:26]
	v_fma_f64 v[17:18], -v[23:24], v[25:26], 1.0
	v_fma_f64 v[17:18], v[17:18], v[25:26], v[25:26]
	v_mul_f64 v[25:26], v[35:36], v[17:18]
	v_mul_f64 v[63:64], v[23:24], v[25:26]
	v_fma_f64 v[21:22], v[25:26], v[23:24], -v[63:64]
	v_fma_f64 v[21:22], v[25:26], v[19:20], v[21:22]
	v_add_f64 v[65:66], v[63:64], v[21:22]
	v_add_f64 v[67:68], v[35:36], -v[65:66]
	v_add_f64 v[27:28], v[65:66], -v[63:64]
	;; [unrolled: 1-line block ×5, first 2 shown]
	v_add_f64 v[15:16], v[15:16], v[35:36]
	v_add_f64 v[15:16], v[21:22], v[15:16]
	;; [unrolled: 1-line block ×3, first 2 shown]
	v_mul_f64 v[27:28], v[17:18], v[21:22]
	v_add_f64 v[65:66], v[67:68], -v[21:22]
	v_mul_f64 v[35:36], v[23:24], v[27:28]
	v_add_f64 v[15:16], v[15:16], v[65:66]
	v_fma_f64 v[23:24], v[27:28], v[23:24], -v[35:36]
	v_fma_f64 v[19:20], v[27:28], v[19:20], v[23:24]
	v_add_f64 v[23:24], v[35:36], v[19:20]
	v_add_f64 v[63:64], v[21:22], -v[23:24]
	v_add_f64 v[35:36], v[23:24], -v[35:36]
	;; [unrolled: 1-line block ×5, first 2 shown]
	v_add_f64 v[15:16], v[15:16], v[21:22]
	v_add_f64 v[21:22], v[25:26], v[27:28]
	;; [unrolled: 1-line block ×3, first 2 shown]
	v_add_f64 v[19:20], v[21:22], -v[25:26]
	v_add_f64 v[15:16], v[63:64], v[15:16]
	v_add_f64 v[19:20], v[27:28], -v[19:20]
	v_mul_f64 v[15:16], v[17:18], v[15:16]
	v_add_f64 v[15:16], v[19:20], v[15:16]
	v_add_f64 v[17:18], v[21:22], v[15:16]
	v_mul_f64 v[19:20], v[17:18], v[17:18]
	v_fma_f64 v[23:24], v[19:20], s[18:19], s[16:17]
	s_mov_b32 s16, 0xd7f4df2e
	s_mov_b32 s17, 0x3fc7474d
	v_mul_f64 v[25:26], v[17:18], v[19:20]
	v_fma_f64 v[23:24], v[19:20], v[23:24], s[16:17]
	s_mov_b32 s16, 0x16291751
	s_mov_b32 s17, 0x3fcc71c0
	v_fma_f64 v[23:24], v[19:20], v[23:24], s[16:17]
	s_mov_b32 s16, 0x9b27acf1
	s_mov_b32 s17, 0x3fd24924
	;; [unrolled: 3-line block ×3, first 2 shown]
	v_fma_f64 v[23:24], v[19:20], v[23:24], s[16:17]
	v_fma_f64 v[19:20], v[19:20], v[23:24], s[6:7]
	v_ldexp_f64 v[23:24], v[17:18], 1
	v_add_f64 v[17:18], v[17:18], -v[21:22]
	v_cmp_neq_f64_e64 s6, 0x7ff00000, v[13:14]
	v_cmp_ngt_f64_e64 s7, -1.0, v[13:14]
	v_mul_f64 v[19:20], v[25:26], v[19:20]
	v_cvt_f64_i32_e32 v[25:26], v69
	v_add_f64 v[15:16], v[15:16], -v[17:18]
	s_and_b32 s5, s5, s6
	v_add_f64 v[21:22], v[23:24], v[19:20]
	v_mul_f64 v[27:28], v[25:26], s[8:9]
	v_ldexp_f64 v[15:16], v[15:16], 1
	v_add_f64 v[17:18], v[21:22], -v[23:24]
	v_fma_f64 v[23:24], v[25:26], s[8:9], -v[27:28]
	v_add_f64 v[17:18], v[19:20], -v[17:18]
	v_fma_f64 v[19:20], v[25:26], s[10:11], v[23:24]
	v_add_f64 v[15:16], v[15:16], v[17:18]
	v_add_f64 v[17:18], v[27:28], v[19:20]
	;; [unrolled: 1-line block ×3, first 2 shown]
	v_add_f64 v[27:28], v[17:18], -v[27:28]
	v_add_f64 v[25:26], v[17:18], v[23:24]
	v_add_f64 v[21:22], v[23:24], -v[21:22]
	v_add_f64 v[19:20], v[19:20], -v[27:28]
	;; [unrolled: 1-line block ×6, first 2 shown]
	v_add_f64 v[23:24], v[19:20], v[15:16]
	v_add_f64 v[17:18], v[17:18], -v[63:64]
	v_add_f64 v[17:18], v[21:22], v[17:18]
	v_add_f64 v[21:22], v[23:24], -v[19:20]
	;; [unrolled: 2-line block ×3, first 2 shown]
	v_add_f64 v[15:16], v[15:16], -v[21:22]
	v_add_f64 v[27:28], v[25:26], v[17:18]
	v_add_f64 v[19:20], v[19:20], -v[23:24]
	v_add_f64 v[21:22], v[27:28], -v[25:26]
	v_add_f64 v[15:16], v[15:16], v[19:20]
	v_add_f64 v[17:18], v[17:18], -v[21:22]
	v_add_f64 v[15:16], v[15:16], v[17:18]
	v_add_f64 v[15:16], v[27:28], v[15:16]
	v_cndmask_b32_e64 v15, 0, v15, s5
	v_cmp_neq_f64_e64 s5, -1.0, v[13:14]
	v_cndmask_b32_e64 v16, 0x7ff00000, v16, s6
	v_cndmask_b32_e64 v16, 0x7ff80000, v16, s7
	;; [unrolled: 1-line block ×3, first 2 shown]
	v_add_f64 v[35:36], v[11:12], v[15:16]
.LBB74_208:
	s_or_b32 exec_lo, exec_lo, s12
	v_max_f64 v[11:12], v[55:56], v[55:56]
	v_max_f64 v[13:14], v[35:36], v[35:36]
	v_cmp_u_f64_e64 s6, v[35:36], v[35:36]
	v_cmp_u_f64_e64 s5, v[55:56], v[55:56]
	v_min_f64 v[15:16], v[13:14], v[11:12]
	v_max_f64 v[13:14], v[13:14], v[11:12]
	v_cndmask_b32_e64 v15, v15, v35, s6
	v_cndmask_b32_e64 v16, v16, v36, s6
	;; [unrolled: 1-line block ×8, first 2 shown]
	v_cmp_class_f64_e64 s7, v[15:16], 0x1f8
	v_cmp_neq_f64_e64 s6, v[15:16], v[13:14]
	s_or_b32 s6, s6, s7
	s_and_saveexec_b32 s12, s6
	s_cbranch_execz .LBB74_210
; %bb.209:
	v_add_f64 v[15:16], v[15:16], -v[13:14]
	s_mov_b32 s6, 0x652b82fe
	s_mov_b32 s7, 0x3ff71547
	;; [unrolled: 1-line block ×10, first 2 shown]
	v_mul_f64 v[17:18], v[15:16], s[6:7]
	s_mov_b32 s6, 0xfca7ab0c
	s_mov_b32 s7, 0x3e928af3
	v_rndne_f64_e32 v[17:18], v[17:18]
	v_fma_f64 v[19:20], v[17:18], s[8:9], v[15:16]
	v_cvt_i32_f64_e32 v23, v[17:18]
	s_mov_b32 s9, 0x3fe62e42
	v_fma_f64 v[19:20], v[17:18], s[10:11], v[19:20]
	s_mov_b32 s11, 0x3c7abc9e
	v_fma_f64 v[21:22], v[19:20], s[16:17], s[6:7]
	s_mov_b32 s6, 0x623fde64
	s_mov_b32 s7, 0x3ec71dee
	;; [unrolled: 1-line block ×4, first 2 shown]
	v_fma_f64 v[21:22], v[19:20], v[21:22], s[6:7]
	s_mov_b32 s6, 0x7c89e6b0
	s_mov_b32 s7, 0x3efa0199
	v_fma_f64 v[21:22], v[19:20], v[21:22], s[6:7]
	s_mov_b32 s6, 0x14761f6e
	s_mov_b32 s7, 0x3f2a01a0
	;; [unrolled: 3-line block ×7, first 2 shown]
	v_fma_f64 v[21:22], v[19:20], v[21:22], s[6:7]
	v_cmp_nlt_f64_e64 s6, 0x40900000, v[15:16]
	v_cmp_ngt_f64_e64 s7, 0xc090cc00, v[15:16]
	v_fma_f64 v[21:22], v[19:20], v[21:22], 1.0
	v_fma_f64 v[17:18], v[19:20], v[21:22], 1.0
	v_ldexp_f64 v[17:18], v[17:18], v23
	v_cndmask_b32_e64 v18, 0x7ff00000, v18, s6
	s_and_b32 s6, s7, s6
	v_cndmask_b32_e64 v15, 0, v17, s6
	s_mov_b32 s6, 0x55555555
	v_cndmask_b32_e64 v16, 0, v18, s7
	s_mov_b32 s7, 0x3fe55555
	v_add_f64 v[17:18], v[15:16], 1.0
	v_frexp_mant_f64_e32 v[19:20], v[17:18]
	v_frexp_exp_i32_f64_e32 v23, v[17:18]
	v_add_f64 v[21:22], v[17:18], -1.0
	v_cmp_gt_f64_e64 s6, s[6:7], v[19:20]
	v_add_f64 v[19:20], v[21:22], -v[17:18]
	v_add_f64 v[21:22], v[15:16], -v[21:22]
	v_subrev_co_ci_u32_e64 v71, null, 0, v23, s6
	v_add_f64 v[19:20], v[19:20], 1.0
	s_mov_b32 s6, 0x55555780
	v_sub_nc_u32_e32 v25, 0, v71
	v_ldexp_f64 v[17:18], v[17:18], v25
	v_add_f64 v[19:20], v[21:22], v[19:20]
	v_add_f64 v[23:24], v[17:18], 1.0
	v_add_f64 v[35:36], v[17:18], -1.0
	v_ldexp_f64 v[19:20], v[19:20], v25
	v_add_f64 v[21:22], v[23:24], -1.0
	v_add_f64 v[63:64], v[35:36], 1.0
	v_add_f64 v[21:22], v[17:18], -v[21:22]
	v_add_f64 v[17:18], v[17:18], -v[63:64]
	v_add_f64 v[21:22], v[19:20], v[21:22]
	v_add_f64 v[17:18], v[19:20], v[17:18]
	;; [unrolled: 1-line block ×4, first 2 shown]
	v_rcp_f64_e32 v[27:28], v[25:26]
	v_add_f64 v[23:24], v[25:26], -v[23:24]
	v_add_f64 v[35:36], v[63:64], -v[35:36]
	;; [unrolled: 1-line block ×3, first 2 shown]
	v_fma_f64 v[65:66], -v[25:26], v[27:28], 1.0
	v_add_f64 v[17:18], v[17:18], -v[35:36]
	v_fma_f64 v[27:28], v[65:66], v[27:28], v[27:28]
	v_fma_f64 v[19:20], -v[25:26], v[27:28], 1.0
	v_fma_f64 v[19:20], v[19:20], v[27:28], v[27:28]
	v_mul_f64 v[27:28], v[63:64], v[19:20]
	v_mul_f64 v[65:66], v[25:26], v[27:28]
	v_fma_f64 v[23:24], v[27:28], v[25:26], -v[65:66]
	v_fma_f64 v[23:24], v[27:28], v[21:22], v[23:24]
	v_add_f64 v[67:68], v[65:66], v[23:24]
	v_add_f64 v[69:70], v[63:64], -v[67:68]
	v_add_f64 v[35:36], v[67:68], -v[65:66]
	;; [unrolled: 1-line block ×5, first 2 shown]
	v_add_f64 v[17:18], v[17:18], v[63:64]
	v_add_f64 v[17:18], v[23:24], v[17:18]
	;; [unrolled: 1-line block ×3, first 2 shown]
	v_mul_f64 v[35:36], v[19:20], v[23:24]
	v_add_f64 v[67:68], v[69:70], -v[23:24]
	v_mul_f64 v[63:64], v[25:26], v[35:36]
	v_add_f64 v[17:18], v[17:18], v[67:68]
	v_fma_f64 v[25:26], v[35:36], v[25:26], -v[63:64]
	v_fma_f64 v[21:22], v[35:36], v[21:22], v[25:26]
	v_add_f64 v[25:26], v[63:64], v[21:22]
	v_add_f64 v[65:66], v[23:24], -v[25:26]
	v_add_f64 v[63:64], v[25:26], -v[63:64]
	;; [unrolled: 1-line block ×5, first 2 shown]
	v_add_f64 v[17:18], v[17:18], v[23:24]
	v_add_f64 v[23:24], v[27:28], v[35:36]
	;; [unrolled: 1-line block ×3, first 2 shown]
	v_add_f64 v[21:22], v[23:24], -v[27:28]
	v_add_f64 v[17:18], v[65:66], v[17:18]
	v_add_f64 v[21:22], v[35:36], -v[21:22]
	v_mul_f64 v[17:18], v[19:20], v[17:18]
	v_add_f64 v[17:18], v[21:22], v[17:18]
	v_add_f64 v[19:20], v[23:24], v[17:18]
	v_mul_f64 v[21:22], v[19:20], v[19:20]
	v_fma_f64 v[25:26], v[21:22], s[18:19], s[16:17]
	s_mov_b32 s16, 0xd7f4df2e
	s_mov_b32 s17, 0x3fc7474d
	v_mul_f64 v[27:28], v[19:20], v[21:22]
	v_fma_f64 v[25:26], v[21:22], v[25:26], s[16:17]
	s_mov_b32 s16, 0x16291751
	s_mov_b32 s17, 0x3fcc71c0
	v_fma_f64 v[25:26], v[21:22], v[25:26], s[16:17]
	s_mov_b32 s16, 0x9b27acf1
	s_mov_b32 s17, 0x3fd24924
	;; [unrolled: 3-line block ×3, first 2 shown]
	v_fma_f64 v[25:26], v[21:22], v[25:26], s[16:17]
	v_fma_f64 v[21:22], v[21:22], v[25:26], s[6:7]
	v_ldexp_f64 v[25:26], v[19:20], 1
	v_add_f64 v[19:20], v[19:20], -v[23:24]
	v_cmp_nge_f64_e64 s6, -1.0, v[15:16]
	v_cmp_neq_f64_e64 s7, 0x7ff00000, v[15:16]
	v_mul_f64 v[21:22], v[27:28], v[21:22]
	v_cvt_f64_i32_e32 v[27:28], v71
	v_add_f64 v[17:18], v[17:18], -v[19:20]
	s_and_b32 s6, s6, s7
	v_add_f64 v[23:24], v[25:26], v[21:22]
	v_mul_f64 v[35:36], v[27:28], s[8:9]
	v_ldexp_f64 v[17:18], v[17:18], 1
	v_add_f64 v[19:20], v[23:24], -v[25:26]
	v_fma_f64 v[25:26], v[27:28], s[8:9], -v[35:36]
	v_cmp_ngt_f64_e64 s8, -1.0, v[15:16]
	v_add_f64 v[19:20], v[21:22], -v[19:20]
	v_fma_f64 v[21:22], v[27:28], s[10:11], v[25:26]
	v_add_f64 v[17:18], v[17:18], v[19:20]
	v_add_f64 v[19:20], v[35:36], v[21:22]
	;; [unrolled: 1-line block ×3, first 2 shown]
	v_add_f64 v[35:36], v[19:20], -v[35:36]
	v_add_f64 v[27:28], v[19:20], v[25:26]
	v_add_f64 v[23:24], v[25:26], -v[23:24]
	v_add_f64 v[21:22], v[21:22], -v[35:36]
	;; [unrolled: 1-line block ×6, first 2 shown]
	v_add_f64 v[25:26], v[21:22], v[17:18]
	v_add_f64 v[19:20], v[19:20], -v[65:66]
	v_add_f64 v[19:20], v[23:24], v[19:20]
	v_add_f64 v[23:24], v[25:26], -v[21:22]
	v_add_f64 v[19:20], v[25:26], v[19:20]
	v_add_f64 v[25:26], v[25:26], -v[23:24]
	v_add_f64 v[17:18], v[17:18], -v[23:24]
	v_add_f64 v[35:36], v[27:28], v[19:20]
	v_add_f64 v[21:22], v[21:22], -v[25:26]
	v_add_f64 v[23:24], v[35:36], -v[27:28]
	v_add_f64 v[17:18], v[17:18], v[21:22]
	v_add_f64 v[19:20], v[19:20], -v[23:24]
	v_add_f64 v[17:18], v[17:18], v[19:20]
	v_add_f64 v[17:18], v[35:36], v[17:18]
	v_cndmask_b32_e64 v17, 0, v17, s6
	v_cmp_neq_f64_e64 s6, -1.0, v[15:16]
	v_cndmask_b32_e64 v18, 0x7ff00000, v18, s7
	v_cndmask_b32_e64 v18, 0x7ff80000, v18, s8
	;; [unrolled: 1-line block ×3, first 2 shown]
	v_add_f64 v[35:36], v[13:14], v[17:18]
.LBB74_210:
	s_or_b32 exec_lo, exec_lo, s12
	v_max_f64 v[13:14], v[49:50], v[49:50]
	v_max_f64 v[15:16], v[35:36], v[35:36]
	v_cmp_u_f64_e64 s7, v[35:36], v[35:36]
	v_cmp_u_f64_e64 s6, v[49:50], v[49:50]
	v_min_f64 v[17:18], v[15:16], v[13:14]
	v_max_f64 v[15:16], v[15:16], v[13:14]
	v_cndmask_b32_e64 v17, v17, v35, s7
	v_cndmask_b32_e64 v18, v18, v36, s7
	;; [unrolled: 1-line block ×8, first 2 shown]
	v_cmp_class_f64_e64 s8, v[17:18], 0x1f8
	v_cmp_neq_f64_e64 s7, v[17:18], v[15:16]
	s_or_b32 s7, s7, s8
	s_and_saveexec_b32 s15, s7
	s_cbranch_execz .LBB74_212
; %bb.211:
	v_add_f64 v[17:18], v[17:18], -v[15:16]
	s_mov_b32 s8, 0x652b82fe
	s_mov_b32 s9, 0x3ff71547
	;; [unrolled: 1-line block ×10, first 2 shown]
	v_mul_f64 v[19:20], v[17:18], s[8:9]
	s_mov_b32 s8, 0xfca7ab0c
	s_mov_b32 s9, 0x3e928af3
	v_cmp_nlt_f64_e64 s7, 0x40900000, v[17:18]
	v_rndne_f64_e32 v[19:20], v[19:20]
	v_fma_f64 v[21:22], v[19:20], s[10:11], v[17:18]
	v_cvt_i32_f64_e32 v25, v[19:20]
	s_mov_b32 s11, 0x3fe62e42
	v_fma_f64 v[21:22], v[19:20], s[12:13], v[21:22]
	s_mov_b32 s13, 0x3c7abc9e
	v_fma_f64 v[23:24], v[21:22], s[16:17], s[8:9]
	s_mov_b32 s8, 0x623fde64
	s_mov_b32 s9, 0x3ec71dee
	;; [unrolled: 1-line block ×4, first 2 shown]
	v_fma_f64 v[23:24], v[21:22], v[23:24], s[8:9]
	s_mov_b32 s8, 0x7c89e6b0
	s_mov_b32 s9, 0x3efa0199
	v_fma_f64 v[23:24], v[21:22], v[23:24], s[8:9]
	s_mov_b32 s8, 0x14761f6e
	s_mov_b32 s9, 0x3f2a01a0
	;; [unrolled: 3-line block ×7, first 2 shown]
	v_fma_f64 v[23:24], v[21:22], v[23:24], s[8:9]
	v_cmp_ngt_f64_e64 s8, 0xc090cc00, v[17:18]
	s_mov_b32 s9, 0x3fe55555
	v_fma_f64 v[23:24], v[21:22], v[23:24], 1.0
	v_fma_f64 v[19:20], v[21:22], v[23:24], 1.0
	v_ldexp_f64 v[19:20], v[19:20], v25
	v_cndmask_b32_e64 v20, 0x7ff00000, v20, s7
	s_and_b32 s7, s8, s7
	v_cndmask_b32_e64 v17, 0, v19, s7
	v_cndmask_b32_e64 v18, 0, v20, s8
	s_mov_b32 s8, 0x55555555
	v_add_f64 v[19:20], v[17:18], 1.0
	v_frexp_mant_f64_e32 v[21:22], v[19:20]
	v_frexp_exp_i32_f64_e32 v25, v[19:20]
	v_add_f64 v[23:24], v[19:20], -1.0
	v_cmp_gt_f64_e64 s7, s[8:9], v[21:22]
	s_mov_b32 s8, 0x55555780
	v_add_f64 v[21:22], v[23:24], -v[19:20]
	v_add_f64 v[23:24], v[17:18], -v[23:24]
	v_subrev_co_ci_u32_e64 v73, null, 0, v25, s7
	v_add_f64 v[21:22], v[21:22], 1.0
	v_cmp_nge_f64_e64 s7, -1.0, v[17:18]
	v_sub_nc_u32_e32 v27, 0, v73
	v_ldexp_f64 v[19:20], v[19:20], v27
	v_add_f64 v[21:22], v[23:24], v[21:22]
	v_add_f64 v[25:26], v[19:20], 1.0
	v_add_f64 v[63:64], v[19:20], -1.0
	v_ldexp_f64 v[21:22], v[21:22], v27
	v_add_f64 v[23:24], v[25:26], -1.0
	v_add_f64 v[65:66], v[63:64], 1.0
	v_add_f64 v[23:24], v[19:20], -v[23:24]
	v_add_f64 v[19:20], v[19:20], -v[65:66]
	v_add_f64 v[23:24], v[21:22], v[23:24]
	v_add_f64 v[19:20], v[21:22], v[19:20]
	;; [unrolled: 1-line block ×4, first 2 shown]
	v_rcp_f64_e32 v[35:36], v[27:28]
	v_add_f64 v[25:26], v[27:28], -v[25:26]
	v_add_f64 v[63:64], v[65:66], -v[63:64]
	;; [unrolled: 1-line block ×3, first 2 shown]
	v_fma_f64 v[67:68], -v[27:28], v[35:36], 1.0
	v_add_f64 v[19:20], v[19:20], -v[63:64]
	v_fma_f64 v[35:36], v[67:68], v[35:36], v[35:36]
	v_fma_f64 v[21:22], -v[27:28], v[35:36], 1.0
	v_fma_f64 v[21:22], v[21:22], v[35:36], v[35:36]
	v_mul_f64 v[35:36], v[65:66], v[21:22]
	v_mul_f64 v[67:68], v[27:28], v[35:36]
	v_fma_f64 v[25:26], v[35:36], v[27:28], -v[67:68]
	v_fma_f64 v[25:26], v[35:36], v[23:24], v[25:26]
	v_add_f64 v[69:70], v[67:68], v[25:26]
	v_add_f64 v[71:72], v[65:66], -v[69:70]
	v_add_f64 v[63:64], v[69:70], -v[67:68]
	;; [unrolled: 1-line block ×5, first 2 shown]
	v_add_f64 v[19:20], v[19:20], v[65:66]
	v_add_f64 v[19:20], v[25:26], v[19:20]
	v_add_f64 v[25:26], v[71:72], v[19:20]
	v_mul_f64 v[63:64], v[21:22], v[25:26]
	v_add_f64 v[69:70], v[71:72], -v[25:26]
	v_mul_f64 v[65:66], v[27:28], v[63:64]
	v_add_f64 v[19:20], v[19:20], v[69:70]
	v_fma_f64 v[27:28], v[63:64], v[27:28], -v[65:66]
	v_fma_f64 v[23:24], v[63:64], v[23:24], v[27:28]
	v_add_f64 v[27:28], v[65:66], v[23:24]
	v_add_f64 v[67:68], v[25:26], -v[27:28]
	v_add_f64 v[65:66], v[27:28], -v[65:66]
	;; [unrolled: 1-line block ×5, first 2 shown]
	v_add_f64 v[19:20], v[19:20], v[25:26]
	v_add_f64 v[25:26], v[35:36], v[63:64]
	;; [unrolled: 1-line block ×3, first 2 shown]
	v_add_f64 v[23:24], v[25:26], -v[35:36]
	v_add_f64 v[19:20], v[67:68], v[19:20]
	v_add_f64 v[23:24], v[63:64], -v[23:24]
	v_mul_f64 v[19:20], v[21:22], v[19:20]
	v_add_f64 v[19:20], v[23:24], v[19:20]
	v_add_f64 v[21:22], v[25:26], v[19:20]
	v_mul_f64 v[23:24], v[21:22], v[21:22]
	v_fma_f64 v[27:28], v[23:24], s[18:19], s[16:17]
	s_mov_b32 s16, 0xd7f4df2e
	s_mov_b32 s17, 0x3fc7474d
	v_mul_f64 v[35:36], v[21:22], v[23:24]
	v_fma_f64 v[27:28], v[23:24], v[27:28], s[16:17]
	s_mov_b32 s16, 0x16291751
	s_mov_b32 s17, 0x3fcc71c0
	v_fma_f64 v[27:28], v[23:24], v[27:28], s[16:17]
	s_mov_b32 s16, 0x9b27acf1
	s_mov_b32 s17, 0x3fd24924
	;; [unrolled: 3-line block ×3, first 2 shown]
	v_fma_f64 v[27:28], v[23:24], v[27:28], s[16:17]
	v_fma_f64 v[23:24], v[23:24], v[27:28], s[8:9]
	v_ldexp_f64 v[27:28], v[21:22], 1
	v_add_f64 v[21:22], v[21:22], -v[25:26]
	v_cmp_neq_f64_e64 s8, 0x7ff00000, v[17:18]
	v_cmp_ngt_f64_e64 s9, -1.0, v[17:18]
	v_mul_f64 v[23:24], v[35:36], v[23:24]
	v_cvt_f64_i32_e32 v[35:36], v73
	v_add_f64 v[19:20], v[19:20], -v[21:22]
	s_and_b32 s7, s7, s8
	v_add_f64 v[25:26], v[27:28], v[23:24]
	v_mul_f64 v[63:64], v[35:36], s[10:11]
	v_ldexp_f64 v[19:20], v[19:20], 1
	v_add_f64 v[21:22], v[25:26], -v[27:28]
	v_fma_f64 v[27:28], v[35:36], s[10:11], -v[63:64]
	v_add_f64 v[21:22], v[23:24], -v[21:22]
	v_fma_f64 v[23:24], v[35:36], s[12:13], v[27:28]
	v_add_f64 v[19:20], v[19:20], v[21:22]
	v_add_f64 v[21:22], v[63:64], v[23:24]
	;; [unrolled: 1-line block ×3, first 2 shown]
	v_add_f64 v[63:64], v[21:22], -v[63:64]
	v_add_f64 v[35:36], v[21:22], v[27:28]
	v_add_f64 v[25:26], v[27:28], -v[25:26]
	v_add_f64 v[23:24], v[23:24], -v[63:64]
	;; [unrolled: 1-line block ×6, first 2 shown]
	v_add_f64 v[27:28], v[23:24], v[19:20]
	v_add_f64 v[21:22], v[21:22], -v[67:68]
	v_add_f64 v[21:22], v[25:26], v[21:22]
	v_add_f64 v[25:26], v[27:28], -v[23:24]
	v_add_f64 v[21:22], v[27:28], v[21:22]
	v_add_f64 v[27:28], v[27:28], -v[25:26]
	v_add_f64 v[19:20], v[19:20], -v[25:26]
	v_add_f64 v[63:64], v[35:36], v[21:22]
	v_add_f64 v[23:24], v[23:24], -v[27:28]
	v_add_f64 v[25:26], v[63:64], -v[35:36]
	v_add_f64 v[19:20], v[19:20], v[23:24]
	v_add_f64 v[21:22], v[21:22], -v[25:26]
	v_add_f64 v[19:20], v[19:20], v[21:22]
	v_add_f64 v[19:20], v[63:64], v[19:20]
	v_cndmask_b32_e64 v19, 0, v19, s7
	v_cmp_neq_f64_e64 s7, -1.0, v[17:18]
	v_cndmask_b32_e64 v20, 0x7ff00000, v20, s8
	v_cndmask_b32_e64 v20, 0x7ff80000, v20, s9
	;; [unrolled: 1-line block ×3, first 2 shown]
	v_add_f64 v[35:36], v[15:16], v[19:20]
.LBB74_212:
	s_or_b32 exec_lo, exec_lo, s15
	v_max_f64 v[15:16], v[51:52], v[51:52]
	v_max_f64 v[17:18], v[35:36], v[35:36]
	v_cmp_u_f64_e64 s8, v[35:36], v[35:36]
	v_cmp_u_f64_e64 s7, v[51:52], v[51:52]
	v_min_f64 v[19:20], v[17:18], v[15:16]
	v_max_f64 v[17:18], v[17:18], v[15:16]
	v_cndmask_b32_e64 v19, v19, v35, s8
	v_cndmask_b32_e64 v20, v20, v36, s8
	;; [unrolled: 1-line block ×8, first 2 shown]
	v_cmp_class_f64_e64 s9, v[19:20], 0x1f8
	v_cmp_neq_f64_e64 s8, v[19:20], v[17:18]
	s_or_b32 s8, s8, s9
	s_and_saveexec_b32 s15, s8
	s_cbranch_execz .LBB74_214
; %bb.213:
	v_add_f64 v[19:20], v[19:20], -v[17:18]
	s_mov_b32 s8, 0x652b82fe
	s_mov_b32 s9, 0x3ff71547
	;; [unrolled: 1-line block ×10, first 2 shown]
	v_mul_f64 v[21:22], v[19:20], s[8:9]
	s_mov_b32 s8, 0xfca7ab0c
	s_mov_b32 s9, 0x3e928af3
	v_rndne_f64_e32 v[21:22], v[21:22]
	v_fma_f64 v[23:24], v[21:22], s[10:11], v[19:20]
	v_cvt_i32_f64_e32 v27, v[21:22]
	s_mov_b32 s11, 0x3fe62e42
	v_fma_f64 v[23:24], v[21:22], s[12:13], v[23:24]
	s_mov_b32 s13, 0x3c7abc9e
	v_fma_f64 v[25:26], v[23:24], s[16:17], s[8:9]
	s_mov_b32 s8, 0x623fde64
	s_mov_b32 s9, 0x3ec71dee
	;; [unrolled: 1-line block ×4, first 2 shown]
	v_fma_f64 v[25:26], v[23:24], v[25:26], s[8:9]
	s_mov_b32 s8, 0x7c89e6b0
	s_mov_b32 s9, 0x3efa0199
	v_fma_f64 v[25:26], v[23:24], v[25:26], s[8:9]
	s_mov_b32 s8, 0x14761f6e
	s_mov_b32 s9, 0x3f2a01a0
	;; [unrolled: 3-line block ×7, first 2 shown]
	v_fma_f64 v[25:26], v[23:24], v[25:26], s[8:9]
	v_cmp_nlt_f64_e64 s8, 0x40900000, v[19:20]
	v_cmp_ngt_f64_e64 s9, 0xc090cc00, v[19:20]
	v_fma_f64 v[25:26], v[23:24], v[25:26], 1.0
	v_fma_f64 v[21:22], v[23:24], v[25:26], 1.0
	v_ldexp_f64 v[21:22], v[21:22], v27
	v_cndmask_b32_e64 v22, 0x7ff00000, v22, s8
	s_and_b32 s8, s9, s8
	v_cndmask_b32_e64 v19, 0, v21, s8
	s_mov_b32 s8, 0x55555555
	v_cndmask_b32_e64 v20, 0, v22, s9
	s_mov_b32 s9, 0x3fe55555
	v_add_f64 v[21:22], v[19:20], 1.0
	v_frexp_mant_f64_e32 v[23:24], v[21:22]
	v_frexp_exp_i32_f64_e32 v27, v[21:22]
	v_add_f64 v[25:26], v[21:22], -1.0
	v_cmp_gt_f64_e64 s8, s[8:9], v[23:24]
	v_add_f64 v[23:24], v[25:26], -v[21:22]
	v_add_f64 v[25:26], v[19:20], -v[25:26]
	v_subrev_co_ci_u32_e64 v77, null, 0, v27, s8
	v_add_f64 v[23:24], v[23:24], 1.0
	s_mov_b32 s8, 0x55555780
	v_sub_nc_u32_e32 v35, 0, v77
	v_ldexp_f64 v[21:22], v[21:22], v35
	v_add_f64 v[23:24], v[25:26], v[23:24]
	v_add_f64 v[27:28], v[21:22], 1.0
	v_add_f64 v[65:66], v[21:22], -1.0
	v_ldexp_f64 v[23:24], v[23:24], v35
	v_add_f64 v[25:26], v[27:28], -1.0
	v_add_f64 v[67:68], v[65:66], 1.0
	v_add_f64 v[25:26], v[21:22], -v[25:26]
	v_add_f64 v[21:22], v[21:22], -v[67:68]
	v_add_f64 v[25:26], v[23:24], v[25:26]
	v_add_f64 v[21:22], v[23:24], v[21:22]
	v_add_f64 v[35:36], v[27:28], v[25:26]
	v_add_f64 v[67:68], v[65:66], v[21:22]
	v_rcp_f64_e32 v[63:64], v[35:36]
	v_add_f64 v[27:28], v[35:36], -v[27:28]
	v_add_f64 v[65:66], v[67:68], -v[65:66]
	;; [unrolled: 1-line block ×3, first 2 shown]
	v_fma_f64 v[69:70], -v[35:36], v[63:64], 1.0
	v_add_f64 v[21:22], v[21:22], -v[65:66]
	v_fma_f64 v[63:64], v[69:70], v[63:64], v[63:64]
	v_fma_f64 v[23:24], -v[35:36], v[63:64], 1.0
	v_fma_f64 v[23:24], v[23:24], v[63:64], v[63:64]
	v_mul_f64 v[63:64], v[67:68], v[23:24]
	v_mul_f64 v[69:70], v[35:36], v[63:64]
	v_fma_f64 v[27:28], v[63:64], v[35:36], -v[69:70]
	v_fma_f64 v[27:28], v[63:64], v[25:26], v[27:28]
	v_add_f64 v[71:72], v[69:70], v[27:28]
	v_add_f64 v[73:74], v[67:68], -v[71:72]
	v_add_f64 v[65:66], v[71:72], -v[69:70]
	;; [unrolled: 1-line block ×5, first 2 shown]
	v_add_f64 v[21:22], v[21:22], v[67:68]
	v_add_f64 v[21:22], v[27:28], v[21:22]
	;; [unrolled: 1-line block ×3, first 2 shown]
	v_mul_f64 v[65:66], v[23:24], v[27:28]
	v_add_f64 v[71:72], v[73:74], -v[27:28]
	v_mul_f64 v[67:68], v[35:36], v[65:66]
	v_add_f64 v[21:22], v[21:22], v[71:72]
	v_fma_f64 v[35:36], v[65:66], v[35:36], -v[67:68]
	v_fma_f64 v[25:26], v[65:66], v[25:26], v[35:36]
	v_add_f64 v[35:36], v[67:68], v[25:26]
	v_add_f64 v[69:70], v[27:28], -v[35:36]
	v_add_f64 v[67:68], v[35:36], -v[67:68]
	;; [unrolled: 1-line block ×5, first 2 shown]
	v_add_f64 v[21:22], v[21:22], v[27:28]
	v_add_f64 v[27:28], v[63:64], v[65:66]
	;; [unrolled: 1-line block ×3, first 2 shown]
	v_add_f64 v[25:26], v[27:28], -v[63:64]
	v_add_f64 v[21:22], v[69:70], v[21:22]
	v_add_f64 v[25:26], v[65:66], -v[25:26]
	v_mul_f64 v[21:22], v[23:24], v[21:22]
	v_add_f64 v[21:22], v[25:26], v[21:22]
	v_add_f64 v[23:24], v[27:28], v[21:22]
	v_mul_f64 v[25:26], v[23:24], v[23:24]
	v_fma_f64 v[35:36], v[25:26], s[18:19], s[16:17]
	s_mov_b32 s16, 0xd7f4df2e
	s_mov_b32 s17, 0x3fc7474d
	v_mul_f64 v[63:64], v[23:24], v[25:26]
	v_fma_f64 v[35:36], v[25:26], v[35:36], s[16:17]
	s_mov_b32 s16, 0x16291751
	s_mov_b32 s17, 0x3fcc71c0
	v_fma_f64 v[35:36], v[25:26], v[35:36], s[16:17]
	s_mov_b32 s16, 0x9b27acf1
	s_mov_b32 s17, 0x3fd24924
	;; [unrolled: 3-line block ×3, first 2 shown]
	v_fma_f64 v[35:36], v[25:26], v[35:36], s[16:17]
	v_fma_f64 v[25:26], v[25:26], v[35:36], s[8:9]
	v_ldexp_f64 v[35:36], v[23:24], 1
	v_add_f64 v[23:24], v[23:24], -v[27:28]
	v_cmp_nge_f64_e64 s8, -1.0, v[19:20]
	v_cmp_neq_f64_e64 s9, 0x7ff00000, v[19:20]
	v_mul_f64 v[25:26], v[63:64], v[25:26]
	v_cvt_f64_i32_e32 v[63:64], v77
	v_add_f64 v[21:22], v[21:22], -v[23:24]
	s_and_b32 s8, s8, s9
	v_add_f64 v[27:28], v[35:36], v[25:26]
	v_mul_f64 v[65:66], v[63:64], s[10:11]
	v_ldexp_f64 v[21:22], v[21:22], 1
	v_add_f64 v[23:24], v[27:28], -v[35:36]
	v_fma_f64 v[35:36], v[63:64], s[10:11], -v[65:66]
	v_cmp_ngt_f64_e64 s10, -1.0, v[19:20]
	v_add_f64 v[23:24], v[25:26], -v[23:24]
	v_fma_f64 v[25:26], v[63:64], s[12:13], v[35:36]
	v_add_f64 v[21:22], v[21:22], v[23:24]
	v_add_f64 v[23:24], v[65:66], v[25:26]
	;; [unrolled: 1-line block ×3, first 2 shown]
	v_add_f64 v[65:66], v[23:24], -v[65:66]
	v_add_f64 v[63:64], v[23:24], v[35:36]
	v_add_f64 v[27:28], v[35:36], -v[27:28]
	v_add_f64 v[25:26], v[25:26], -v[65:66]
	;; [unrolled: 1-line block ×6, first 2 shown]
	v_add_f64 v[35:36], v[25:26], v[21:22]
	v_add_f64 v[23:24], v[23:24], -v[69:70]
	v_add_f64 v[23:24], v[27:28], v[23:24]
	v_add_f64 v[27:28], v[35:36], -v[25:26]
	;; [unrolled: 2-line block ×3, first 2 shown]
	v_add_f64 v[21:22], v[21:22], -v[27:28]
	v_add_f64 v[65:66], v[63:64], v[23:24]
	v_add_f64 v[25:26], v[25:26], -v[35:36]
	v_add_f64 v[27:28], v[65:66], -v[63:64]
	v_add_f64 v[21:22], v[21:22], v[25:26]
	v_add_f64 v[23:24], v[23:24], -v[27:28]
	v_add_f64 v[21:22], v[21:22], v[23:24]
	v_add_f64 v[21:22], v[65:66], v[21:22]
	v_cndmask_b32_e64 v21, 0, v21, s8
	v_cmp_neq_f64_e64 s8, -1.0, v[19:20]
	v_cndmask_b32_e64 v22, 0x7ff00000, v22, s9
	v_cndmask_b32_e64 v22, 0x7ff80000, v22, s10
	;; [unrolled: 1-line block ×3, first 2 shown]
	v_add_f64 v[35:36], v[17:18], v[21:22]
.LBB74_214:
	s_or_b32 exec_lo, exec_lo, s15
	v_max_f64 v[17:18], v[45:46], v[45:46]
	v_max_f64 v[19:20], v[35:36], v[35:36]
	v_cmp_u_f64_e64 s9, v[35:36], v[35:36]
	v_cmp_u_f64_e64 s8, v[45:46], v[45:46]
	v_min_f64 v[21:22], v[19:20], v[17:18]
	v_max_f64 v[19:20], v[19:20], v[17:18]
	v_cndmask_b32_e64 v21, v21, v35, s9
	v_cndmask_b32_e64 v22, v22, v36, s9
	;; [unrolled: 1-line block ×8, first 2 shown]
	v_cmp_class_f64_e64 s10, v[21:22], 0x1f8
	v_cmp_neq_f64_e64 s9, v[21:22], v[19:20]
	s_or_b32 s9, s9, s10
	s_and_saveexec_b32 s15, s9
	s_cbranch_execz .LBB74_216
; %bb.215:
	v_add_f64 v[21:22], v[21:22], -v[19:20]
	s_mov_b32 s10, 0x652b82fe
	s_mov_b32 s11, 0x3ff71547
	;; [unrolled: 1-line block ×10, first 2 shown]
	v_mul_f64 v[23:24], v[21:22], s[10:11]
	s_mov_b32 s10, 0xfca7ab0c
	s_mov_b32 s11, 0x3e928af3
	v_cmp_nlt_f64_e64 s9, 0x40900000, v[21:22]
	v_rndne_f64_e32 v[23:24], v[23:24]
	v_fma_f64 v[25:26], v[23:24], s[12:13], v[21:22]
	v_cvt_i32_f64_e32 v35, v[23:24]
	s_mov_b32 s13, 0x3fe62e42
	v_fma_f64 v[25:26], v[23:24], s[16:17], v[25:26]
	s_mov_b32 s17, 0x3c7abc9e
	v_fma_f64 v[27:28], v[25:26], s[18:19], s[10:11]
	s_mov_b32 s10, 0x623fde64
	s_mov_b32 s11, 0x3ec71dee
	;; [unrolled: 1-line block ×4, first 2 shown]
	v_fma_f64 v[27:28], v[25:26], v[27:28], s[10:11]
	s_mov_b32 s10, 0x7c89e6b0
	s_mov_b32 s11, 0x3efa0199
	v_fma_f64 v[27:28], v[25:26], v[27:28], s[10:11]
	s_mov_b32 s10, 0x14761f6e
	s_mov_b32 s11, 0x3f2a01a0
	;; [unrolled: 3-line block ×7, first 2 shown]
	v_fma_f64 v[27:28], v[25:26], v[27:28], s[10:11]
	v_cmp_ngt_f64_e64 s10, 0xc090cc00, v[21:22]
	s_mov_b32 s11, 0x3fe55555
	v_fma_f64 v[27:28], v[25:26], v[27:28], 1.0
	v_fma_f64 v[23:24], v[25:26], v[27:28], 1.0
	v_ldexp_f64 v[23:24], v[23:24], v35
	v_cndmask_b32_e64 v24, 0x7ff00000, v24, s9
	s_and_b32 s9, s10, s9
	v_cndmask_b32_e64 v21, 0, v23, s9
	v_cndmask_b32_e64 v22, 0, v24, s10
	s_mov_b32 s10, 0x55555555
	v_add_f64 v[23:24], v[21:22], 1.0
	v_frexp_mant_f64_e32 v[25:26], v[23:24]
	v_frexp_exp_i32_f64_e32 v35, v[23:24]
	v_add_f64 v[27:28], v[23:24], -1.0
	v_cmp_gt_f64_e64 s9, s[10:11], v[25:26]
	s_mov_b32 s10, 0x55555780
	v_add_f64 v[25:26], v[27:28], -v[23:24]
	v_add_f64 v[27:28], v[21:22], -v[27:28]
	v_subrev_co_ci_u32_e64 v79, null, 0, v35, s9
	v_add_f64 v[25:26], v[25:26], 1.0
	v_cmp_nge_f64_e64 s9, -1.0, v[21:22]
	v_sub_nc_u32_e32 v63, 0, v79
	v_ldexp_f64 v[23:24], v[23:24], v63
	v_add_f64 v[25:26], v[27:28], v[25:26]
	v_add_f64 v[35:36], v[23:24], 1.0
	v_add_f64 v[67:68], v[23:24], -1.0
	v_ldexp_f64 v[25:26], v[25:26], v63
	v_add_f64 v[27:28], v[35:36], -1.0
	v_add_f64 v[69:70], v[67:68], 1.0
	v_add_f64 v[27:28], v[23:24], -v[27:28]
	v_add_f64 v[23:24], v[23:24], -v[69:70]
	v_add_f64 v[27:28], v[25:26], v[27:28]
	v_add_f64 v[23:24], v[25:26], v[23:24]
	;; [unrolled: 1-line block ×4, first 2 shown]
	v_rcp_f64_e32 v[65:66], v[63:64]
	v_add_f64 v[35:36], v[63:64], -v[35:36]
	v_add_f64 v[67:68], v[69:70], -v[67:68]
	;; [unrolled: 1-line block ×3, first 2 shown]
	v_fma_f64 v[71:72], -v[63:64], v[65:66], 1.0
	v_add_f64 v[23:24], v[23:24], -v[67:68]
	v_fma_f64 v[65:66], v[71:72], v[65:66], v[65:66]
	v_fma_f64 v[25:26], -v[63:64], v[65:66], 1.0
	v_fma_f64 v[25:26], v[25:26], v[65:66], v[65:66]
	v_mul_f64 v[65:66], v[69:70], v[25:26]
	v_mul_f64 v[71:72], v[63:64], v[65:66]
	v_fma_f64 v[35:36], v[65:66], v[63:64], -v[71:72]
	v_fma_f64 v[35:36], v[65:66], v[27:28], v[35:36]
	v_add_f64 v[73:74], v[71:72], v[35:36]
	v_add_f64 v[77:78], v[69:70], -v[73:74]
	v_add_f64 v[67:68], v[73:74], -v[71:72]
	;; [unrolled: 1-line block ×5, first 2 shown]
	v_add_f64 v[23:24], v[23:24], v[69:70]
	v_add_f64 v[23:24], v[35:36], v[23:24]
	;; [unrolled: 1-line block ×3, first 2 shown]
	v_mul_f64 v[67:68], v[25:26], v[35:36]
	v_add_f64 v[73:74], v[77:78], -v[35:36]
	v_mul_f64 v[69:70], v[63:64], v[67:68]
	v_add_f64 v[23:24], v[23:24], v[73:74]
	v_fma_f64 v[63:64], v[67:68], v[63:64], -v[69:70]
	v_fma_f64 v[27:28], v[67:68], v[27:28], v[63:64]
	v_add_f64 v[63:64], v[69:70], v[27:28]
	v_add_f64 v[71:72], v[35:36], -v[63:64]
	v_add_f64 v[69:70], v[63:64], -v[69:70]
	;; [unrolled: 1-line block ×5, first 2 shown]
	v_add_f64 v[23:24], v[23:24], v[35:36]
	v_add_f64 v[35:36], v[65:66], v[67:68]
	;; [unrolled: 1-line block ×3, first 2 shown]
	v_add_f64 v[27:28], v[35:36], -v[65:66]
	v_add_f64 v[23:24], v[71:72], v[23:24]
	v_add_f64 v[27:28], v[67:68], -v[27:28]
	v_mul_f64 v[23:24], v[25:26], v[23:24]
	v_add_f64 v[23:24], v[27:28], v[23:24]
	v_add_f64 v[25:26], v[35:36], v[23:24]
	v_mul_f64 v[27:28], v[25:26], v[25:26]
	v_fma_f64 v[63:64], v[27:28], s[20:21], s[18:19]
	s_mov_b32 s18, 0xd7f4df2e
	s_mov_b32 s19, 0x3fc7474d
	v_mul_f64 v[65:66], v[25:26], v[27:28]
	v_fma_f64 v[63:64], v[27:28], v[63:64], s[18:19]
	s_mov_b32 s18, 0x16291751
	s_mov_b32 s19, 0x3fcc71c0
	v_fma_f64 v[63:64], v[27:28], v[63:64], s[18:19]
	s_mov_b32 s18, 0x9b27acf1
	s_mov_b32 s19, 0x3fd24924
	;; [unrolled: 3-line block ×3, first 2 shown]
	v_fma_f64 v[63:64], v[27:28], v[63:64], s[18:19]
	v_fma_f64 v[27:28], v[27:28], v[63:64], s[10:11]
	v_ldexp_f64 v[63:64], v[25:26], 1
	v_add_f64 v[25:26], v[25:26], -v[35:36]
	v_cmp_neq_f64_e64 s10, 0x7ff00000, v[21:22]
	v_cmp_ngt_f64_e64 s11, -1.0, v[21:22]
	v_mul_f64 v[27:28], v[65:66], v[27:28]
	v_cvt_f64_i32_e32 v[65:66], v79
	v_add_f64 v[23:24], v[23:24], -v[25:26]
	s_and_b32 s9, s9, s10
	v_add_f64 v[35:36], v[63:64], v[27:28]
	v_mul_f64 v[67:68], v[65:66], s[12:13]
	v_ldexp_f64 v[23:24], v[23:24], 1
	v_add_f64 v[25:26], v[35:36], -v[63:64]
	v_fma_f64 v[63:64], v[65:66], s[12:13], -v[67:68]
	v_add_f64 v[25:26], v[27:28], -v[25:26]
	v_fma_f64 v[27:28], v[65:66], s[16:17], v[63:64]
	v_add_f64 v[23:24], v[23:24], v[25:26]
	v_add_f64 v[25:26], v[67:68], v[27:28]
	;; [unrolled: 1-line block ×3, first 2 shown]
	v_add_f64 v[67:68], v[25:26], -v[67:68]
	v_add_f64 v[65:66], v[25:26], v[63:64]
	v_add_f64 v[35:36], v[63:64], -v[35:36]
	v_add_f64 v[27:28], v[27:28], -v[67:68]
	;; [unrolled: 1-line block ×6, first 2 shown]
	v_add_f64 v[63:64], v[27:28], v[23:24]
	v_add_f64 v[25:26], v[25:26], -v[71:72]
	v_add_f64 v[25:26], v[35:36], v[25:26]
	v_add_f64 v[35:36], v[63:64], -v[27:28]
	;; [unrolled: 2-line block ×3, first 2 shown]
	v_add_f64 v[23:24], v[23:24], -v[35:36]
	v_add_f64 v[67:68], v[65:66], v[25:26]
	v_add_f64 v[27:28], v[27:28], -v[63:64]
	v_add_f64 v[35:36], v[67:68], -v[65:66]
	v_add_f64 v[23:24], v[23:24], v[27:28]
	v_add_f64 v[25:26], v[25:26], -v[35:36]
	v_add_f64 v[23:24], v[23:24], v[25:26]
	v_add_f64 v[23:24], v[67:68], v[23:24]
	v_cndmask_b32_e64 v23, 0, v23, s9
	v_cmp_neq_f64_e64 s9, -1.0, v[21:22]
	v_cndmask_b32_e64 v24, 0x7ff00000, v24, s10
	v_cndmask_b32_e64 v24, 0x7ff80000, v24, s11
	;; [unrolled: 1-line block ×3, first 2 shown]
	v_add_f64 v[35:36], v[19:20], v[23:24]
.LBB74_216:
	s_or_b32 exec_lo, exec_lo, s15
	v_max_f64 v[19:20], v[47:48], v[47:48]
	v_max_f64 v[21:22], v[35:36], v[35:36]
	v_cmp_u_f64_e64 s10, v[35:36], v[35:36]
	v_cmp_u_f64_e64 s9, v[47:48], v[47:48]
	v_min_f64 v[23:24], v[21:22], v[19:20]
	v_max_f64 v[21:22], v[21:22], v[19:20]
	v_cndmask_b32_e64 v23, v23, v35, s10
	v_cndmask_b32_e64 v24, v24, v36, s10
	;; [unrolled: 1-line block ×8, first 2 shown]
	v_cmp_class_f64_e64 s11, v[23:24], 0x1f8
	v_cmp_neq_f64_e64 s10, v[23:24], v[21:22]
	s_or_b32 s10, s10, s11
	s_and_saveexec_b32 s15, s10
	s_cbranch_execz .LBB74_218
; %bb.217:
	v_add_f64 v[23:24], v[23:24], -v[21:22]
	s_mov_b32 s10, 0x652b82fe
	s_mov_b32 s11, 0x3ff71547
	;; [unrolled: 1-line block ×10, first 2 shown]
	v_mul_f64 v[25:26], v[23:24], s[10:11]
	s_mov_b32 s10, 0xfca7ab0c
	s_mov_b32 s11, 0x3e928af3
	v_rndne_f64_e32 v[25:26], v[25:26]
	v_fma_f64 v[27:28], v[25:26], s[12:13], v[23:24]
	v_cvt_i32_f64_e32 v63, v[25:26]
	s_mov_b32 s13, 0x3fe62e42
	v_fma_f64 v[27:28], v[25:26], s[16:17], v[27:28]
	s_mov_b32 s17, 0x3c7abc9e
	v_fma_f64 v[35:36], v[27:28], s[18:19], s[10:11]
	s_mov_b32 s10, 0x623fde64
	s_mov_b32 s11, 0x3ec71dee
	;; [unrolled: 1-line block ×4, first 2 shown]
	v_fma_f64 v[35:36], v[27:28], v[35:36], s[10:11]
	s_mov_b32 s10, 0x7c89e6b0
	s_mov_b32 s11, 0x3efa0199
	v_fma_f64 v[35:36], v[27:28], v[35:36], s[10:11]
	s_mov_b32 s10, 0x14761f6e
	s_mov_b32 s11, 0x3f2a01a0
	;; [unrolled: 3-line block ×7, first 2 shown]
	v_fma_f64 v[35:36], v[27:28], v[35:36], s[10:11]
	v_cmp_nlt_f64_e64 s10, 0x40900000, v[23:24]
	v_cmp_ngt_f64_e64 s11, 0xc090cc00, v[23:24]
	v_fma_f64 v[35:36], v[27:28], v[35:36], 1.0
	v_fma_f64 v[25:26], v[27:28], v[35:36], 1.0
	v_ldexp_f64 v[25:26], v[25:26], v63
	v_cndmask_b32_e64 v26, 0x7ff00000, v26, s10
	s_and_b32 s10, s11, s10
	v_cndmask_b32_e64 v23, 0, v25, s10
	s_mov_b32 s10, 0x55555555
	v_cndmask_b32_e64 v24, 0, v26, s11
	s_mov_b32 s11, 0x3fe55555
	v_add_f64 v[25:26], v[23:24], 1.0
	v_frexp_mant_f64_e32 v[27:28], v[25:26]
	v_frexp_exp_i32_f64_e32 v63, v[25:26]
	v_add_f64 v[35:36], v[25:26], -1.0
	v_cmp_gt_f64_e64 s10, s[10:11], v[27:28]
	v_add_f64 v[27:28], v[35:36], -v[25:26]
	v_add_f64 v[35:36], v[23:24], -v[35:36]
	v_subrev_co_ci_u32_e64 v81, null, 0, v63, s10
	v_add_f64 v[27:28], v[27:28], 1.0
	s_mov_b32 s10, 0x55555780
	v_sub_nc_u32_e32 v65, 0, v81
	v_ldexp_f64 v[25:26], v[25:26], v65
	v_add_f64 v[27:28], v[35:36], v[27:28]
	v_add_f64 v[63:64], v[25:26], 1.0
	v_add_f64 v[69:70], v[25:26], -1.0
	v_ldexp_f64 v[27:28], v[27:28], v65
	v_add_f64 v[35:36], v[63:64], -1.0
	v_add_f64 v[71:72], v[69:70], 1.0
	v_add_f64 v[35:36], v[25:26], -v[35:36]
	v_add_f64 v[25:26], v[25:26], -v[71:72]
	v_add_f64 v[35:36], v[27:28], v[35:36]
	v_add_f64 v[25:26], v[27:28], v[25:26]
	;; [unrolled: 1-line block ×4, first 2 shown]
	v_rcp_f64_e32 v[67:68], v[65:66]
	v_add_f64 v[63:64], v[65:66], -v[63:64]
	v_add_f64 v[69:70], v[71:72], -v[69:70]
	;; [unrolled: 1-line block ×3, first 2 shown]
	v_fma_f64 v[73:74], -v[65:66], v[67:68], 1.0
	v_add_f64 v[25:26], v[25:26], -v[69:70]
	v_fma_f64 v[67:68], v[73:74], v[67:68], v[67:68]
	v_fma_f64 v[27:28], -v[65:66], v[67:68], 1.0
	v_fma_f64 v[27:28], v[27:28], v[67:68], v[67:68]
	v_mul_f64 v[67:68], v[71:72], v[27:28]
	v_mul_f64 v[73:74], v[65:66], v[67:68]
	v_fma_f64 v[63:64], v[67:68], v[65:66], -v[73:74]
	v_fma_f64 v[63:64], v[67:68], v[35:36], v[63:64]
	v_add_f64 v[77:78], v[73:74], v[63:64]
	v_add_f64 v[79:80], v[71:72], -v[77:78]
	v_add_f64 v[69:70], v[77:78], -v[73:74]
	;; [unrolled: 1-line block ×5, first 2 shown]
	v_add_f64 v[25:26], v[25:26], v[71:72]
	v_add_f64 v[25:26], v[63:64], v[25:26]
	v_add_f64 v[63:64], v[79:80], v[25:26]
	v_mul_f64 v[69:70], v[27:28], v[63:64]
	v_add_f64 v[77:78], v[79:80], -v[63:64]
	v_mul_f64 v[71:72], v[65:66], v[69:70]
	v_add_f64 v[25:26], v[25:26], v[77:78]
	v_fma_f64 v[65:66], v[69:70], v[65:66], -v[71:72]
	v_fma_f64 v[35:36], v[69:70], v[35:36], v[65:66]
	v_add_f64 v[65:66], v[71:72], v[35:36]
	v_add_f64 v[73:74], v[63:64], -v[65:66]
	v_add_f64 v[71:72], v[65:66], -v[71:72]
	;; [unrolled: 1-line block ×5, first 2 shown]
	v_add_f64 v[25:26], v[25:26], v[63:64]
	v_add_f64 v[63:64], v[67:68], v[69:70]
	;; [unrolled: 1-line block ×3, first 2 shown]
	v_add_f64 v[35:36], v[63:64], -v[67:68]
	v_add_f64 v[25:26], v[73:74], v[25:26]
	v_add_f64 v[35:36], v[69:70], -v[35:36]
	v_mul_f64 v[25:26], v[27:28], v[25:26]
	v_add_f64 v[25:26], v[35:36], v[25:26]
	v_add_f64 v[27:28], v[63:64], v[25:26]
	v_mul_f64 v[35:36], v[27:28], v[27:28]
	v_fma_f64 v[65:66], v[35:36], s[20:21], s[18:19]
	s_mov_b32 s18, 0xd7f4df2e
	s_mov_b32 s19, 0x3fc7474d
	v_mul_f64 v[67:68], v[27:28], v[35:36]
	v_fma_f64 v[65:66], v[35:36], v[65:66], s[18:19]
	s_mov_b32 s18, 0x16291751
	s_mov_b32 s19, 0x3fcc71c0
	v_fma_f64 v[65:66], v[35:36], v[65:66], s[18:19]
	s_mov_b32 s18, 0x9b27acf1
	s_mov_b32 s19, 0x3fd24924
	;; [unrolled: 3-line block ×3, first 2 shown]
	v_fma_f64 v[65:66], v[35:36], v[65:66], s[18:19]
	v_fma_f64 v[35:36], v[35:36], v[65:66], s[10:11]
	v_ldexp_f64 v[65:66], v[27:28], 1
	v_add_f64 v[27:28], v[27:28], -v[63:64]
	v_cmp_nge_f64_e64 s10, -1.0, v[23:24]
	v_cmp_neq_f64_e64 s11, 0x7ff00000, v[23:24]
	v_mul_f64 v[35:36], v[67:68], v[35:36]
	v_cvt_f64_i32_e32 v[67:68], v81
	v_add_f64 v[25:26], v[25:26], -v[27:28]
	s_and_b32 s10, s10, s11
	v_add_f64 v[63:64], v[65:66], v[35:36]
	v_mul_f64 v[69:70], v[67:68], s[12:13]
	v_ldexp_f64 v[25:26], v[25:26], 1
	v_add_f64 v[27:28], v[63:64], -v[65:66]
	v_fma_f64 v[65:66], v[67:68], s[12:13], -v[69:70]
	v_cmp_ngt_f64_e64 s12, -1.0, v[23:24]
	v_add_f64 v[27:28], v[35:36], -v[27:28]
	v_fma_f64 v[35:36], v[67:68], s[16:17], v[65:66]
	v_add_f64 v[25:26], v[25:26], v[27:28]
	v_add_f64 v[27:28], v[69:70], v[35:36]
	;; [unrolled: 1-line block ×3, first 2 shown]
	v_add_f64 v[69:70], v[27:28], -v[69:70]
	v_add_f64 v[67:68], v[27:28], v[65:66]
	v_add_f64 v[63:64], v[65:66], -v[63:64]
	v_add_f64 v[35:36], v[35:36], -v[69:70]
	;; [unrolled: 1-line block ×6, first 2 shown]
	v_add_f64 v[65:66], v[35:36], v[25:26]
	v_add_f64 v[27:28], v[27:28], -v[73:74]
	v_add_f64 v[27:28], v[63:64], v[27:28]
	v_add_f64 v[63:64], v[65:66], -v[35:36]
	;; [unrolled: 2-line block ×3, first 2 shown]
	v_add_f64 v[25:26], v[25:26], -v[63:64]
	v_add_f64 v[69:70], v[67:68], v[27:28]
	v_add_f64 v[35:36], v[35:36], -v[65:66]
	v_add_f64 v[63:64], v[69:70], -v[67:68]
	v_add_f64 v[25:26], v[25:26], v[35:36]
	v_add_f64 v[27:28], v[27:28], -v[63:64]
	v_add_f64 v[25:26], v[25:26], v[27:28]
	v_add_f64 v[25:26], v[69:70], v[25:26]
	v_cndmask_b32_e64 v25, 0, v25, s10
	v_cmp_neq_f64_e64 s10, -1.0, v[23:24]
	v_cndmask_b32_e64 v26, 0x7ff00000, v26, s11
	v_cndmask_b32_e64 v26, 0x7ff80000, v26, s12
	;; [unrolled: 1-line block ×3, first 2 shown]
	v_add_f64 v[35:36], v[21:22], v[25:26]
.LBB74_218:
	s_or_b32 exec_lo, exec_lo, s15
	v_max_f64 v[21:22], v[41:42], v[41:42]
	v_max_f64 v[23:24], v[35:36], v[35:36]
	v_cmp_u_f64_e64 s11, v[35:36], v[35:36]
	v_cmp_u_f64_e64 s10, v[41:42], v[41:42]
	v_min_f64 v[25:26], v[23:24], v[21:22]
	v_max_f64 v[23:24], v[23:24], v[21:22]
	v_cndmask_b32_e64 v25, v25, v35, s11
	v_cndmask_b32_e64 v26, v26, v36, s11
	;; [unrolled: 1-line block ×8, first 2 shown]
	v_cmp_class_f64_e64 s12, v[25:26], 0x1f8
	v_cmp_neq_f64_e64 s11, v[25:26], v[23:24]
	s_or_b32 s11, s11, s12
	s_and_saveexec_b32 s15, s11
	s_cbranch_execz .LBB74_220
; %bb.219:
	v_add_f64 v[25:26], v[25:26], -v[23:24]
	s_mov_b32 s12, 0x652b82fe
	s_mov_b32 s13, 0x3ff71547
	s_mov_b32 s17, 0xbfe62e42
	s_mov_b32 s16, 0xfefa39ef
	s_mov_b32 s19, 0xbc7abc9e
	s_mov_b32 s18, 0x3b39803f
	s_mov_b32 s20, 0x6a5dcb37
	s_mov_b32 s21, 0x3e5ade15
	s_mov_b32 s24, 0xbf559e2b
	s_mov_b32 s25, 0x3fc3ab76
	v_mul_f64 v[27:28], v[25:26], s[12:13]
	s_mov_b32 s12, 0xfca7ab0c
	s_mov_b32 s13, 0x3e928af3
	v_cmp_nlt_f64_e64 s11, 0x40900000, v[25:26]
	v_rndne_f64_e32 v[27:28], v[27:28]
	v_fma_f64 v[35:36], v[27:28], s[16:17], v[25:26]
	v_cvt_i32_f64_e32 v65, v[27:28]
	s_mov_b32 s17, 0x3fe62e42
	v_fma_f64 v[35:36], v[27:28], s[18:19], v[35:36]
	s_mov_b32 s19, 0x3c7abc9e
	v_fma_f64 v[63:64], v[35:36], s[20:21], s[12:13]
	s_mov_b32 s12, 0x623fde64
	s_mov_b32 s13, 0x3ec71dee
	s_mov_b32 s20, 0x6b47b09a
	s_mov_b32 s21, 0x3fc38538
	v_fma_f64 v[63:64], v[35:36], v[63:64], s[12:13]
	s_mov_b32 s12, 0x7c89e6b0
	s_mov_b32 s13, 0x3efa0199
	v_fma_f64 v[63:64], v[35:36], v[63:64], s[12:13]
	s_mov_b32 s12, 0x14761f6e
	s_mov_b32 s13, 0x3f2a01a0
	;; [unrolled: 3-line block ×7, first 2 shown]
	v_fma_f64 v[63:64], v[35:36], v[63:64], s[12:13]
	v_cmp_ngt_f64_e64 s12, 0xc090cc00, v[25:26]
	s_mov_b32 s13, 0x3fe55555
	v_fma_f64 v[63:64], v[35:36], v[63:64], 1.0
	v_fma_f64 v[27:28], v[35:36], v[63:64], 1.0
	v_ldexp_f64 v[27:28], v[27:28], v65
	v_cndmask_b32_e64 v28, 0x7ff00000, v28, s11
	s_and_b32 s11, s12, s11
	v_cndmask_b32_e64 v25, 0, v27, s11
	v_cndmask_b32_e64 v26, 0, v28, s12
	s_mov_b32 s12, 0x55555555
	v_add_f64 v[27:28], v[25:26], 1.0
	v_frexp_mant_f64_e32 v[35:36], v[27:28]
	v_frexp_exp_i32_f64_e32 v65, v[27:28]
	v_add_f64 v[63:64], v[27:28], -1.0
	v_cmp_gt_f64_e64 s11, s[12:13], v[35:36]
	s_mov_b32 s12, 0x55555780
	v_add_f64 v[35:36], v[63:64], -v[27:28]
	v_add_f64 v[63:64], v[25:26], -v[63:64]
	v_subrev_co_ci_u32_e64 v83, null, 0, v65, s11
	v_add_f64 v[35:36], v[35:36], 1.0
	v_cmp_nge_f64_e64 s11, -1.0, v[25:26]
	v_sub_nc_u32_e32 v67, 0, v83
	v_ldexp_f64 v[27:28], v[27:28], v67
	v_add_f64 v[35:36], v[63:64], v[35:36]
	v_add_f64 v[65:66], v[27:28], 1.0
	v_add_f64 v[71:72], v[27:28], -1.0
	v_ldexp_f64 v[35:36], v[35:36], v67
	v_add_f64 v[63:64], v[65:66], -1.0
	v_add_f64 v[73:74], v[71:72], 1.0
	v_add_f64 v[63:64], v[27:28], -v[63:64]
	v_add_f64 v[27:28], v[27:28], -v[73:74]
	v_add_f64 v[63:64], v[35:36], v[63:64]
	v_add_f64 v[27:28], v[35:36], v[27:28]
	v_add_f64 v[67:68], v[65:66], v[63:64]
	v_add_f64 v[73:74], v[71:72], v[27:28]
	v_rcp_f64_e32 v[69:70], v[67:68]
	v_add_f64 v[65:66], v[67:68], -v[65:66]
	v_add_f64 v[71:72], v[73:74], -v[71:72]
	;; [unrolled: 1-line block ×3, first 2 shown]
	v_fma_f64 v[77:78], -v[67:68], v[69:70], 1.0
	v_add_f64 v[27:28], v[27:28], -v[71:72]
	v_fma_f64 v[69:70], v[77:78], v[69:70], v[69:70]
	v_fma_f64 v[35:36], -v[67:68], v[69:70], 1.0
	v_fma_f64 v[35:36], v[35:36], v[69:70], v[69:70]
	v_mul_f64 v[69:70], v[73:74], v[35:36]
	v_mul_f64 v[77:78], v[67:68], v[69:70]
	v_fma_f64 v[65:66], v[69:70], v[67:68], -v[77:78]
	v_fma_f64 v[65:66], v[69:70], v[63:64], v[65:66]
	v_add_f64 v[79:80], v[77:78], v[65:66]
	v_add_f64 v[81:82], v[73:74], -v[79:80]
	v_add_f64 v[71:72], v[79:80], -v[77:78]
	;; [unrolled: 1-line block ×5, first 2 shown]
	v_add_f64 v[27:28], v[27:28], v[73:74]
	v_add_f64 v[27:28], v[65:66], v[27:28]
	;; [unrolled: 1-line block ×3, first 2 shown]
	v_mul_f64 v[71:72], v[35:36], v[65:66]
	v_add_f64 v[79:80], v[81:82], -v[65:66]
	v_mul_f64 v[73:74], v[67:68], v[71:72]
	v_add_f64 v[27:28], v[27:28], v[79:80]
	v_fma_f64 v[67:68], v[71:72], v[67:68], -v[73:74]
	v_fma_f64 v[63:64], v[71:72], v[63:64], v[67:68]
	v_add_f64 v[67:68], v[73:74], v[63:64]
	v_add_f64 v[77:78], v[65:66], -v[67:68]
	v_add_f64 v[73:74], v[67:68], -v[73:74]
	;; [unrolled: 1-line block ×5, first 2 shown]
	v_add_f64 v[27:28], v[27:28], v[65:66]
	v_add_f64 v[65:66], v[69:70], v[71:72]
	;; [unrolled: 1-line block ×3, first 2 shown]
	v_add_f64 v[63:64], v[65:66], -v[69:70]
	v_add_f64 v[27:28], v[77:78], v[27:28]
	v_add_f64 v[63:64], v[71:72], -v[63:64]
	v_mul_f64 v[27:28], v[35:36], v[27:28]
	v_add_f64 v[27:28], v[63:64], v[27:28]
	v_add_f64 v[35:36], v[65:66], v[27:28]
	v_mul_f64 v[63:64], v[35:36], v[35:36]
	v_fma_f64 v[67:68], v[63:64], s[24:25], s[20:21]
	s_mov_b32 s20, 0xd7f4df2e
	s_mov_b32 s21, 0x3fc7474d
	v_mul_f64 v[69:70], v[35:36], v[63:64]
	v_fma_f64 v[67:68], v[63:64], v[67:68], s[20:21]
	s_mov_b32 s20, 0x16291751
	s_mov_b32 s21, 0x3fcc71c0
	v_fma_f64 v[67:68], v[63:64], v[67:68], s[20:21]
	s_mov_b32 s20, 0x9b27acf1
	s_mov_b32 s21, 0x3fd24924
	;; [unrolled: 3-line block ×3, first 2 shown]
	v_fma_f64 v[67:68], v[63:64], v[67:68], s[20:21]
	v_fma_f64 v[63:64], v[63:64], v[67:68], s[12:13]
	v_ldexp_f64 v[67:68], v[35:36], 1
	v_add_f64 v[35:36], v[35:36], -v[65:66]
	v_cmp_neq_f64_e64 s12, 0x7ff00000, v[25:26]
	v_cmp_ngt_f64_e64 s13, -1.0, v[25:26]
	v_mul_f64 v[63:64], v[69:70], v[63:64]
	v_cvt_f64_i32_e32 v[69:70], v83
	v_add_f64 v[27:28], v[27:28], -v[35:36]
	s_and_b32 s11, s11, s12
	v_add_f64 v[65:66], v[67:68], v[63:64]
	v_mul_f64 v[71:72], v[69:70], s[16:17]
	v_ldexp_f64 v[27:28], v[27:28], 1
	v_add_f64 v[35:36], v[65:66], -v[67:68]
	v_fma_f64 v[67:68], v[69:70], s[16:17], -v[71:72]
	v_add_f64 v[35:36], v[63:64], -v[35:36]
	v_fma_f64 v[63:64], v[69:70], s[18:19], v[67:68]
	v_add_f64 v[27:28], v[27:28], v[35:36]
	v_add_f64 v[35:36], v[71:72], v[63:64]
	;; [unrolled: 1-line block ×3, first 2 shown]
	v_add_f64 v[71:72], v[35:36], -v[71:72]
	v_add_f64 v[69:70], v[35:36], v[67:68]
	v_add_f64 v[65:66], v[67:68], -v[65:66]
	v_add_f64 v[63:64], v[63:64], -v[71:72]
	;; [unrolled: 1-line block ×6, first 2 shown]
	v_add_f64 v[67:68], v[63:64], v[27:28]
	v_add_f64 v[35:36], v[35:36], -v[77:78]
	v_add_f64 v[35:36], v[65:66], v[35:36]
	v_add_f64 v[65:66], v[67:68], -v[63:64]
	;; [unrolled: 2-line block ×3, first 2 shown]
	v_add_f64 v[27:28], v[27:28], -v[65:66]
	v_add_f64 v[71:72], v[69:70], v[35:36]
	v_add_f64 v[63:64], v[63:64], -v[67:68]
	v_add_f64 v[65:66], v[71:72], -v[69:70]
	v_add_f64 v[27:28], v[27:28], v[63:64]
	v_add_f64 v[35:36], v[35:36], -v[65:66]
	v_add_f64 v[27:28], v[27:28], v[35:36]
	v_add_f64 v[27:28], v[71:72], v[27:28]
	v_cndmask_b32_e64 v27, 0, v27, s11
	v_cmp_neq_f64_e64 s11, -1.0, v[25:26]
	v_cndmask_b32_e64 v28, 0x7ff00000, v28, s12
	v_cndmask_b32_e64 v28, 0x7ff80000, v28, s13
	;; [unrolled: 1-line block ×3, first 2 shown]
	v_add_f64 v[35:36], v[23:24], v[27:28]
.LBB74_220:
	s_or_b32 exec_lo, exec_lo, s15
	v_max_f64 v[23:24], v[43:44], v[43:44]
	v_max_f64 v[25:26], v[35:36], v[35:36]
	v_cmp_u_f64_e64 s12, v[35:36], v[35:36]
	v_cmp_u_f64_e64 s11, v[43:44], v[43:44]
	v_min_f64 v[27:28], v[25:26], v[23:24]
	v_max_f64 v[25:26], v[25:26], v[23:24]
	v_cndmask_b32_e64 v27, v27, v35, s12
	v_cndmask_b32_e64 v28, v28, v36, s12
	;; [unrolled: 1-line block ×8, first 2 shown]
	v_cmp_class_f64_e64 s13, v[27:28], 0x1f8
	v_cmp_neq_f64_e64 s12, v[27:28], v[25:26]
	s_or_b32 s12, s12, s13
	s_and_saveexec_b32 s20, s12
	s_cbranch_execz .LBB74_222
; %bb.221:
	v_add_f64 v[27:28], v[27:28], -v[25:26]
	s_mov_b32 s12, 0x652b82fe
	s_mov_b32 s13, 0x3ff71547
	s_mov_b32 s17, 0xbfe62e42
	s_mov_b32 s16, 0xfefa39ef
	s_mov_b32 s19, 0xbc7abc9e
	s_mov_b32 s18, 0x3b39803f
	s_mov_b32 s24, 0x6a5dcb37
	s_mov_b32 s25, 0x3e5ade15
	s_mov_b32 s36, 0xbf559e2b
	s_mov_b32 s37, 0x3fc3ab76
	v_mul_f64 v[35:36], v[27:28], s[12:13]
	s_mov_b32 s12, 0xfca7ab0c
	s_mov_b32 s13, 0x3e928af3
	v_rndne_f64_e32 v[35:36], v[35:36]
	v_fma_f64 v[63:64], v[35:36], s[16:17], v[27:28]
	v_cvt_i32_f64_e32 v67, v[35:36]
	s_mov_b32 s17, 0x3fe62e42
	v_fma_f64 v[63:64], v[35:36], s[18:19], v[63:64]
	s_mov_b32 s19, 0x3c7abc9e
	v_fma_f64 v[65:66], v[63:64], s[24:25], s[12:13]
	s_mov_b32 s12, 0x623fde64
	s_mov_b32 s13, 0x3ec71dee
	;; [unrolled: 1-line block ×4, first 2 shown]
	v_fma_f64 v[65:66], v[63:64], v[65:66], s[12:13]
	s_mov_b32 s12, 0x7c89e6b0
	s_mov_b32 s13, 0x3efa0199
	v_fma_f64 v[65:66], v[63:64], v[65:66], s[12:13]
	s_mov_b32 s12, 0x14761f6e
	s_mov_b32 s13, 0x3f2a01a0
	;; [unrolled: 3-line block ×7, first 2 shown]
	v_fma_f64 v[65:66], v[63:64], v[65:66], s[12:13]
	v_cmp_nlt_f64_e64 s12, 0x40900000, v[27:28]
	v_cmp_ngt_f64_e64 s13, 0xc090cc00, v[27:28]
	v_fma_f64 v[65:66], v[63:64], v[65:66], 1.0
	v_fma_f64 v[35:36], v[63:64], v[65:66], 1.0
	v_ldexp_f64 v[35:36], v[35:36], v67
	v_cndmask_b32_e64 v36, 0x7ff00000, v36, s12
	s_and_b32 s12, s13, s12
	v_cndmask_b32_e64 v27, 0, v35, s12
	s_mov_b32 s12, 0x55555555
	v_cndmask_b32_e64 v28, 0, v36, s13
	s_mov_b32 s13, 0x3fe55555
	v_add_f64 v[35:36], v[27:28], 1.0
	v_cmp_ngt_f64_e64 s15, -1.0, v[27:28]
	v_frexp_mant_f64_e32 v[63:64], v[35:36]
	v_frexp_exp_i32_f64_e32 v67, v[35:36]
	v_add_f64 v[65:66], v[35:36], -1.0
	v_cmp_gt_f64_e64 s12, s[12:13], v[63:64]
	v_add_f64 v[63:64], v[65:66], -v[35:36]
	v_add_f64 v[65:66], v[27:28], -v[65:66]
	v_subrev_co_ci_u32_e64 v85, null, 0, v67, s12
	v_add_f64 v[63:64], v[63:64], 1.0
	s_mov_b32 s12, 0x55555780
	v_sub_nc_u32_e32 v69, 0, v85
	v_ldexp_f64 v[35:36], v[35:36], v69
	v_add_f64 v[63:64], v[65:66], v[63:64]
	v_add_f64 v[67:68], v[35:36], 1.0
	v_add_f64 v[73:74], v[35:36], -1.0
	v_ldexp_f64 v[63:64], v[63:64], v69
	v_add_f64 v[65:66], v[67:68], -1.0
	v_add_f64 v[77:78], v[73:74], 1.0
	v_add_f64 v[65:66], v[35:36], -v[65:66]
	v_add_f64 v[35:36], v[35:36], -v[77:78]
	v_add_f64 v[65:66], v[63:64], v[65:66]
	v_add_f64 v[35:36], v[63:64], v[35:36]
	;; [unrolled: 1-line block ×4, first 2 shown]
	v_rcp_f64_e32 v[71:72], v[69:70]
	v_add_f64 v[67:68], v[69:70], -v[67:68]
	v_add_f64 v[73:74], v[77:78], -v[73:74]
	;; [unrolled: 1-line block ×3, first 2 shown]
	v_fma_f64 v[79:80], -v[69:70], v[71:72], 1.0
	v_add_f64 v[35:36], v[35:36], -v[73:74]
	v_fma_f64 v[71:72], v[79:80], v[71:72], v[71:72]
	v_fma_f64 v[63:64], -v[69:70], v[71:72], 1.0
	v_fma_f64 v[63:64], v[63:64], v[71:72], v[71:72]
	v_mul_f64 v[71:72], v[77:78], v[63:64]
	v_mul_f64 v[79:80], v[69:70], v[71:72]
	v_fma_f64 v[67:68], v[71:72], v[69:70], -v[79:80]
	v_fma_f64 v[67:68], v[71:72], v[65:66], v[67:68]
	v_add_f64 v[81:82], v[79:80], v[67:68]
	v_add_f64 v[83:84], v[77:78], -v[81:82]
	v_add_f64 v[73:74], v[81:82], -v[79:80]
	v_add_f64 v[77:78], v[77:78], -v[83:84]
	v_add_f64 v[67:68], v[73:74], -v[67:68]
	v_add_f64 v[77:78], v[77:78], -v[81:82]
	v_add_f64 v[35:36], v[35:36], v[77:78]
	v_add_f64 v[35:36], v[67:68], v[35:36]
	;; [unrolled: 1-line block ×3, first 2 shown]
	v_mul_f64 v[73:74], v[63:64], v[67:68]
	v_add_f64 v[81:82], v[83:84], -v[67:68]
	v_mul_f64 v[77:78], v[69:70], v[73:74]
	v_add_f64 v[35:36], v[35:36], v[81:82]
	v_fma_f64 v[69:70], v[73:74], v[69:70], -v[77:78]
	v_fma_f64 v[65:66], v[73:74], v[65:66], v[69:70]
	v_add_f64 v[69:70], v[77:78], v[65:66]
	v_add_f64 v[79:80], v[67:68], -v[69:70]
	v_add_f64 v[77:78], v[69:70], -v[77:78]
	;; [unrolled: 1-line block ×5, first 2 shown]
	v_add_f64 v[35:36], v[35:36], v[67:68]
	v_add_f64 v[67:68], v[71:72], v[73:74]
	;; [unrolled: 1-line block ×3, first 2 shown]
	v_add_f64 v[65:66], v[67:68], -v[71:72]
	v_add_f64 v[35:36], v[79:80], v[35:36]
	v_add_f64 v[65:66], v[73:74], -v[65:66]
	v_mul_f64 v[35:36], v[63:64], v[35:36]
	v_add_f64 v[35:36], v[65:66], v[35:36]
	v_add_f64 v[63:64], v[67:68], v[35:36]
	v_mul_f64 v[65:66], v[63:64], v[63:64]
	v_fma_f64 v[69:70], v[65:66], s[36:37], s[24:25]
	s_mov_b32 s24, 0xd7f4df2e
	s_mov_b32 s25, 0x3fc7474d
	v_mul_f64 v[71:72], v[63:64], v[65:66]
	v_fma_f64 v[69:70], v[65:66], v[69:70], s[24:25]
	s_mov_b32 s24, 0x16291751
	s_mov_b32 s25, 0x3fcc71c0
	v_fma_f64 v[69:70], v[65:66], v[69:70], s[24:25]
	s_mov_b32 s24, 0x9b27acf1
	s_mov_b32 s25, 0x3fd24924
	;; [unrolled: 3-line block ×3, first 2 shown]
	v_fma_f64 v[69:70], v[65:66], v[69:70], s[24:25]
	v_fma_f64 v[65:66], v[65:66], v[69:70], s[12:13]
	v_ldexp_f64 v[69:70], v[63:64], 1
	v_add_f64 v[63:64], v[63:64], -v[67:68]
	v_cmp_nge_f64_e64 s12, -1.0, v[27:28]
	v_cmp_neq_f64_e64 s13, 0x7ff00000, v[27:28]
	v_mul_f64 v[65:66], v[71:72], v[65:66]
	v_cvt_f64_i32_e32 v[71:72], v85
	v_add_f64 v[35:36], v[35:36], -v[63:64]
	s_and_b32 s12, s12, s13
	v_add_f64 v[67:68], v[69:70], v[65:66]
	v_mul_f64 v[73:74], v[71:72], s[16:17]
	v_ldexp_f64 v[35:36], v[35:36], 1
	v_add_f64 v[63:64], v[67:68], -v[69:70]
	v_fma_f64 v[69:70], v[71:72], s[16:17], -v[73:74]
	v_add_f64 v[63:64], v[65:66], -v[63:64]
	v_fma_f64 v[65:66], v[71:72], s[18:19], v[69:70]
	v_add_f64 v[35:36], v[35:36], v[63:64]
	v_add_f64 v[63:64], v[73:74], v[65:66]
	v_add_f64 v[69:70], v[67:68], v[35:36]
	v_add_f64 v[73:74], v[63:64], -v[73:74]
	v_add_f64 v[71:72], v[63:64], v[69:70]
	v_add_f64 v[67:68], v[69:70], -v[67:68]
	v_add_f64 v[65:66], v[65:66], -v[73:74]
	;; [unrolled: 1-line block ×6, first 2 shown]
	v_add_f64 v[69:70], v[65:66], v[35:36]
	v_add_f64 v[63:64], v[63:64], -v[79:80]
	v_add_f64 v[63:64], v[67:68], v[63:64]
	v_add_f64 v[67:68], v[69:70], -v[65:66]
	;; [unrolled: 2-line block ×3, first 2 shown]
	v_add_f64 v[35:36], v[35:36], -v[67:68]
	v_add_f64 v[73:74], v[71:72], v[63:64]
	v_add_f64 v[65:66], v[65:66], -v[69:70]
	v_add_f64 v[67:68], v[73:74], -v[71:72]
	v_add_f64 v[35:36], v[35:36], v[65:66]
	v_add_f64 v[63:64], v[63:64], -v[67:68]
	v_add_f64 v[35:36], v[35:36], v[63:64]
	v_add_f64 v[35:36], v[73:74], v[35:36]
	v_cndmask_b32_e64 v35, 0, v35, s12
	v_cmp_neq_f64_e64 s12, -1.0, v[27:28]
	v_cndmask_b32_e64 v36, 0x7ff00000, v36, s13
	v_cndmask_b32_e64 v36, 0x7ff80000, v36, s15
	;; [unrolled: 1-line block ×3, first 2 shown]
	v_add_f64 v[35:36], v[25:26], v[35:36]
.LBB74_222:
	s_or_b32 exec_lo, exec_lo, s20
	v_max_f64 v[25:26], v[37:38], v[37:38]
	v_max_f64 v[27:28], v[35:36], v[35:36]
	v_cmp_u_f64_e64 s13, v[35:36], v[35:36]
	v_cmp_u_f64_e64 s12, v[37:38], v[37:38]
	v_min_f64 v[63:64], v[27:28], v[25:26]
	v_max_f64 v[27:28], v[27:28], v[25:26]
	v_cndmask_b32_e64 v63, v63, v35, s13
	v_cndmask_b32_e64 v64, v64, v36, s13
	;; [unrolled: 1-line block ×8, first 2 shown]
	v_cmp_class_f64_e64 s15, v[63:64], 0x1f8
	v_cmp_neq_f64_e64 s13, v[63:64], v[27:28]
	s_or_b32 s13, s13, s15
	s_and_saveexec_b32 s24, s13
	s_cbranch_execz .LBB74_224
; %bb.223:
	v_add_f64 v[35:36], v[63:64], -v[27:28]
	s_mov_b32 s16, 0x652b82fe
	s_mov_b32 s17, 0x3ff71547
	;; [unrolled: 1-line block ×10, first 2 shown]
	v_mul_f64 v[63:64], v[35:36], s[16:17]
	s_mov_b32 s17, 0xbfe62e42
	s_mov_b32 s16, 0xfefa39ef
	v_cmp_nlt_f64_e64 s13, 0x40900000, v[35:36]
	v_cmp_ngt_f64_e64 s15, 0xc090cc00, v[35:36]
	v_rndne_f64_e32 v[63:64], v[63:64]
	v_fma_f64 v[65:66], v[63:64], s[16:17], v[35:36]
	v_cvt_i32_f64_e32 v69, v[63:64]
	s_mov_b32 s17, 0x3fe62e42
	v_fma_f64 v[65:66], v[63:64], s[18:19], v[65:66]
	s_mov_b32 s19, 0x3c7abc9e
	v_fma_f64 v[67:68], v[65:66], s[36:37], s[20:21]
	s_mov_b32 s20, 0x623fde64
	s_mov_b32 s21, 0x3ec71dee
	;; [unrolled: 1-line block ×4, first 2 shown]
	v_fma_f64 v[67:68], v[65:66], v[67:68], s[20:21]
	s_mov_b32 s20, 0x7c89e6b0
	s_mov_b32 s21, 0x3efa0199
	v_fma_f64 v[67:68], v[65:66], v[67:68], s[20:21]
	s_mov_b32 s20, 0x14761f6e
	s_mov_b32 s21, 0x3f2a01a0
	;; [unrolled: 3-line block ×8, first 2 shown]
	v_fma_f64 v[67:68], v[65:66], v[67:68], 1.0
	v_fma_f64 v[63:64], v[65:66], v[67:68], 1.0
	v_ldexp_f64 v[63:64], v[63:64], v69
	v_cndmask_b32_e64 v64, 0x7ff00000, v64, s13
	s_and_b32 s13, s15, s13
	v_cndmask_b32_e64 v35, 0, v63, s13
	v_cndmask_b32_e64 v36, 0, v64, s15
	v_add_f64 v[63:64], v[35:36], 1.0
	v_cmp_neq_f64_e64 s15, 0x7ff00000, v[35:36]
	v_frexp_mant_f64_e32 v[65:66], v[63:64]
	v_frexp_exp_i32_f64_e32 v69, v[63:64]
	v_add_f64 v[67:68], v[63:64], -1.0
	v_cmp_gt_f64_e64 s13, s[20:21], v[65:66]
	s_mov_b32 s20, 0x55555780
	v_add_f64 v[65:66], v[67:68], -v[63:64]
	v_add_f64 v[67:68], v[35:36], -v[67:68]
	v_subrev_co_ci_u32_e64 v87, null, 0, v69, s13
	v_add_f64 v[65:66], v[65:66], 1.0
	v_cmp_nge_f64_e64 s13, -1.0, v[35:36]
	v_sub_nc_u32_e32 v71, 0, v87
	v_ldexp_f64 v[63:64], v[63:64], v71
	v_add_f64 v[65:66], v[67:68], v[65:66]
	s_and_b32 s13, s13, s15
	v_add_f64 v[69:70], v[63:64], 1.0
	v_add_f64 v[77:78], v[63:64], -1.0
	v_ldexp_f64 v[65:66], v[65:66], v71
	v_add_f64 v[67:68], v[69:70], -1.0
	v_add_f64 v[79:80], v[77:78], 1.0
	v_add_f64 v[67:68], v[63:64], -v[67:68]
	v_add_f64 v[63:64], v[63:64], -v[79:80]
	v_add_f64 v[67:68], v[65:66], v[67:68]
	v_add_f64 v[63:64], v[65:66], v[63:64]
	;; [unrolled: 1-line block ×4, first 2 shown]
	v_rcp_f64_e32 v[73:74], v[71:72]
	v_add_f64 v[69:70], v[71:72], -v[69:70]
	v_add_f64 v[77:78], v[79:80], -v[77:78]
	;; [unrolled: 1-line block ×3, first 2 shown]
	v_fma_f64 v[81:82], -v[71:72], v[73:74], 1.0
	v_add_f64 v[63:64], v[63:64], -v[77:78]
	v_fma_f64 v[73:74], v[81:82], v[73:74], v[73:74]
	v_fma_f64 v[65:66], -v[71:72], v[73:74], 1.0
	v_fma_f64 v[65:66], v[65:66], v[73:74], v[73:74]
	v_mul_f64 v[73:74], v[79:80], v[65:66]
	v_mul_f64 v[81:82], v[71:72], v[73:74]
	v_fma_f64 v[69:70], v[73:74], v[71:72], -v[81:82]
	v_fma_f64 v[69:70], v[73:74], v[67:68], v[69:70]
	v_add_f64 v[83:84], v[81:82], v[69:70]
	v_add_f64 v[85:86], v[79:80], -v[83:84]
	v_add_f64 v[77:78], v[83:84], -v[81:82]
	;; [unrolled: 1-line block ×5, first 2 shown]
	v_add_f64 v[63:64], v[63:64], v[79:80]
	v_add_f64 v[63:64], v[69:70], v[63:64]
	v_add_f64 v[69:70], v[85:86], v[63:64]
	v_mul_f64 v[77:78], v[65:66], v[69:70]
	v_add_f64 v[83:84], v[85:86], -v[69:70]
	v_mul_f64 v[79:80], v[71:72], v[77:78]
	v_add_f64 v[63:64], v[63:64], v[83:84]
	v_fma_f64 v[71:72], v[77:78], v[71:72], -v[79:80]
	v_fma_f64 v[67:68], v[77:78], v[67:68], v[71:72]
	v_add_f64 v[71:72], v[79:80], v[67:68]
	v_add_f64 v[81:82], v[69:70], -v[71:72]
	v_add_f64 v[79:80], v[71:72], -v[79:80]
	;; [unrolled: 1-line block ×5, first 2 shown]
	v_add_f64 v[63:64], v[63:64], v[69:70]
	v_add_f64 v[69:70], v[73:74], v[77:78]
	;; [unrolled: 1-line block ×3, first 2 shown]
	v_add_f64 v[67:68], v[69:70], -v[73:74]
	v_add_f64 v[63:64], v[81:82], v[63:64]
	v_add_f64 v[67:68], v[77:78], -v[67:68]
	v_mul_f64 v[63:64], v[65:66], v[63:64]
	v_add_f64 v[63:64], v[67:68], v[63:64]
	v_add_f64 v[65:66], v[69:70], v[63:64]
	v_mul_f64 v[67:68], v[65:66], v[65:66]
	v_fma_f64 v[71:72], v[67:68], s[38:39], s[36:37]
	s_mov_b32 s36, 0xd7f4df2e
	s_mov_b32 s37, 0x3fc7474d
	v_mul_f64 v[73:74], v[65:66], v[67:68]
	v_fma_f64 v[71:72], v[67:68], v[71:72], s[36:37]
	s_mov_b32 s36, 0x16291751
	s_mov_b32 s37, 0x3fcc71c0
	v_fma_f64 v[71:72], v[67:68], v[71:72], s[36:37]
	s_mov_b32 s36, 0x9b27acf1
	s_mov_b32 s37, 0x3fd24924
	;; [unrolled: 3-line block ×3, first 2 shown]
	v_fma_f64 v[71:72], v[67:68], v[71:72], s[36:37]
	v_fma_f64 v[67:68], v[67:68], v[71:72], s[20:21]
	v_ldexp_f64 v[71:72], v[65:66], 1
	v_add_f64 v[65:66], v[65:66], -v[69:70]
	v_mul_f64 v[67:68], v[73:74], v[67:68]
	v_cvt_f64_i32_e32 v[73:74], v87
	v_add_f64 v[63:64], v[63:64], -v[65:66]
	v_add_f64 v[69:70], v[71:72], v[67:68]
	v_mul_f64 v[77:78], v[73:74], s[16:17]
	v_ldexp_f64 v[63:64], v[63:64], 1
	v_add_f64 v[65:66], v[69:70], -v[71:72]
	v_fma_f64 v[71:72], v[73:74], s[16:17], -v[77:78]
	v_cmp_ngt_f64_e64 s16, -1.0, v[35:36]
	v_add_f64 v[65:66], v[67:68], -v[65:66]
	v_fma_f64 v[67:68], v[73:74], s[18:19], v[71:72]
	v_add_f64 v[63:64], v[63:64], v[65:66]
	v_add_f64 v[65:66], v[77:78], v[67:68]
	;; [unrolled: 1-line block ×3, first 2 shown]
	v_add_f64 v[77:78], v[65:66], -v[77:78]
	v_add_f64 v[73:74], v[65:66], v[71:72]
	v_add_f64 v[69:70], v[71:72], -v[69:70]
	v_add_f64 v[67:68], v[67:68], -v[77:78]
	;; [unrolled: 1-line block ×6, first 2 shown]
	v_add_f64 v[71:72], v[67:68], v[63:64]
	v_add_f64 v[65:66], v[65:66], -v[81:82]
	v_add_f64 v[65:66], v[69:70], v[65:66]
	v_add_f64 v[69:70], v[71:72], -v[67:68]
	v_add_f64 v[65:66], v[71:72], v[65:66]
	v_add_f64 v[71:72], v[71:72], -v[69:70]
	v_add_f64 v[63:64], v[63:64], -v[69:70]
	v_add_f64 v[77:78], v[73:74], v[65:66]
	v_add_f64 v[67:68], v[67:68], -v[71:72]
	v_add_f64 v[69:70], v[77:78], -v[73:74]
	v_add_f64 v[63:64], v[63:64], v[67:68]
	v_add_f64 v[65:66], v[65:66], -v[69:70]
	v_add_f64 v[63:64], v[63:64], v[65:66]
	v_add_f64 v[63:64], v[77:78], v[63:64]
	v_cndmask_b32_e64 v63, 0, v63, s13
	v_cmp_neq_f64_e64 s13, -1.0, v[35:36]
	v_cndmask_b32_e64 v64, 0x7ff00000, v64, s15
	v_cndmask_b32_e64 v64, 0x7ff80000, v64, s16
	;; [unrolled: 1-line block ×3, first 2 shown]
	v_add_f64 v[35:36], v[27:28], v[63:64]
.LBB74_224:
	s_or_b32 exec_lo, exec_lo, s24
	v_max_f64 v[27:28], v[39:40], v[39:40]
	v_max_f64 v[63:64], v[35:36], v[35:36]
	v_cmp_u_f64_e64 s15, v[35:36], v[35:36]
	v_cmp_u_f64_e64 s13, v[39:40], v[39:40]
	v_min_f64 v[65:66], v[63:64], v[27:28]
	v_max_f64 v[63:64], v[63:64], v[27:28]
	v_cndmask_b32_e64 v65, v65, v35, s15
	v_cndmask_b32_e64 v66, v66, v36, s15
	;; [unrolled: 1-line block ×8, first 2 shown]
	v_cmp_class_f64_e64 s16, v[65:66], 0x1f8
	v_cmp_neq_f64_e64 s15, v[65:66], v[63:64]
	s_or_b32 s15, s15, s16
	s_and_saveexec_b32 s24, s15
	s_cbranch_execz .LBB74_226
; %bb.225:
	v_add_f64 v[35:36], v[65:66], -v[63:64]
	s_mov_b32 s16, 0x652b82fe
	s_mov_b32 s17, 0x3ff71547
	;; [unrolled: 1-line block ×10, first 2 shown]
	v_mul_f64 v[65:66], v[35:36], s[16:17]
	s_mov_b32 s16, 0xfca7ab0c
	s_mov_b32 s17, 0x3e928af3
	v_cmp_nlt_f64_e64 s15, 0x40900000, v[35:36]
	v_rndne_f64_e32 v[65:66], v[65:66]
	v_fma_f64 v[67:68], v[65:66], s[18:19], v[35:36]
	v_cvt_i32_f64_e32 v71, v[65:66]
	s_mov_b32 s19, 0x3fe62e42
	v_fma_f64 v[67:68], v[65:66], s[20:21], v[67:68]
	s_mov_b32 s21, 0x3c7abc9e
	v_fma_f64 v[69:70], v[67:68], s[36:37], s[16:17]
	s_mov_b32 s16, 0x623fde64
	s_mov_b32 s17, 0x3ec71dee
	s_mov_b32 s36, 0x6b47b09a
	s_mov_b32 s37, 0x3fc38538
	v_fma_f64 v[69:70], v[67:68], v[69:70], s[16:17]
	s_mov_b32 s16, 0x7c89e6b0
	s_mov_b32 s17, 0x3efa0199
	v_fma_f64 v[69:70], v[67:68], v[69:70], s[16:17]
	s_mov_b32 s16, 0x14761f6e
	s_mov_b32 s17, 0x3f2a01a0
	;; [unrolled: 3-line block ×7, first 2 shown]
	v_fma_f64 v[69:70], v[67:68], v[69:70], s[16:17]
	v_cmp_ngt_f64_e64 s16, 0xc090cc00, v[35:36]
	s_mov_b32 s17, 0x3fe55555
	v_fma_f64 v[69:70], v[67:68], v[69:70], 1.0
	v_fma_f64 v[65:66], v[67:68], v[69:70], 1.0
	v_ldexp_f64 v[65:66], v[65:66], v71
	v_cndmask_b32_e64 v66, 0x7ff00000, v66, s15
	s_and_b32 s15, s16, s15
	v_cndmask_b32_e64 v35, 0, v65, s15
	v_cndmask_b32_e64 v36, 0, v66, s16
	s_mov_b32 s16, 0x55555555
	v_add_f64 v[65:66], v[35:36], 1.0
	v_frexp_mant_f64_e32 v[67:68], v[65:66]
	v_frexp_exp_i32_f64_e32 v71, v[65:66]
	v_add_f64 v[69:70], v[65:66], -1.0
	v_cmp_gt_f64_e64 s15, s[16:17], v[67:68]
	s_mov_b32 s16, 0x55555780
	v_add_f64 v[67:68], v[69:70], -v[65:66]
	v_add_f64 v[69:70], v[35:36], -v[69:70]
	v_subrev_co_ci_u32_e64 v89, null, 0, v71, s15
	v_add_f64 v[67:68], v[67:68], 1.0
	v_cmp_nge_f64_e64 s15, -1.0, v[35:36]
	v_sub_nc_u32_e32 v73, 0, v89
	v_ldexp_f64 v[65:66], v[65:66], v73
	v_add_f64 v[67:68], v[69:70], v[67:68]
	v_add_f64 v[71:72], v[65:66], 1.0
	v_add_f64 v[79:80], v[65:66], -1.0
	v_ldexp_f64 v[67:68], v[67:68], v73
	v_add_f64 v[69:70], v[71:72], -1.0
	v_add_f64 v[81:82], v[79:80], 1.0
	v_add_f64 v[69:70], v[65:66], -v[69:70]
	v_add_f64 v[65:66], v[65:66], -v[81:82]
	v_add_f64 v[69:70], v[67:68], v[69:70]
	v_add_f64 v[65:66], v[67:68], v[65:66]
	;; [unrolled: 1-line block ×4, first 2 shown]
	v_rcp_f64_e32 v[77:78], v[73:74]
	v_add_f64 v[71:72], v[73:74], -v[71:72]
	v_add_f64 v[79:80], v[81:82], -v[79:80]
	;; [unrolled: 1-line block ×3, first 2 shown]
	v_fma_f64 v[83:84], -v[73:74], v[77:78], 1.0
	v_add_f64 v[65:66], v[65:66], -v[79:80]
	v_fma_f64 v[77:78], v[83:84], v[77:78], v[77:78]
	v_fma_f64 v[67:68], -v[73:74], v[77:78], 1.0
	v_fma_f64 v[67:68], v[67:68], v[77:78], v[77:78]
	v_mul_f64 v[77:78], v[81:82], v[67:68]
	v_mul_f64 v[83:84], v[73:74], v[77:78]
	v_fma_f64 v[71:72], v[77:78], v[73:74], -v[83:84]
	v_fma_f64 v[71:72], v[77:78], v[69:70], v[71:72]
	v_add_f64 v[85:86], v[83:84], v[71:72]
	v_add_f64 v[87:88], v[81:82], -v[85:86]
	v_add_f64 v[79:80], v[85:86], -v[83:84]
	;; [unrolled: 1-line block ×5, first 2 shown]
	v_add_f64 v[65:66], v[65:66], v[81:82]
	v_add_f64 v[65:66], v[71:72], v[65:66]
	;; [unrolled: 1-line block ×3, first 2 shown]
	v_mul_f64 v[79:80], v[67:68], v[71:72]
	v_add_f64 v[85:86], v[87:88], -v[71:72]
	v_mul_f64 v[81:82], v[73:74], v[79:80]
	v_add_f64 v[65:66], v[65:66], v[85:86]
	v_fma_f64 v[73:74], v[79:80], v[73:74], -v[81:82]
	v_fma_f64 v[69:70], v[79:80], v[69:70], v[73:74]
	v_add_f64 v[73:74], v[81:82], v[69:70]
	v_add_f64 v[83:84], v[71:72], -v[73:74]
	v_add_f64 v[81:82], v[73:74], -v[81:82]
	;; [unrolled: 1-line block ×5, first 2 shown]
	v_add_f64 v[65:66], v[65:66], v[71:72]
	v_add_f64 v[71:72], v[77:78], v[79:80]
	;; [unrolled: 1-line block ×3, first 2 shown]
	v_add_f64 v[69:70], v[71:72], -v[77:78]
	v_add_f64 v[65:66], v[83:84], v[65:66]
	v_add_f64 v[69:70], v[79:80], -v[69:70]
	v_mul_f64 v[65:66], v[67:68], v[65:66]
	v_add_f64 v[65:66], v[69:70], v[65:66]
	v_add_f64 v[67:68], v[71:72], v[65:66]
	v_mul_f64 v[69:70], v[67:68], v[67:68]
	v_fma_f64 v[73:74], v[69:70], s[38:39], s[36:37]
	s_mov_b32 s36, 0xd7f4df2e
	s_mov_b32 s37, 0x3fc7474d
	v_mul_f64 v[77:78], v[67:68], v[69:70]
	v_fma_f64 v[73:74], v[69:70], v[73:74], s[36:37]
	s_mov_b32 s36, 0x16291751
	s_mov_b32 s37, 0x3fcc71c0
	v_fma_f64 v[73:74], v[69:70], v[73:74], s[36:37]
	s_mov_b32 s36, 0x9b27acf1
	s_mov_b32 s37, 0x3fd24924
	;; [unrolled: 3-line block ×3, first 2 shown]
	v_fma_f64 v[73:74], v[69:70], v[73:74], s[36:37]
	v_fma_f64 v[69:70], v[69:70], v[73:74], s[16:17]
	v_ldexp_f64 v[73:74], v[67:68], 1
	v_add_f64 v[67:68], v[67:68], -v[71:72]
	v_cmp_neq_f64_e64 s16, 0x7ff00000, v[35:36]
	v_cmp_ngt_f64_e64 s17, -1.0, v[35:36]
	v_mul_f64 v[69:70], v[77:78], v[69:70]
	v_cvt_f64_i32_e32 v[77:78], v89
	v_add_f64 v[65:66], v[65:66], -v[67:68]
	s_and_b32 s15, s15, s16
	v_add_f64 v[71:72], v[73:74], v[69:70]
	v_mul_f64 v[79:80], v[77:78], s[18:19]
	v_ldexp_f64 v[65:66], v[65:66], 1
	v_add_f64 v[67:68], v[71:72], -v[73:74]
	v_fma_f64 v[73:74], v[77:78], s[18:19], -v[79:80]
	v_add_f64 v[67:68], v[69:70], -v[67:68]
	v_fma_f64 v[69:70], v[77:78], s[20:21], v[73:74]
	v_add_f64 v[65:66], v[65:66], v[67:68]
	v_add_f64 v[67:68], v[79:80], v[69:70]
	;; [unrolled: 1-line block ×3, first 2 shown]
	v_add_f64 v[79:80], v[67:68], -v[79:80]
	v_add_f64 v[77:78], v[67:68], v[73:74]
	v_add_f64 v[71:72], v[73:74], -v[71:72]
	v_add_f64 v[69:70], v[69:70], -v[79:80]
	;; [unrolled: 1-line block ×6, first 2 shown]
	v_add_f64 v[73:74], v[69:70], v[65:66]
	v_add_f64 v[67:68], v[67:68], -v[83:84]
	v_add_f64 v[67:68], v[71:72], v[67:68]
	v_add_f64 v[71:72], v[73:74], -v[69:70]
	;; [unrolled: 2-line block ×3, first 2 shown]
	v_add_f64 v[65:66], v[65:66], -v[71:72]
	v_add_f64 v[79:80], v[77:78], v[67:68]
	v_add_f64 v[69:70], v[69:70], -v[73:74]
	v_add_f64 v[71:72], v[79:80], -v[77:78]
	v_add_f64 v[65:66], v[65:66], v[69:70]
	v_add_f64 v[67:68], v[67:68], -v[71:72]
	v_add_f64 v[65:66], v[65:66], v[67:68]
	v_add_f64 v[65:66], v[79:80], v[65:66]
	v_cndmask_b32_e64 v65, 0, v65, s15
	v_cmp_neq_f64_e64 s15, -1.0, v[35:36]
	v_cndmask_b32_e64 v66, 0x7ff00000, v66, s16
	v_cndmask_b32_e64 v66, 0x7ff80000, v66, s17
	;; [unrolled: 1-line block ×3, first 2 shown]
	v_add_f64 v[35:36], v[63:64], v[65:66]
.LBB74_226:
	s_or_b32 exec_lo, exec_lo, s24
	v_mbcnt_lo_u32_b32 v69, -1, 0
	v_mov_b32_dpp v63, v35 row_shr:1 row_mask:0xf bank_mask:0xf
	v_mov_b32_dpp v64, v36 row_shr:1 row_mask:0xf bank_mask:0xf
	v_mov_b32_e32 v65, v35
	v_mov_b32_e32 v66, v36
	v_and_b32_e32 v67, 15, v69
	s_mov_b32 s24, exec_lo
	v_cmpx_ne_u32_e32 0, v67
	s_cbranch_execz .LBB74_230
; %bb.227:
	v_max_f64 v[65:66], v[63:64], v[63:64]
	v_max_f64 v[70:71], v[35:36], v[35:36]
	v_cmp_u_f64_e64 s15, v[63:64], v[63:64]
	v_cmp_u_f64_e64 s16, v[35:36], v[35:36]
	v_min_f64 v[72:73], v[65:66], v[70:71]
	v_max_f64 v[65:66], v[65:66], v[70:71]
	v_cndmask_b32_e64 v68, v73, v64, s15
	v_cndmask_b32_e64 v70, v72, v63, s15
	;; [unrolled: 1-line block ×8, first 2 shown]
	v_cmp_class_f64_e64 s16, v[65:66], 0x1f8
	v_cmp_neq_f64_e64 s15, v[65:66], v[35:36]
	s_or_b32 s15, s15, s16
	s_and_saveexec_b32 s25, s15
	s_cbranch_execz .LBB74_229
; %bb.228:
	v_add_f64 v[63:64], v[65:66], -v[35:36]
	s_mov_b32 s16, 0x652b82fe
	s_mov_b32 s17, 0x3ff71547
	;; [unrolled: 1-line block ×10, first 2 shown]
	v_mul_f64 v[65:66], v[63:64], s[16:17]
	s_mov_b32 s16, 0xfca7ab0c
	s_mov_b32 s17, 0x3e928af3
	v_cmp_nlt_f64_e64 s15, 0x40900000, v[63:64]
	v_rndne_f64_e32 v[65:66], v[65:66]
	v_fma_f64 v[70:71], v[65:66], s[18:19], v[63:64]
	v_cvt_i32_f64_e32 v68, v[65:66]
	s_mov_b32 s19, 0x3fe62e42
	v_fma_f64 v[70:71], v[65:66], s[20:21], v[70:71]
	s_mov_b32 s21, 0x3c7abc9e
	v_fma_f64 v[72:73], v[70:71], s[36:37], s[16:17]
	s_mov_b32 s16, 0x623fde64
	s_mov_b32 s17, 0x3ec71dee
	;; [unrolled: 1-line block ×4, first 2 shown]
	v_fma_f64 v[72:73], v[70:71], v[72:73], s[16:17]
	s_mov_b32 s16, 0x7c89e6b0
	s_mov_b32 s17, 0x3efa0199
	v_fma_f64 v[72:73], v[70:71], v[72:73], s[16:17]
	s_mov_b32 s16, 0x14761f6e
	s_mov_b32 s17, 0x3f2a01a0
	;; [unrolled: 3-line block ×7, first 2 shown]
	v_fma_f64 v[72:73], v[70:71], v[72:73], s[16:17]
	v_cmp_ngt_f64_e64 s16, 0xc090cc00, v[63:64]
	s_mov_b32 s17, 0x3fe55555
	v_fma_f64 v[72:73], v[70:71], v[72:73], 1.0
	v_fma_f64 v[65:66], v[70:71], v[72:73], 1.0
	v_ldexp_f64 v[65:66], v[65:66], v68
	v_cndmask_b32_e64 v66, 0x7ff00000, v66, s15
	s_and_b32 s15, s16, s15
	v_cndmask_b32_e64 v63, 0, v65, s15
	v_cndmask_b32_e64 v64, 0, v66, s16
	s_mov_b32 s16, 0x55555555
	v_add_f64 v[65:66], v[63:64], 1.0
	v_frexp_mant_f64_e32 v[70:71], v[65:66]
	v_frexp_exp_i32_f64_e32 v68, v[65:66]
	v_add_f64 v[72:73], v[65:66], -1.0
	v_cmp_gt_f64_e64 s15, s[16:17], v[70:71]
	s_mov_b32 s16, 0x55555780
	v_add_f64 v[70:71], v[72:73], -v[65:66]
	v_add_f64 v[72:73], v[63:64], -v[72:73]
	v_subrev_co_ci_u32_e64 v68, null, 0, v68, s15
	v_add_f64 v[70:71], v[70:71], 1.0
	v_cmp_nge_f64_e64 s15, -1.0, v[63:64]
	v_sub_nc_u32_e32 v74, 0, v68
	v_ldexp_f64 v[65:66], v[65:66], v74
	v_add_f64 v[70:71], v[72:73], v[70:71]
	v_add_f64 v[77:78], v[65:66], 1.0
	v_add_f64 v[83:84], v[65:66], -1.0
	v_ldexp_f64 v[70:71], v[70:71], v74
	v_add_f64 v[72:73], v[77:78], -1.0
	v_add_f64 v[85:86], v[83:84], 1.0
	v_add_f64 v[72:73], v[65:66], -v[72:73]
	v_add_f64 v[65:66], v[65:66], -v[85:86]
	v_add_f64 v[72:73], v[70:71], v[72:73]
	v_add_f64 v[65:66], v[70:71], v[65:66]
	;; [unrolled: 1-line block ×4, first 2 shown]
	v_rcp_f64_e32 v[81:82], v[79:80]
	v_add_f64 v[77:78], v[79:80], -v[77:78]
	v_add_f64 v[83:84], v[85:86], -v[83:84]
	;; [unrolled: 1-line block ×3, first 2 shown]
	v_fma_f64 v[87:88], -v[79:80], v[81:82], 1.0
	v_add_f64 v[65:66], v[65:66], -v[83:84]
	v_fma_f64 v[81:82], v[87:88], v[81:82], v[81:82]
	v_fma_f64 v[70:71], -v[79:80], v[81:82], 1.0
	v_fma_f64 v[70:71], v[70:71], v[81:82], v[81:82]
	v_mul_f64 v[81:82], v[85:86], v[70:71]
	v_mul_f64 v[87:88], v[79:80], v[81:82]
	v_fma_f64 v[77:78], v[81:82], v[79:80], -v[87:88]
	v_fma_f64 v[77:78], v[81:82], v[72:73], v[77:78]
	v_add_f64 v[89:90], v[87:88], v[77:78]
	v_add_f64 v[91:92], v[85:86], -v[89:90]
	v_add_f64 v[83:84], v[89:90], -v[87:88]
	;; [unrolled: 1-line block ×5, first 2 shown]
	v_add_f64 v[65:66], v[65:66], v[85:86]
	v_add_f64 v[65:66], v[77:78], v[65:66]
	;; [unrolled: 1-line block ×3, first 2 shown]
	v_mul_f64 v[83:84], v[70:71], v[77:78]
	v_add_f64 v[89:90], v[91:92], -v[77:78]
	v_mul_f64 v[85:86], v[79:80], v[83:84]
	v_add_f64 v[65:66], v[65:66], v[89:90]
	v_fma_f64 v[79:80], v[83:84], v[79:80], -v[85:86]
	v_fma_f64 v[72:73], v[83:84], v[72:73], v[79:80]
	v_add_f64 v[79:80], v[85:86], v[72:73]
	v_add_f64 v[87:88], v[77:78], -v[79:80]
	v_add_f64 v[85:86], v[79:80], -v[85:86]
	v_add_f64 v[77:78], v[77:78], -v[87:88]
	v_add_f64 v[72:73], v[85:86], -v[72:73]
	v_add_f64 v[77:78], v[77:78], -v[79:80]
	v_add_f64 v[65:66], v[65:66], v[77:78]
	v_add_f64 v[77:78], v[81:82], v[83:84]
	;; [unrolled: 1-line block ×3, first 2 shown]
	v_add_f64 v[72:73], v[77:78], -v[81:82]
	v_add_f64 v[65:66], v[87:88], v[65:66]
	v_add_f64 v[72:73], v[83:84], -v[72:73]
	v_mul_f64 v[65:66], v[70:71], v[65:66]
	v_add_f64 v[65:66], v[72:73], v[65:66]
	v_add_f64 v[70:71], v[77:78], v[65:66]
	v_mul_f64 v[72:73], v[70:71], v[70:71]
	v_fma_f64 v[79:80], v[72:73], s[38:39], s[36:37]
	s_mov_b32 s36, 0xd7f4df2e
	s_mov_b32 s37, 0x3fc7474d
	v_mul_f64 v[81:82], v[70:71], v[72:73]
	v_fma_f64 v[79:80], v[72:73], v[79:80], s[36:37]
	s_mov_b32 s36, 0x16291751
	s_mov_b32 s37, 0x3fcc71c0
	v_fma_f64 v[79:80], v[72:73], v[79:80], s[36:37]
	s_mov_b32 s36, 0x9b27acf1
	s_mov_b32 s37, 0x3fd24924
	;; [unrolled: 3-line block ×3, first 2 shown]
	v_fma_f64 v[79:80], v[72:73], v[79:80], s[36:37]
	v_fma_f64 v[72:73], v[72:73], v[79:80], s[16:17]
	v_ldexp_f64 v[79:80], v[70:71], 1
	v_add_f64 v[70:71], v[70:71], -v[77:78]
	v_cmp_neq_f64_e64 s16, 0x7ff00000, v[63:64]
	v_cmp_ngt_f64_e64 s17, -1.0, v[63:64]
	v_mul_f64 v[72:73], v[81:82], v[72:73]
	v_cvt_f64_i32_e32 v[81:82], v68
	v_add_f64 v[65:66], v[65:66], -v[70:71]
	s_and_b32 s15, s15, s16
	v_add_f64 v[77:78], v[79:80], v[72:73]
	v_mul_f64 v[83:84], v[81:82], s[18:19]
	v_ldexp_f64 v[65:66], v[65:66], 1
	v_add_f64 v[70:71], v[77:78], -v[79:80]
	v_fma_f64 v[79:80], v[81:82], s[18:19], -v[83:84]
	v_add_f64 v[70:71], v[72:73], -v[70:71]
	v_fma_f64 v[72:73], v[81:82], s[20:21], v[79:80]
	v_add_f64 v[65:66], v[65:66], v[70:71]
	v_add_f64 v[70:71], v[83:84], v[72:73]
	;; [unrolled: 1-line block ×3, first 2 shown]
	v_add_f64 v[83:84], v[70:71], -v[83:84]
	v_add_f64 v[81:82], v[70:71], v[79:80]
	v_add_f64 v[77:78], v[79:80], -v[77:78]
	v_add_f64 v[72:73], v[72:73], -v[83:84]
	;; [unrolled: 1-line block ×6, first 2 shown]
	v_add_f64 v[79:80], v[72:73], v[65:66]
	v_add_f64 v[70:71], v[70:71], -v[87:88]
	v_add_f64 v[70:71], v[77:78], v[70:71]
	v_add_f64 v[77:78], v[79:80], -v[72:73]
	;; [unrolled: 2-line block ×3, first 2 shown]
	v_add_f64 v[65:66], v[65:66], -v[77:78]
	v_add_f64 v[83:84], v[81:82], v[70:71]
	v_add_f64 v[72:73], v[72:73], -v[79:80]
	v_add_f64 v[77:78], v[83:84], -v[81:82]
	v_add_f64 v[65:66], v[65:66], v[72:73]
	v_add_f64 v[70:71], v[70:71], -v[77:78]
	v_add_f64 v[65:66], v[65:66], v[70:71]
	v_add_f64 v[65:66], v[83:84], v[65:66]
	v_cndmask_b32_e64 v65, 0, v65, s15
	v_cmp_neq_f64_e64 s15, -1.0, v[63:64]
	v_cndmask_b32_e64 v66, 0x7ff00000, v66, s16
	v_cndmask_b32_e64 v66, 0x7ff80000, v66, s17
	v_cndmask_b32_e64 v66, 0xfff00000, v66, s15
	v_add_f64 v[63:64], v[35:36], v[65:66]
.LBB74_229:
	s_or_b32 exec_lo, exec_lo, s25
	v_mov_b32_e32 v35, v63
	v_mov_b32_e32 v65, v63
	;; [unrolled: 1-line block ×4, first 2 shown]
.LBB74_230:
	s_or_b32 exec_lo, exec_lo, s24
	v_mov_b32_dpp v63, v65 row_shr:2 row_mask:0xf bank_mask:0xf
	v_mov_b32_dpp v64, v66 row_shr:2 row_mask:0xf bank_mask:0xf
	s_mov_b32 s24, exec_lo
	v_cmpx_lt_u32_e32 1, v67
	s_cbranch_execz .LBB74_234
; %bb.231:
	v_max_f64 v[65:66], v[63:64], v[63:64]
	v_max_f64 v[70:71], v[35:36], v[35:36]
	v_cmp_u_f64_e64 s15, v[63:64], v[63:64]
	v_cmp_u_f64_e64 s16, v[35:36], v[35:36]
	v_min_f64 v[72:73], v[65:66], v[70:71]
	v_max_f64 v[65:66], v[65:66], v[70:71]
	v_cndmask_b32_e64 v68, v73, v64, s15
	v_cndmask_b32_e64 v70, v72, v63, s15
	;; [unrolled: 1-line block ×8, first 2 shown]
	v_cmp_class_f64_e64 s16, v[65:66], 0x1f8
	v_cmp_neq_f64_e64 s15, v[65:66], v[35:36]
	s_or_b32 s15, s15, s16
	s_and_saveexec_b32 s25, s15
	s_cbranch_execz .LBB74_233
; %bb.232:
	v_add_f64 v[63:64], v[65:66], -v[35:36]
	s_mov_b32 s16, 0x652b82fe
	s_mov_b32 s17, 0x3ff71547
	;; [unrolled: 1-line block ×10, first 2 shown]
	v_mul_f64 v[65:66], v[63:64], s[16:17]
	s_mov_b32 s16, 0xfca7ab0c
	s_mov_b32 s17, 0x3e928af3
	v_cmp_nlt_f64_e64 s15, 0x40900000, v[63:64]
	v_rndne_f64_e32 v[65:66], v[65:66]
	v_fma_f64 v[70:71], v[65:66], s[18:19], v[63:64]
	v_cvt_i32_f64_e32 v68, v[65:66]
	s_mov_b32 s19, 0x3fe62e42
	v_fma_f64 v[70:71], v[65:66], s[20:21], v[70:71]
	s_mov_b32 s21, 0x3c7abc9e
	v_fma_f64 v[72:73], v[70:71], s[36:37], s[16:17]
	s_mov_b32 s16, 0x623fde64
	s_mov_b32 s17, 0x3ec71dee
	;; [unrolled: 1-line block ×4, first 2 shown]
	v_fma_f64 v[72:73], v[70:71], v[72:73], s[16:17]
	s_mov_b32 s16, 0x7c89e6b0
	s_mov_b32 s17, 0x3efa0199
	v_fma_f64 v[72:73], v[70:71], v[72:73], s[16:17]
	s_mov_b32 s16, 0x14761f6e
	s_mov_b32 s17, 0x3f2a01a0
	;; [unrolled: 3-line block ×7, first 2 shown]
	v_fma_f64 v[72:73], v[70:71], v[72:73], s[16:17]
	v_cmp_ngt_f64_e64 s16, 0xc090cc00, v[63:64]
	s_mov_b32 s17, 0x3fe55555
	v_fma_f64 v[72:73], v[70:71], v[72:73], 1.0
	v_fma_f64 v[65:66], v[70:71], v[72:73], 1.0
	v_ldexp_f64 v[65:66], v[65:66], v68
	v_cndmask_b32_e64 v66, 0x7ff00000, v66, s15
	s_and_b32 s15, s16, s15
	v_cndmask_b32_e64 v63, 0, v65, s15
	v_cndmask_b32_e64 v64, 0, v66, s16
	s_mov_b32 s16, 0x55555555
	v_add_f64 v[65:66], v[63:64], 1.0
	v_frexp_mant_f64_e32 v[70:71], v[65:66]
	v_frexp_exp_i32_f64_e32 v68, v[65:66]
	v_add_f64 v[72:73], v[65:66], -1.0
	v_cmp_gt_f64_e64 s15, s[16:17], v[70:71]
	s_mov_b32 s16, 0x55555780
	v_add_f64 v[70:71], v[72:73], -v[65:66]
	v_add_f64 v[72:73], v[63:64], -v[72:73]
	v_subrev_co_ci_u32_e64 v68, null, 0, v68, s15
	v_add_f64 v[70:71], v[70:71], 1.0
	v_cmp_nge_f64_e64 s15, -1.0, v[63:64]
	v_sub_nc_u32_e32 v74, 0, v68
	v_ldexp_f64 v[65:66], v[65:66], v74
	v_add_f64 v[70:71], v[72:73], v[70:71]
	v_add_f64 v[77:78], v[65:66], 1.0
	v_add_f64 v[83:84], v[65:66], -1.0
	v_ldexp_f64 v[70:71], v[70:71], v74
	v_add_f64 v[72:73], v[77:78], -1.0
	v_add_f64 v[85:86], v[83:84], 1.0
	v_add_f64 v[72:73], v[65:66], -v[72:73]
	v_add_f64 v[65:66], v[65:66], -v[85:86]
	v_add_f64 v[72:73], v[70:71], v[72:73]
	v_add_f64 v[65:66], v[70:71], v[65:66]
	v_add_f64 v[79:80], v[77:78], v[72:73]
	v_add_f64 v[85:86], v[83:84], v[65:66]
	v_rcp_f64_e32 v[81:82], v[79:80]
	v_add_f64 v[77:78], v[79:80], -v[77:78]
	v_add_f64 v[83:84], v[85:86], -v[83:84]
	;; [unrolled: 1-line block ×3, first 2 shown]
	v_fma_f64 v[87:88], -v[79:80], v[81:82], 1.0
	v_add_f64 v[65:66], v[65:66], -v[83:84]
	v_fma_f64 v[81:82], v[87:88], v[81:82], v[81:82]
	v_fma_f64 v[70:71], -v[79:80], v[81:82], 1.0
	v_fma_f64 v[70:71], v[70:71], v[81:82], v[81:82]
	v_mul_f64 v[81:82], v[85:86], v[70:71]
	v_mul_f64 v[87:88], v[79:80], v[81:82]
	v_fma_f64 v[77:78], v[81:82], v[79:80], -v[87:88]
	v_fma_f64 v[77:78], v[81:82], v[72:73], v[77:78]
	v_add_f64 v[89:90], v[87:88], v[77:78]
	v_add_f64 v[91:92], v[85:86], -v[89:90]
	v_add_f64 v[83:84], v[89:90], -v[87:88]
	;; [unrolled: 1-line block ×5, first 2 shown]
	v_add_f64 v[65:66], v[65:66], v[85:86]
	v_add_f64 v[65:66], v[77:78], v[65:66]
	;; [unrolled: 1-line block ×3, first 2 shown]
	v_mul_f64 v[83:84], v[70:71], v[77:78]
	v_add_f64 v[89:90], v[91:92], -v[77:78]
	v_mul_f64 v[85:86], v[79:80], v[83:84]
	v_add_f64 v[65:66], v[65:66], v[89:90]
	v_fma_f64 v[79:80], v[83:84], v[79:80], -v[85:86]
	v_fma_f64 v[72:73], v[83:84], v[72:73], v[79:80]
	v_add_f64 v[79:80], v[85:86], v[72:73]
	v_add_f64 v[87:88], v[77:78], -v[79:80]
	v_add_f64 v[85:86], v[79:80], -v[85:86]
	;; [unrolled: 1-line block ×5, first 2 shown]
	v_add_f64 v[65:66], v[65:66], v[77:78]
	v_add_f64 v[77:78], v[81:82], v[83:84]
	;; [unrolled: 1-line block ×3, first 2 shown]
	v_add_f64 v[72:73], v[77:78], -v[81:82]
	v_add_f64 v[65:66], v[87:88], v[65:66]
	v_add_f64 v[72:73], v[83:84], -v[72:73]
	v_mul_f64 v[65:66], v[70:71], v[65:66]
	v_add_f64 v[65:66], v[72:73], v[65:66]
	v_add_f64 v[70:71], v[77:78], v[65:66]
	v_mul_f64 v[72:73], v[70:71], v[70:71]
	v_fma_f64 v[79:80], v[72:73], s[38:39], s[36:37]
	s_mov_b32 s36, 0xd7f4df2e
	s_mov_b32 s37, 0x3fc7474d
	v_mul_f64 v[81:82], v[70:71], v[72:73]
	v_fma_f64 v[79:80], v[72:73], v[79:80], s[36:37]
	s_mov_b32 s36, 0x16291751
	s_mov_b32 s37, 0x3fcc71c0
	v_fma_f64 v[79:80], v[72:73], v[79:80], s[36:37]
	s_mov_b32 s36, 0x9b27acf1
	s_mov_b32 s37, 0x3fd24924
	v_fma_f64 v[79:80], v[72:73], v[79:80], s[36:37]
	s_mov_b32 s36, 0x998ef7b6
	s_mov_b32 s37, 0x3fd99999
	v_fma_f64 v[79:80], v[72:73], v[79:80], s[36:37]
	v_fma_f64 v[72:73], v[72:73], v[79:80], s[16:17]
	v_ldexp_f64 v[79:80], v[70:71], 1
	v_add_f64 v[70:71], v[70:71], -v[77:78]
	v_cmp_neq_f64_e64 s16, 0x7ff00000, v[63:64]
	v_cmp_ngt_f64_e64 s17, -1.0, v[63:64]
	v_mul_f64 v[72:73], v[81:82], v[72:73]
	v_cvt_f64_i32_e32 v[81:82], v68
	v_add_f64 v[65:66], v[65:66], -v[70:71]
	s_and_b32 s15, s15, s16
	v_add_f64 v[77:78], v[79:80], v[72:73]
	v_mul_f64 v[83:84], v[81:82], s[18:19]
	v_ldexp_f64 v[65:66], v[65:66], 1
	v_add_f64 v[70:71], v[77:78], -v[79:80]
	v_fma_f64 v[79:80], v[81:82], s[18:19], -v[83:84]
	v_add_f64 v[70:71], v[72:73], -v[70:71]
	v_fma_f64 v[72:73], v[81:82], s[20:21], v[79:80]
	v_add_f64 v[65:66], v[65:66], v[70:71]
	v_add_f64 v[70:71], v[83:84], v[72:73]
	;; [unrolled: 1-line block ×3, first 2 shown]
	v_add_f64 v[83:84], v[70:71], -v[83:84]
	v_add_f64 v[81:82], v[70:71], v[79:80]
	v_add_f64 v[77:78], v[79:80], -v[77:78]
	v_add_f64 v[72:73], v[72:73], -v[83:84]
	;; [unrolled: 1-line block ×6, first 2 shown]
	v_add_f64 v[79:80], v[72:73], v[65:66]
	v_add_f64 v[70:71], v[70:71], -v[87:88]
	v_add_f64 v[70:71], v[77:78], v[70:71]
	v_add_f64 v[77:78], v[79:80], -v[72:73]
	;; [unrolled: 2-line block ×3, first 2 shown]
	v_add_f64 v[65:66], v[65:66], -v[77:78]
	v_add_f64 v[83:84], v[81:82], v[70:71]
	v_add_f64 v[72:73], v[72:73], -v[79:80]
	v_add_f64 v[77:78], v[83:84], -v[81:82]
	v_add_f64 v[65:66], v[65:66], v[72:73]
	v_add_f64 v[70:71], v[70:71], -v[77:78]
	v_add_f64 v[65:66], v[65:66], v[70:71]
	v_add_f64 v[65:66], v[83:84], v[65:66]
	v_cndmask_b32_e64 v65, 0, v65, s15
	v_cmp_neq_f64_e64 s15, -1.0, v[63:64]
	v_cndmask_b32_e64 v66, 0x7ff00000, v66, s16
	v_cndmask_b32_e64 v66, 0x7ff80000, v66, s17
	;; [unrolled: 1-line block ×3, first 2 shown]
	v_add_f64 v[63:64], v[35:36], v[65:66]
.LBB74_233:
	s_or_b32 exec_lo, exec_lo, s25
	v_mov_b32_e32 v35, v63
	v_mov_b32_e32 v36, v64
	;; [unrolled: 1-line block ×4, first 2 shown]
.LBB74_234:
	s_or_b32 exec_lo, exec_lo, s24
	v_mov_b32_dpp v63, v65 row_shr:4 row_mask:0xf bank_mask:0xf
	v_mov_b32_dpp v64, v66 row_shr:4 row_mask:0xf bank_mask:0xf
	s_mov_b32 s24, exec_lo
	v_cmpx_lt_u32_e32 3, v67
	s_cbranch_execz .LBB74_238
; %bb.235:
	v_max_f64 v[65:66], v[63:64], v[63:64]
	v_max_f64 v[70:71], v[35:36], v[35:36]
	v_cmp_u_f64_e64 s15, v[63:64], v[63:64]
	v_cmp_u_f64_e64 s16, v[35:36], v[35:36]
	v_min_f64 v[72:73], v[65:66], v[70:71]
	v_max_f64 v[65:66], v[65:66], v[70:71]
	v_cndmask_b32_e64 v68, v73, v64, s15
	v_cndmask_b32_e64 v70, v72, v63, s15
	;; [unrolled: 1-line block ×8, first 2 shown]
	v_cmp_class_f64_e64 s16, v[65:66], 0x1f8
	v_cmp_neq_f64_e64 s15, v[65:66], v[35:36]
	s_or_b32 s15, s15, s16
	s_and_saveexec_b32 s25, s15
	s_cbranch_execz .LBB74_237
; %bb.236:
	v_add_f64 v[63:64], v[65:66], -v[35:36]
	s_mov_b32 s16, 0x652b82fe
	s_mov_b32 s17, 0x3ff71547
	s_mov_b32 s19, 0xbfe62e42
	s_mov_b32 s18, 0xfefa39ef
	s_mov_b32 s21, 0xbc7abc9e
	s_mov_b32 s20, 0x3b39803f
	s_mov_b32 s36, 0x6a5dcb37
	s_mov_b32 s37, 0x3e5ade15
	s_mov_b32 s38, 0xbf559e2b
	s_mov_b32 s39, 0x3fc3ab76
	v_mul_f64 v[65:66], v[63:64], s[16:17]
	s_mov_b32 s16, 0xfca7ab0c
	s_mov_b32 s17, 0x3e928af3
	v_cmp_nlt_f64_e64 s15, 0x40900000, v[63:64]
	v_rndne_f64_e32 v[65:66], v[65:66]
	v_fma_f64 v[70:71], v[65:66], s[18:19], v[63:64]
	v_cvt_i32_f64_e32 v68, v[65:66]
	s_mov_b32 s19, 0x3fe62e42
	v_fma_f64 v[70:71], v[65:66], s[20:21], v[70:71]
	s_mov_b32 s21, 0x3c7abc9e
	v_fma_f64 v[72:73], v[70:71], s[36:37], s[16:17]
	s_mov_b32 s16, 0x623fde64
	s_mov_b32 s17, 0x3ec71dee
	;; [unrolled: 1-line block ×4, first 2 shown]
	v_fma_f64 v[72:73], v[70:71], v[72:73], s[16:17]
	s_mov_b32 s16, 0x7c89e6b0
	s_mov_b32 s17, 0x3efa0199
	v_fma_f64 v[72:73], v[70:71], v[72:73], s[16:17]
	s_mov_b32 s16, 0x14761f6e
	s_mov_b32 s17, 0x3f2a01a0
	;; [unrolled: 3-line block ×7, first 2 shown]
	v_fma_f64 v[72:73], v[70:71], v[72:73], s[16:17]
	v_cmp_ngt_f64_e64 s16, 0xc090cc00, v[63:64]
	s_mov_b32 s17, 0x3fe55555
	v_fma_f64 v[72:73], v[70:71], v[72:73], 1.0
	v_fma_f64 v[65:66], v[70:71], v[72:73], 1.0
	v_ldexp_f64 v[65:66], v[65:66], v68
	v_cndmask_b32_e64 v66, 0x7ff00000, v66, s15
	s_and_b32 s15, s16, s15
	v_cndmask_b32_e64 v63, 0, v65, s15
	v_cndmask_b32_e64 v64, 0, v66, s16
	s_mov_b32 s16, 0x55555555
	v_add_f64 v[65:66], v[63:64], 1.0
	v_frexp_mant_f64_e32 v[70:71], v[65:66]
	v_frexp_exp_i32_f64_e32 v68, v[65:66]
	v_add_f64 v[72:73], v[65:66], -1.0
	v_cmp_gt_f64_e64 s15, s[16:17], v[70:71]
	s_mov_b32 s16, 0x55555780
	v_add_f64 v[70:71], v[72:73], -v[65:66]
	v_add_f64 v[72:73], v[63:64], -v[72:73]
	v_subrev_co_ci_u32_e64 v68, null, 0, v68, s15
	v_add_f64 v[70:71], v[70:71], 1.0
	v_cmp_nge_f64_e64 s15, -1.0, v[63:64]
	v_sub_nc_u32_e32 v74, 0, v68
	v_ldexp_f64 v[65:66], v[65:66], v74
	v_add_f64 v[70:71], v[72:73], v[70:71]
	v_add_f64 v[77:78], v[65:66], 1.0
	v_add_f64 v[83:84], v[65:66], -1.0
	v_ldexp_f64 v[70:71], v[70:71], v74
	v_add_f64 v[72:73], v[77:78], -1.0
	v_add_f64 v[85:86], v[83:84], 1.0
	v_add_f64 v[72:73], v[65:66], -v[72:73]
	v_add_f64 v[65:66], v[65:66], -v[85:86]
	v_add_f64 v[72:73], v[70:71], v[72:73]
	v_add_f64 v[65:66], v[70:71], v[65:66]
	;; [unrolled: 1-line block ×4, first 2 shown]
	v_rcp_f64_e32 v[81:82], v[79:80]
	v_add_f64 v[77:78], v[79:80], -v[77:78]
	v_add_f64 v[83:84], v[85:86], -v[83:84]
	;; [unrolled: 1-line block ×3, first 2 shown]
	v_fma_f64 v[87:88], -v[79:80], v[81:82], 1.0
	v_add_f64 v[65:66], v[65:66], -v[83:84]
	v_fma_f64 v[81:82], v[87:88], v[81:82], v[81:82]
	v_fma_f64 v[70:71], -v[79:80], v[81:82], 1.0
	v_fma_f64 v[70:71], v[70:71], v[81:82], v[81:82]
	v_mul_f64 v[81:82], v[85:86], v[70:71]
	v_mul_f64 v[87:88], v[79:80], v[81:82]
	v_fma_f64 v[77:78], v[81:82], v[79:80], -v[87:88]
	v_fma_f64 v[77:78], v[81:82], v[72:73], v[77:78]
	v_add_f64 v[89:90], v[87:88], v[77:78]
	v_add_f64 v[91:92], v[85:86], -v[89:90]
	v_add_f64 v[83:84], v[89:90], -v[87:88]
	;; [unrolled: 1-line block ×5, first 2 shown]
	v_add_f64 v[65:66], v[65:66], v[85:86]
	v_add_f64 v[65:66], v[77:78], v[65:66]
	;; [unrolled: 1-line block ×3, first 2 shown]
	v_mul_f64 v[83:84], v[70:71], v[77:78]
	v_add_f64 v[89:90], v[91:92], -v[77:78]
	v_mul_f64 v[85:86], v[79:80], v[83:84]
	v_add_f64 v[65:66], v[65:66], v[89:90]
	v_fma_f64 v[79:80], v[83:84], v[79:80], -v[85:86]
	v_fma_f64 v[72:73], v[83:84], v[72:73], v[79:80]
	v_add_f64 v[79:80], v[85:86], v[72:73]
	v_add_f64 v[87:88], v[77:78], -v[79:80]
	v_add_f64 v[85:86], v[79:80], -v[85:86]
	v_add_f64 v[77:78], v[77:78], -v[87:88]
	v_add_f64 v[72:73], v[85:86], -v[72:73]
	v_add_f64 v[77:78], v[77:78], -v[79:80]
	v_add_f64 v[65:66], v[65:66], v[77:78]
	v_add_f64 v[77:78], v[81:82], v[83:84]
	;; [unrolled: 1-line block ×3, first 2 shown]
	v_add_f64 v[72:73], v[77:78], -v[81:82]
	v_add_f64 v[65:66], v[87:88], v[65:66]
	v_add_f64 v[72:73], v[83:84], -v[72:73]
	v_mul_f64 v[65:66], v[70:71], v[65:66]
	v_add_f64 v[65:66], v[72:73], v[65:66]
	v_add_f64 v[70:71], v[77:78], v[65:66]
	v_mul_f64 v[72:73], v[70:71], v[70:71]
	v_fma_f64 v[79:80], v[72:73], s[38:39], s[36:37]
	s_mov_b32 s36, 0xd7f4df2e
	s_mov_b32 s37, 0x3fc7474d
	v_mul_f64 v[81:82], v[70:71], v[72:73]
	v_fma_f64 v[79:80], v[72:73], v[79:80], s[36:37]
	s_mov_b32 s36, 0x16291751
	s_mov_b32 s37, 0x3fcc71c0
	v_fma_f64 v[79:80], v[72:73], v[79:80], s[36:37]
	s_mov_b32 s36, 0x9b27acf1
	s_mov_b32 s37, 0x3fd24924
	;; [unrolled: 3-line block ×3, first 2 shown]
	v_fma_f64 v[79:80], v[72:73], v[79:80], s[36:37]
	v_fma_f64 v[72:73], v[72:73], v[79:80], s[16:17]
	v_ldexp_f64 v[79:80], v[70:71], 1
	v_add_f64 v[70:71], v[70:71], -v[77:78]
	v_cmp_neq_f64_e64 s16, 0x7ff00000, v[63:64]
	v_cmp_ngt_f64_e64 s17, -1.0, v[63:64]
	v_mul_f64 v[72:73], v[81:82], v[72:73]
	v_cvt_f64_i32_e32 v[81:82], v68
	v_add_f64 v[65:66], v[65:66], -v[70:71]
	s_and_b32 s15, s15, s16
	v_add_f64 v[77:78], v[79:80], v[72:73]
	v_mul_f64 v[83:84], v[81:82], s[18:19]
	v_ldexp_f64 v[65:66], v[65:66], 1
	v_add_f64 v[70:71], v[77:78], -v[79:80]
	v_fma_f64 v[79:80], v[81:82], s[18:19], -v[83:84]
	v_add_f64 v[70:71], v[72:73], -v[70:71]
	v_fma_f64 v[72:73], v[81:82], s[20:21], v[79:80]
	v_add_f64 v[65:66], v[65:66], v[70:71]
	v_add_f64 v[70:71], v[83:84], v[72:73]
	;; [unrolled: 1-line block ×3, first 2 shown]
	v_add_f64 v[83:84], v[70:71], -v[83:84]
	v_add_f64 v[81:82], v[70:71], v[79:80]
	v_add_f64 v[77:78], v[79:80], -v[77:78]
	v_add_f64 v[72:73], v[72:73], -v[83:84]
	;; [unrolled: 1-line block ×6, first 2 shown]
	v_add_f64 v[79:80], v[72:73], v[65:66]
	v_add_f64 v[70:71], v[70:71], -v[87:88]
	v_add_f64 v[70:71], v[77:78], v[70:71]
	v_add_f64 v[77:78], v[79:80], -v[72:73]
	;; [unrolled: 2-line block ×3, first 2 shown]
	v_add_f64 v[65:66], v[65:66], -v[77:78]
	v_add_f64 v[83:84], v[81:82], v[70:71]
	v_add_f64 v[72:73], v[72:73], -v[79:80]
	v_add_f64 v[77:78], v[83:84], -v[81:82]
	v_add_f64 v[65:66], v[65:66], v[72:73]
	v_add_f64 v[70:71], v[70:71], -v[77:78]
	v_add_f64 v[65:66], v[65:66], v[70:71]
	v_add_f64 v[65:66], v[83:84], v[65:66]
	v_cndmask_b32_e64 v65, 0, v65, s15
	v_cmp_neq_f64_e64 s15, -1.0, v[63:64]
	v_cndmask_b32_e64 v66, 0x7ff00000, v66, s16
	v_cndmask_b32_e64 v66, 0x7ff80000, v66, s17
	;; [unrolled: 1-line block ×3, first 2 shown]
	v_add_f64 v[63:64], v[35:36], v[65:66]
.LBB74_237:
	s_or_b32 exec_lo, exec_lo, s25
	v_mov_b32_e32 v35, v63
	v_mov_b32_e32 v36, v64
	v_mov_b32_e32 v65, v63
	v_mov_b32_e32 v66, v64
.LBB74_238:
	s_or_b32 exec_lo, exec_lo, s24
	v_mov_b32_dpp v63, v65 row_shr:8 row_mask:0xf bank_mask:0xf
	v_mov_b32_dpp v64, v66 row_shr:8 row_mask:0xf bank_mask:0xf
	s_mov_b32 s24, exec_lo
	v_cmpx_lt_u32_e32 7, v67
	s_cbranch_execz .LBB74_242
; %bb.239:
	v_max_f64 v[65:66], v[63:64], v[63:64]
	v_max_f64 v[67:68], v[35:36], v[35:36]
	v_cmp_u_f64_e64 s15, v[63:64], v[63:64]
	v_cmp_u_f64_e64 s16, v[35:36], v[35:36]
	v_min_f64 v[70:71], v[65:66], v[67:68]
	v_max_f64 v[65:66], v[65:66], v[67:68]
	v_cndmask_b32_e64 v67, v71, v64, s15
	v_cndmask_b32_e64 v68, v70, v63, s15
	;; [unrolled: 1-line block ×8, first 2 shown]
	v_cmp_class_f64_e64 s16, v[65:66], 0x1f8
	v_cmp_neq_f64_e64 s15, v[65:66], v[35:36]
	s_or_b32 s15, s15, s16
	s_and_saveexec_b32 s25, s15
	s_cbranch_execz .LBB74_241
; %bb.240:
	v_add_f64 v[63:64], v[65:66], -v[35:36]
	s_mov_b32 s16, 0x652b82fe
	s_mov_b32 s17, 0x3ff71547
	;; [unrolled: 1-line block ×10, first 2 shown]
	v_mul_f64 v[65:66], v[63:64], s[16:17]
	s_mov_b32 s16, 0xfca7ab0c
	s_mov_b32 s17, 0x3e928af3
	v_cmp_nlt_f64_e64 s15, 0x40900000, v[63:64]
	v_rndne_f64_e32 v[65:66], v[65:66]
	v_fma_f64 v[67:68], v[65:66], s[18:19], v[63:64]
	v_cvt_i32_f64_e32 v72, v[65:66]
	s_mov_b32 s19, 0x3fe62e42
	v_fma_f64 v[67:68], v[65:66], s[20:21], v[67:68]
	s_mov_b32 s21, 0x3c7abc9e
	v_fma_f64 v[70:71], v[67:68], s[36:37], s[16:17]
	s_mov_b32 s16, 0x623fde64
	s_mov_b32 s17, 0x3ec71dee
	s_mov_b32 s36, 0x6b47b09a
	s_mov_b32 s37, 0x3fc38538
	v_fma_f64 v[70:71], v[67:68], v[70:71], s[16:17]
	s_mov_b32 s16, 0x7c89e6b0
	s_mov_b32 s17, 0x3efa0199
	v_fma_f64 v[70:71], v[67:68], v[70:71], s[16:17]
	s_mov_b32 s16, 0x14761f6e
	s_mov_b32 s17, 0x3f2a01a0
	;; [unrolled: 3-line block ×7, first 2 shown]
	v_fma_f64 v[70:71], v[67:68], v[70:71], s[16:17]
	v_cmp_ngt_f64_e64 s16, 0xc090cc00, v[63:64]
	s_mov_b32 s17, 0x3fe55555
	v_fma_f64 v[70:71], v[67:68], v[70:71], 1.0
	v_fma_f64 v[65:66], v[67:68], v[70:71], 1.0
	v_ldexp_f64 v[65:66], v[65:66], v72
	v_cndmask_b32_e64 v66, 0x7ff00000, v66, s15
	s_and_b32 s15, s16, s15
	v_cndmask_b32_e64 v63, 0, v65, s15
	v_cndmask_b32_e64 v64, 0, v66, s16
	s_mov_b32 s16, 0x55555555
	v_add_f64 v[65:66], v[63:64], 1.0
	v_frexp_mant_f64_e32 v[67:68], v[65:66]
	v_frexp_exp_i32_f64_e32 v72, v[65:66]
	v_add_f64 v[70:71], v[65:66], -1.0
	v_cmp_gt_f64_e64 s15, s[16:17], v[67:68]
	s_mov_b32 s16, 0x55555780
	v_add_f64 v[67:68], v[70:71], -v[65:66]
	v_add_f64 v[70:71], v[63:64], -v[70:71]
	v_subrev_co_ci_u32_e64 v74, null, 0, v72, s15
	v_add_f64 v[67:68], v[67:68], 1.0
	v_cmp_nge_f64_e64 s15, -1.0, v[63:64]
	v_sub_nc_u32_e32 v77, 0, v74
	v_ldexp_f64 v[65:66], v[65:66], v77
	v_add_f64 v[67:68], v[70:71], v[67:68]
	v_add_f64 v[72:73], v[65:66], 1.0
	v_add_f64 v[81:82], v[65:66], -1.0
	v_ldexp_f64 v[67:68], v[67:68], v77
	v_add_f64 v[70:71], v[72:73], -1.0
	v_add_f64 v[83:84], v[81:82], 1.0
	v_add_f64 v[70:71], v[65:66], -v[70:71]
	v_add_f64 v[65:66], v[65:66], -v[83:84]
	v_add_f64 v[70:71], v[67:68], v[70:71]
	v_add_f64 v[65:66], v[67:68], v[65:66]
	;; [unrolled: 1-line block ×4, first 2 shown]
	v_rcp_f64_e32 v[79:80], v[77:78]
	v_add_f64 v[72:73], v[77:78], -v[72:73]
	v_add_f64 v[81:82], v[83:84], -v[81:82]
	;; [unrolled: 1-line block ×3, first 2 shown]
	v_fma_f64 v[85:86], -v[77:78], v[79:80], 1.0
	v_add_f64 v[65:66], v[65:66], -v[81:82]
	v_fma_f64 v[79:80], v[85:86], v[79:80], v[79:80]
	v_fma_f64 v[67:68], -v[77:78], v[79:80], 1.0
	v_fma_f64 v[67:68], v[67:68], v[79:80], v[79:80]
	v_mul_f64 v[79:80], v[83:84], v[67:68]
	v_mul_f64 v[85:86], v[77:78], v[79:80]
	v_fma_f64 v[72:73], v[79:80], v[77:78], -v[85:86]
	v_fma_f64 v[72:73], v[79:80], v[70:71], v[72:73]
	v_add_f64 v[87:88], v[85:86], v[72:73]
	v_add_f64 v[89:90], v[83:84], -v[87:88]
	v_add_f64 v[81:82], v[87:88], -v[85:86]
	;; [unrolled: 1-line block ×5, first 2 shown]
	v_add_f64 v[65:66], v[65:66], v[83:84]
	v_add_f64 v[65:66], v[72:73], v[65:66]
	;; [unrolled: 1-line block ×3, first 2 shown]
	v_mul_f64 v[81:82], v[67:68], v[72:73]
	v_add_f64 v[87:88], v[89:90], -v[72:73]
	v_mul_f64 v[83:84], v[77:78], v[81:82]
	v_add_f64 v[65:66], v[65:66], v[87:88]
	v_fma_f64 v[77:78], v[81:82], v[77:78], -v[83:84]
	v_fma_f64 v[70:71], v[81:82], v[70:71], v[77:78]
	v_add_f64 v[77:78], v[83:84], v[70:71]
	v_add_f64 v[85:86], v[72:73], -v[77:78]
	v_add_f64 v[83:84], v[77:78], -v[83:84]
	;; [unrolled: 1-line block ×5, first 2 shown]
	v_add_f64 v[65:66], v[65:66], v[72:73]
	v_add_f64 v[72:73], v[79:80], v[81:82]
	;; [unrolled: 1-line block ×3, first 2 shown]
	v_add_f64 v[70:71], v[72:73], -v[79:80]
	v_add_f64 v[65:66], v[85:86], v[65:66]
	v_add_f64 v[70:71], v[81:82], -v[70:71]
	v_mul_f64 v[65:66], v[67:68], v[65:66]
	v_add_f64 v[65:66], v[70:71], v[65:66]
	v_add_f64 v[67:68], v[72:73], v[65:66]
	v_mul_f64 v[70:71], v[67:68], v[67:68]
	v_fma_f64 v[77:78], v[70:71], s[38:39], s[36:37]
	s_mov_b32 s36, 0xd7f4df2e
	s_mov_b32 s37, 0x3fc7474d
	v_mul_f64 v[79:80], v[67:68], v[70:71]
	v_fma_f64 v[77:78], v[70:71], v[77:78], s[36:37]
	s_mov_b32 s36, 0x16291751
	s_mov_b32 s37, 0x3fcc71c0
	v_fma_f64 v[77:78], v[70:71], v[77:78], s[36:37]
	s_mov_b32 s36, 0x9b27acf1
	s_mov_b32 s37, 0x3fd24924
	v_fma_f64 v[77:78], v[70:71], v[77:78], s[36:37]
	s_mov_b32 s36, 0x998ef7b6
	s_mov_b32 s37, 0x3fd99999
	v_fma_f64 v[77:78], v[70:71], v[77:78], s[36:37]
	v_fma_f64 v[70:71], v[70:71], v[77:78], s[16:17]
	v_ldexp_f64 v[77:78], v[67:68], 1
	v_add_f64 v[67:68], v[67:68], -v[72:73]
	v_cmp_neq_f64_e64 s16, 0x7ff00000, v[63:64]
	v_cmp_ngt_f64_e64 s17, -1.0, v[63:64]
	v_mul_f64 v[70:71], v[79:80], v[70:71]
	v_cvt_f64_i32_e32 v[79:80], v74
	v_add_f64 v[65:66], v[65:66], -v[67:68]
	s_and_b32 s15, s15, s16
	v_add_f64 v[72:73], v[77:78], v[70:71]
	v_mul_f64 v[81:82], v[79:80], s[18:19]
	v_ldexp_f64 v[65:66], v[65:66], 1
	v_add_f64 v[67:68], v[72:73], -v[77:78]
	v_fma_f64 v[77:78], v[79:80], s[18:19], -v[81:82]
	v_add_f64 v[67:68], v[70:71], -v[67:68]
	v_fma_f64 v[70:71], v[79:80], s[20:21], v[77:78]
	v_add_f64 v[65:66], v[65:66], v[67:68]
	v_add_f64 v[67:68], v[81:82], v[70:71]
	;; [unrolled: 1-line block ×3, first 2 shown]
	v_add_f64 v[81:82], v[67:68], -v[81:82]
	v_add_f64 v[79:80], v[67:68], v[77:78]
	v_add_f64 v[72:73], v[77:78], -v[72:73]
	v_add_f64 v[70:71], v[70:71], -v[81:82]
	;; [unrolled: 1-line block ×6, first 2 shown]
	v_add_f64 v[77:78], v[70:71], v[65:66]
	v_add_f64 v[67:68], v[67:68], -v[85:86]
	v_add_f64 v[67:68], v[72:73], v[67:68]
	v_add_f64 v[72:73], v[77:78], -v[70:71]
	;; [unrolled: 2-line block ×3, first 2 shown]
	v_add_f64 v[65:66], v[65:66], -v[72:73]
	v_add_f64 v[81:82], v[79:80], v[67:68]
	v_add_f64 v[70:71], v[70:71], -v[77:78]
	v_add_f64 v[72:73], v[81:82], -v[79:80]
	v_add_f64 v[65:66], v[65:66], v[70:71]
	v_add_f64 v[67:68], v[67:68], -v[72:73]
	v_add_f64 v[65:66], v[65:66], v[67:68]
	v_add_f64 v[65:66], v[81:82], v[65:66]
	v_cndmask_b32_e64 v65, 0, v65, s15
	v_cmp_neq_f64_e64 s15, -1.0, v[63:64]
	v_cndmask_b32_e64 v66, 0x7ff00000, v66, s16
	v_cndmask_b32_e64 v66, 0x7ff80000, v66, s17
	;; [unrolled: 1-line block ×3, first 2 shown]
	v_add_f64 v[63:64], v[35:36], v[65:66]
.LBB74_241:
	s_or_b32 exec_lo, exec_lo, s25
	v_mov_b32_e32 v35, v63
	v_mov_b32_e32 v65, v63
	;; [unrolled: 1-line block ×4, first 2 shown]
.LBB74_242:
	s_or_b32 exec_lo, exec_lo, s24
	ds_swizzle_b32 v63, v65 offset:swizzle(BROADCAST,32,15)
	ds_swizzle_b32 v64, v66 offset:swizzle(BROADCAST,32,15)
	v_and_b32_e32 v65, 16, v69
	s_mov_b32 s24, exec_lo
	v_cmpx_ne_u32_e32 0, v65
	s_cbranch_execz .LBB74_246
; %bb.243:
	s_waitcnt lgkmcnt(0)
	v_max_f64 v[65:66], v[63:64], v[63:64]
	v_max_f64 v[67:68], v[35:36], v[35:36]
	v_cmp_u_f64_e64 s15, v[63:64], v[63:64]
	v_cmp_u_f64_e64 s16, v[35:36], v[35:36]
	v_min_f64 v[70:71], v[65:66], v[67:68]
	v_max_f64 v[65:66], v[65:66], v[67:68]
	v_cndmask_b32_e64 v67, v71, v64, s15
	v_cndmask_b32_e64 v68, v70, v63, s15
	;; [unrolled: 1-line block ×8, first 2 shown]
	v_cmp_class_f64_e64 s16, v[65:66], 0x1f8
	v_cmp_neq_f64_e64 s15, v[65:66], v[35:36]
	s_or_b32 s15, s15, s16
	s_and_saveexec_b32 s25, s15
	s_cbranch_execz .LBB74_245
; %bb.244:
	v_add_f64 v[63:64], v[65:66], -v[35:36]
	s_mov_b32 s16, 0x652b82fe
	s_mov_b32 s17, 0x3ff71547
	;; [unrolled: 1-line block ×10, first 2 shown]
	v_mul_f64 v[65:66], v[63:64], s[16:17]
	s_mov_b32 s16, 0xfca7ab0c
	s_mov_b32 s17, 0x3e928af3
	v_cmp_nlt_f64_e64 s15, 0x40900000, v[63:64]
	v_rndne_f64_e32 v[65:66], v[65:66]
	v_fma_f64 v[67:68], v[65:66], s[18:19], v[63:64]
	v_cvt_i32_f64_e32 v72, v[65:66]
	s_mov_b32 s19, 0x3fe62e42
	v_fma_f64 v[67:68], v[65:66], s[20:21], v[67:68]
	s_mov_b32 s21, 0x3c7abc9e
	v_fma_f64 v[70:71], v[67:68], s[36:37], s[16:17]
	s_mov_b32 s16, 0x623fde64
	s_mov_b32 s17, 0x3ec71dee
	s_mov_b32 s36, 0x6b47b09a
	s_mov_b32 s37, 0x3fc38538
	v_fma_f64 v[70:71], v[67:68], v[70:71], s[16:17]
	s_mov_b32 s16, 0x7c89e6b0
	s_mov_b32 s17, 0x3efa0199
	v_fma_f64 v[70:71], v[67:68], v[70:71], s[16:17]
	s_mov_b32 s16, 0x14761f6e
	s_mov_b32 s17, 0x3f2a01a0
	;; [unrolled: 3-line block ×7, first 2 shown]
	v_fma_f64 v[70:71], v[67:68], v[70:71], s[16:17]
	v_cmp_ngt_f64_e64 s16, 0xc090cc00, v[63:64]
	s_mov_b32 s17, 0x3fe55555
	v_fma_f64 v[70:71], v[67:68], v[70:71], 1.0
	v_fma_f64 v[65:66], v[67:68], v[70:71], 1.0
	v_ldexp_f64 v[65:66], v[65:66], v72
	v_cndmask_b32_e64 v66, 0x7ff00000, v66, s15
	s_and_b32 s15, s16, s15
	v_cndmask_b32_e64 v63, 0, v65, s15
	v_cndmask_b32_e64 v64, 0, v66, s16
	s_mov_b32 s16, 0x55555555
	v_add_f64 v[65:66], v[63:64], 1.0
	v_frexp_mant_f64_e32 v[67:68], v[65:66]
	v_frexp_exp_i32_f64_e32 v72, v[65:66]
	v_add_f64 v[70:71], v[65:66], -1.0
	v_cmp_gt_f64_e64 s15, s[16:17], v[67:68]
	s_mov_b32 s16, 0x55555780
	v_add_f64 v[67:68], v[70:71], -v[65:66]
	v_add_f64 v[70:71], v[63:64], -v[70:71]
	v_subrev_co_ci_u32_e64 v74, null, 0, v72, s15
	v_add_f64 v[67:68], v[67:68], 1.0
	v_cmp_nge_f64_e64 s15, -1.0, v[63:64]
	v_sub_nc_u32_e32 v77, 0, v74
	v_ldexp_f64 v[65:66], v[65:66], v77
	v_add_f64 v[67:68], v[70:71], v[67:68]
	v_add_f64 v[72:73], v[65:66], 1.0
	v_add_f64 v[81:82], v[65:66], -1.0
	v_ldexp_f64 v[67:68], v[67:68], v77
	v_add_f64 v[70:71], v[72:73], -1.0
	v_add_f64 v[83:84], v[81:82], 1.0
	v_add_f64 v[70:71], v[65:66], -v[70:71]
	v_add_f64 v[65:66], v[65:66], -v[83:84]
	v_add_f64 v[70:71], v[67:68], v[70:71]
	v_add_f64 v[65:66], v[67:68], v[65:66]
	;; [unrolled: 1-line block ×4, first 2 shown]
	v_rcp_f64_e32 v[79:80], v[77:78]
	v_add_f64 v[72:73], v[77:78], -v[72:73]
	v_add_f64 v[81:82], v[83:84], -v[81:82]
	v_add_f64 v[70:71], v[70:71], -v[72:73]
	v_fma_f64 v[85:86], -v[77:78], v[79:80], 1.0
	v_add_f64 v[65:66], v[65:66], -v[81:82]
	v_fma_f64 v[79:80], v[85:86], v[79:80], v[79:80]
	v_fma_f64 v[67:68], -v[77:78], v[79:80], 1.0
	v_fma_f64 v[67:68], v[67:68], v[79:80], v[79:80]
	v_mul_f64 v[79:80], v[83:84], v[67:68]
	v_mul_f64 v[85:86], v[77:78], v[79:80]
	v_fma_f64 v[72:73], v[79:80], v[77:78], -v[85:86]
	v_fma_f64 v[72:73], v[79:80], v[70:71], v[72:73]
	v_add_f64 v[87:88], v[85:86], v[72:73]
	v_add_f64 v[89:90], v[83:84], -v[87:88]
	v_add_f64 v[81:82], v[87:88], -v[85:86]
	;; [unrolled: 1-line block ×5, first 2 shown]
	v_add_f64 v[65:66], v[65:66], v[83:84]
	v_add_f64 v[65:66], v[72:73], v[65:66]
	;; [unrolled: 1-line block ×3, first 2 shown]
	v_mul_f64 v[81:82], v[67:68], v[72:73]
	v_add_f64 v[87:88], v[89:90], -v[72:73]
	v_mul_f64 v[83:84], v[77:78], v[81:82]
	v_add_f64 v[65:66], v[65:66], v[87:88]
	v_fma_f64 v[77:78], v[81:82], v[77:78], -v[83:84]
	v_fma_f64 v[70:71], v[81:82], v[70:71], v[77:78]
	v_add_f64 v[77:78], v[83:84], v[70:71]
	v_add_f64 v[85:86], v[72:73], -v[77:78]
	v_add_f64 v[83:84], v[77:78], -v[83:84]
	;; [unrolled: 1-line block ×5, first 2 shown]
	v_add_f64 v[65:66], v[65:66], v[72:73]
	v_add_f64 v[72:73], v[79:80], v[81:82]
	;; [unrolled: 1-line block ×3, first 2 shown]
	v_add_f64 v[70:71], v[72:73], -v[79:80]
	v_add_f64 v[65:66], v[85:86], v[65:66]
	v_add_f64 v[70:71], v[81:82], -v[70:71]
	v_mul_f64 v[65:66], v[67:68], v[65:66]
	v_add_f64 v[65:66], v[70:71], v[65:66]
	v_add_f64 v[67:68], v[72:73], v[65:66]
	v_mul_f64 v[70:71], v[67:68], v[67:68]
	v_fma_f64 v[77:78], v[70:71], s[38:39], s[36:37]
	s_mov_b32 s36, 0xd7f4df2e
	s_mov_b32 s37, 0x3fc7474d
	v_mul_f64 v[79:80], v[67:68], v[70:71]
	v_fma_f64 v[77:78], v[70:71], v[77:78], s[36:37]
	s_mov_b32 s36, 0x16291751
	s_mov_b32 s37, 0x3fcc71c0
	v_fma_f64 v[77:78], v[70:71], v[77:78], s[36:37]
	s_mov_b32 s36, 0x9b27acf1
	s_mov_b32 s37, 0x3fd24924
	;; [unrolled: 3-line block ×3, first 2 shown]
	v_fma_f64 v[77:78], v[70:71], v[77:78], s[36:37]
	v_fma_f64 v[70:71], v[70:71], v[77:78], s[16:17]
	v_ldexp_f64 v[77:78], v[67:68], 1
	v_add_f64 v[67:68], v[67:68], -v[72:73]
	v_cmp_neq_f64_e64 s16, 0x7ff00000, v[63:64]
	v_cmp_ngt_f64_e64 s17, -1.0, v[63:64]
	v_mul_f64 v[70:71], v[79:80], v[70:71]
	v_cvt_f64_i32_e32 v[79:80], v74
	v_add_f64 v[65:66], v[65:66], -v[67:68]
	s_and_b32 s15, s15, s16
	v_add_f64 v[72:73], v[77:78], v[70:71]
	v_mul_f64 v[81:82], v[79:80], s[18:19]
	v_ldexp_f64 v[65:66], v[65:66], 1
	v_add_f64 v[67:68], v[72:73], -v[77:78]
	v_fma_f64 v[77:78], v[79:80], s[18:19], -v[81:82]
	v_add_f64 v[67:68], v[70:71], -v[67:68]
	v_fma_f64 v[70:71], v[79:80], s[20:21], v[77:78]
	v_add_f64 v[65:66], v[65:66], v[67:68]
	v_add_f64 v[67:68], v[81:82], v[70:71]
	;; [unrolled: 1-line block ×3, first 2 shown]
	v_add_f64 v[81:82], v[67:68], -v[81:82]
	v_add_f64 v[79:80], v[67:68], v[77:78]
	v_add_f64 v[72:73], v[77:78], -v[72:73]
	v_add_f64 v[70:71], v[70:71], -v[81:82]
	;; [unrolled: 1-line block ×6, first 2 shown]
	v_add_f64 v[77:78], v[70:71], v[65:66]
	v_add_f64 v[67:68], v[67:68], -v[85:86]
	v_add_f64 v[67:68], v[72:73], v[67:68]
	v_add_f64 v[72:73], v[77:78], -v[70:71]
	;; [unrolled: 2-line block ×3, first 2 shown]
	v_add_f64 v[65:66], v[65:66], -v[72:73]
	v_add_f64 v[81:82], v[79:80], v[67:68]
	v_add_f64 v[70:71], v[70:71], -v[77:78]
	v_add_f64 v[72:73], v[81:82], -v[79:80]
	v_add_f64 v[65:66], v[65:66], v[70:71]
	v_add_f64 v[67:68], v[67:68], -v[72:73]
	v_add_f64 v[65:66], v[65:66], v[67:68]
	v_add_f64 v[65:66], v[81:82], v[65:66]
	v_cndmask_b32_e64 v65, 0, v65, s15
	v_cmp_neq_f64_e64 s15, -1.0, v[63:64]
	v_cndmask_b32_e64 v66, 0x7ff00000, v66, s16
	v_cndmask_b32_e64 v66, 0x7ff80000, v66, s17
	;; [unrolled: 1-line block ×3, first 2 shown]
	v_add_f64 v[63:64], v[35:36], v[65:66]
.LBB74_245:
	s_or_b32 exec_lo, exec_lo, s25
	v_mov_b32_e32 v35, v63
	v_mov_b32_e32 v36, v64
.LBB74_246:
	s_or_b32 exec_lo, exec_lo, s24
	s_waitcnt lgkmcnt(1)
	v_or_b32_e32 v63, 31, v0
	v_lshrrev_b32_e32 v70, 5, v0
	s_mov_b32 s16, exec_lo
	v_cmpx_eq_u32_e64 v0, v63
; %bb.247:
	v_lshlrev_b32_e32 v63, 3, v70
	ds_write_b64 v63, v[35:36]
; %bb.248:
	s_or_b32 exec_lo, exec_lo, s16
	s_mov_b32 s24, exec_lo
	s_waitcnt lgkmcnt(0)
	s_barrier
	buffer_gl0_inv
	v_cmpx_gt_u32_e32 4, v0
	s_cbranch_execz .LBB74_258
; %bb.249:
	v_mad_i32_i24 v63, 0xffffff98, v0, v76
	v_and_b32_e32 v71, 3, v69
	s_mov_b32 s25, exec_lo
	ds_read_b64 v[63:64], v63
	s_waitcnt lgkmcnt(0)
	v_mov_b32_dpp v65, v63 row_shr:1 row_mask:0xf bank_mask:0xf
	v_mov_b32_dpp v66, v64 row_shr:1 row_mask:0xf bank_mask:0xf
	v_mov_b32_e32 v67, v63
	v_mov_b32_e32 v68, v64
	v_cmpx_ne_u32_e32 0, v71
	s_cbranch_execz .LBB74_253
; %bb.250:
	v_max_f64 v[67:68], v[65:66], v[65:66]
	v_max_f64 v[72:73], v[63:64], v[63:64]
	v_cmp_u_f64_e64 s15, v[65:66], v[65:66]
	v_cmp_u_f64_e64 s16, v[63:64], v[63:64]
	v_min_f64 v[77:78], v[67:68], v[72:73]
	v_max_f64 v[67:68], v[67:68], v[72:73]
	v_cndmask_b32_e64 v72, v78, v66, s15
	v_cndmask_b32_e64 v73, v77, v65, s15
	;; [unrolled: 1-line block ×8, first 2 shown]
	v_cmp_class_f64_e64 s16, v[67:68], 0x1f8
	v_cmp_neq_f64_e64 s15, v[67:68], v[63:64]
	s_or_b32 s15, s15, s16
	s_and_saveexec_b32 s36, s15
	s_cbranch_execz .LBB74_252
; %bb.251:
	v_add_f64 v[65:66], v[67:68], -v[63:64]
	s_mov_b32 s16, 0x652b82fe
	s_mov_b32 s17, 0x3ff71547
	;; [unrolled: 1-line block ×10, first 2 shown]
	v_mul_f64 v[67:68], v[65:66], s[16:17]
	s_mov_b32 s16, 0xfca7ab0c
	s_mov_b32 s17, 0x3e928af3
	v_cmp_nlt_f64_e64 s15, 0x40900000, v[65:66]
	v_rndne_f64_e32 v[67:68], v[67:68]
	v_fma_f64 v[72:73], v[67:68], s[18:19], v[65:66]
	v_cvt_i32_f64_e32 v74, v[67:68]
	s_mov_b32 s19, 0x3fe62e42
	v_fma_f64 v[72:73], v[67:68], s[20:21], v[72:73]
	s_mov_b32 s21, 0x3c7abc9e
	v_fma_f64 v[77:78], v[72:73], s[38:39], s[16:17]
	s_mov_b32 s16, 0x623fde64
	s_mov_b32 s17, 0x3ec71dee
	;; [unrolled: 1-line block ×4, first 2 shown]
	v_fma_f64 v[77:78], v[72:73], v[77:78], s[16:17]
	s_mov_b32 s16, 0x7c89e6b0
	s_mov_b32 s17, 0x3efa0199
	v_fma_f64 v[77:78], v[72:73], v[77:78], s[16:17]
	s_mov_b32 s16, 0x14761f6e
	s_mov_b32 s17, 0x3f2a01a0
	;; [unrolled: 3-line block ×7, first 2 shown]
	v_fma_f64 v[77:78], v[72:73], v[77:78], s[16:17]
	v_cmp_ngt_f64_e64 s16, 0xc090cc00, v[65:66]
	s_mov_b32 s17, 0x3fe55555
	v_fma_f64 v[77:78], v[72:73], v[77:78], 1.0
	v_fma_f64 v[67:68], v[72:73], v[77:78], 1.0
	v_ldexp_f64 v[67:68], v[67:68], v74
	v_cndmask_b32_e64 v68, 0x7ff00000, v68, s15
	s_and_b32 s15, s16, s15
	v_cndmask_b32_e64 v65, 0, v67, s15
	v_cndmask_b32_e64 v66, 0, v68, s16
	s_mov_b32 s16, 0x55555555
	v_add_f64 v[67:68], v[65:66], 1.0
	v_frexp_mant_f64_e32 v[72:73], v[67:68]
	v_frexp_exp_i32_f64_e32 v74, v[67:68]
	v_add_f64 v[77:78], v[67:68], -1.0
	v_cmp_gt_f64_e64 s15, s[16:17], v[72:73]
	s_mov_b32 s16, 0x55555780
	v_add_f64 v[72:73], v[77:78], -v[67:68]
	v_add_f64 v[77:78], v[65:66], -v[77:78]
	v_subrev_co_ci_u32_e64 v74, null, 0, v74, s15
	v_add_f64 v[72:73], v[72:73], 1.0
	v_cmp_nge_f64_e64 s15, -1.0, v[65:66]
	v_sub_nc_u32_e32 v81, 0, v74
	v_ldexp_f64 v[67:68], v[67:68], v81
	v_add_f64 v[72:73], v[77:78], v[72:73]
	v_add_f64 v[79:80], v[67:68], 1.0
	v_add_f64 v[85:86], v[67:68], -1.0
	v_ldexp_f64 v[72:73], v[72:73], v81
	v_add_f64 v[77:78], v[79:80], -1.0
	v_add_f64 v[87:88], v[85:86], 1.0
	v_add_f64 v[77:78], v[67:68], -v[77:78]
	v_add_f64 v[67:68], v[67:68], -v[87:88]
	v_add_f64 v[77:78], v[72:73], v[77:78]
	v_add_f64 v[67:68], v[72:73], v[67:68]
	;; [unrolled: 1-line block ×4, first 2 shown]
	v_rcp_f64_e32 v[83:84], v[81:82]
	v_add_f64 v[79:80], v[81:82], -v[79:80]
	v_add_f64 v[85:86], v[87:88], -v[85:86]
	;; [unrolled: 1-line block ×3, first 2 shown]
	v_fma_f64 v[89:90], -v[81:82], v[83:84], 1.0
	v_add_f64 v[67:68], v[67:68], -v[85:86]
	v_fma_f64 v[83:84], v[89:90], v[83:84], v[83:84]
	v_fma_f64 v[72:73], -v[81:82], v[83:84], 1.0
	v_fma_f64 v[72:73], v[72:73], v[83:84], v[83:84]
	v_mul_f64 v[83:84], v[87:88], v[72:73]
	v_mul_f64 v[89:90], v[81:82], v[83:84]
	v_fma_f64 v[79:80], v[83:84], v[81:82], -v[89:90]
	v_fma_f64 v[79:80], v[83:84], v[77:78], v[79:80]
	v_add_f64 v[91:92], v[89:90], v[79:80]
	v_add_f64 v[93:94], v[87:88], -v[91:92]
	v_add_f64 v[85:86], v[91:92], -v[89:90]
	v_add_f64 v[87:88], v[87:88], -v[93:94]
	v_add_f64 v[79:80], v[85:86], -v[79:80]
	v_add_f64 v[87:88], v[87:88], -v[91:92]
	v_add_f64 v[67:68], v[67:68], v[87:88]
	v_add_f64 v[67:68], v[79:80], v[67:68]
	;; [unrolled: 1-line block ×3, first 2 shown]
	v_mul_f64 v[85:86], v[72:73], v[79:80]
	v_add_f64 v[91:92], v[93:94], -v[79:80]
	v_mul_f64 v[87:88], v[81:82], v[85:86]
	v_add_f64 v[67:68], v[67:68], v[91:92]
	v_fma_f64 v[81:82], v[85:86], v[81:82], -v[87:88]
	v_fma_f64 v[77:78], v[85:86], v[77:78], v[81:82]
	v_add_f64 v[81:82], v[87:88], v[77:78]
	v_add_f64 v[89:90], v[79:80], -v[81:82]
	v_add_f64 v[87:88], v[81:82], -v[87:88]
	;; [unrolled: 1-line block ×5, first 2 shown]
	v_add_f64 v[67:68], v[67:68], v[79:80]
	v_add_f64 v[79:80], v[83:84], v[85:86]
	;; [unrolled: 1-line block ×3, first 2 shown]
	v_add_f64 v[77:78], v[79:80], -v[83:84]
	v_add_f64 v[67:68], v[89:90], v[67:68]
	v_add_f64 v[77:78], v[85:86], -v[77:78]
	v_mul_f64 v[67:68], v[72:73], v[67:68]
	v_add_f64 v[67:68], v[77:78], v[67:68]
	v_add_f64 v[72:73], v[79:80], v[67:68]
	v_mul_f64 v[77:78], v[72:73], v[72:73]
	v_fma_f64 v[81:82], v[77:78], s[42:43], s[38:39]
	s_mov_b32 s38, 0xd7f4df2e
	s_mov_b32 s39, 0x3fc7474d
	v_mul_f64 v[83:84], v[72:73], v[77:78]
	v_fma_f64 v[81:82], v[77:78], v[81:82], s[38:39]
	s_mov_b32 s38, 0x16291751
	s_mov_b32 s39, 0x3fcc71c0
	v_fma_f64 v[81:82], v[77:78], v[81:82], s[38:39]
	s_mov_b32 s38, 0x9b27acf1
	s_mov_b32 s39, 0x3fd24924
	;; [unrolled: 3-line block ×3, first 2 shown]
	v_fma_f64 v[81:82], v[77:78], v[81:82], s[38:39]
	v_fma_f64 v[77:78], v[77:78], v[81:82], s[16:17]
	v_ldexp_f64 v[81:82], v[72:73], 1
	v_add_f64 v[72:73], v[72:73], -v[79:80]
	v_cmp_neq_f64_e64 s16, 0x7ff00000, v[65:66]
	v_cmp_ngt_f64_e64 s17, -1.0, v[65:66]
	v_mul_f64 v[77:78], v[83:84], v[77:78]
	v_cvt_f64_i32_e32 v[83:84], v74
	v_add_f64 v[67:68], v[67:68], -v[72:73]
	s_and_b32 s15, s15, s16
	v_add_f64 v[79:80], v[81:82], v[77:78]
	v_mul_f64 v[85:86], v[83:84], s[18:19]
	v_ldexp_f64 v[67:68], v[67:68], 1
	v_add_f64 v[72:73], v[79:80], -v[81:82]
	v_fma_f64 v[81:82], v[83:84], s[18:19], -v[85:86]
	v_add_f64 v[72:73], v[77:78], -v[72:73]
	v_fma_f64 v[77:78], v[83:84], s[20:21], v[81:82]
	v_add_f64 v[67:68], v[67:68], v[72:73]
	v_add_f64 v[72:73], v[85:86], v[77:78]
	v_add_f64 v[81:82], v[79:80], v[67:68]
	v_add_f64 v[85:86], v[72:73], -v[85:86]
	v_add_f64 v[83:84], v[72:73], v[81:82]
	v_add_f64 v[79:80], v[81:82], -v[79:80]
	v_add_f64 v[77:78], v[77:78], -v[85:86]
	;; [unrolled: 1-line block ×6, first 2 shown]
	v_add_f64 v[81:82], v[77:78], v[67:68]
	v_add_f64 v[72:73], v[72:73], -v[89:90]
	v_add_f64 v[72:73], v[79:80], v[72:73]
	v_add_f64 v[79:80], v[81:82], -v[77:78]
	;; [unrolled: 2-line block ×3, first 2 shown]
	v_add_f64 v[67:68], v[67:68], -v[79:80]
	v_add_f64 v[85:86], v[83:84], v[72:73]
	v_add_f64 v[77:78], v[77:78], -v[81:82]
	v_add_f64 v[79:80], v[85:86], -v[83:84]
	v_add_f64 v[67:68], v[67:68], v[77:78]
	v_add_f64 v[72:73], v[72:73], -v[79:80]
	v_add_f64 v[67:68], v[67:68], v[72:73]
	v_add_f64 v[67:68], v[85:86], v[67:68]
	v_cndmask_b32_e64 v67, 0, v67, s15
	v_cmp_neq_f64_e64 s15, -1.0, v[65:66]
	v_cndmask_b32_e64 v68, 0x7ff00000, v68, s16
	v_cndmask_b32_e64 v68, 0x7ff80000, v68, s17
	;; [unrolled: 1-line block ×3, first 2 shown]
	v_add_f64 v[65:66], v[63:64], v[67:68]
.LBB74_252:
	s_or_b32 exec_lo, exec_lo, s36
	v_mov_b32_e32 v63, v65
	v_mov_b32_e32 v67, v65
	;; [unrolled: 1-line block ×4, first 2 shown]
.LBB74_253:
	s_or_b32 exec_lo, exec_lo, s25
	v_mul_i32_i24_e32 v72, 0xffffff98, v0
	v_mov_b32_dpp v65, v67 row_shr:2 row_mask:0xf bank_mask:0xf
	v_mov_b32_dpp v66, v68 row_shr:2 row_mask:0xf bank_mask:0xf
	s_mov_b32 s25, exec_lo
	v_cmpx_lt_u32_e32 1, v71
	s_cbranch_execz .LBB74_257
; %bb.254:
	v_max_f64 v[67:68], v[65:66], v[65:66]
	v_max_f64 v[73:74], v[63:64], v[63:64]
	v_cmp_u_f64_e64 s15, v[65:66], v[65:66]
	v_cmp_u_f64_e64 s16, v[63:64], v[63:64]
	v_min_f64 v[77:78], v[67:68], v[73:74]
	v_max_f64 v[67:68], v[67:68], v[73:74]
	v_cndmask_b32_e64 v71, v78, v66, s15
	v_cndmask_b32_e64 v73, v77, v65, s15
	;; [unrolled: 1-line block ×8, first 2 shown]
	v_cmp_class_f64_e64 s16, v[67:68], 0x1f8
	v_cmp_neq_f64_e64 s15, v[67:68], v[63:64]
	s_or_b32 s15, s15, s16
	s_and_saveexec_b32 s36, s15
	s_cbranch_execz .LBB74_256
; %bb.255:
	v_add_f64 v[65:66], v[67:68], -v[63:64]
	s_mov_b32 s16, 0x652b82fe
	s_mov_b32 s17, 0x3ff71547
	;; [unrolled: 1-line block ×10, first 2 shown]
	v_mul_f64 v[67:68], v[65:66], s[16:17]
	s_mov_b32 s16, 0xfca7ab0c
	s_mov_b32 s17, 0x3e928af3
	v_cmp_nlt_f64_e64 s15, 0x40900000, v[65:66]
	v_rndne_f64_e32 v[67:68], v[67:68]
	v_fma_f64 v[73:74], v[67:68], s[18:19], v[65:66]
	v_cvt_i32_f64_e32 v71, v[67:68]
	s_mov_b32 s19, 0x3fe62e42
	v_fma_f64 v[73:74], v[67:68], s[20:21], v[73:74]
	s_mov_b32 s21, 0x3c7abc9e
	v_fma_f64 v[77:78], v[73:74], s[38:39], s[16:17]
	s_mov_b32 s16, 0x623fde64
	s_mov_b32 s17, 0x3ec71dee
	;; [unrolled: 1-line block ×4, first 2 shown]
	v_fma_f64 v[77:78], v[73:74], v[77:78], s[16:17]
	s_mov_b32 s16, 0x7c89e6b0
	s_mov_b32 s17, 0x3efa0199
	v_fma_f64 v[77:78], v[73:74], v[77:78], s[16:17]
	s_mov_b32 s16, 0x14761f6e
	s_mov_b32 s17, 0x3f2a01a0
	;; [unrolled: 3-line block ×7, first 2 shown]
	v_fma_f64 v[77:78], v[73:74], v[77:78], s[16:17]
	v_cmp_ngt_f64_e64 s16, 0xc090cc00, v[65:66]
	s_mov_b32 s17, 0x3fe55555
	v_fma_f64 v[77:78], v[73:74], v[77:78], 1.0
	v_fma_f64 v[67:68], v[73:74], v[77:78], 1.0
	v_ldexp_f64 v[67:68], v[67:68], v71
	v_cndmask_b32_e64 v68, 0x7ff00000, v68, s15
	s_and_b32 s15, s16, s15
	v_cndmask_b32_e64 v65, 0, v67, s15
	v_cndmask_b32_e64 v66, 0, v68, s16
	s_mov_b32 s16, 0x55555555
	v_add_f64 v[67:68], v[65:66], 1.0
	v_frexp_mant_f64_e32 v[73:74], v[67:68]
	v_frexp_exp_i32_f64_e32 v71, v[67:68]
	v_add_f64 v[77:78], v[67:68], -1.0
	v_cmp_gt_f64_e64 s15, s[16:17], v[73:74]
	s_mov_b32 s16, 0x55555780
	v_add_f64 v[73:74], v[77:78], -v[67:68]
	v_add_f64 v[77:78], v[65:66], -v[77:78]
	v_subrev_co_ci_u32_e64 v71, null, 0, v71, s15
	v_add_f64 v[73:74], v[73:74], 1.0
	v_cmp_nge_f64_e64 s15, -1.0, v[65:66]
	v_sub_nc_u32_e32 v81, 0, v71
	v_ldexp_f64 v[67:68], v[67:68], v81
	v_add_f64 v[73:74], v[77:78], v[73:74]
	v_add_f64 v[79:80], v[67:68], 1.0
	v_add_f64 v[85:86], v[67:68], -1.0
	v_ldexp_f64 v[73:74], v[73:74], v81
	v_add_f64 v[77:78], v[79:80], -1.0
	v_add_f64 v[87:88], v[85:86], 1.0
	v_add_f64 v[77:78], v[67:68], -v[77:78]
	v_add_f64 v[67:68], v[67:68], -v[87:88]
	v_add_f64 v[77:78], v[73:74], v[77:78]
	v_add_f64 v[67:68], v[73:74], v[67:68]
	;; [unrolled: 1-line block ×4, first 2 shown]
	v_rcp_f64_e32 v[83:84], v[81:82]
	v_add_f64 v[79:80], v[81:82], -v[79:80]
	v_add_f64 v[85:86], v[87:88], -v[85:86]
	;; [unrolled: 1-line block ×3, first 2 shown]
	v_fma_f64 v[89:90], -v[81:82], v[83:84], 1.0
	v_add_f64 v[67:68], v[67:68], -v[85:86]
	v_fma_f64 v[83:84], v[89:90], v[83:84], v[83:84]
	v_fma_f64 v[73:74], -v[81:82], v[83:84], 1.0
	v_fma_f64 v[73:74], v[73:74], v[83:84], v[83:84]
	v_mul_f64 v[83:84], v[87:88], v[73:74]
	v_mul_f64 v[89:90], v[81:82], v[83:84]
	v_fma_f64 v[79:80], v[83:84], v[81:82], -v[89:90]
	v_fma_f64 v[79:80], v[83:84], v[77:78], v[79:80]
	v_add_f64 v[91:92], v[89:90], v[79:80]
	v_add_f64 v[93:94], v[87:88], -v[91:92]
	v_add_f64 v[85:86], v[91:92], -v[89:90]
	v_add_f64 v[87:88], v[87:88], -v[93:94]
	v_add_f64 v[79:80], v[85:86], -v[79:80]
	v_add_f64 v[87:88], v[87:88], -v[91:92]
	v_add_f64 v[67:68], v[67:68], v[87:88]
	v_add_f64 v[67:68], v[79:80], v[67:68]
	;; [unrolled: 1-line block ×3, first 2 shown]
	v_mul_f64 v[85:86], v[73:74], v[79:80]
	v_add_f64 v[91:92], v[93:94], -v[79:80]
	v_mul_f64 v[87:88], v[81:82], v[85:86]
	v_add_f64 v[67:68], v[67:68], v[91:92]
	v_fma_f64 v[81:82], v[85:86], v[81:82], -v[87:88]
	v_fma_f64 v[77:78], v[85:86], v[77:78], v[81:82]
	v_add_f64 v[81:82], v[87:88], v[77:78]
	v_add_f64 v[89:90], v[79:80], -v[81:82]
	v_add_f64 v[87:88], v[81:82], -v[87:88]
	v_add_f64 v[79:80], v[79:80], -v[89:90]
	v_add_f64 v[77:78], v[87:88], -v[77:78]
	v_add_f64 v[79:80], v[79:80], -v[81:82]
	v_add_f64 v[67:68], v[67:68], v[79:80]
	v_add_f64 v[79:80], v[83:84], v[85:86]
	;; [unrolled: 1-line block ×3, first 2 shown]
	v_add_f64 v[77:78], v[79:80], -v[83:84]
	v_add_f64 v[67:68], v[89:90], v[67:68]
	v_add_f64 v[77:78], v[85:86], -v[77:78]
	v_mul_f64 v[67:68], v[73:74], v[67:68]
	v_add_f64 v[67:68], v[77:78], v[67:68]
	v_add_f64 v[73:74], v[79:80], v[67:68]
	v_mul_f64 v[77:78], v[73:74], v[73:74]
	v_fma_f64 v[81:82], v[77:78], s[42:43], s[38:39]
	s_mov_b32 s38, 0xd7f4df2e
	s_mov_b32 s39, 0x3fc7474d
	v_mul_f64 v[83:84], v[73:74], v[77:78]
	v_fma_f64 v[81:82], v[77:78], v[81:82], s[38:39]
	s_mov_b32 s38, 0x16291751
	s_mov_b32 s39, 0x3fcc71c0
	v_fma_f64 v[81:82], v[77:78], v[81:82], s[38:39]
	s_mov_b32 s38, 0x9b27acf1
	s_mov_b32 s39, 0x3fd24924
	;; [unrolled: 3-line block ×3, first 2 shown]
	v_fma_f64 v[81:82], v[77:78], v[81:82], s[38:39]
	v_fma_f64 v[77:78], v[77:78], v[81:82], s[16:17]
	v_ldexp_f64 v[81:82], v[73:74], 1
	v_add_f64 v[73:74], v[73:74], -v[79:80]
	v_cmp_neq_f64_e64 s16, 0x7ff00000, v[65:66]
	v_cmp_ngt_f64_e64 s17, -1.0, v[65:66]
	v_mul_f64 v[77:78], v[83:84], v[77:78]
	v_cvt_f64_i32_e32 v[83:84], v71
	v_add_f64 v[67:68], v[67:68], -v[73:74]
	s_and_b32 s15, s15, s16
	v_add_f64 v[79:80], v[81:82], v[77:78]
	v_mul_f64 v[85:86], v[83:84], s[18:19]
	v_ldexp_f64 v[67:68], v[67:68], 1
	v_add_f64 v[73:74], v[79:80], -v[81:82]
	v_fma_f64 v[81:82], v[83:84], s[18:19], -v[85:86]
	v_add_f64 v[73:74], v[77:78], -v[73:74]
	v_fma_f64 v[77:78], v[83:84], s[20:21], v[81:82]
	v_add_f64 v[67:68], v[67:68], v[73:74]
	v_add_f64 v[73:74], v[85:86], v[77:78]
	;; [unrolled: 1-line block ×3, first 2 shown]
	v_add_f64 v[85:86], v[73:74], -v[85:86]
	v_add_f64 v[83:84], v[73:74], v[81:82]
	v_add_f64 v[79:80], v[81:82], -v[79:80]
	v_add_f64 v[77:78], v[77:78], -v[85:86]
	;; [unrolled: 1-line block ×6, first 2 shown]
	v_add_f64 v[81:82], v[77:78], v[67:68]
	v_add_f64 v[73:74], v[73:74], -v[89:90]
	v_add_f64 v[73:74], v[79:80], v[73:74]
	v_add_f64 v[79:80], v[81:82], -v[77:78]
	;; [unrolled: 2-line block ×3, first 2 shown]
	v_add_f64 v[67:68], v[67:68], -v[79:80]
	v_add_f64 v[85:86], v[83:84], v[73:74]
	v_add_f64 v[77:78], v[77:78], -v[81:82]
	v_add_f64 v[79:80], v[85:86], -v[83:84]
	v_add_f64 v[67:68], v[67:68], v[77:78]
	v_add_f64 v[73:74], v[73:74], -v[79:80]
	v_add_f64 v[67:68], v[67:68], v[73:74]
	v_add_f64 v[67:68], v[85:86], v[67:68]
	v_cndmask_b32_e64 v67, 0, v67, s15
	v_cmp_neq_f64_e64 s15, -1.0, v[65:66]
	v_cndmask_b32_e64 v68, 0x7ff00000, v68, s16
	v_cndmask_b32_e64 v68, 0x7ff80000, v68, s17
	;; [unrolled: 1-line block ×3, first 2 shown]
	v_add_f64 v[65:66], v[63:64], v[67:68]
.LBB74_256:
	s_or_b32 exec_lo, exec_lo, s36
	v_mov_b32_e32 v63, v65
	v_mov_b32_e32 v64, v66
.LBB74_257:
	s_or_b32 exec_lo, exec_lo, s25
	v_add_nc_u32_e32 v65, v76, v72
	ds_write_b64 v65, v[63:64]
.LBB74_258:
	s_or_b32 exec_lo, exec_lo, s24
	s_mov_b32 s24, exec_lo
	s_waitcnt lgkmcnt(0)
	s_barrier
	buffer_gl0_inv
                                        ; implicit-def: $vgpr63_vgpr64
	v_cmpx_lt_u32_e32 31, v0
	s_cbranch_execz .LBB74_262
; %bb.259:
	v_lshl_add_u32 v63, v70, 3, -8
	v_max_f64 v[65:66], v[35:36], v[35:36]
	v_cmp_u_f64_e64 s16, v[35:36], v[35:36]
	ds_read_b64 v[63:64], v63
	s_waitcnt lgkmcnt(0)
	v_max_f64 v[67:68], v[63:64], v[63:64]
	v_cmp_u_f64_e64 s15, v[63:64], v[63:64]
	v_min_f64 v[70:71], v[67:68], v[65:66]
	v_max_f64 v[65:66], v[67:68], v[65:66]
	v_cndmask_b32_e64 v67, v70, v63, s15
	v_cndmask_b32_e64 v68, v71, v64, s15
	;; [unrolled: 1-line block ×8, first 2 shown]
	v_mov_b32_e32 v35, v63
	v_mov_b32_e32 v36, v64
	v_cmp_class_f64_e64 s16, v[67:68], 0x1f8
	v_cmp_neq_f64_e64 s15, v[67:68], v[65:66]
	s_or_b32 s15, s15, s16
	s_and_saveexec_b32 s25, s15
	s_cbranch_execz .LBB74_261
; %bb.260:
	v_add_f64 v[35:36], v[67:68], -v[65:66]
	s_mov_b32 s16, 0x652b82fe
	s_mov_b32 s17, 0x3ff71547
	;; [unrolled: 1-line block ×10, first 2 shown]
	v_mul_f64 v[67:68], v[35:36], s[16:17]
	s_mov_b32 s16, 0xfca7ab0c
	s_mov_b32 s17, 0x3e928af3
	v_cmp_nlt_f64_e64 s15, 0x40900000, v[35:36]
	v_rndne_f64_e32 v[67:68], v[67:68]
	v_fma_f64 v[70:71], v[67:68], s[18:19], v[35:36]
	v_cvt_i32_f64_e32 v74, v[67:68]
	s_mov_b32 s19, 0x3fe62e42
	v_fma_f64 v[70:71], v[67:68], s[20:21], v[70:71]
	s_mov_b32 s21, 0x3c7abc9e
	v_fma_f64 v[72:73], v[70:71], s[36:37], s[16:17]
	s_mov_b32 s16, 0x623fde64
	s_mov_b32 s17, 0x3ec71dee
	;; [unrolled: 1-line block ×4, first 2 shown]
	v_fma_f64 v[72:73], v[70:71], v[72:73], s[16:17]
	s_mov_b32 s16, 0x7c89e6b0
	s_mov_b32 s17, 0x3efa0199
	v_fma_f64 v[72:73], v[70:71], v[72:73], s[16:17]
	s_mov_b32 s16, 0x14761f6e
	s_mov_b32 s17, 0x3f2a01a0
	;; [unrolled: 3-line block ×7, first 2 shown]
	v_fma_f64 v[72:73], v[70:71], v[72:73], s[16:17]
	v_cmp_ngt_f64_e64 s16, 0xc090cc00, v[35:36]
	s_mov_b32 s17, 0x3fe55555
	v_fma_f64 v[72:73], v[70:71], v[72:73], 1.0
	v_fma_f64 v[67:68], v[70:71], v[72:73], 1.0
	v_ldexp_f64 v[67:68], v[67:68], v74
	v_cndmask_b32_e64 v68, 0x7ff00000, v68, s15
	s_and_b32 s15, s16, s15
	v_cndmask_b32_e64 v35, 0, v67, s15
	v_cndmask_b32_e64 v36, 0, v68, s16
	s_mov_b32 s16, 0x55555555
	v_add_f64 v[67:68], v[35:36], 1.0
	v_frexp_mant_f64_e32 v[70:71], v[67:68]
	v_frexp_exp_i32_f64_e32 v74, v[67:68]
	v_add_f64 v[72:73], v[67:68], -1.0
	v_cmp_gt_f64_e64 s15, s[16:17], v[70:71]
	s_mov_b32 s16, 0x55555780
	v_add_f64 v[70:71], v[72:73], -v[67:68]
	v_add_f64 v[72:73], v[35:36], -v[72:73]
	v_subrev_co_ci_u32_e64 v74, null, 0, v74, s15
	v_add_f64 v[70:71], v[70:71], 1.0
	v_cmp_nge_f64_e64 s15, -1.0, v[35:36]
	v_sub_nc_u32_e32 v79, 0, v74
	v_ldexp_f64 v[67:68], v[67:68], v79
	v_add_f64 v[70:71], v[72:73], v[70:71]
	v_add_f64 v[77:78], v[67:68], 1.0
	v_add_f64 v[83:84], v[67:68], -1.0
	v_ldexp_f64 v[70:71], v[70:71], v79
	v_add_f64 v[72:73], v[77:78], -1.0
	v_add_f64 v[85:86], v[83:84], 1.0
	v_add_f64 v[72:73], v[67:68], -v[72:73]
	v_add_f64 v[67:68], v[67:68], -v[85:86]
	v_add_f64 v[72:73], v[70:71], v[72:73]
	v_add_f64 v[67:68], v[70:71], v[67:68]
	;; [unrolled: 1-line block ×4, first 2 shown]
	v_rcp_f64_e32 v[81:82], v[79:80]
	v_add_f64 v[77:78], v[79:80], -v[77:78]
	v_add_f64 v[83:84], v[85:86], -v[83:84]
	;; [unrolled: 1-line block ×3, first 2 shown]
	v_fma_f64 v[87:88], -v[79:80], v[81:82], 1.0
	v_add_f64 v[67:68], v[67:68], -v[83:84]
	v_fma_f64 v[81:82], v[87:88], v[81:82], v[81:82]
	v_fma_f64 v[70:71], -v[79:80], v[81:82], 1.0
	v_fma_f64 v[70:71], v[70:71], v[81:82], v[81:82]
	v_mul_f64 v[81:82], v[85:86], v[70:71]
	v_mul_f64 v[87:88], v[79:80], v[81:82]
	v_fma_f64 v[77:78], v[81:82], v[79:80], -v[87:88]
	v_fma_f64 v[77:78], v[81:82], v[72:73], v[77:78]
	v_add_f64 v[89:90], v[87:88], v[77:78]
	v_add_f64 v[91:92], v[85:86], -v[89:90]
	v_add_f64 v[83:84], v[89:90], -v[87:88]
	v_add_f64 v[85:86], v[85:86], -v[91:92]
	v_add_f64 v[77:78], v[83:84], -v[77:78]
	v_add_f64 v[85:86], v[85:86], -v[89:90]
	v_add_f64 v[67:68], v[67:68], v[85:86]
	v_add_f64 v[67:68], v[77:78], v[67:68]
	;; [unrolled: 1-line block ×3, first 2 shown]
	v_mul_f64 v[83:84], v[70:71], v[77:78]
	v_add_f64 v[89:90], v[91:92], -v[77:78]
	v_mul_f64 v[85:86], v[79:80], v[83:84]
	v_add_f64 v[67:68], v[67:68], v[89:90]
	v_fma_f64 v[79:80], v[83:84], v[79:80], -v[85:86]
	v_fma_f64 v[72:73], v[83:84], v[72:73], v[79:80]
	v_add_f64 v[79:80], v[85:86], v[72:73]
	v_add_f64 v[87:88], v[77:78], -v[79:80]
	v_add_f64 v[85:86], v[79:80], -v[85:86]
	;; [unrolled: 1-line block ×5, first 2 shown]
	v_add_f64 v[67:68], v[67:68], v[77:78]
	v_add_f64 v[77:78], v[81:82], v[83:84]
	;; [unrolled: 1-line block ×3, first 2 shown]
	v_add_f64 v[72:73], v[77:78], -v[81:82]
	v_add_f64 v[67:68], v[87:88], v[67:68]
	v_add_f64 v[72:73], v[83:84], -v[72:73]
	v_mul_f64 v[67:68], v[70:71], v[67:68]
	v_add_f64 v[67:68], v[72:73], v[67:68]
	v_add_f64 v[70:71], v[77:78], v[67:68]
	v_mul_f64 v[72:73], v[70:71], v[70:71]
	v_fma_f64 v[79:80], v[72:73], s[38:39], s[36:37]
	s_mov_b32 s36, 0xd7f4df2e
	s_mov_b32 s37, 0x3fc7474d
	v_mul_f64 v[81:82], v[70:71], v[72:73]
	v_fma_f64 v[79:80], v[72:73], v[79:80], s[36:37]
	s_mov_b32 s36, 0x16291751
	s_mov_b32 s37, 0x3fcc71c0
	v_fma_f64 v[79:80], v[72:73], v[79:80], s[36:37]
	s_mov_b32 s36, 0x9b27acf1
	s_mov_b32 s37, 0x3fd24924
	v_fma_f64 v[79:80], v[72:73], v[79:80], s[36:37]
	s_mov_b32 s36, 0x998ef7b6
	s_mov_b32 s37, 0x3fd99999
	v_fma_f64 v[79:80], v[72:73], v[79:80], s[36:37]
	v_fma_f64 v[72:73], v[72:73], v[79:80], s[16:17]
	v_ldexp_f64 v[79:80], v[70:71], 1
	v_add_f64 v[70:71], v[70:71], -v[77:78]
	v_cmp_neq_f64_e64 s16, 0x7ff00000, v[35:36]
	v_cmp_ngt_f64_e64 s17, -1.0, v[35:36]
	v_mul_f64 v[72:73], v[81:82], v[72:73]
	v_cvt_f64_i32_e32 v[81:82], v74
	v_add_f64 v[67:68], v[67:68], -v[70:71]
	s_and_b32 s15, s15, s16
	v_add_f64 v[77:78], v[79:80], v[72:73]
	v_mul_f64 v[83:84], v[81:82], s[18:19]
	v_ldexp_f64 v[67:68], v[67:68], 1
	v_add_f64 v[70:71], v[77:78], -v[79:80]
	v_fma_f64 v[79:80], v[81:82], s[18:19], -v[83:84]
	v_add_f64 v[70:71], v[72:73], -v[70:71]
	v_fma_f64 v[72:73], v[81:82], s[20:21], v[79:80]
	v_add_f64 v[67:68], v[67:68], v[70:71]
	v_add_f64 v[70:71], v[83:84], v[72:73]
	;; [unrolled: 1-line block ×3, first 2 shown]
	v_add_f64 v[83:84], v[70:71], -v[83:84]
	v_add_f64 v[81:82], v[70:71], v[79:80]
	v_add_f64 v[77:78], v[79:80], -v[77:78]
	v_add_f64 v[72:73], v[72:73], -v[83:84]
	;; [unrolled: 1-line block ×6, first 2 shown]
	v_add_f64 v[79:80], v[72:73], v[67:68]
	v_add_f64 v[70:71], v[70:71], -v[87:88]
	v_add_f64 v[70:71], v[77:78], v[70:71]
	v_add_f64 v[77:78], v[79:80], -v[72:73]
	;; [unrolled: 2-line block ×3, first 2 shown]
	v_add_f64 v[67:68], v[67:68], -v[77:78]
	v_add_f64 v[83:84], v[81:82], v[70:71]
	v_add_f64 v[72:73], v[72:73], -v[79:80]
	v_add_f64 v[77:78], v[83:84], -v[81:82]
	v_add_f64 v[67:68], v[67:68], v[72:73]
	v_add_f64 v[70:71], v[70:71], -v[77:78]
	v_add_f64 v[67:68], v[67:68], v[70:71]
	v_add_f64 v[67:68], v[83:84], v[67:68]
	v_cndmask_b32_e64 v67, 0, v67, s15
	v_cmp_neq_f64_e64 s15, -1.0, v[35:36]
	v_cndmask_b32_e64 v68, 0x7ff00000, v68, s16
	v_cndmask_b32_e64 v68, 0x7ff80000, v68, s17
	;; [unrolled: 1-line block ×3, first 2 shown]
	v_add_f64 v[35:36], v[65:66], v[67:68]
.LBB74_261:
	s_or_b32 exec_lo, exec_lo, s25
.LBB74_262:
	s_or_b32 exec_lo, exec_lo, s24
	v_add_nc_u32_e32 v65, -1, v69
	v_cmp_gt_i32_e64 s15, 0, v65
	v_cndmask_b32_e64 v65, v65, v69, s15
	v_lshlrev_b32_e32 v65, 2, v65
	ds_bpermute_b32 v35, v65, v35
	ds_bpermute_b32 v36, v65, v36
	s_and_saveexec_b32 s20, s1
	s_cbranch_execz .LBB74_266
; %bb.263:
	v_cmp_eq_u32_e64 s1, 0, v69
	s_waitcnt lgkmcnt(0)
	v_cndmask_b32_e64 v36, v36, v64, s1
	v_cndmask_b32_e64 v35, v35, v63, s1
	v_max_f64 v[31:32], v[35:36], v[35:36]
	v_cmp_u_f64_e64 s1, v[35:36], v[35:36]
	v_min_f64 v[33:34], v[31:32], v[29:30]
	v_max_f64 v[29:30], v[31:32], v[29:30]
	v_cndmask_b32_e64 v31, v34, v36, s1
	v_cndmask_b32_e64 v32, v33, v35, s1
	;; [unrolled: 1-line block ×8, first 2 shown]
	v_cmp_class_f64_e64 s14, v[29:30], 0x1f8
	v_cmp_neq_f64_e64 s1, v[29:30], v[1:2]
	s_or_b32 s1, s1, s14
	s_and_saveexec_b32 s21, s1
	s_cbranch_execz .LBB74_265
; %bb.264:
	v_add_f64 v[29:30], v[29:30], -v[1:2]
	s_mov_b32 s14, 0x652b82fe
	s_mov_b32 s15, 0x3ff71547
	;; [unrolled: 1-line block ×10, first 2 shown]
	v_mul_f64 v[31:32], v[29:30], s[14:15]
	s_mov_b32 s14, 0xfca7ab0c
	s_mov_b32 s15, 0x3e928af3
	v_cmp_nlt_f64_e64 s1, 0x40900000, v[29:30]
	v_rndne_f64_e32 v[31:32], v[31:32]
	v_fma_f64 v[33:34], v[31:32], s[16:17], v[29:30]
	v_cvt_i32_f64_e32 v63, v[31:32]
	s_mov_b32 s17, 0x3fe62e42
	v_fma_f64 v[33:34], v[31:32], s[18:19], v[33:34]
	s_mov_b32 s19, 0x3c7abc9e
	v_fma_f64 v[35:36], v[33:34], s[24:25], s[14:15]
	s_mov_b32 s14, 0x623fde64
	s_mov_b32 s15, 0x3ec71dee
	;; [unrolled: 1-line block ×4, first 2 shown]
	v_fma_f64 v[35:36], v[33:34], v[35:36], s[14:15]
	s_mov_b32 s14, 0x7c89e6b0
	s_mov_b32 s15, 0x3efa0199
	v_fma_f64 v[35:36], v[33:34], v[35:36], s[14:15]
	s_mov_b32 s14, 0x14761f6e
	s_mov_b32 s15, 0x3f2a01a0
	;; [unrolled: 3-line block ×7, first 2 shown]
	v_fma_f64 v[35:36], v[33:34], v[35:36], s[14:15]
	v_cmp_ngt_f64_e64 s14, 0xc090cc00, v[29:30]
	s_mov_b32 s15, 0x3fe55555
	v_fma_f64 v[35:36], v[33:34], v[35:36], 1.0
	v_fma_f64 v[31:32], v[33:34], v[35:36], 1.0
	v_ldexp_f64 v[31:32], v[31:32], v63
	v_cndmask_b32_e64 v32, 0x7ff00000, v32, s1
	s_and_b32 s1, s14, s1
	v_cndmask_b32_e64 v29, 0, v31, s1
	v_cndmask_b32_e64 v30, 0, v32, s14
	s_mov_b32 s14, 0x55555555
	v_add_f64 v[31:32], v[29:30], 1.0
	v_frexp_mant_f64_e32 v[33:34], v[31:32]
	v_frexp_exp_i32_f64_e32 v63, v[31:32]
	v_add_f64 v[35:36], v[31:32], -1.0
	v_cmp_gt_f64_e64 s1, s[14:15], v[33:34]
	s_mov_b32 s14, 0x55555780
	v_add_f64 v[33:34], v[35:36], -v[31:32]
	v_add_f64 v[35:36], v[29:30], -v[35:36]
	v_subrev_co_ci_u32_e64 v81, null, 0, v63, s1
	v_add_f64 v[33:34], v[33:34], 1.0
	v_cmp_nge_f64_e64 s1, -1.0, v[29:30]
	v_sub_nc_u32_e32 v65, 0, v81
	v_ldexp_f64 v[31:32], v[31:32], v65
	v_add_f64 v[33:34], v[35:36], v[33:34]
	v_add_f64 v[63:64], v[31:32], 1.0
	v_add_f64 v[69:70], v[31:32], -1.0
	v_ldexp_f64 v[33:34], v[33:34], v65
	v_add_f64 v[35:36], v[63:64], -1.0
	v_add_f64 v[71:72], v[69:70], 1.0
	v_add_f64 v[35:36], v[31:32], -v[35:36]
	v_add_f64 v[31:32], v[31:32], -v[71:72]
	v_add_f64 v[35:36], v[33:34], v[35:36]
	v_add_f64 v[31:32], v[33:34], v[31:32]
	;; [unrolled: 1-line block ×4, first 2 shown]
	v_rcp_f64_e32 v[67:68], v[65:66]
	v_add_f64 v[63:64], v[65:66], -v[63:64]
	v_add_f64 v[69:70], v[71:72], -v[69:70]
	;; [unrolled: 1-line block ×3, first 2 shown]
	v_fma_f64 v[73:74], -v[65:66], v[67:68], 1.0
	v_add_f64 v[31:32], v[31:32], -v[69:70]
	v_fma_f64 v[67:68], v[73:74], v[67:68], v[67:68]
	v_fma_f64 v[33:34], -v[65:66], v[67:68], 1.0
	v_fma_f64 v[33:34], v[33:34], v[67:68], v[67:68]
	v_mul_f64 v[67:68], v[71:72], v[33:34]
	v_mul_f64 v[73:74], v[65:66], v[67:68]
	v_fma_f64 v[63:64], v[67:68], v[65:66], -v[73:74]
	v_fma_f64 v[63:64], v[67:68], v[35:36], v[63:64]
	v_add_f64 v[77:78], v[73:74], v[63:64]
	v_add_f64 v[79:80], v[71:72], -v[77:78]
	v_add_f64 v[69:70], v[77:78], -v[73:74]
	;; [unrolled: 1-line block ×5, first 2 shown]
	v_add_f64 v[31:32], v[31:32], v[71:72]
	v_add_f64 v[31:32], v[63:64], v[31:32]
	;; [unrolled: 1-line block ×3, first 2 shown]
	v_mul_f64 v[69:70], v[33:34], v[63:64]
	v_add_f64 v[77:78], v[79:80], -v[63:64]
	v_mul_f64 v[71:72], v[65:66], v[69:70]
	v_add_f64 v[31:32], v[31:32], v[77:78]
	v_fma_f64 v[65:66], v[69:70], v[65:66], -v[71:72]
	v_fma_f64 v[35:36], v[69:70], v[35:36], v[65:66]
	v_add_f64 v[65:66], v[71:72], v[35:36]
	v_add_f64 v[73:74], v[63:64], -v[65:66]
	v_add_f64 v[71:72], v[65:66], -v[71:72]
	;; [unrolled: 1-line block ×5, first 2 shown]
	v_add_f64 v[31:32], v[31:32], v[63:64]
	v_add_f64 v[63:64], v[67:68], v[69:70]
	v_add_f64 v[31:32], v[35:36], v[31:32]
	v_add_f64 v[35:36], v[63:64], -v[67:68]
	v_add_f64 v[31:32], v[73:74], v[31:32]
	v_add_f64 v[35:36], v[69:70], -v[35:36]
	v_mul_f64 v[31:32], v[33:34], v[31:32]
	v_add_f64 v[31:32], v[35:36], v[31:32]
	v_add_f64 v[33:34], v[63:64], v[31:32]
	v_mul_f64 v[35:36], v[33:34], v[33:34]
	v_fma_f64 v[65:66], v[35:36], s[36:37], s[24:25]
	s_mov_b32 s24, 0xd7f4df2e
	s_mov_b32 s25, 0x3fc7474d
	v_mul_f64 v[67:68], v[33:34], v[35:36]
	v_fma_f64 v[65:66], v[35:36], v[65:66], s[24:25]
	s_mov_b32 s24, 0x16291751
	s_mov_b32 s25, 0x3fcc71c0
	v_fma_f64 v[65:66], v[35:36], v[65:66], s[24:25]
	s_mov_b32 s24, 0x9b27acf1
	s_mov_b32 s25, 0x3fd24924
	;; [unrolled: 3-line block ×3, first 2 shown]
	v_fma_f64 v[65:66], v[35:36], v[65:66], s[24:25]
	v_fma_f64 v[35:36], v[35:36], v[65:66], s[14:15]
	v_ldexp_f64 v[65:66], v[33:34], 1
	v_add_f64 v[33:34], v[33:34], -v[63:64]
	v_cmp_neq_f64_e64 s14, 0x7ff00000, v[29:30]
	v_cmp_ngt_f64_e64 s15, -1.0, v[29:30]
	v_mul_f64 v[35:36], v[67:68], v[35:36]
	v_cvt_f64_i32_e32 v[67:68], v81
	v_add_f64 v[31:32], v[31:32], -v[33:34]
	s_and_b32 s1, s1, s14
	v_add_f64 v[63:64], v[65:66], v[35:36]
	v_mul_f64 v[69:70], v[67:68], s[16:17]
	v_ldexp_f64 v[31:32], v[31:32], 1
	v_add_f64 v[33:34], v[63:64], -v[65:66]
	v_fma_f64 v[65:66], v[67:68], s[16:17], -v[69:70]
	v_add_f64 v[33:34], v[35:36], -v[33:34]
	v_fma_f64 v[35:36], v[67:68], s[18:19], v[65:66]
	v_add_f64 v[31:32], v[31:32], v[33:34]
	v_add_f64 v[33:34], v[69:70], v[35:36]
	;; [unrolled: 1-line block ×3, first 2 shown]
	v_add_f64 v[69:70], v[33:34], -v[69:70]
	v_add_f64 v[67:68], v[33:34], v[65:66]
	v_add_f64 v[63:64], v[65:66], -v[63:64]
	v_add_f64 v[35:36], v[35:36], -v[69:70]
	;; [unrolled: 1-line block ×6, first 2 shown]
	v_add_f64 v[65:66], v[35:36], v[31:32]
	v_add_f64 v[33:34], v[33:34], -v[73:74]
	v_add_f64 v[33:34], v[63:64], v[33:34]
	v_add_f64 v[63:64], v[65:66], -v[35:36]
	v_add_f64 v[33:34], v[65:66], v[33:34]
	v_add_f64 v[65:66], v[65:66], -v[63:64]
	v_add_f64 v[31:32], v[31:32], -v[63:64]
	v_add_f64 v[69:70], v[67:68], v[33:34]
	v_add_f64 v[35:36], v[35:36], -v[65:66]
	v_add_f64 v[63:64], v[69:70], -v[67:68]
	v_add_f64 v[31:32], v[31:32], v[35:36]
	v_add_f64 v[33:34], v[33:34], -v[63:64]
	v_add_f64 v[31:32], v[31:32], v[33:34]
	v_add_f64 v[31:32], v[69:70], v[31:32]
	v_cndmask_b32_e64 v31, 0, v31, s1
	v_cmp_neq_f64_e64 s1, -1.0, v[29:30]
	v_cndmask_b32_e64 v32, 0x7ff00000, v32, s14
	v_cndmask_b32_e64 v32, 0x7ff80000, v32, s15
	;; [unrolled: 1-line block ×3, first 2 shown]
	v_add_f64 v[35:36], v[1:2], v[31:32]
.LBB74_265:
	s_or_b32 exec_lo, exec_lo, s21
	v_max_f64 v[1:2], v[35:36], v[35:36]
	;;#ASMSTART
	;;#ASMEND
	v_min_f64 v[31:32], v[1:2], v[61:62]
	v_max_f64 v[33:34], v[1:2], v[61:62]
	v_mov_b32_e32 v1, v35
	v_mov_b32_e32 v2, v36
.LBB74_266:
	s_or_b32 exec_lo, exec_lo, s20
	v_cmp_u_f64_e64 s1, v[1:2], v[1:2]
	v_cndmask_b32_e64 v29, v31, v1, s1
	v_cndmask_b32_e64 v30, v32, v2, s1
	;; [unrolled: 1-line block ×4, first 2 shown]
	v_cndmask_b32_e32 v31, v29, v3, vcc_lo
	v_cndmask_b32_e32 v32, v30, v4, vcc_lo
	;; [unrolled: 1-line block ×4, first 2 shown]
	v_mov_b32_e32 v4, v2
	v_mov_b32_e32 v3, v1
	v_cmp_class_f64_e64 s1, v[31:32], 0x1f8
	v_cmp_neq_f64_e32 vcc_lo, v[31:32], v[29:30]
	s_or_b32 s1, vcc_lo, s1
	s_and_saveexec_b32 s20, s1
	s_cbranch_execz .LBB74_268
; %bb.267:
	v_add_f64 v[3:4], v[31:32], -v[29:30]
	s_mov_b32 s14, 0x652b82fe
	s_mov_b32 s15, 0x3ff71547
	;; [unrolled: 1-line block ×10, first 2 shown]
	v_mul_f64 v[31:32], v[3:4], s[14:15]
	s_mov_b32 s15, 0xbfe62e42
	s_mov_b32 s14, 0xfefa39ef
	v_cmp_nlt_f64_e32 vcc_lo, 0x40900000, v[3:4]
	v_cmp_ngt_f64_e64 s1, 0xc090cc00, v[3:4]
	v_rndne_f64_e32 v[31:32], v[31:32]
	v_fma_f64 v[33:34], v[31:32], s[14:15], v[3:4]
	v_cvt_i32_f64_e32 v61, v[31:32]
	s_mov_b32 s15, 0x3fe62e42
	v_fma_f64 v[33:34], v[31:32], s[16:17], v[33:34]
	s_mov_b32 s17, 0x3c7abc9e
	s_waitcnt lgkmcnt(0)
	v_fma_f64 v[35:36], v[33:34], s[24:25], s[18:19]
	s_mov_b32 s18, 0x623fde64
	s_mov_b32 s19, 0x3ec71dee
	;; [unrolled: 1-line block ×4, first 2 shown]
	v_fma_f64 v[35:36], v[33:34], v[35:36], s[18:19]
	s_mov_b32 s18, 0x7c89e6b0
	s_mov_b32 s19, 0x3efa0199
	v_fma_f64 v[35:36], v[33:34], v[35:36], s[18:19]
	s_mov_b32 s18, 0x14761f6e
	s_mov_b32 s19, 0x3f2a01a0
	;; [unrolled: 3-line block ×8, first 2 shown]
	v_fma_f64 v[35:36], v[33:34], v[35:36], 1.0
	v_fma_f64 v[31:32], v[33:34], v[35:36], 1.0
	v_ldexp_f64 v[31:32], v[31:32], v61
	v_cndmask_b32_e32 v32, 0x7ff00000, v32, vcc_lo
	s_and_b32 vcc_lo, s1, vcc_lo
	v_cndmask_b32_e32 v3, 0, v31, vcc_lo
	v_cndmask_b32_e64 v4, 0, v32, s1
	v_add_f64 v[31:32], v[3:4], 1.0
	v_cmp_neq_f64_e64 s1, 0x7ff00000, v[3:4]
	v_frexp_mant_f64_e32 v[33:34], v[31:32]
	v_frexp_exp_i32_f64_e32 v61, v[31:32]
	v_add_f64 v[35:36], v[31:32], -1.0
	v_cmp_gt_f64_e32 vcc_lo, s[18:19], v[33:34]
	s_mov_b32 s18, 0x55555780
	v_add_f64 v[33:34], v[35:36], -v[31:32]
	v_add_f64 v[35:36], v[3:4], -v[35:36]
	v_subrev_co_ci_u32_e64 v79, null, 0, v61, vcc_lo
	v_add_f64 v[33:34], v[33:34], 1.0
	v_cmp_nge_f64_e32 vcc_lo, -1.0, v[3:4]
	v_sub_nc_u32_e32 v63, 0, v79
	v_ldexp_f64 v[31:32], v[31:32], v63
	v_add_f64 v[33:34], v[35:36], v[33:34]
	s_and_b32 vcc_lo, vcc_lo, s1
	v_add_f64 v[61:62], v[31:32], 1.0
	v_add_f64 v[67:68], v[31:32], -1.0
	v_ldexp_f64 v[33:34], v[33:34], v63
	v_add_f64 v[35:36], v[61:62], -1.0
	v_add_f64 v[69:70], v[67:68], 1.0
	v_add_f64 v[35:36], v[31:32], -v[35:36]
	v_add_f64 v[31:32], v[31:32], -v[69:70]
	v_add_f64 v[35:36], v[33:34], v[35:36]
	v_add_f64 v[31:32], v[33:34], v[31:32]
	;; [unrolled: 1-line block ×4, first 2 shown]
	v_rcp_f64_e32 v[65:66], v[63:64]
	v_add_f64 v[61:62], v[63:64], -v[61:62]
	v_add_f64 v[67:68], v[69:70], -v[67:68]
	;; [unrolled: 1-line block ×3, first 2 shown]
	v_fma_f64 v[71:72], -v[63:64], v[65:66], 1.0
	v_add_f64 v[31:32], v[31:32], -v[67:68]
	v_fma_f64 v[65:66], v[71:72], v[65:66], v[65:66]
	v_fma_f64 v[33:34], -v[63:64], v[65:66], 1.0
	v_fma_f64 v[33:34], v[33:34], v[65:66], v[65:66]
	v_mul_f64 v[65:66], v[69:70], v[33:34]
	v_mul_f64 v[71:72], v[63:64], v[65:66]
	v_fma_f64 v[61:62], v[65:66], v[63:64], -v[71:72]
	v_fma_f64 v[61:62], v[65:66], v[35:36], v[61:62]
	v_add_f64 v[73:74], v[71:72], v[61:62]
	v_add_f64 v[77:78], v[69:70], -v[73:74]
	v_add_f64 v[67:68], v[73:74], -v[71:72]
	;; [unrolled: 1-line block ×5, first 2 shown]
	v_add_f64 v[31:32], v[31:32], v[69:70]
	v_add_f64 v[31:32], v[61:62], v[31:32]
	;; [unrolled: 1-line block ×3, first 2 shown]
	v_mul_f64 v[67:68], v[33:34], v[61:62]
	v_add_f64 v[73:74], v[77:78], -v[61:62]
	v_mul_f64 v[69:70], v[63:64], v[67:68]
	v_add_f64 v[31:32], v[31:32], v[73:74]
	v_fma_f64 v[63:64], v[67:68], v[63:64], -v[69:70]
	v_fma_f64 v[35:36], v[67:68], v[35:36], v[63:64]
	v_add_f64 v[63:64], v[69:70], v[35:36]
	v_add_f64 v[71:72], v[61:62], -v[63:64]
	v_add_f64 v[69:70], v[63:64], -v[69:70]
	;; [unrolled: 1-line block ×5, first 2 shown]
	v_add_f64 v[31:32], v[31:32], v[61:62]
	v_add_f64 v[61:62], v[65:66], v[67:68]
	;; [unrolled: 1-line block ×3, first 2 shown]
	v_add_f64 v[35:36], v[61:62], -v[65:66]
	v_add_f64 v[31:32], v[71:72], v[31:32]
	v_add_f64 v[35:36], v[67:68], -v[35:36]
	v_mul_f64 v[31:32], v[33:34], v[31:32]
	v_add_f64 v[31:32], v[35:36], v[31:32]
	v_add_f64 v[33:34], v[61:62], v[31:32]
	v_mul_f64 v[35:36], v[33:34], v[33:34]
	v_fma_f64 v[63:64], v[35:36], s[36:37], s[24:25]
	s_mov_b32 s24, 0xd7f4df2e
	s_mov_b32 s25, 0x3fc7474d
	v_mul_f64 v[65:66], v[33:34], v[35:36]
	v_fma_f64 v[63:64], v[35:36], v[63:64], s[24:25]
	s_mov_b32 s24, 0x16291751
	s_mov_b32 s25, 0x3fcc71c0
	v_fma_f64 v[63:64], v[35:36], v[63:64], s[24:25]
	s_mov_b32 s24, 0x9b27acf1
	s_mov_b32 s25, 0x3fd24924
	;; [unrolled: 3-line block ×3, first 2 shown]
	v_fma_f64 v[63:64], v[35:36], v[63:64], s[24:25]
	v_fma_f64 v[35:36], v[35:36], v[63:64], s[18:19]
	v_ldexp_f64 v[63:64], v[33:34], 1
	v_add_f64 v[33:34], v[33:34], -v[61:62]
	v_mul_f64 v[35:36], v[65:66], v[35:36]
	v_cvt_f64_i32_e32 v[65:66], v79
	v_add_f64 v[31:32], v[31:32], -v[33:34]
	v_add_f64 v[61:62], v[63:64], v[35:36]
	v_mul_f64 v[67:68], v[65:66], s[14:15]
	v_ldexp_f64 v[31:32], v[31:32], 1
	v_add_f64 v[33:34], v[61:62], -v[63:64]
	v_fma_f64 v[63:64], v[65:66], s[14:15], -v[67:68]
	v_cmp_ngt_f64_e64 s14, -1.0, v[3:4]
	v_add_f64 v[33:34], v[35:36], -v[33:34]
	v_fma_f64 v[35:36], v[65:66], s[16:17], v[63:64]
	v_add_f64 v[31:32], v[31:32], v[33:34]
	v_add_f64 v[33:34], v[67:68], v[35:36]
	;; [unrolled: 1-line block ×3, first 2 shown]
	v_add_f64 v[67:68], v[33:34], -v[67:68]
	v_add_f64 v[65:66], v[33:34], v[63:64]
	v_add_f64 v[61:62], v[63:64], -v[61:62]
	v_add_f64 v[35:36], v[35:36], -v[67:68]
	v_add_f64 v[69:70], v[65:66], -v[33:34]
	v_add_f64 v[31:32], v[31:32], -v[61:62]
	v_add_f64 v[71:72], v[65:66], -v[69:70]
	v_add_f64 v[61:62], v[63:64], -v[69:70]
	v_add_f64 v[63:64], v[35:36], v[31:32]
	v_add_f64 v[33:34], v[33:34], -v[71:72]
	v_add_f64 v[33:34], v[61:62], v[33:34]
	v_add_f64 v[61:62], v[63:64], -v[35:36]
	;; [unrolled: 2-line block ×3, first 2 shown]
	v_add_f64 v[31:32], v[31:32], -v[61:62]
	v_add_f64 v[67:68], v[65:66], v[33:34]
	v_add_f64 v[35:36], v[35:36], -v[63:64]
	v_add_f64 v[61:62], v[67:68], -v[65:66]
	v_add_f64 v[31:32], v[31:32], v[35:36]
	v_add_f64 v[33:34], v[33:34], -v[61:62]
	v_add_f64 v[31:32], v[31:32], v[33:34]
	v_add_f64 v[31:32], v[67:68], v[31:32]
	v_cndmask_b32_e32 v31, 0, v31, vcc_lo
	v_cmp_neq_f64_e32 vcc_lo, -1.0, v[3:4]
	v_cndmask_b32_e64 v32, 0x7ff00000, v32, s1
	v_cndmask_b32_e64 v32, 0x7ff80000, v32, s14
	v_cndmask_b32_e32 v32, 0xfff00000, v32, vcc_lo
	v_add_f64 v[3:4], v[29:30], v[31:32]
.LBB74_268:
	s_or_b32 exec_lo, exec_lo, s20
	v_max_f64 v[29:30], v[3:4], v[3:4]
	v_cmp_u_f64_e32 vcc_lo, v[3:4], v[3:4]
	v_min_f64 v[31:32], v[29:30], v[5:6]
	v_max_f64 v[5:6], v[29:30], v[5:6]
	v_cndmask_b32_e32 v29, v31, v3, vcc_lo
	v_cndmask_b32_e32 v30, v32, v4, vcc_lo
	;; [unrolled: 1-line block ×4, first 2 shown]
	v_cndmask_b32_e64 v31, v29, v57, s2
	v_cndmask_b32_e64 v32, v30, v58, s2
	;; [unrolled: 1-line block ×4, first 2 shown]
	v_mov_b32_e32 v6, v4
	v_mov_b32_e32 v5, v3
	v_cmp_class_f64_e64 s1, v[31:32], 0x1f8
	v_cmp_neq_f64_e32 vcc_lo, v[31:32], v[29:30]
	s_or_b32 s1, vcc_lo, s1
	s_and_saveexec_b32 s20, s1
	s_cbranch_execz .LBB74_270
; %bb.269:
	v_add_f64 v[5:6], v[31:32], -v[29:30]
	s_mov_b32 s14, 0x652b82fe
	s_mov_b32 s15, 0x3ff71547
	;; [unrolled: 1-line block ×10, first 2 shown]
	v_mul_f64 v[31:32], v[5:6], s[14:15]
	s_mov_b32 s15, 0xbfe62e42
	s_mov_b32 s14, 0xfefa39ef
	v_cmp_nlt_f64_e32 vcc_lo, 0x40900000, v[5:6]
	v_cmp_ngt_f64_e64 s1, 0xc090cc00, v[5:6]
	v_rndne_f64_e32 v[31:32], v[31:32]
	v_fma_f64 v[33:34], v[31:32], s[14:15], v[5:6]
	v_cvt_i32_f64_e32 v57, v[31:32]
	s_mov_b32 s15, 0x3fe62e42
	v_fma_f64 v[33:34], v[31:32], s[16:17], v[33:34]
	s_mov_b32 s17, 0x3c7abc9e
	s_waitcnt lgkmcnt(0)
	v_fma_f64 v[35:36], v[33:34], s[24:25], s[18:19]
	s_mov_b32 s18, 0x623fde64
	s_mov_b32 s19, 0x3ec71dee
	;; [unrolled: 1-line block ×4, first 2 shown]
	v_fma_f64 v[35:36], v[33:34], v[35:36], s[18:19]
	s_mov_b32 s18, 0x7c89e6b0
	s_mov_b32 s19, 0x3efa0199
	v_fma_f64 v[35:36], v[33:34], v[35:36], s[18:19]
	s_mov_b32 s18, 0x14761f6e
	s_mov_b32 s19, 0x3f2a01a0
	;; [unrolled: 3-line block ×8, first 2 shown]
	v_fma_f64 v[35:36], v[33:34], v[35:36], 1.0
	v_fma_f64 v[31:32], v[33:34], v[35:36], 1.0
	v_ldexp_f64 v[31:32], v[31:32], v57
	v_cndmask_b32_e32 v32, 0x7ff00000, v32, vcc_lo
	s_and_b32 vcc_lo, s1, vcc_lo
	v_cndmask_b32_e32 v5, 0, v31, vcc_lo
	v_cndmask_b32_e64 v6, 0, v32, s1
	v_add_f64 v[31:32], v[5:6], 1.0
	v_cmp_neq_f64_e64 s1, 0x7ff00000, v[5:6]
	v_cmp_ngt_f64_e64 s2, -1.0, v[5:6]
	v_frexp_mant_f64_e32 v[33:34], v[31:32]
	v_frexp_exp_i32_f64_e32 v57, v[31:32]
	v_add_f64 v[35:36], v[31:32], -1.0
	v_cmp_gt_f64_e32 vcc_lo, s[18:19], v[33:34]
	s_mov_b32 s18, 0x55555780
	v_add_f64 v[33:34], v[35:36], -v[31:32]
	v_add_f64 v[35:36], v[5:6], -v[35:36]
	v_subrev_co_ci_u32_e64 v77, null, 0, v57, vcc_lo
	v_add_f64 v[33:34], v[33:34], 1.0
	v_cmp_nge_f64_e32 vcc_lo, -1.0, v[5:6]
	v_sub_nc_u32_e32 v61, 0, v77
	v_ldexp_f64 v[31:32], v[31:32], v61
	v_add_f64 v[33:34], v[35:36], v[33:34]
	s_and_b32 vcc_lo, vcc_lo, s1
	v_add_f64 v[57:58], v[31:32], 1.0
	v_add_f64 v[65:66], v[31:32], -1.0
	v_ldexp_f64 v[33:34], v[33:34], v61
	v_add_f64 v[35:36], v[57:58], -1.0
	v_add_f64 v[67:68], v[65:66], 1.0
	v_add_f64 v[35:36], v[31:32], -v[35:36]
	v_add_f64 v[31:32], v[31:32], -v[67:68]
	v_add_f64 v[35:36], v[33:34], v[35:36]
	v_add_f64 v[31:32], v[33:34], v[31:32]
	;; [unrolled: 1-line block ×4, first 2 shown]
	v_rcp_f64_e32 v[63:64], v[61:62]
	v_add_f64 v[57:58], v[61:62], -v[57:58]
	v_add_f64 v[65:66], v[67:68], -v[65:66]
	;; [unrolled: 1-line block ×3, first 2 shown]
	v_fma_f64 v[69:70], -v[61:62], v[63:64], 1.0
	v_add_f64 v[31:32], v[31:32], -v[65:66]
	v_fma_f64 v[63:64], v[69:70], v[63:64], v[63:64]
	v_fma_f64 v[33:34], -v[61:62], v[63:64], 1.0
	v_fma_f64 v[33:34], v[33:34], v[63:64], v[63:64]
	v_mul_f64 v[63:64], v[67:68], v[33:34]
	v_mul_f64 v[69:70], v[61:62], v[63:64]
	v_fma_f64 v[57:58], v[63:64], v[61:62], -v[69:70]
	v_fma_f64 v[57:58], v[63:64], v[35:36], v[57:58]
	v_add_f64 v[71:72], v[69:70], v[57:58]
	v_add_f64 v[73:74], v[67:68], -v[71:72]
	v_add_f64 v[65:66], v[71:72], -v[69:70]
	;; [unrolled: 1-line block ×5, first 2 shown]
	v_add_f64 v[31:32], v[31:32], v[67:68]
	v_add_f64 v[31:32], v[57:58], v[31:32]
	;; [unrolled: 1-line block ×3, first 2 shown]
	v_mul_f64 v[65:66], v[33:34], v[57:58]
	v_add_f64 v[71:72], v[73:74], -v[57:58]
	v_mul_f64 v[67:68], v[61:62], v[65:66]
	v_add_f64 v[31:32], v[31:32], v[71:72]
	v_fma_f64 v[61:62], v[65:66], v[61:62], -v[67:68]
	v_fma_f64 v[35:36], v[65:66], v[35:36], v[61:62]
	v_add_f64 v[61:62], v[67:68], v[35:36]
	v_add_f64 v[69:70], v[57:58], -v[61:62]
	v_add_f64 v[67:68], v[61:62], -v[67:68]
	;; [unrolled: 1-line block ×5, first 2 shown]
	v_add_f64 v[31:32], v[31:32], v[57:58]
	v_add_f64 v[57:58], v[63:64], v[65:66]
	;; [unrolled: 1-line block ×3, first 2 shown]
	v_add_f64 v[35:36], v[57:58], -v[63:64]
	v_add_f64 v[31:32], v[69:70], v[31:32]
	v_add_f64 v[35:36], v[65:66], -v[35:36]
	v_mul_f64 v[31:32], v[33:34], v[31:32]
	v_add_f64 v[31:32], v[35:36], v[31:32]
	v_add_f64 v[33:34], v[57:58], v[31:32]
	v_mul_f64 v[35:36], v[33:34], v[33:34]
	v_fma_f64 v[61:62], v[35:36], s[36:37], s[24:25]
	s_mov_b32 s24, 0xd7f4df2e
	s_mov_b32 s25, 0x3fc7474d
	v_mul_f64 v[63:64], v[33:34], v[35:36]
	v_fma_f64 v[61:62], v[35:36], v[61:62], s[24:25]
	s_mov_b32 s24, 0x16291751
	s_mov_b32 s25, 0x3fcc71c0
	v_fma_f64 v[61:62], v[35:36], v[61:62], s[24:25]
	s_mov_b32 s24, 0x9b27acf1
	s_mov_b32 s25, 0x3fd24924
	v_fma_f64 v[61:62], v[35:36], v[61:62], s[24:25]
	s_mov_b32 s24, 0x998ef7b6
	s_mov_b32 s25, 0x3fd99999
	v_fma_f64 v[61:62], v[35:36], v[61:62], s[24:25]
	v_fma_f64 v[35:36], v[35:36], v[61:62], s[18:19]
	v_ldexp_f64 v[61:62], v[33:34], 1
	v_add_f64 v[33:34], v[33:34], -v[57:58]
	v_mul_f64 v[35:36], v[63:64], v[35:36]
	v_cvt_f64_i32_e32 v[63:64], v77
	v_add_f64 v[31:32], v[31:32], -v[33:34]
	v_add_f64 v[57:58], v[61:62], v[35:36]
	v_mul_f64 v[65:66], v[63:64], s[14:15]
	v_ldexp_f64 v[31:32], v[31:32], 1
	v_add_f64 v[33:34], v[57:58], -v[61:62]
	v_fma_f64 v[61:62], v[63:64], s[14:15], -v[65:66]
	v_add_f64 v[33:34], v[35:36], -v[33:34]
	v_fma_f64 v[35:36], v[63:64], s[16:17], v[61:62]
	v_add_f64 v[31:32], v[31:32], v[33:34]
	v_add_f64 v[33:34], v[65:66], v[35:36]
	;; [unrolled: 1-line block ×3, first 2 shown]
	v_add_f64 v[65:66], v[33:34], -v[65:66]
	v_add_f64 v[63:64], v[33:34], v[61:62]
	v_add_f64 v[57:58], v[61:62], -v[57:58]
	v_add_f64 v[35:36], v[35:36], -v[65:66]
	;; [unrolled: 1-line block ×6, first 2 shown]
	v_add_f64 v[61:62], v[35:36], v[31:32]
	v_add_f64 v[33:34], v[33:34], -v[69:70]
	v_add_f64 v[33:34], v[57:58], v[33:34]
	v_add_f64 v[57:58], v[61:62], -v[35:36]
	;; [unrolled: 2-line block ×3, first 2 shown]
	v_add_f64 v[31:32], v[31:32], -v[57:58]
	v_add_f64 v[65:66], v[63:64], v[33:34]
	v_add_f64 v[35:36], v[35:36], -v[61:62]
	v_add_f64 v[57:58], v[65:66], -v[63:64]
	v_add_f64 v[31:32], v[31:32], v[35:36]
	v_add_f64 v[33:34], v[33:34], -v[57:58]
	v_add_f64 v[31:32], v[31:32], v[33:34]
	v_add_f64 v[31:32], v[65:66], v[31:32]
	v_cndmask_b32_e32 v31, 0, v31, vcc_lo
	v_cmp_neq_f64_e32 vcc_lo, -1.0, v[5:6]
	v_cndmask_b32_e64 v32, 0x7ff00000, v32, s1
	v_cndmask_b32_e64 v32, 0x7ff80000, v32, s2
	v_cndmask_b32_e32 v32, 0xfff00000, v32, vcc_lo
	v_add_f64 v[5:6], v[29:30], v[31:32]
.LBB74_270:
	s_or_b32 exec_lo, exec_lo, s20
	v_max_f64 v[29:30], v[5:6], v[5:6]
	v_cmp_u_f64_e32 vcc_lo, v[5:6], v[5:6]
	v_min_f64 v[31:32], v[29:30], v[7:8]
	v_max_f64 v[7:8], v[29:30], v[7:8]
	v_cndmask_b32_e32 v29, v31, v5, vcc_lo
	v_cndmask_b32_e32 v30, v32, v6, vcc_lo
	;; [unrolled: 1-line block ×4, first 2 shown]
	v_cndmask_b32_e64 v31, v29, v59, s3
	v_cndmask_b32_e64 v32, v30, v60, s3
	;; [unrolled: 1-line block ×4, first 2 shown]
	v_mov_b32_e32 v8, v6
	v_mov_b32_e32 v7, v5
	v_cmp_class_f64_e64 s1, v[31:32], 0x1f8
	v_cmp_neq_f64_e32 vcc_lo, v[31:32], v[29:30]
	s_or_b32 s1, vcc_lo, s1
	s_and_saveexec_b32 s18, s1
	s_cbranch_execz .LBB74_272
; %bb.271:
	v_add_f64 v[7:8], v[31:32], -v[29:30]
	s_mov_b32 s2, 0x652b82fe
	s_mov_b32 s3, 0x3ff71547
	;; [unrolled: 1-line block ×10, first 2 shown]
	v_mul_f64 v[31:32], v[7:8], s[2:3]
	s_mov_b32 s3, 0xbfe62e42
	s_mov_b32 s2, 0xfefa39ef
	v_cmp_nlt_f64_e32 vcc_lo, 0x40900000, v[7:8]
	v_cmp_ngt_f64_e64 s1, 0xc090cc00, v[7:8]
	v_rndne_f64_e32 v[31:32], v[31:32]
	v_fma_f64 v[33:34], v[31:32], s[2:3], v[7:8]
	v_cvt_i32_f64_e32 v57, v[31:32]
	s_mov_b32 s3, 0x3fe62e42
	v_fma_f64 v[33:34], v[31:32], s[14:15], v[33:34]
	s_mov_b32 s15, 0x3c7abc9e
	s_waitcnt lgkmcnt(0)
	v_fma_f64 v[35:36], v[33:34], s[20:21], s[16:17]
	s_mov_b32 s16, 0x623fde64
	s_mov_b32 s17, 0x3ec71dee
	;; [unrolled: 1-line block ×4, first 2 shown]
	v_fma_f64 v[35:36], v[33:34], v[35:36], s[16:17]
	s_mov_b32 s16, 0x7c89e6b0
	s_mov_b32 s17, 0x3efa0199
	v_fma_f64 v[35:36], v[33:34], v[35:36], s[16:17]
	s_mov_b32 s16, 0x14761f6e
	s_mov_b32 s17, 0x3f2a01a0
	;; [unrolled: 3-line block ×8, first 2 shown]
	v_fma_f64 v[35:36], v[33:34], v[35:36], 1.0
	v_fma_f64 v[31:32], v[33:34], v[35:36], 1.0
	v_ldexp_f64 v[31:32], v[31:32], v57
	v_cndmask_b32_e32 v32, 0x7ff00000, v32, vcc_lo
	s_and_b32 vcc_lo, s1, vcc_lo
	v_cndmask_b32_e32 v7, 0, v31, vcc_lo
	v_cndmask_b32_e64 v8, 0, v32, s1
	v_add_f64 v[31:32], v[7:8], 1.0
	v_cmp_neq_f64_e64 s1, 0x7ff00000, v[7:8]
	v_frexp_mant_f64_e32 v[33:34], v[31:32]
	v_frexp_exp_i32_f64_e32 v57, v[31:32]
	v_add_f64 v[35:36], v[31:32], -1.0
	v_cmp_gt_f64_e32 vcc_lo, s[16:17], v[33:34]
	s_mov_b32 s16, 0x55555780
	v_add_f64 v[33:34], v[35:36], -v[31:32]
	v_add_f64 v[35:36], v[7:8], -v[35:36]
	v_subrev_co_ci_u32_e64 v73, null, 0, v57, vcc_lo
	v_add_f64 v[33:34], v[33:34], 1.0
	v_cmp_nge_f64_e32 vcc_lo, -1.0, v[7:8]
	v_sub_nc_u32_e32 v59, 0, v73
	v_ldexp_f64 v[31:32], v[31:32], v59
	v_add_f64 v[33:34], v[35:36], v[33:34]
	s_and_b32 vcc_lo, vcc_lo, s1
	v_add_f64 v[57:58], v[31:32], 1.0
	v_add_f64 v[63:64], v[31:32], -1.0
	v_ldexp_f64 v[33:34], v[33:34], v59
	v_add_f64 v[35:36], v[57:58], -1.0
	v_add_f64 v[65:66], v[63:64], 1.0
	v_add_f64 v[35:36], v[31:32], -v[35:36]
	v_add_f64 v[31:32], v[31:32], -v[65:66]
	v_add_f64 v[35:36], v[33:34], v[35:36]
	v_add_f64 v[31:32], v[33:34], v[31:32]
	;; [unrolled: 1-line block ×4, first 2 shown]
	v_rcp_f64_e32 v[61:62], v[59:60]
	v_add_f64 v[57:58], v[59:60], -v[57:58]
	v_add_f64 v[63:64], v[65:66], -v[63:64]
	;; [unrolled: 1-line block ×3, first 2 shown]
	v_fma_f64 v[67:68], -v[59:60], v[61:62], 1.0
	v_add_f64 v[31:32], v[31:32], -v[63:64]
	v_fma_f64 v[61:62], v[67:68], v[61:62], v[61:62]
	v_fma_f64 v[33:34], -v[59:60], v[61:62], 1.0
	v_fma_f64 v[33:34], v[33:34], v[61:62], v[61:62]
	v_mul_f64 v[61:62], v[65:66], v[33:34]
	v_mul_f64 v[67:68], v[59:60], v[61:62]
	v_fma_f64 v[57:58], v[61:62], v[59:60], -v[67:68]
	v_fma_f64 v[57:58], v[61:62], v[35:36], v[57:58]
	v_add_f64 v[69:70], v[67:68], v[57:58]
	v_add_f64 v[71:72], v[65:66], -v[69:70]
	v_add_f64 v[63:64], v[69:70], -v[67:68]
	;; [unrolled: 1-line block ×5, first 2 shown]
	v_add_f64 v[31:32], v[31:32], v[65:66]
	v_add_f64 v[31:32], v[57:58], v[31:32]
	;; [unrolled: 1-line block ×3, first 2 shown]
	v_mul_f64 v[63:64], v[33:34], v[57:58]
	v_add_f64 v[69:70], v[71:72], -v[57:58]
	v_mul_f64 v[65:66], v[59:60], v[63:64]
	v_add_f64 v[31:32], v[31:32], v[69:70]
	v_fma_f64 v[59:60], v[63:64], v[59:60], -v[65:66]
	v_fma_f64 v[35:36], v[63:64], v[35:36], v[59:60]
	v_add_f64 v[59:60], v[65:66], v[35:36]
	v_add_f64 v[67:68], v[57:58], -v[59:60]
	v_add_f64 v[65:66], v[59:60], -v[65:66]
	;; [unrolled: 1-line block ×5, first 2 shown]
	v_add_f64 v[31:32], v[31:32], v[57:58]
	v_add_f64 v[57:58], v[61:62], v[63:64]
	;; [unrolled: 1-line block ×3, first 2 shown]
	v_add_f64 v[35:36], v[57:58], -v[61:62]
	v_add_f64 v[31:32], v[67:68], v[31:32]
	v_add_f64 v[35:36], v[63:64], -v[35:36]
	v_mul_f64 v[31:32], v[33:34], v[31:32]
	v_add_f64 v[31:32], v[35:36], v[31:32]
	v_add_f64 v[33:34], v[57:58], v[31:32]
	v_mul_f64 v[35:36], v[33:34], v[33:34]
	v_fma_f64 v[59:60], v[35:36], s[24:25], s[20:21]
	s_mov_b32 s20, 0xd7f4df2e
	s_mov_b32 s21, 0x3fc7474d
	v_mul_f64 v[61:62], v[33:34], v[35:36]
	v_fma_f64 v[59:60], v[35:36], v[59:60], s[20:21]
	s_mov_b32 s20, 0x16291751
	s_mov_b32 s21, 0x3fcc71c0
	v_fma_f64 v[59:60], v[35:36], v[59:60], s[20:21]
	s_mov_b32 s20, 0x9b27acf1
	s_mov_b32 s21, 0x3fd24924
	;; [unrolled: 3-line block ×3, first 2 shown]
	v_fma_f64 v[59:60], v[35:36], v[59:60], s[20:21]
	v_fma_f64 v[35:36], v[35:36], v[59:60], s[16:17]
	v_ldexp_f64 v[59:60], v[33:34], 1
	v_add_f64 v[33:34], v[33:34], -v[57:58]
	v_mul_f64 v[35:36], v[61:62], v[35:36]
	v_cvt_f64_i32_e32 v[61:62], v73
	v_add_f64 v[31:32], v[31:32], -v[33:34]
	v_add_f64 v[57:58], v[59:60], v[35:36]
	v_mul_f64 v[63:64], v[61:62], s[2:3]
	v_ldexp_f64 v[31:32], v[31:32], 1
	v_add_f64 v[33:34], v[57:58], -v[59:60]
	v_fma_f64 v[59:60], v[61:62], s[2:3], -v[63:64]
	v_cmp_ngt_f64_e64 s2, -1.0, v[7:8]
	v_add_f64 v[33:34], v[35:36], -v[33:34]
	v_fma_f64 v[35:36], v[61:62], s[14:15], v[59:60]
	v_add_f64 v[31:32], v[31:32], v[33:34]
	v_add_f64 v[33:34], v[63:64], v[35:36]
	;; [unrolled: 1-line block ×3, first 2 shown]
	v_add_f64 v[63:64], v[33:34], -v[63:64]
	v_add_f64 v[61:62], v[33:34], v[59:60]
	v_add_f64 v[57:58], v[59:60], -v[57:58]
	v_add_f64 v[35:36], v[35:36], -v[63:64]
	;; [unrolled: 1-line block ×6, first 2 shown]
	v_add_f64 v[59:60], v[35:36], v[31:32]
	v_add_f64 v[33:34], v[33:34], -v[67:68]
	v_add_f64 v[33:34], v[57:58], v[33:34]
	v_add_f64 v[57:58], v[59:60], -v[35:36]
	v_add_f64 v[33:34], v[59:60], v[33:34]
	v_add_f64 v[59:60], v[59:60], -v[57:58]
	v_add_f64 v[31:32], v[31:32], -v[57:58]
	v_add_f64 v[63:64], v[61:62], v[33:34]
	v_add_f64 v[35:36], v[35:36], -v[59:60]
	v_add_f64 v[57:58], v[63:64], -v[61:62]
	v_add_f64 v[31:32], v[31:32], v[35:36]
	v_add_f64 v[33:34], v[33:34], -v[57:58]
	v_add_f64 v[31:32], v[31:32], v[33:34]
	v_add_f64 v[31:32], v[63:64], v[31:32]
	v_cndmask_b32_e32 v31, 0, v31, vcc_lo
	v_cmp_neq_f64_e32 vcc_lo, -1.0, v[7:8]
	v_cndmask_b32_e64 v32, 0x7ff00000, v32, s1
	v_cndmask_b32_e64 v32, 0x7ff80000, v32, s2
	v_cndmask_b32_e32 v32, 0xfff00000, v32, vcc_lo
	v_add_f64 v[7:8], v[29:30], v[31:32]
.LBB74_272:
	s_or_b32 exec_lo, exec_lo, s18
	v_max_f64 v[29:30], v[7:8], v[7:8]
	v_cmp_u_f64_e32 vcc_lo, v[7:8], v[7:8]
	v_min_f64 v[31:32], v[29:30], v[9:10]
	v_max_f64 v[9:10], v[29:30], v[9:10]
	v_cndmask_b32_e32 v29, v31, v7, vcc_lo
	v_cndmask_b32_e32 v30, v32, v8, vcc_lo
	;; [unrolled: 1-line block ×4, first 2 shown]
	v_cndmask_b32_e64 v31, v29, v53, s4
	v_cndmask_b32_e64 v32, v30, v54, s4
	;; [unrolled: 1-line block ×4, first 2 shown]
	v_mov_b32_e32 v10, v8
	v_mov_b32_e32 v9, v7
	v_cmp_class_f64_e64 s1, v[31:32], 0x1f8
	v_cmp_neq_f64_e32 vcc_lo, v[31:32], v[29:30]
	s_or_b32 s1, vcc_lo, s1
	s_and_saveexec_b32 s4, s1
	s_cbranch_execz .LBB74_274
; %bb.273:
	v_add_f64 v[9:10], v[31:32], -v[29:30]
	s_mov_b32 s2, 0x652b82fe
	s_mov_b32 s3, 0x3ff71547
	s_mov_b32 s15, 0xbc7abc9e
	s_mov_b32 s14, 0x3b39803f
	s_mov_b32 s16, 0xfca7ab0c
	s_mov_b32 s18, 0x6a5dcb37
	s_mov_b32 s17, 0x3e928af3
	s_mov_b32 s19, 0x3e5ade15
	s_mov_b32 s20, 0xbf559e2b
	s_mov_b32 s21, 0x3fc3ab76
	v_mul_f64 v[31:32], v[9:10], s[2:3]
	s_mov_b32 s3, 0xbfe62e42
	s_mov_b32 s2, 0xfefa39ef
	v_cmp_nlt_f64_e32 vcc_lo, 0x40900000, v[9:10]
	v_cmp_ngt_f64_e64 s1, 0xc090cc00, v[9:10]
	v_rndne_f64_e32 v[31:32], v[31:32]
	v_fma_f64 v[33:34], v[31:32], s[2:3], v[9:10]
	v_cvt_i32_f64_e32 v53, v[31:32]
	s_mov_b32 s3, 0x3fe62e42
	v_fma_f64 v[33:34], v[31:32], s[14:15], v[33:34]
	s_mov_b32 s15, 0x3c7abc9e
	s_waitcnt lgkmcnt(0)
	v_fma_f64 v[35:36], v[33:34], s[18:19], s[16:17]
	s_mov_b32 s16, 0x623fde64
	s_mov_b32 s17, 0x3ec71dee
	;; [unrolled: 1-line block ×4, first 2 shown]
	v_fma_f64 v[35:36], v[33:34], v[35:36], s[16:17]
	s_mov_b32 s16, 0x7c89e6b0
	s_mov_b32 s17, 0x3efa0199
	v_fma_f64 v[35:36], v[33:34], v[35:36], s[16:17]
	s_mov_b32 s16, 0x14761f6e
	s_mov_b32 s17, 0x3f2a01a0
	;; [unrolled: 3-line block ×8, first 2 shown]
	v_fma_f64 v[35:36], v[33:34], v[35:36], 1.0
	v_fma_f64 v[31:32], v[33:34], v[35:36], 1.0
	v_ldexp_f64 v[31:32], v[31:32], v53
	v_cndmask_b32_e32 v32, 0x7ff00000, v32, vcc_lo
	s_and_b32 vcc_lo, s1, vcc_lo
	v_cndmask_b32_e32 v9, 0, v31, vcc_lo
	v_cndmask_b32_e64 v10, 0, v32, s1
	v_add_f64 v[31:32], v[9:10], 1.0
	v_cmp_neq_f64_e64 s1, 0x7ff00000, v[9:10]
	v_frexp_mant_f64_e32 v[33:34], v[31:32]
	v_frexp_exp_i32_f64_e32 v53, v[31:32]
	v_add_f64 v[35:36], v[31:32], -1.0
	v_cmp_gt_f64_e32 vcc_lo, s[16:17], v[33:34]
	s_mov_b32 s16, 0x55555780
	v_add_f64 v[33:34], v[35:36], -v[31:32]
	v_add_f64 v[35:36], v[9:10], -v[35:36]
	v_subrev_co_ci_u32_e64 v71, null, 0, v53, vcc_lo
	v_add_f64 v[33:34], v[33:34], 1.0
	v_cmp_nge_f64_e32 vcc_lo, -1.0, v[9:10]
	v_sub_nc_u32_e32 v57, 0, v71
	v_ldexp_f64 v[31:32], v[31:32], v57
	v_add_f64 v[33:34], v[35:36], v[33:34]
	s_and_b32 vcc_lo, vcc_lo, s1
	v_add_f64 v[53:54], v[31:32], 1.0
	v_add_f64 v[61:62], v[31:32], -1.0
	v_ldexp_f64 v[33:34], v[33:34], v57
	v_add_f64 v[35:36], v[53:54], -1.0
	v_add_f64 v[63:64], v[61:62], 1.0
	v_add_f64 v[35:36], v[31:32], -v[35:36]
	v_add_f64 v[31:32], v[31:32], -v[63:64]
	v_add_f64 v[35:36], v[33:34], v[35:36]
	v_add_f64 v[31:32], v[33:34], v[31:32]
	;; [unrolled: 1-line block ×4, first 2 shown]
	v_rcp_f64_e32 v[59:60], v[57:58]
	v_add_f64 v[53:54], v[57:58], -v[53:54]
	v_add_f64 v[61:62], v[63:64], -v[61:62]
	;; [unrolled: 1-line block ×3, first 2 shown]
	v_fma_f64 v[65:66], -v[57:58], v[59:60], 1.0
	v_add_f64 v[31:32], v[31:32], -v[61:62]
	v_fma_f64 v[59:60], v[65:66], v[59:60], v[59:60]
	v_fma_f64 v[33:34], -v[57:58], v[59:60], 1.0
	v_fma_f64 v[33:34], v[33:34], v[59:60], v[59:60]
	v_mul_f64 v[59:60], v[63:64], v[33:34]
	v_mul_f64 v[65:66], v[57:58], v[59:60]
	v_fma_f64 v[53:54], v[59:60], v[57:58], -v[65:66]
	v_fma_f64 v[53:54], v[59:60], v[35:36], v[53:54]
	v_add_f64 v[67:68], v[65:66], v[53:54]
	v_add_f64 v[69:70], v[63:64], -v[67:68]
	v_add_f64 v[61:62], v[67:68], -v[65:66]
	;; [unrolled: 1-line block ×5, first 2 shown]
	v_add_f64 v[31:32], v[31:32], v[63:64]
	v_add_f64 v[31:32], v[53:54], v[31:32]
	v_add_f64 v[53:54], v[69:70], v[31:32]
	v_mul_f64 v[61:62], v[33:34], v[53:54]
	v_add_f64 v[67:68], v[69:70], -v[53:54]
	v_mul_f64 v[63:64], v[57:58], v[61:62]
	v_add_f64 v[31:32], v[31:32], v[67:68]
	v_fma_f64 v[57:58], v[61:62], v[57:58], -v[63:64]
	v_fma_f64 v[35:36], v[61:62], v[35:36], v[57:58]
	v_add_f64 v[57:58], v[63:64], v[35:36]
	v_add_f64 v[65:66], v[53:54], -v[57:58]
	v_add_f64 v[63:64], v[57:58], -v[63:64]
	;; [unrolled: 1-line block ×5, first 2 shown]
	v_add_f64 v[31:32], v[31:32], v[53:54]
	v_add_f64 v[53:54], v[59:60], v[61:62]
	;; [unrolled: 1-line block ×3, first 2 shown]
	v_add_f64 v[35:36], v[53:54], -v[59:60]
	v_add_f64 v[31:32], v[65:66], v[31:32]
	v_add_f64 v[35:36], v[61:62], -v[35:36]
	v_mul_f64 v[31:32], v[33:34], v[31:32]
	v_add_f64 v[31:32], v[35:36], v[31:32]
	v_add_f64 v[33:34], v[53:54], v[31:32]
	v_mul_f64 v[35:36], v[33:34], v[33:34]
	v_fma_f64 v[57:58], v[35:36], s[20:21], s[18:19]
	s_mov_b32 s18, 0xd7f4df2e
	s_mov_b32 s19, 0x3fc7474d
	v_mul_f64 v[59:60], v[33:34], v[35:36]
	v_fma_f64 v[57:58], v[35:36], v[57:58], s[18:19]
	s_mov_b32 s18, 0x16291751
	s_mov_b32 s19, 0x3fcc71c0
	v_fma_f64 v[57:58], v[35:36], v[57:58], s[18:19]
	s_mov_b32 s18, 0x9b27acf1
	s_mov_b32 s19, 0x3fd24924
	;; [unrolled: 3-line block ×3, first 2 shown]
	v_fma_f64 v[57:58], v[35:36], v[57:58], s[18:19]
	v_fma_f64 v[35:36], v[35:36], v[57:58], s[16:17]
	v_ldexp_f64 v[57:58], v[33:34], 1
	v_add_f64 v[33:34], v[33:34], -v[53:54]
	v_mul_f64 v[35:36], v[59:60], v[35:36]
	v_cvt_f64_i32_e32 v[59:60], v71
	v_add_f64 v[31:32], v[31:32], -v[33:34]
	v_add_f64 v[53:54], v[57:58], v[35:36]
	v_mul_f64 v[61:62], v[59:60], s[2:3]
	v_ldexp_f64 v[31:32], v[31:32], 1
	v_add_f64 v[33:34], v[53:54], -v[57:58]
	v_fma_f64 v[57:58], v[59:60], s[2:3], -v[61:62]
	v_cmp_ngt_f64_e64 s2, -1.0, v[9:10]
	v_add_f64 v[33:34], v[35:36], -v[33:34]
	v_fma_f64 v[35:36], v[59:60], s[14:15], v[57:58]
	v_add_f64 v[31:32], v[31:32], v[33:34]
	v_add_f64 v[33:34], v[61:62], v[35:36]
	;; [unrolled: 1-line block ×3, first 2 shown]
	v_add_f64 v[61:62], v[33:34], -v[61:62]
	v_add_f64 v[59:60], v[33:34], v[57:58]
	v_add_f64 v[53:54], v[57:58], -v[53:54]
	v_add_f64 v[35:36], v[35:36], -v[61:62]
	;; [unrolled: 1-line block ×6, first 2 shown]
	v_add_f64 v[57:58], v[35:36], v[31:32]
	v_add_f64 v[33:34], v[33:34], -v[65:66]
	v_add_f64 v[33:34], v[53:54], v[33:34]
	v_add_f64 v[53:54], v[57:58], -v[35:36]
	;; [unrolled: 2-line block ×3, first 2 shown]
	v_add_f64 v[31:32], v[31:32], -v[53:54]
	v_add_f64 v[61:62], v[59:60], v[33:34]
	v_add_f64 v[35:36], v[35:36], -v[57:58]
	v_add_f64 v[53:54], v[61:62], -v[59:60]
	v_add_f64 v[31:32], v[31:32], v[35:36]
	v_add_f64 v[33:34], v[33:34], -v[53:54]
	v_add_f64 v[31:32], v[31:32], v[33:34]
	v_add_f64 v[31:32], v[61:62], v[31:32]
	v_cndmask_b32_e32 v31, 0, v31, vcc_lo
	v_cmp_neq_f64_e32 vcc_lo, -1.0, v[9:10]
	v_cndmask_b32_e64 v32, 0x7ff00000, v32, s1
	v_cndmask_b32_e64 v32, 0x7ff80000, v32, s2
	v_cndmask_b32_e32 v32, 0xfff00000, v32, vcc_lo
	v_add_f64 v[9:10], v[29:30], v[31:32]
.LBB74_274:
	s_or_b32 exec_lo, exec_lo, s4
	v_max_f64 v[29:30], v[9:10], v[9:10]
	v_cmp_u_f64_e32 vcc_lo, v[9:10], v[9:10]
	v_min_f64 v[31:32], v[29:30], v[11:12]
	v_max_f64 v[11:12], v[29:30], v[11:12]
	v_cndmask_b32_e32 v29, v31, v9, vcc_lo
	v_cndmask_b32_e32 v30, v32, v10, vcc_lo
	;; [unrolled: 1-line block ×4, first 2 shown]
	v_cndmask_b32_e64 v31, v29, v55, s5
	v_cndmask_b32_e64 v32, v30, v56, s5
	;; [unrolled: 1-line block ×4, first 2 shown]
	v_mov_b32_e32 v12, v10
	v_mov_b32_e32 v11, v9
	v_cmp_class_f64_e64 s1, v[31:32], 0x1f8
	v_cmp_neq_f64_e32 vcc_lo, v[31:32], v[29:30]
	s_or_b32 s1, vcc_lo, s1
	s_and_saveexec_b32 s16, s1
	s_cbranch_execz .LBB74_276
; %bb.275:
	v_add_f64 v[11:12], v[31:32], -v[29:30]
	s_mov_b32 s2, 0x652b82fe
	s_mov_b32 s3, 0x3ff71547
	;; [unrolled: 1-line block ×10, first 2 shown]
	v_mul_f64 v[31:32], v[11:12], s[2:3]
	s_mov_b32 s3, 0xbfe62e42
	s_mov_b32 s2, 0xfefa39ef
	v_cmp_nlt_f64_e32 vcc_lo, 0x40900000, v[11:12]
	v_cmp_ngt_f64_e64 s1, 0xc090cc00, v[11:12]
	v_rndne_f64_e32 v[31:32], v[31:32]
	v_fma_f64 v[33:34], v[31:32], s[2:3], v[11:12]
	v_cvt_i32_f64_e32 v53, v[31:32]
	s_mov_b32 s3, 0x3fe62e42
	v_fma_f64 v[33:34], v[31:32], s[4:5], v[33:34]
	s_mov_b32 s5, 0x3c7abc9e
	s_waitcnt lgkmcnt(0)
	v_fma_f64 v[35:36], v[33:34], s[18:19], s[14:15]
	s_mov_b32 s14, 0x623fde64
	s_mov_b32 s15, 0x3ec71dee
	;; [unrolled: 1-line block ×4, first 2 shown]
	v_fma_f64 v[35:36], v[33:34], v[35:36], s[14:15]
	s_mov_b32 s14, 0x7c89e6b0
	s_mov_b32 s15, 0x3efa0199
	v_fma_f64 v[35:36], v[33:34], v[35:36], s[14:15]
	s_mov_b32 s14, 0x14761f6e
	s_mov_b32 s15, 0x3f2a01a0
	;; [unrolled: 3-line block ×8, first 2 shown]
	v_fma_f64 v[35:36], v[33:34], v[35:36], 1.0
	v_fma_f64 v[31:32], v[33:34], v[35:36], 1.0
	v_ldexp_f64 v[31:32], v[31:32], v53
	v_cndmask_b32_e32 v32, 0x7ff00000, v32, vcc_lo
	s_and_b32 vcc_lo, s1, vcc_lo
	v_cndmask_b32_e32 v11, 0, v31, vcc_lo
	v_cndmask_b32_e64 v12, 0, v32, s1
	v_add_f64 v[31:32], v[11:12], 1.0
	v_cmp_neq_f64_e64 s1, 0x7ff00000, v[11:12]
	v_frexp_mant_f64_e32 v[33:34], v[31:32]
	v_frexp_exp_i32_f64_e32 v53, v[31:32]
	v_add_f64 v[35:36], v[31:32], -1.0
	v_cmp_gt_f64_e32 vcc_lo, s[14:15], v[33:34]
	s_mov_b32 s14, 0x55555780
	v_add_f64 v[33:34], v[35:36], -v[31:32]
	v_add_f64 v[35:36], v[11:12], -v[35:36]
	v_subrev_co_ci_u32_e64 v69, null, 0, v53, vcc_lo
	v_add_f64 v[33:34], v[33:34], 1.0
	v_cmp_nge_f64_e32 vcc_lo, -1.0, v[11:12]
	v_sub_nc_u32_e32 v55, 0, v69
	v_ldexp_f64 v[31:32], v[31:32], v55
	v_add_f64 v[33:34], v[35:36], v[33:34]
	s_and_b32 vcc_lo, vcc_lo, s1
	v_add_f64 v[53:54], v[31:32], 1.0
	v_add_f64 v[59:60], v[31:32], -1.0
	v_ldexp_f64 v[33:34], v[33:34], v55
	v_add_f64 v[35:36], v[53:54], -1.0
	v_add_f64 v[61:62], v[59:60], 1.0
	v_add_f64 v[35:36], v[31:32], -v[35:36]
	v_add_f64 v[31:32], v[31:32], -v[61:62]
	v_add_f64 v[35:36], v[33:34], v[35:36]
	v_add_f64 v[31:32], v[33:34], v[31:32]
	v_add_f64 v[55:56], v[53:54], v[35:36]
	v_add_f64 v[61:62], v[59:60], v[31:32]
	v_rcp_f64_e32 v[57:58], v[55:56]
	v_add_f64 v[53:54], v[55:56], -v[53:54]
	v_add_f64 v[59:60], v[61:62], -v[59:60]
	;; [unrolled: 1-line block ×3, first 2 shown]
	v_fma_f64 v[63:64], -v[55:56], v[57:58], 1.0
	v_add_f64 v[31:32], v[31:32], -v[59:60]
	v_fma_f64 v[57:58], v[63:64], v[57:58], v[57:58]
	v_fma_f64 v[33:34], -v[55:56], v[57:58], 1.0
	v_fma_f64 v[33:34], v[33:34], v[57:58], v[57:58]
	v_mul_f64 v[57:58], v[61:62], v[33:34]
	v_mul_f64 v[63:64], v[55:56], v[57:58]
	v_fma_f64 v[53:54], v[57:58], v[55:56], -v[63:64]
	v_fma_f64 v[53:54], v[57:58], v[35:36], v[53:54]
	v_add_f64 v[65:66], v[63:64], v[53:54]
	v_add_f64 v[67:68], v[61:62], -v[65:66]
	v_add_f64 v[59:60], v[65:66], -v[63:64]
	v_add_f64 v[61:62], v[61:62], -v[67:68]
	v_add_f64 v[53:54], v[59:60], -v[53:54]
	v_add_f64 v[61:62], v[61:62], -v[65:66]
	v_add_f64 v[31:32], v[31:32], v[61:62]
	v_add_f64 v[31:32], v[53:54], v[31:32]
	;; [unrolled: 1-line block ×3, first 2 shown]
	v_mul_f64 v[59:60], v[33:34], v[53:54]
	v_add_f64 v[65:66], v[67:68], -v[53:54]
	v_mul_f64 v[61:62], v[55:56], v[59:60]
	v_add_f64 v[31:32], v[31:32], v[65:66]
	v_fma_f64 v[55:56], v[59:60], v[55:56], -v[61:62]
	v_fma_f64 v[35:36], v[59:60], v[35:36], v[55:56]
	v_add_f64 v[55:56], v[61:62], v[35:36]
	v_add_f64 v[63:64], v[53:54], -v[55:56]
	v_add_f64 v[61:62], v[55:56], -v[61:62]
	v_add_f64 v[53:54], v[53:54], -v[63:64]
	v_add_f64 v[35:36], v[61:62], -v[35:36]
	v_add_f64 v[53:54], v[53:54], -v[55:56]
	v_add_f64 v[31:32], v[31:32], v[53:54]
	v_add_f64 v[53:54], v[57:58], v[59:60]
	;; [unrolled: 1-line block ×3, first 2 shown]
	v_add_f64 v[35:36], v[53:54], -v[57:58]
	v_add_f64 v[31:32], v[63:64], v[31:32]
	v_add_f64 v[35:36], v[59:60], -v[35:36]
	v_mul_f64 v[31:32], v[33:34], v[31:32]
	v_add_f64 v[31:32], v[35:36], v[31:32]
	v_add_f64 v[33:34], v[53:54], v[31:32]
	v_mul_f64 v[35:36], v[33:34], v[33:34]
	v_fma_f64 v[55:56], v[35:36], s[20:21], s[18:19]
	s_mov_b32 s18, 0xd7f4df2e
	s_mov_b32 s19, 0x3fc7474d
	v_mul_f64 v[57:58], v[33:34], v[35:36]
	v_fma_f64 v[55:56], v[35:36], v[55:56], s[18:19]
	s_mov_b32 s18, 0x16291751
	s_mov_b32 s19, 0x3fcc71c0
	v_fma_f64 v[55:56], v[35:36], v[55:56], s[18:19]
	s_mov_b32 s18, 0x9b27acf1
	s_mov_b32 s19, 0x3fd24924
	;; [unrolled: 3-line block ×3, first 2 shown]
	v_fma_f64 v[55:56], v[35:36], v[55:56], s[18:19]
	v_fma_f64 v[35:36], v[35:36], v[55:56], s[14:15]
	v_ldexp_f64 v[55:56], v[33:34], 1
	v_add_f64 v[33:34], v[33:34], -v[53:54]
	v_mul_f64 v[35:36], v[57:58], v[35:36]
	v_cvt_f64_i32_e32 v[57:58], v69
	v_add_f64 v[31:32], v[31:32], -v[33:34]
	v_add_f64 v[53:54], v[55:56], v[35:36]
	v_mul_f64 v[59:60], v[57:58], s[2:3]
	v_ldexp_f64 v[31:32], v[31:32], 1
	v_add_f64 v[33:34], v[53:54], -v[55:56]
	v_fma_f64 v[55:56], v[57:58], s[2:3], -v[59:60]
	v_cmp_ngt_f64_e64 s2, -1.0, v[11:12]
	v_add_f64 v[33:34], v[35:36], -v[33:34]
	v_fma_f64 v[35:36], v[57:58], s[4:5], v[55:56]
	v_add_f64 v[31:32], v[31:32], v[33:34]
	v_add_f64 v[33:34], v[59:60], v[35:36]
	;; [unrolled: 1-line block ×3, first 2 shown]
	v_add_f64 v[59:60], v[33:34], -v[59:60]
	v_add_f64 v[57:58], v[33:34], v[55:56]
	v_add_f64 v[53:54], v[55:56], -v[53:54]
	v_add_f64 v[35:36], v[35:36], -v[59:60]
	;; [unrolled: 1-line block ×6, first 2 shown]
	v_add_f64 v[55:56], v[35:36], v[31:32]
	v_add_f64 v[33:34], v[33:34], -v[63:64]
	v_add_f64 v[33:34], v[53:54], v[33:34]
	v_add_f64 v[53:54], v[55:56], -v[35:36]
	;; [unrolled: 2-line block ×3, first 2 shown]
	v_add_f64 v[31:32], v[31:32], -v[53:54]
	v_add_f64 v[59:60], v[57:58], v[33:34]
	v_add_f64 v[35:36], v[35:36], -v[55:56]
	v_add_f64 v[53:54], v[59:60], -v[57:58]
	v_add_f64 v[31:32], v[31:32], v[35:36]
	v_add_f64 v[33:34], v[33:34], -v[53:54]
	v_add_f64 v[31:32], v[31:32], v[33:34]
	v_add_f64 v[31:32], v[59:60], v[31:32]
	v_cndmask_b32_e32 v31, 0, v31, vcc_lo
	v_cmp_neq_f64_e32 vcc_lo, -1.0, v[11:12]
	v_cndmask_b32_e64 v32, 0x7ff00000, v32, s1
	v_cndmask_b32_e64 v32, 0x7ff80000, v32, s2
	v_cndmask_b32_e32 v32, 0xfff00000, v32, vcc_lo
	v_add_f64 v[11:12], v[29:30], v[31:32]
.LBB74_276:
	s_or_b32 exec_lo, exec_lo, s16
	v_max_f64 v[29:30], v[11:12], v[11:12]
	v_cmp_u_f64_e32 vcc_lo, v[11:12], v[11:12]
	v_min_f64 v[31:32], v[29:30], v[13:14]
	v_max_f64 v[13:14], v[29:30], v[13:14]
	v_cndmask_b32_e32 v29, v31, v11, vcc_lo
	v_cndmask_b32_e32 v30, v32, v12, vcc_lo
	;; [unrolled: 1-line block ×4, first 2 shown]
	v_cndmask_b32_e64 v31, v29, v49, s6
	v_cndmask_b32_e64 v32, v30, v50, s6
	;; [unrolled: 1-line block ×4, first 2 shown]
	v_mov_b32_e32 v14, v12
	v_mov_b32_e32 v13, v11
	v_cmp_class_f64_e64 s1, v[31:32], 0x1f8
	v_cmp_neq_f64_e32 vcc_lo, v[31:32], v[29:30]
	s_or_b32 s1, vcc_lo, s1
	s_and_saveexec_b32 s6, s1
	s_cbranch_execz .LBB74_278
; %bb.277:
	v_add_f64 v[13:14], v[31:32], -v[29:30]
	s_mov_b32 s2, 0x652b82fe
	s_mov_b32 s3, 0x3ff71547
	;; [unrolled: 1-line block ×10, first 2 shown]
	v_mul_f64 v[31:32], v[13:14], s[2:3]
	s_mov_b32 s3, 0xbfe62e42
	s_mov_b32 s2, 0xfefa39ef
	v_cmp_nlt_f64_e32 vcc_lo, 0x40900000, v[13:14]
	v_cmp_ngt_f64_e64 s1, 0xc090cc00, v[13:14]
	v_rndne_f64_e32 v[31:32], v[31:32]
	v_fma_f64 v[33:34], v[31:32], s[2:3], v[13:14]
	v_cvt_i32_f64_e32 v49, v[31:32]
	s_mov_b32 s3, 0x3fe62e42
	v_fma_f64 v[33:34], v[31:32], s[4:5], v[33:34]
	s_mov_b32 s5, 0x3c7abc9e
	s_waitcnt lgkmcnt(0)
	v_fma_f64 v[35:36], v[33:34], s[16:17], s[14:15]
	s_mov_b32 s14, 0x623fde64
	s_mov_b32 s15, 0x3ec71dee
	;; [unrolled: 1-line block ×4, first 2 shown]
	v_fma_f64 v[35:36], v[33:34], v[35:36], s[14:15]
	s_mov_b32 s14, 0x7c89e6b0
	s_mov_b32 s15, 0x3efa0199
	v_fma_f64 v[35:36], v[33:34], v[35:36], s[14:15]
	s_mov_b32 s14, 0x14761f6e
	s_mov_b32 s15, 0x3f2a01a0
	;; [unrolled: 3-line block ×8, first 2 shown]
	v_fma_f64 v[35:36], v[33:34], v[35:36], 1.0
	v_fma_f64 v[31:32], v[33:34], v[35:36], 1.0
	v_ldexp_f64 v[31:32], v[31:32], v49
	v_cndmask_b32_e32 v32, 0x7ff00000, v32, vcc_lo
	s_and_b32 vcc_lo, s1, vcc_lo
	v_cndmask_b32_e32 v13, 0, v31, vcc_lo
	v_cndmask_b32_e64 v14, 0, v32, s1
	v_add_f64 v[31:32], v[13:14], 1.0
	v_cmp_neq_f64_e64 s1, 0x7ff00000, v[13:14]
	v_frexp_mant_f64_e32 v[33:34], v[31:32]
	v_frexp_exp_i32_f64_e32 v49, v[31:32]
	v_add_f64 v[35:36], v[31:32], -1.0
	v_cmp_gt_f64_e32 vcc_lo, s[14:15], v[33:34]
	s_mov_b32 s14, 0x55555780
	v_add_f64 v[33:34], v[35:36], -v[31:32]
	v_add_f64 v[35:36], v[13:14], -v[35:36]
	v_subrev_co_ci_u32_e64 v67, null, 0, v49, vcc_lo
	v_add_f64 v[33:34], v[33:34], 1.0
	v_cmp_nge_f64_e32 vcc_lo, -1.0, v[13:14]
	v_sub_nc_u32_e32 v53, 0, v67
	v_ldexp_f64 v[31:32], v[31:32], v53
	v_add_f64 v[33:34], v[35:36], v[33:34]
	s_and_b32 vcc_lo, vcc_lo, s1
	v_add_f64 v[49:50], v[31:32], 1.0
	v_add_f64 v[57:58], v[31:32], -1.0
	v_ldexp_f64 v[33:34], v[33:34], v53
	v_add_f64 v[35:36], v[49:50], -1.0
	v_add_f64 v[59:60], v[57:58], 1.0
	v_add_f64 v[35:36], v[31:32], -v[35:36]
	v_add_f64 v[31:32], v[31:32], -v[59:60]
	v_add_f64 v[35:36], v[33:34], v[35:36]
	v_add_f64 v[31:32], v[33:34], v[31:32]
	;; [unrolled: 1-line block ×4, first 2 shown]
	v_rcp_f64_e32 v[55:56], v[53:54]
	v_add_f64 v[49:50], v[53:54], -v[49:50]
	v_add_f64 v[57:58], v[59:60], -v[57:58]
	;; [unrolled: 1-line block ×3, first 2 shown]
	v_fma_f64 v[61:62], -v[53:54], v[55:56], 1.0
	v_add_f64 v[31:32], v[31:32], -v[57:58]
	v_fma_f64 v[55:56], v[61:62], v[55:56], v[55:56]
	v_fma_f64 v[33:34], -v[53:54], v[55:56], 1.0
	v_fma_f64 v[33:34], v[33:34], v[55:56], v[55:56]
	v_mul_f64 v[55:56], v[59:60], v[33:34]
	v_mul_f64 v[61:62], v[53:54], v[55:56]
	v_fma_f64 v[49:50], v[55:56], v[53:54], -v[61:62]
	v_fma_f64 v[49:50], v[55:56], v[35:36], v[49:50]
	v_add_f64 v[63:64], v[61:62], v[49:50]
	v_add_f64 v[65:66], v[59:60], -v[63:64]
	v_add_f64 v[57:58], v[63:64], -v[61:62]
	;; [unrolled: 1-line block ×5, first 2 shown]
	v_add_f64 v[31:32], v[31:32], v[59:60]
	v_add_f64 v[31:32], v[49:50], v[31:32]
	;; [unrolled: 1-line block ×3, first 2 shown]
	v_mul_f64 v[57:58], v[33:34], v[49:50]
	v_add_f64 v[63:64], v[65:66], -v[49:50]
	v_mul_f64 v[59:60], v[53:54], v[57:58]
	v_add_f64 v[31:32], v[31:32], v[63:64]
	v_fma_f64 v[53:54], v[57:58], v[53:54], -v[59:60]
	v_fma_f64 v[35:36], v[57:58], v[35:36], v[53:54]
	v_add_f64 v[53:54], v[59:60], v[35:36]
	v_add_f64 v[61:62], v[49:50], -v[53:54]
	v_add_f64 v[59:60], v[53:54], -v[59:60]
	;; [unrolled: 1-line block ×5, first 2 shown]
	v_add_f64 v[31:32], v[31:32], v[49:50]
	v_add_f64 v[49:50], v[55:56], v[57:58]
	;; [unrolled: 1-line block ×3, first 2 shown]
	v_add_f64 v[35:36], v[49:50], -v[55:56]
	v_add_f64 v[31:32], v[61:62], v[31:32]
	v_add_f64 v[35:36], v[57:58], -v[35:36]
	v_mul_f64 v[31:32], v[33:34], v[31:32]
	v_add_f64 v[31:32], v[35:36], v[31:32]
	v_add_f64 v[33:34], v[49:50], v[31:32]
	v_mul_f64 v[35:36], v[33:34], v[33:34]
	v_fma_f64 v[53:54], v[35:36], s[18:19], s[16:17]
	s_mov_b32 s16, 0xd7f4df2e
	s_mov_b32 s17, 0x3fc7474d
	v_mul_f64 v[55:56], v[33:34], v[35:36]
	v_fma_f64 v[53:54], v[35:36], v[53:54], s[16:17]
	s_mov_b32 s16, 0x16291751
	s_mov_b32 s17, 0x3fcc71c0
	v_fma_f64 v[53:54], v[35:36], v[53:54], s[16:17]
	s_mov_b32 s16, 0x9b27acf1
	s_mov_b32 s17, 0x3fd24924
	;; [unrolled: 3-line block ×3, first 2 shown]
	v_fma_f64 v[53:54], v[35:36], v[53:54], s[16:17]
	v_fma_f64 v[35:36], v[35:36], v[53:54], s[14:15]
	v_ldexp_f64 v[53:54], v[33:34], 1
	v_add_f64 v[33:34], v[33:34], -v[49:50]
	v_mul_f64 v[35:36], v[55:56], v[35:36]
	v_cvt_f64_i32_e32 v[55:56], v67
	v_add_f64 v[31:32], v[31:32], -v[33:34]
	v_add_f64 v[49:50], v[53:54], v[35:36]
	v_mul_f64 v[57:58], v[55:56], s[2:3]
	v_ldexp_f64 v[31:32], v[31:32], 1
	v_add_f64 v[33:34], v[49:50], -v[53:54]
	v_fma_f64 v[53:54], v[55:56], s[2:3], -v[57:58]
	v_cmp_ngt_f64_e64 s2, -1.0, v[13:14]
	v_add_f64 v[33:34], v[35:36], -v[33:34]
	v_fma_f64 v[35:36], v[55:56], s[4:5], v[53:54]
	v_add_f64 v[31:32], v[31:32], v[33:34]
	v_add_f64 v[33:34], v[57:58], v[35:36]
	;; [unrolled: 1-line block ×3, first 2 shown]
	v_add_f64 v[57:58], v[33:34], -v[57:58]
	v_add_f64 v[55:56], v[33:34], v[53:54]
	v_add_f64 v[49:50], v[53:54], -v[49:50]
	v_add_f64 v[35:36], v[35:36], -v[57:58]
	;; [unrolled: 1-line block ×6, first 2 shown]
	v_add_f64 v[53:54], v[35:36], v[31:32]
	v_add_f64 v[33:34], v[33:34], -v[61:62]
	v_add_f64 v[33:34], v[49:50], v[33:34]
	v_add_f64 v[49:50], v[53:54], -v[35:36]
	;; [unrolled: 2-line block ×3, first 2 shown]
	v_add_f64 v[31:32], v[31:32], -v[49:50]
	v_add_f64 v[57:58], v[55:56], v[33:34]
	v_add_f64 v[35:36], v[35:36], -v[53:54]
	v_add_f64 v[49:50], v[57:58], -v[55:56]
	v_add_f64 v[31:32], v[31:32], v[35:36]
	v_add_f64 v[33:34], v[33:34], -v[49:50]
	v_add_f64 v[31:32], v[31:32], v[33:34]
	v_add_f64 v[31:32], v[57:58], v[31:32]
	v_cndmask_b32_e32 v31, 0, v31, vcc_lo
	v_cmp_neq_f64_e32 vcc_lo, -1.0, v[13:14]
	v_cndmask_b32_e64 v32, 0x7ff00000, v32, s1
	v_cndmask_b32_e64 v32, 0x7ff80000, v32, s2
	v_cndmask_b32_e32 v32, 0xfff00000, v32, vcc_lo
	v_add_f64 v[13:14], v[29:30], v[31:32]
.LBB74_278:
	s_or_b32 exec_lo, exec_lo, s6
	v_max_f64 v[29:30], v[13:14], v[13:14]
	v_cmp_u_f64_e32 vcc_lo, v[13:14], v[13:14]
	v_min_f64 v[31:32], v[29:30], v[15:16]
	v_max_f64 v[15:16], v[29:30], v[15:16]
	v_cndmask_b32_e32 v29, v31, v13, vcc_lo
	v_cndmask_b32_e32 v30, v32, v14, vcc_lo
	;; [unrolled: 1-line block ×4, first 2 shown]
	v_cndmask_b32_e64 v31, v29, v51, s7
	v_cndmask_b32_e64 v32, v30, v52, s7
	;; [unrolled: 1-line block ×4, first 2 shown]
	v_mov_b32_e32 v16, v14
	v_mov_b32_e32 v15, v13
	v_cmp_class_f64_e64 s1, v[31:32], 0x1f8
	v_cmp_neq_f64_e32 vcc_lo, v[31:32], v[29:30]
	s_or_b32 s1, vcc_lo, s1
	s_and_saveexec_b32 s14, s1
	s_cbranch_execz .LBB74_280
; %bb.279:
	v_add_f64 v[15:16], v[31:32], -v[29:30]
	s_mov_b32 s2, 0x652b82fe
	s_mov_b32 s3, 0x3ff71547
	;; [unrolled: 1-line block ×10, first 2 shown]
	v_mul_f64 v[31:32], v[15:16], s[2:3]
	s_mov_b32 s3, 0xbfe62e42
	s_mov_b32 s2, 0xfefa39ef
	v_cmp_nlt_f64_e32 vcc_lo, 0x40900000, v[15:16]
	v_cmp_ngt_f64_e64 s1, 0xc090cc00, v[15:16]
	v_rndne_f64_e32 v[31:32], v[31:32]
	v_fma_f64 v[33:34], v[31:32], s[2:3], v[15:16]
	v_cvt_i32_f64_e32 v49, v[31:32]
	s_mov_b32 s3, 0x3fe62e42
	v_fma_f64 v[33:34], v[31:32], s[4:5], v[33:34]
	s_mov_b32 s5, 0x3c7abc9e
	s_waitcnt lgkmcnt(0)
	v_fma_f64 v[35:36], v[33:34], s[16:17], s[6:7]
	s_mov_b32 s6, 0x623fde64
	s_mov_b32 s7, 0x3ec71dee
	;; [unrolled: 1-line block ×4, first 2 shown]
	v_fma_f64 v[35:36], v[33:34], v[35:36], s[6:7]
	s_mov_b32 s6, 0x7c89e6b0
	s_mov_b32 s7, 0x3efa0199
	v_fma_f64 v[35:36], v[33:34], v[35:36], s[6:7]
	s_mov_b32 s6, 0x14761f6e
	s_mov_b32 s7, 0x3f2a01a0
	;; [unrolled: 3-line block ×8, first 2 shown]
	v_fma_f64 v[35:36], v[33:34], v[35:36], 1.0
	v_fma_f64 v[31:32], v[33:34], v[35:36], 1.0
	v_ldexp_f64 v[31:32], v[31:32], v49
	v_cndmask_b32_e32 v32, 0x7ff00000, v32, vcc_lo
	s_and_b32 vcc_lo, s1, vcc_lo
	v_cndmask_b32_e32 v15, 0, v31, vcc_lo
	v_cndmask_b32_e64 v16, 0, v32, s1
	v_add_f64 v[31:32], v[15:16], 1.0
	v_cmp_neq_f64_e64 s1, 0x7ff00000, v[15:16]
	v_frexp_mant_f64_e32 v[33:34], v[31:32]
	v_frexp_exp_i32_f64_e32 v49, v[31:32]
	v_add_f64 v[35:36], v[31:32], -1.0
	v_cmp_gt_f64_e32 vcc_lo, s[6:7], v[33:34]
	s_mov_b32 s6, 0x55555780
	v_add_f64 v[33:34], v[35:36], -v[31:32]
	v_add_f64 v[35:36], v[15:16], -v[35:36]
	v_subrev_co_ci_u32_e64 v65, null, 0, v49, vcc_lo
	v_add_f64 v[33:34], v[33:34], 1.0
	v_cmp_nge_f64_e32 vcc_lo, -1.0, v[15:16]
	v_sub_nc_u32_e32 v51, 0, v65
	v_ldexp_f64 v[31:32], v[31:32], v51
	v_add_f64 v[33:34], v[35:36], v[33:34]
	s_and_b32 vcc_lo, vcc_lo, s1
	v_add_f64 v[49:50], v[31:32], 1.0
	v_add_f64 v[55:56], v[31:32], -1.0
	v_ldexp_f64 v[33:34], v[33:34], v51
	v_add_f64 v[35:36], v[49:50], -1.0
	v_add_f64 v[57:58], v[55:56], 1.0
	v_add_f64 v[35:36], v[31:32], -v[35:36]
	v_add_f64 v[31:32], v[31:32], -v[57:58]
	v_add_f64 v[35:36], v[33:34], v[35:36]
	v_add_f64 v[31:32], v[33:34], v[31:32]
	;; [unrolled: 1-line block ×4, first 2 shown]
	v_rcp_f64_e32 v[53:54], v[51:52]
	v_add_f64 v[49:50], v[51:52], -v[49:50]
	v_add_f64 v[55:56], v[57:58], -v[55:56]
	;; [unrolled: 1-line block ×3, first 2 shown]
	v_fma_f64 v[59:60], -v[51:52], v[53:54], 1.0
	v_add_f64 v[31:32], v[31:32], -v[55:56]
	v_fma_f64 v[53:54], v[59:60], v[53:54], v[53:54]
	v_fma_f64 v[33:34], -v[51:52], v[53:54], 1.0
	v_fma_f64 v[33:34], v[33:34], v[53:54], v[53:54]
	v_mul_f64 v[53:54], v[57:58], v[33:34]
	v_mul_f64 v[59:60], v[51:52], v[53:54]
	v_fma_f64 v[49:50], v[53:54], v[51:52], -v[59:60]
	v_fma_f64 v[49:50], v[53:54], v[35:36], v[49:50]
	v_add_f64 v[61:62], v[59:60], v[49:50]
	v_add_f64 v[63:64], v[57:58], -v[61:62]
	v_add_f64 v[55:56], v[61:62], -v[59:60]
	;; [unrolled: 1-line block ×5, first 2 shown]
	v_add_f64 v[31:32], v[31:32], v[57:58]
	v_add_f64 v[31:32], v[49:50], v[31:32]
	;; [unrolled: 1-line block ×3, first 2 shown]
	v_mul_f64 v[55:56], v[33:34], v[49:50]
	v_add_f64 v[61:62], v[63:64], -v[49:50]
	v_mul_f64 v[57:58], v[51:52], v[55:56]
	v_add_f64 v[31:32], v[31:32], v[61:62]
	v_fma_f64 v[51:52], v[55:56], v[51:52], -v[57:58]
	v_fma_f64 v[35:36], v[55:56], v[35:36], v[51:52]
	v_add_f64 v[51:52], v[57:58], v[35:36]
	v_add_f64 v[59:60], v[49:50], -v[51:52]
	v_add_f64 v[57:58], v[51:52], -v[57:58]
	;; [unrolled: 1-line block ×5, first 2 shown]
	v_add_f64 v[31:32], v[31:32], v[49:50]
	v_add_f64 v[49:50], v[53:54], v[55:56]
	;; [unrolled: 1-line block ×3, first 2 shown]
	v_add_f64 v[35:36], v[49:50], -v[53:54]
	v_add_f64 v[31:32], v[59:60], v[31:32]
	v_add_f64 v[35:36], v[55:56], -v[35:36]
	v_mul_f64 v[31:32], v[33:34], v[31:32]
	v_add_f64 v[31:32], v[35:36], v[31:32]
	v_add_f64 v[33:34], v[49:50], v[31:32]
	v_mul_f64 v[35:36], v[33:34], v[33:34]
	v_fma_f64 v[51:52], v[35:36], s[18:19], s[16:17]
	s_mov_b32 s16, 0xd7f4df2e
	s_mov_b32 s17, 0x3fc7474d
	v_mul_f64 v[53:54], v[33:34], v[35:36]
	v_fma_f64 v[51:52], v[35:36], v[51:52], s[16:17]
	s_mov_b32 s16, 0x16291751
	s_mov_b32 s17, 0x3fcc71c0
	v_fma_f64 v[51:52], v[35:36], v[51:52], s[16:17]
	s_mov_b32 s16, 0x9b27acf1
	s_mov_b32 s17, 0x3fd24924
	;; [unrolled: 3-line block ×3, first 2 shown]
	v_fma_f64 v[51:52], v[35:36], v[51:52], s[16:17]
	v_fma_f64 v[35:36], v[35:36], v[51:52], s[6:7]
	v_ldexp_f64 v[51:52], v[33:34], 1
	v_add_f64 v[33:34], v[33:34], -v[49:50]
	v_mul_f64 v[35:36], v[53:54], v[35:36]
	v_cvt_f64_i32_e32 v[53:54], v65
	v_add_f64 v[31:32], v[31:32], -v[33:34]
	v_add_f64 v[49:50], v[51:52], v[35:36]
	v_mul_f64 v[55:56], v[53:54], s[2:3]
	v_ldexp_f64 v[31:32], v[31:32], 1
	v_add_f64 v[33:34], v[49:50], -v[51:52]
	v_fma_f64 v[51:52], v[53:54], s[2:3], -v[55:56]
	v_cmp_ngt_f64_e64 s2, -1.0, v[15:16]
	v_add_f64 v[33:34], v[35:36], -v[33:34]
	v_fma_f64 v[35:36], v[53:54], s[4:5], v[51:52]
	v_add_f64 v[31:32], v[31:32], v[33:34]
	v_add_f64 v[33:34], v[55:56], v[35:36]
	;; [unrolled: 1-line block ×3, first 2 shown]
	v_add_f64 v[55:56], v[33:34], -v[55:56]
	v_add_f64 v[53:54], v[33:34], v[51:52]
	v_add_f64 v[49:50], v[51:52], -v[49:50]
	v_add_f64 v[35:36], v[35:36], -v[55:56]
	;; [unrolled: 1-line block ×6, first 2 shown]
	v_add_f64 v[51:52], v[35:36], v[31:32]
	v_add_f64 v[33:34], v[33:34], -v[59:60]
	v_add_f64 v[33:34], v[49:50], v[33:34]
	v_add_f64 v[49:50], v[51:52], -v[35:36]
	;; [unrolled: 2-line block ×3, first 2 shown]
	v_add_f64 v[31:32], v[31:32], -v[49:50]
	v_add_f64 v[55:56], v[53:54], v[33:34]
	v_add_f64 v[35:36], v[35:36], -v[51:52]
	v_add_f64 v[49:50], v[55:56], -v[53:54]
	v_add_f64 v[31:32], v[31:32], v[35:36]
	v_add_f64 v[33:34], v[33:34], -v[49:50]
	v_add_f64 v[31:32], v[31:32], v[33:34]
	v_add_f64 v[31:32], v[55:56], v[31:32]
	v_cndmask_b32_e32 v31, 0, v31, vcc_lo
	v_cmp_neq_f64_e32 vcc_lo, -1.0, v[15:16]
	v_cndmask_b32_e64 v32, 0x7ff00000, v32, s1
	v_cndmask_b32_e64 v32, 0x7ff80000, v32, s2
	v_cndmask_b32_e32 v32, 0xfff00000, v32, vcc_lo
	v_add_f64 v[15:16], v[29:30], v[31:32]
.LBB74_280:
	s_or_b32 exec_lo, exec_lo, s14
	v_max_f64 v[29:30], v[15:16], v[15:16]
	v_cmp_u_f64_e32 vcc_lo, v[15:16], v[15:16]
	v_min_f64 v[31:32], v[29:30], v[17:18]
	v_max_f64 v[17:18], v[29:30], v[17:18]
	v_cndmask_b32_e32 v29, v31, v15, vcc_lo
	v_cndmask_b32_e32 v30, v32, v16, vcc_lo
	;; [unrolled: 1-line block ×4, first 2 shown]
	v_cndmask_b32_e64 v31, v29, v45, s8
	v_cndmask_b32_e64 v32, v30, v46, s8
	;; [unrolled: 1-line block ×4, first 2 shown]
	v_mov_b32_e32 v18, v16
	v_mov_b32_e32 v17, v15
	v_cmp_class_f64_e64 s1, v[31:32], 0x1f8
	v_cmp_neq_f64_e32 vcc_lo, v[31:32], v[29:30]
	s_or_b32 s1, vcc_lo, s1
	s_and_saveexec_b32 s8, s1
	s_cbranch_execz .LBB74_282
; %bb.281:
	v_add_f64 v[17:18], v[31:32], -v[29:30]
	s_mov_b32 s2, 0x652b82fe
	s_mov_b32 s3, 0x3ff71547
	;; [unrolled: 1-line block ×10, first 2 shown]
	v_mul_f64 v[31:32], v[17:18], s[2:3]
	s_mov_b32 s3, 0xbfe62e42
	s_mov_b32 s2, 0xfefa39ef
	v_cmp_nlt_f64_e32 vcc_lo, 0x40900000, v[17:18]
	v_cmp_ngt_f64_e64 s1, 0xc090cc00, v[17:18]
	v_rndne_f64_e32 v[31:32], v[31:32]
	v_fma_f64 v[33:34], v[31:32], s[2:3], v[17:18]
	v_cvt_i32_f64_e32 v45, v[31:32]
	s_mov_b32 s3, 0x3fe62e42
	v_fma_f64 v[33:34], v[31:32], s[4:5], v[33:34]
	s_mov_b32 s5, 0x3c7abc9e
	s_waitcnt lgkmcnt(0)
	v_fma_f64 v[35:36], v[33:34], s[14:15], s[6:7]
	s_mov_b32 s6, 0x623fde64
	s_mov_b32 s7, 0x3ec71dee
	;; [unrolled: 1-line block ×4, first 2 shown]
	v_fma_f64 v[35:36], v[33:34], v[35:36], s[6:7]
	s_mov_b32 s6, 0x7c89e6b0
	s_mov_b32 s7, 0x3efa0199
	v_fma_f64 v[35:36], v[33:34], v[35:36], s[6:7]
	s_mov_b32 s6, 0x14761f6e
	s_mov_b32 s7, 0x3f2a01a0
	;; [unrolled: 3-line block ×8, first 2 shown]
	v_fma_f64 v[35:36], v[33:34], v[35:36], 1.0
	v_fma_f64 v[31:32], v[33:34], v[35:36], 1.0
	v_ldexp_f64 v[31:32], v[31:32], v45
	v_cndmask_b32_e32 v32, 0x7ff00000, v32, vcc_lo
	s_and_b32 vcc_lo, s1, vcc_lo
	v_cndmask_b32_e32 v17, 0, v31, vcc_lo
	v_cndmask_b32_e64 v18, 0, v32, s1
	v_add_f64 v[31:32], v[17:18], 1.0
	v_cmp_neq_f64_e64 s1, 0x7ff00000, v[17:18]
	v_frexp_mant_f64_e32 v[33:34], v[31:32]
	v_frexp_exp_i32_f64_e32 v45, v[31:32]
	v_add_f64 v[35:36], v[31:32], -1.0
	v_cmp_gt_f64_e32 vcc_lo, s[6:7], v[33:34]
	s_mov_b32 s6, 0x55555780
	v_add_f64 v[33:34], v[35:36], -v[31:32]
	v_add_f64 v[35:36], v[17:18], -v[35:36]
	v_subrev_co_ci_u32_e64 v63, null, 0, v45, vcc_lo
	v_add_f64 v[33:34], v[33:34], 1.0
	v_cmp_nge_f64_e32 vcc_lo, -1.0, v[17:18]
	v_sub_nc_u32_e32 v49, 0, v63
	v_ldexp_f64 v[31:32], v[31:32], v49
	v_add_f64 v[33:34], v[35:36], v[33:34]
	s_and_b32 vcc_lo, vcc_lo, s1
	v_add_f64 v[45:46], v[31:32], 1.0
	v_add_f64 v[53:54], v[31:32], -1.0
	v_ldexp_f64 v[33:34], v[33:34], v49
	v_add_f64 v[35:36], v[45:46], -1.0
	v_add_f64 v[55:56], v[53:54], 1.0
	v_add_f64 v[35:36], v[31:32], -v[35:36]
	v_add_f64 v[31:32], v[31:32], -v[55:56]
	v_add_f64 v[35:36], v[33:34], v[35:36]
	v_add_f64 v[31:32], v[33:34], v[31:32]
	;; [unrolled: 1-line block ×4, first 2 shown]
	v_rcp_f64_e32 v[51:52], v[49:50]
	v_add_f64 v[45:46], v[49:50], -v[45:46]
	v_add_f64 v[53:54], v[55:56], -v[53:54]
	;; [unrolled: 1-line block ×3, first 2 shown]
	v_fma_f64 v[57:58], -v[49:50], v[51:52], 1.0
	v_add_f64 v[31:32], v[31:32], -v[53:54]
	v_fma_f64 v[51:52], v[57:58], v[51:52], v[51:52]
	v_fma_f64 v[33:34], -v[49:50], v[51:52], 1.0
	v_fma_f64 v[33:34], v[33:34], v[51:52], v[51:52]
	v_mul_f64 v[51:52], v[55:56], v[33:34]
	v_mul_f64 v[57:58], v[49:50], v[51:52]
	v_fma_f64 v[45:46], v[51:52], v[49:50], -v[57:58]
	v_fma_f64 v[45:46], v[51:52], v[35:36], v[45:46]
	v_add_f64 v[59:60], v[57:58], v[45:46]
	v_add_f64 v[61:62], v[55:56], -v[59:60]
	v_add_f64 v[53:54], v[59:60], -v[57:58]
	;; [unrolled: 1-line block ×5, first 2 shown]
	v_add_f64 v[31:32], v[31:32], v[55:56]
	v_add_f64 v[31:32], v[45:46], v[31:32]
	;; [unrolled: 1-line block ×3, first 2 shown]
	v_mul_f64 v[53:54], v[33:34], v[45:46]
	v_add_f64 v[59:60], v[61:62], -v[45:46]
	v_mul_f64 v[55:56], v[49:50], v[53:54]
	v_add_f64 v[31:32], v[31:32], v[59:60]
	v_fma_f64 v[49:50], v[53:54], v[49:50], -v[55:56]
	v_fma_f64 v[35:36], v[53:54], v[35:36], v[49:50]
	v_add_f64 v[49:50], v[55:56], v[35:36]
	v_add_f64 v[57:58], v[45:46], -v[49:50]
	v_add_f64 v[55:56], v[49:50], -v[55:56]
	;; [unrolled: 1-line block ×5, first 2 shown]
	v_add_f64 v[31:32], v[31:32], v[45:46]
	v_add_f64 v[45:46], v[51:52], v[53:54]
	;; [unrolled: 1-line block ×3, first 2 shown]
	v_add_f64 v[35:36], v[45:46], -v[51:52]
	v_add_f64 v[31:32], v[57:58], v[31:32]
	v_add_f64 v[35:36], v[53:54], -v[35:36]
	v_mul_f64 v[31:32], v[33:34], v[31:32]
	v_add_f64 v[31:32], v[35:36], v[31:32]
	v_add_f64 v[33:34], v[45:46], v[31:32]
	v_mul_f64 v[35:36], v[33:34], v[33:34]
	v_fma_f64 v[49:50], v[35:36], s[16:17], s[14:15]
	s_mov_b32 s14, 0xd7f4df2e
	s_mov_b32 s15, 0x3fc7474d
	v_mul_f64 v[51:52], v[33:34], v[35:36]
	v_fma_f64 v[49:50], v[35:36], v[49:50], s[14:15]
	s_mov_b32 s14, 0x16291751
	s_mov_b32 s15, 0x3fcc71c0
	v_fma_f64 v[49:50], v[35:36], v[49:50], s[14:15]
	s_mov_b32 s14, 0x9b27acf1
	s_mov_b32 s15, 0x3fd24924
	;; [unrolled: 3-line block ×3, first 2 shown]
	v_fma_f64 v[49:50], v[35:36], v[49:50], s[14:15]
	v_fma_f64 v[35:36], v[35:36], v[49:50], s[6:7]
	v_ldexp_f64 v[49:50], v[33:34], 1
	v_add_f64 v[33:34], v[33:34], -v[45:46]
	v_mul_f64 v[35:36], v[51:52], v[35:36]
	v_cvt_f64_i32_e32 v[51:52], v63
	v_add_f64 v[31:32], v[31:32], -v[33:34]
	v_add_f64 v[45:46], v[49:50], v[35:36]
	v_mul_f64 v[53:54], v[51:52], s[2:3]
	v_ldexp_f64 v[31:32], v[31:32], 1
	v_add_f64 v[33:34], v[45:46], -v[49:50]
	v_fma_f64 v[49:50], v[51:52], s[2:3], -v[53:54]
	v_cmp_ngt_f64_e64 s2, -1.0, v[17:18]
	v_add_f64 v[33:34], v[35:36], -v[33:34]
	v_fma_f64 v[35:36], v[51:52], s[4:5], v[49:50]
	v_add_f64 v[31:32], v[31:32], v[33:34]
	v_add_f64 v[33:34], v[53:54], v[35:36]
	;; [unrolled: 1-line block ×3, first 2 shown]
	v_add_f64 v[53:54], v[33:34], -v[53:54]
	v_add_f64 v[51:52], v[33:34], v[49:50]
	v_add_f64 v[45:46], v[49:50], -v[45:46]
	v_add_f64 v[35:36], v[35:36], -v[53:54]
	;; [unrolled: 1-line block ×6, first 2 shown]
	v_add_f64 v[49:50], v[35:36], v[31:32]
	v_add_f64 v[33:34], v[33:34], -v[57:58]
	v_add_f64 v[33:34], v[45:46], v[33:34]
	v_add_f64 v[45:46], v[49:50], -v[35:36]
	;; [unrolled: 2-line block ×3, first 2 shown]
	v_add_f64 v[31:32], v[31:32], -v[45:46]
	v_add_f64 v[53:54], v[51:52], v[33:34]
	v_add_f64 v[35:36], v[35:36], -v[49:50]
	v_add_f64 v[45:46], v[53:54], -v[51:52]
	v_add_f64 v[31:32], v[31:32], v[35:36]
	v_add_f64 v[33:34], v[33:34], -v[45:46]
	v_add_f64 v[31:32], v[31:32], v[33:34]
	v_add_f64 v[31:32], v[53:54], v[31:32]
	v_cndmask_b32_e32 v31, 0, v31, vcc_lo
	v_cmp_neq_f64_e32 vcc_lo, -1.0, v[17:18]
	v_cndmask_b32_e64 v32, 0x7ff00000, v32, s1
	v_cndmask_b32_e64 v32, 0x7ff80000, v32, s2
	v_cndmask_b32_e32 v32, 0xfff00000, v32, vcc_lo
	v_add_f64 v[17:18], v[29:30], v[31:32]
.LBB74_282:
	s_or_b32 exec_lo, exec_lo, s8
	v_max_f64 v[29:30], v[17:18], v[17:18]
	v_cmp_u_f64_e32 vcc_lo, v[17:18], v[17:18]
	v_min_f64 v[31:32], v[29:30], v[19:20]
	v_max_f64 v[19:20], v[29:30], v[19:20]
	v_cndmask_b32_e32 v29, v31, v17, vcc_lo
	v_cndmask_b32_e32 v30, v32, v18, vcc_lo
	;; [unrolled: 1-line block ×4, first 2 shown]
	v_cndmask_b32_e64 v31, v29, v47, s9
	v_cndmask_b32_e64 v32, v30, v48, s9
	;; [unrolled: 1-line block ×4, first 2 shown]
	v_mov_b32_e32 v20, v18
	v_mov_b32_e32 v19, v17
	v_cmp_class_f64_e64 s1, v[31:32], 0x1f8
	v_cmp_neq_f64_e32 vcc_lo, v[31:32], v[29:30]
	s_or_b32 s1, vcc_lo, s1
	s_and_saveexec_b32 s8, s1
	s_cbranch_execz .LBB74_284
; %bb.283:
	v_add_f64 v[19:20], v[31:32], -v[29:30]
	s_mov_b32 s2, 0x652b82fe
	s_mov_b32 s3, 0x3ff71547
	;; [unrolled: 1-line block ×10, first 2 shown]
	v_mul_f64 v[31:32], v[19:20], s[2:3]
	s_mov_b32 s3, 0xbfe62e42
	s_mov_b32 s2, 0xfefa39ef
	v_cmp_nlt_f64_e32 vcc_lo, 0x40900000, v[19:20]
	v_cmp_ngt_f64_e64 s1, 0xc090cc00, v[19:20]
	v_rndne_f64_e32 v[31:32], v[31:32]
	v_fma_f64 v[33:34], v[31:32], s[2:3], v[19:20]
	v_cvt_i32_f64_e32 v45, v[31:32]
	s_mov_b32 s3, 0x3fe62e42
	v_fma_f64 v[33:34], v[31:32], s[4:5], v[33:34]
	s_mov_b32 s5, 0x3c7abc9e
	s_waitcnt lgkmcnt(0)
	v_fma_f64 v[35:36], v[33:34], s[14:15], s[6:7]
	s_mov_b32 s6, 0x623fde64
	s_mov_b32 s7, 0x3ec71dee
	s_mov_b32 s14, 0x6b47b09a
	s_mov_b32 s15, 0x3fc38538
	v_fma_f64 v[35:36], v[33:34], v[35:36], s[6:7]
	s_mov_b32 s6, 0x7c89e6b0
	s_mov_b32 s7, 0x3efa0199
	v_fma_f64 v[35:36], v[33:34], v[35:36], s[6:7]
	s_mov_b32 s6, 0x14761f6e
	s_mov_b32 s7, 0x3f2a01a0
	;; [unrolled: 3-line block ×8, first 2 shown]
	v_fma_f64 v[35:36], v[33:34], v[35:36], 1.0
	v_fma_f64 v[31:32], v[33:34], v[35:36], 1.0
	v_ldexp_f64 v[31:32], v[31:32], v45
	v_cndmask_b32_e32 v32, 0x7ff00000, v32, vcc_lo
	s_and_b32 vcc_lo, s1, vcc_lo
	v_cndmask_b32_e32 v19, 0, v31, vcc_lo
	v_cndmask_b32_e64 v20, 0, v32, s1
	v_add_f64 v[31:32], v[19:20], 1.0
	v_cmp_neq_f64_e64 s1, 0x7ff00000, v[19:20]
	v_frexp_mant_f64_e32 v[33:34], v[31:32]
	v_frexp_exp_i32_f64_e32 v45, v[31:32]
	v_add_f64 v[35:36], v[31:32], -1.0
	v_cmp_gt_f64_e32 vcc_lo, s[6:7], v[33:34]
	s_mov_b32 s6, 0x55555780
	v_add_f64 v[33:34], v[35:36], -v[31:32]
	v_add_f64 v[35:36], v[19:20], -v[35:36]
	v_subrev_co_ci_u32_e64 v61, null, 0, v45, vcc_lo
	v_add_f64 v[33:34], v[33:34], 1.0
	v_cmp_nge_f64_e32 vcc_lo, -1.0, v[19:20]
	v_sub_nc_u32_e32 v47, 0, v61
	v_ldexp_f64 v[31:32], v[31:32], v47
	v_add_f64 v[33:34], v[35:36], v[33:34]
	s_and_b32 vcc_lo, vcc_lo, s1
	v_add_f64 v[45:46], v[31:32], 1.0
	v_add_f64 v[51:52], v[31:32], -1.0
	v_ldexp_f64 v[33:34], v[33:34], v47
	v_add_f64 v[35:36], v[45:46], -1.0
	v_add_f64 v[53:54], v[51:52], 1.0
	v_add_f64 v[35:36], v[31:32], -v[35:36]
	v_add_f64 v[31:32], v[31:32], -v[53:54]
	v_add_f64 v[35:36], v[33:34], v[35:36]
	v_add_f64 v[31:32], v[33:34], v[31:32]
	;; [unrolled: 1-line block ×4, first 2 shown]
	v_rcp_f64_e32 v[49:50], v[47:48]
	v_add_f64 v[45:46], v[47:48], -v[45:46]
	v_add_f64 v[51:52], v[53:54], -v[51:52]
	;; [unrolled: 1-line block ×3, first 2 shown]
	v_fma_f64 v[55:56], -v[47:48], v[49:50], 1.0
	v_add_f64 v[31:32], v[31:32], -v[51:52]
	v_fma_f64 v[49:50], v[55:56], v[49:50], v[49:50]
	v_fma_f64 v[33:34], -v[47:48], v[49:50], 1.0
	v_fma_f64 v[33:34], v[33:34], v[49:50], v[49:50]
	v_mul_f64 v[49:50], v[53:54], v[33:34]
	v_mul_f64 v[55:56], v[47:48], v[49:50]
	v_fma_f64 v[45:46], v[49:50], v[47:48], -v[55:56]
	v_fma_f64 v[45:46], v[49:50], v[35:36], v[45:46]
	v_add_f64 v[57:58], v[55:56], v[45:46]
	v_add_f64 v[59:60], v[53:54], -v[57:58]
	v_add_f64 v[51:52], v[57:58], -v[55:56]
	;; [unrolled: 1-line block ×5, first 2 shown]
	v_add_f64 v[31:32], v[31:32], v[53:54]
	v_add_f64 v[31:32], v[45:46], v[31:32]
	;; [unrolled: 1-line block ×3, first 2 shown]
	v_mul_f64 v[51:52], v[33:34], v[45:46]
	v_add_f64 v[57:58], v[59:60], -v[45:46]
	v_mul_f64 v[53:54], v[47:48], v[51:52]
	v_add_f64 v[31:32], v[31:32], v[57:58]
	v_fma_f64 v[47:48], v[51:52], v[47:48], -v[53:54]
	v_fma_f64 v[35:36], v[51:52], v[35:36], v[47:48]
	v_add_f64 v[47:48], v[53:54], v[35:36]
	v_add_f64 v[55:56], v[45:46], -v[47:48]
	v_add_f64 v[53:54], v[47:48], -v[53:54]
	;; [unrolled: 1-line block ×5, first 2 shown]
	v_add_f64 v[31:32], v[31:32], v[45:46]
	v_add_f64 v[45:46], v[49:50], v[51:52]
	;; [unrolled: 1-line block ×3, first 2 shown]
	v_add_f64 v[35:36], v[45:46], -v[49:50]
	v_add_f64 v[31:32], v[55:56], v[31:32]
	v_add_f64 v[35:36], v[51:52], -v[35:36]
	v_mul_f64 v[31:32], v[33:34], v[31:32]
	v_add_f64 v[31:32], v[35:36], v[31:32]
	v_add_f64 v[33:34], v[45:46], v[31:32]
	v_mul_f64 v[35:36], v[33:34], v[33:34]
	v_fma_f64 v[47:48], v[35:36], s[16:17], s[14:15]
	s_mov_b32 s14, 0xd7f4df2e
	s_mov_b32 s15, 0x3fc7474d
	v_mul_f64 v[49:50], v[33:34], v[35:36]
	v_fma_f64 v[47:48], v[35:36], v[47:48], s[14:15]
	s_mov_b32 s14, 0x16291751
	s_mov_b32 s15, 0x3fcc71c0
	v_fma_f64 v[47:48], v[35:36], v[47:48], s[14:15]
	s_mov_b32 s14, 0x9b27acf1
	s_mov_b32 s15, 0x3fd24924
	;; [unrolled: 3-line block ×3, first 2 shown]
	v_fma_f64 v[47:48], v[35:36], v[47:48], s[14:15]
	v_fma_f64 v[35:36], v[35:36], v[47:48], s[6:7]
	v_ldexp_f64 v[47:48], v[33:34], 1
	v_add_f64 v[33:34], v[33:34], -v[45:46]
	v_mul_f64 v[35:36], v[49:50], v[35:36]
	v_cvt_f64_i32_e32 v[49:50], v61
	v_add_f64 v[31:32], v[31:32], -v[33:34]
	v_add_f64 v[45:46], v[47:48], v[35:36]
	v_mul_f64 v[51:52], v[49:50], s[2:3]
	v_ldexp_f64 v[31:32], v[31:32], 1
	v_add_f64 v[33:34], v[45:46], -v[47:48]
	v_fma_f64 v[47:48], v[49:50], s[2:3], -v[51:52]
	v_cmp_ngt_f64_e64 s2, -1.0, v[19:20]
	v_add_f64 v[33:34], v[35:36], -v[33:34]
	v_fma_f64 v[35:36], v[49:50], s[4:5], v[47:48]
	v_add_f64 v[31:32], v[31:32], v[33:34]
	v_add_f64 v[33:34], v[51:52], v[35:36]
	;; [unrolled: 1-line block ×3, first 2 shown]
	v_add_f64 v[51:52], v[33:34], -v[51:52]
	v_add_f64 v[49:50], v[33:34], v[47:48]
	v_add_f64 v[45:46], v[47:48], -v[45:46]
	v_add_f64 v[35:36], v[35:36], -v[51:52]
	;; [unrolled: 1-line block ×6, first 2 shown]
	v_add_f64 v[47:48], v[35:36], v[31:32]
	v_add_f64 v[33:34], v[33:34], -v[55:56]
	v_add_f64 v[33:34], v[45:46], v[33:34]
	v_add_f64 v[45:46], v[47:48], -v[35:36]
	;; [unrolled: 2-line block ×3, first 2 shown]
	v_add_f64 v[31:32], v[31:32], -v[45:46]
	v_add_f64 v[51:52], v[49:50], v[33:34]
	v_add_f64 v[35:36], v[35:36], -v[47:48]
	v_add_f64 v[45:46], v[51:52], -v[49:50]
	v_add_f64 v[31:32], v[31:32], v[35:36]
	v_add_f64 v[33:34], v[33:34], -v[45:46]
	v_add_f64 v[31:32], v[31:32], v[33:34]
	v_add_f64 v[31:32], v[51:52], v[31:32]
	v_cndmask_b32_e32 v31, 0, v31, vcc_lo
	v_cmp_neq_f64_e32 vcc_lo, -1.0, v[19:20]
	v_cndmask_b32_e64 v32, 0x7ff00000, v32, s1
	v_cndmask_b32_e64 v32, 0x7ff80000, v32, s2
	v_cndmask_b32_e32 v32, 0xfff00000, v32, vcc_lo
	v_add_f64 v[19:20], v[29:30], v[31:32]
.LBB74_284:
	s_or_b32 exec_lo, exec_lo, s8
	v_max_f64 v[29:30], v[19:20], v[19:20]
	v_cmp_u_f64_e32 vcc_lo, v[19:20], v[19:20]
	v_min_f64 v[31:32], v[29:30], v[21:22]
	v_max_f64 v[21:22], v[29:30], v[21:22]
	v_cndmask_b32_e32 v29, v31, v19, vcc_lo
	v_cndmask_b32_e32 v30, v32, v20, vcc_lo
	;; [unrolled: 1-line block ×4, first 2 shown]
	v_cndmask_b32_e64 v31, v29, v41, s10
	v_cndmask_b32_e64 v32, v30, v42, s10
	;; [unrolled: 1-line block ×4, first 2 shown]
	v_mov_b32_e32 v22, v20
	v_mov_b32_e32 v21, v19
	v_cmp_class_f64_e64 s1, v[31:32], 0x1f8
	v_cmp_neq_f64_e32 vcc_lo, v[31:32], v[29:30]
	s_or_b32 s1, vcc_lo, s1
	s_and_saveexec_b32 s8, s1
	s_cbranch_execz .LBB74_286
; %bb.285:
	v_add_f64 v[21:22], v[31:32], -v[29:30]
	s_mov_b32 s2, 0x652b82fe
	s_mov_b32 s3, 0x3ff71547
	;; [unrolled: 1-line block ×10, first 2 shown]
	v_mul_f64 v[31:32], v[21:22], s[2:3]
	s_mov_b32 s3, 0xbfe62e42
	s_mov_b32 s2, 0xfefa39ef
	v_cmp_nlt_f64_e32 vcc_lo, 0x40900000, v[21:22]
	v_cmp_ngt_f64_e64 s1, 0xc090cc00, v[21:22]
	v_rndne_f64_e32 v[31:32], v[31:32]
	v_fma_f64 v[33:34], v[31:32], s[2:3], v[21:22]
	v_cvt_i32_f64_e32 v41, v[31:32]
	s_mov_b32 s3, 0x3fe62e42
	v_fma_f64 v[33:34], v[31:32], s[4:5], v[33:34]
	s_mov_b32 s5, 0x3c7abc9e
	s_waitcnt lgkmcnt(0)
	v_fma_f64 v[35:36], v[33:34], s[14:15], s[6:7]
	s_mov_b32 s6, 0x623fde64
	s_mov_b32 s7, 0x3ec71dee
	s_mov_b32 s14, 0x6b47b09a
	s_mov_b32 s15, 0x3fc38538
	v_fma_f64 v[35:36], v[33:34], v[35:36], s[6:7]
	s_mov_b32 s6, 0x7c89e6b0
	s_mov_b32 s7, 0x3efa0199
	v_fma_f64 v[35:36], v[33:34], v[35:36], s[6:7]
	s_mov_b32 s6, 0x14761f6e
	s_mov_b32 s7, 0x3f2a01a0
	;; [unrolled: 3-line block ×8, first 2 shown]
	v_fma_f64 v[35:36], v[33:34], v[35:36], 1.0
	v_fma_f64 v[31:32], v[33:34], v[35:36], 1.0
	v_ldexp_f64 v[31:32], v[31:32], v41
	v_cndmask_b32_e32 v32, 0x7ff00000, v32, vcc_lo
	s_and_b32 vcc_lo, s1, vcc_lo
	v_cndmask_b32_e32 v21, 0, v31, vcc_lo
	v_cndmask_b32_e64 v22, 0, v32, s1
	v_add_f64 v[31:32], v[21:22], 1.0
	v_cmp_neq_f64_e64 s1, 0x7ff00000, v[21:22]
	v_frexp_mant_f64_e32 v[33:34], v[31:32]
	v_frexp_exp_i32_f64_e32 v41, v[31:32]
	v_add_f64 v[35:36], v[31:32], -1.0
	v_cmp_gt_f64_e32 vcc_lo, s[6:7], v[33:34]
	s_mov_b32 s6, 0x55555780
	v_add_f64 v[33:34], v[35:36], -v[31:32]
	v_add_f64 v[35:36], v[21:22], -v[35:36]
	v_subrev_co_ci_u32_e64 v59, null, 0, v41, vcc_lo
	v_add_f64 v[33:34], v[33:34], 1.0
	v_cmp_nge_f64_e32 vcc_lo, -1.0, v[21:22]
	v_sub_nc_u32_e32 v45, 0, v59
	v_ldexp_f64 v[31:32], v[31:32], v45
	v_add_f64 v[33:34], v[35:36], v[33:34]
	s_and_b32 vcc_lo, vcc_lo, s1
	v_add_f64 v[41:42], v[31:32], 1.0
	v_add_f64 v[49:50], v[31:32], -1.0
	v_ldexp_f64 v[33:34], v[33:34], v45
	v_add_f64 v[35:36], v[41:42], -1.0
	v_add_f64 v[51:52], v[49:50], 1.0
	v_add_f64 v[35:36], v[31:32], -v[35:36]
	v_add_f64 v[31:32], v[31:32], -v[51:52]
	v_add_f64 v[35:36], v[33:34], v[35:36]
	v_add_f64 v[31:32], v[33:34], v[31:32]
	;; [unrolled: 1-line block ×4, first 2 shown]
	v_rcp_f64_e32 v[47:48], v[45:46]
	v_add_f64 v[41:42], v[45:46], -v[41:42]
	v_add_f64 v[49:50], v[51:52], -v[49:50]
	;; [unrolled: 1-line block ×3, first 2 shown]
	v_fma_f64 v[53:54], -v[45:46], v[47:48], 1.0
	v_add_f64 v[31:32], v[31:32], -v[49:50]
	v_fma_f64 v[47:48], v[53:54], v[47:48], v[47:48]
	v_fma_f64 v[33:34], -v[45:46], v[47:48], 1.0
	v_fma_f64 v[33:34], v[33:34], v[47:48], v[47:48]
	v_mul_f64 v[47:48], v[51:52], v[33:34]
	v_mul_f64 v[53:54], v[45:46], v[47:48]
	v_fma_f64 v[41:42], v[47:48], v[45:46], -v[53:54]
	v_fma_f64 v[41:42], v[47:48], v[35:36], v[41:42]
	v_add_f64 v[55:56], v[53:54], v[41:42]
	v_add_f64 v[57:58], v[51:52], -v[55:56]
	v_add_f64 v[49:50], v[55:56], -v[53:54]
	;; [unrolled: 1-line block ×5, first 2 shown]
	v_add_f64 v[31:32], v[31:32], v[51:52]
	v_add_f64 v[31:32], v[41:42], v[31:32]
	;; [unrolled: 1-line block ×3, first 2 shown]
	v_mul_f64 v[49:50], v[33:34], v[41:42]
	v_add_f64 v[55:56], v[57:58], -v[41:42]
	v_mul_f64 v[51:52], v[45:46], v[49:50]
	v_add_f64 v[31:32], v[31:32], v[55:56]
	v_fma_f64 v[45:46], v[49:50], v[45:46], -v[51:52]
	v_fma_f64 v[35:36], v[49:50], v[35:36], v[45:46]
	v_add_f64 v[45:46], v[51:52], v[35:36]
	v_add_f64 v[53:54], v[41:42], -v[45:46]
	v_add_f64 v[51:52], v[45:46], -v[51:52]
	;; [unrolled: 1-line block ×5, first 2 shown]
	v_add_f64 v[31:32], v[31:32], v[41:42]
	v_add_f64 v[41:42], v[47:48], v[49:50]
	;; [unrolled: 1-line block ×3, first 2 shown]
	v_add_f64 v[35:36], v[41:42], -v[47:48]
	v_add_f64 v[31:32], v[53:54], v[31:32]
	v_add_f64 v[35:36], v[49:50], -v[35:36]
	v_mul_f64 v[31:32], v[33:34], v[31:32]
	v_add_f64 v[31:32], v[35:36], v[31:32]
	v_add_f64 v[33:34], v[41:42], v[31:32]
	v_mul_f64 v[35:36], v[33:34], v[33:34]
	v_fma_f64 v[45:46], v[35:36], s[16:17], s[14:15]
	s_mov_b32 s14, 0xd7f4df2e
	s_mov_b32 s15, 0x3fc7474d
	v_mul_f64 v[47:48], v[33:34], v[35:36]
	v_fma_f64 v[45:46], v[35:36], v[45:46], s[14:15]
	s_mov_b32 s14, 0x16291751
	s_mov_b32 s15, 0x3fcc71c0
	v_fma_f64 v[45:46], v[35:36], v[45:46], s[14:15]
	s_mov_b32 s14, 0x9b27acf1
	s_mov_b32 s15, 0x3fd24924
	;; [unrolled: 3-line block ×3, first 2 shown]
	v_fma_f64 v[45:46], v[35:36], v[45:46], s[14:15]
	v_fma_f64 v[35:36], v[35:36], v[45:46], s[6:7]
	v_ldexp_f64 v[45:46], v[33:34], 1
	v_add_f64 v[33:34], v[33:34], -v[41:42]
	v_mul_f64 v[35:36], v[47:48], v[35:36]
	v_cvt_f64_i32_e32 v[47:48], v59
	v_add_f64 v[31:32], v[31:32], -v[33:34]
	v_add_f64 v[41:42], v[45:46], v[35:36]
	v_mul_f64 v[49:50], v[47:48], s[2:3]
	v_ldexp_f64 v[31:32], v[31:32], 1
	v_add_f64 v[33:34], v[41:42], -v[45:46]
	v_fma_f64 v[45:46], v[47:48], s[2:3], -v[49:50]
	v_cmp_ngt_f64_e64 s2, -1.0, v[21:22]
	v_add_f64 v[33:34], v[35:36], -v[33:34]
	v_fma_f64 v[35:36], v[47:48], s[4:5], v[45:46]
	v_add_f64 v[31:32], v[31:32], v[33:34]
	v_add_f64 v[33:34], v[49:50], v[35:36]
	;; [unrolled: 1-line block ×3, first 2 shown]
	v_add_f64 v[49:50], v[33:34], -v[49:50]
	v_add_f64 v[47:48], v[33:34], v[45:46]
	v_add_f64 v[41:42], v[45:46], -v[41:42]
	v_add_f64 v[35:36], v[35:36], -v[49:50]
	;; [unrolled: 1-line block ×6, first 2 shown]
	v_add_f64 v[45:46], v[35:36], v[31:32]
	v_add_f64 v[33:34], v[33:34], -v[53:54]
	v_add_f64 v[33:34], v[41:42], v[33:34]
	v_add_f64 v[41:42], v[45:46], -v[35:36]
	v_add_f64 v[33:34], v[45:46], v[33:34]
	v_add_f64 v[45:46], v[45:46], -v[41:42]
	v_add_f64 v[31:32], v[31:32], -v[41:42]
	v_add_f64 v[49:50], v[47:48], v[33:34]
	v_add_f64 v[35:36], v[35:36], -v[45:46]
	v_add_f64 v[41:42], v[49:50], -v[47:48]
	v_add_f64 v[31:32], v[31:32], v[35:36]
	v_add_f64 v[33:34], v[33:34], -v[41:42]
	v_add_f64 v[31:32], v[31:32], v[33:34]
	v_add_f64 v[31:32], v[49:50], v[31:32]
	v_cndmask_b32_e32 v31, 0, v31, vcc_lo
	v_cmp_neq_f64_e32 vcc_lo, -1.0, v[21:22]
	v_cndmask_b32_e64 v32, 0x7ff00000, v32, s1
	v_cndmask_b32_e64 v32, 0x7ff80000, v32, s2
	v_cndmask_b32_e32 v32, 0xfff00000, v32, vcc_lo
	v_add_f64 v[21:22], v[29:30], v[31:32]
.LBB74_286:
	s_or_b32 exec_lo, exec_lo, s8
	v_max_f64 v[29:30], v[21:22], v[21:22]
	v_cmp_u_f64_e32 vcc_lo, v[21:22], v[21:22]
	v_min_f64 v[31:32], v[29:30], v[23:24]
	v_max_f64 v[23:24], v[29:30], v[23:24]
	v_cndmask_b32_e32 v29, v31, v21, vcc_lo
	v_cndmask_b32_e32 v30, v32, v22, vcc_lo
	;; [unrolled: 1-line block ×4, first 2 shown]
	v_cndmask_b32_e64 v31, v29, v43, s11
	v_cndmask_b32_e64 v32, v30, v44, s11
	;; [unrolled: 1-line block ×4, first 2 shown]
	v_mov_b32_e32 v24, v22
	v_mov_b32_e32 v23, v21
	v_cmp_class_f64_e64 s1, v[31:32], 0x1f8
	v_cmp_neq_f64_e32 vcc_lo, v[31:32], v[29:30]
	s_or_b32 s1, vcc_lo, s1
	s_and_saveexec_b32 s8, s1
	s_cbranch_execz .LBB74_288
; %bb.287:
	v_add_f64 v[23:24], v[31:32], -v[29:30]
	s_mov_b32 s2, 0x652b82fe
	s_mov_b32 s3, 0x3ff71547
	;; [unrolled: 1-line block ×10, first 2 shown]
	v_mul_f64 v[31:32], v[23:24], s[2:3]
	s_mov_b32 s3, 0xbfe62e42
	s_mov_b32 s2, 0xfefa39ef
	v_cmp_nlt_f64_e32 vcc_lo, 0x40900000, v[23:24]
	v_cmp_ngt_f64_e64 s1, 0xc090cc00, v[23:24]
	v_rndne_f64_e32 v[31:32], v[31:32]
	v_fma_f64 v[33:34], v[31:32], s[2:3], v[23:24]
	v_cvt_i32_f64_e32 v41, v[31:32]
	s_mov_b32 s3, 0x3fe62e42
	v_fma_f64 v[33:34], v[31:32], s[4:5], v[33:34]
	s_mov_b32 s5, 0x3c7abc9e
	s_waitcnt lgkmcnt(0)
	v_fma_f64 v[35:36], v[33:34], s[10:11], s[6:7]
	s_mov_b32 s6, 0x623fde64
	s_mov_b32 s7, 0x3ec71dee
	;; [unrolled: 1-line block ×4, first 2 shown]
	v_fma_f64 v[35:36], v[33:34], v[35:36], s[6:7]
	s_mov_b32 s6, 0x7c89e6b0
	s_mov_b32 s7, 0x3efa0199
	v_fma_f64 v[35:36], v[33:34], v[35:36], s[6:7]
	s_mov_b32 s6, 0x14761f6e
	s_mov_b32 s7, 0x3f2a01a0
	;; [unrolled: 3-line block ×8, first 2 shown]
	v_fma_f64 v[35:36], v[33:34], v[35:36], 1.0
	v_fma_f64 v[31:32], v[33:34], v[35:36], 1.0
	v_ldexp_f64 v[31:32], v[31:32], v41
	v_cndmask_b32_e32 v32, 0x7ff00000, v32, vcc_lo
	s_and_b32 vcc_lo, s1, vcc_lo
	v_cndmask_b32_e32 v23, 0, v31, vcc_lo
	v_cndmask_b32_e64 v24, 0, v32, s1
	v_add_f64 v[31:32], v[23:24], 1.0
	v_cmp_neq_f64_e64 s1, 0x7ff00000, v[23:24]
	v_frexp_mant_f64_e32 v[33:34], v[31:32]
	v_frexp_exp_i32_f64_e32 v41, v[31:32]
	v_add_f64 v[35:36], v[31:32], -1.0
	v_cmp_gt_f64_e32 vcc_lo, s[6:7], v[33:34]
	s_mov_b32 s6, 0x55555780
	v_add_f64 v[33:34], v[35:36], -v[31:32]
	v_add_f64 v[35:36], v[23:24], -v[35:36]
	v_subrev_co_ci_u32_e64 v57, null, 0, v41, vcc_lo
	v_add_f64 v[33:34], v[33:34], 1.0
	v_cmp_nge_f64_e32 vcc_lo, -1.0, v[23:24]
	v_sub_nc_u32_e32 v43, 0, v57
	v_ldexp_f64 v[31:32], v[31:32], v43
	v_add_f64 v[33:34], v[35:36], v[33:34]
	s_and_b32 vcc_lo, vcc_lo, s1
	v_add_f64 v[41:42], v[31:32], 1.0
	v_add_f64 v[47:48], v[31:32], -1.0
	v_ldexp_f64 v[33:34], v[33:34], v43
	v_add_f64 v[35:36], v[41:42], -1.0
	v_add_f64 v[49:50], v[47:48], 1.0
	v_add_f64 v[35:36], v[31:32], -v[35:36]
	v_add_f64 v[31:32], v[31:32], -v[49:50]
	v_add_f64 v[35:36], v[33:34], v[35:36]
	v_add_f64 v[31:32], v[33:34], v[31:32]
	;; [unrolled: 1-line block ×4, first 2 shown]
	v_rcp_f64_e32 v[45:46], v[43:44]
	v_add_f64 v[41:42], v[43:44], -v[41:42]
	v_add_f64 v[47:48], v[49:50], -v[47:48]
	;; [unrolled: 1-line block ×3, first 2 shown]
	v_fma_f64 v[51:52], -v[43:44], v[45:46], 1.0
	v_add_f64 v[31:32], v[31:32], -v[47:48]
	v_fma_f64 v[45:46], v[51:52], v[45:46], v[45:46]
	v_fma_f64 v[33:34], -v[43:44], v[45:46], 1.0
	v_fma_f64 v[33:34], v[33:34], v[45:46], v[45:46]
	v_mul_f64 v[45:46], v[49:50], v[33:34]
	v_mul_f64 v[51:52], v[43:44], v[45:46]
	v_fma_f64 v[41:42], v[45:46], v[43:44], -v[51:52]
	v_fma_f64 v[41:42], v[45:46], v[35:36], v[41:42]
	v_add_f64 v[53:54], v[51:52], v[41:42]
	v_add_f64 v[55:56], v[49:50], -v[53:54]
	v_add_f64 v[47:48], v[53:54], -v[51:52]
	;; [unrolled: 1-line block ×5, first 2 shown]
	v_add_f64 v[31:32], v[31:32], v[49:50]
	v_add_f64 v[31:32], v[41:42], v[31:32]
	;; [unrolled: 1-line block ×3, first 2 shown]
	v_mul_f64 v[47:48], v[33:34], v[41:42]
	v_add_f64 v[53:54], v[55:56], -v[41:42]
	v_mul_f64 v[49:50], v[43:44], v[47:48]
	v_add_f64 v[31:32], v[31:32], v[53:54]
	v_fma_f64 v[43:44], v[47:48], v[43:44], -v[49:50]
	v_fma_f64 v[35:36], v[47:48], v[35:36], v[43:44]
	v_add_f64 v[43:44], v[49:50], v[35:36]
	v_add_f64 v[51:52], v[41:42], -v[43:44]
	v_add_f64 v[49:50], v[43:44], -v[49:50]
	;; [unrolled: 1-line block ×5, first 2 shown]
	v_add_f64 v[31:32], v[31:32], v[41:42]
	v_add_f64 v[41:42], v[45:46], v[47:48]
	;; [unrolled: 1-line block ×3, first 2 shown]
	v_add_f64 v[35:36], v[41:42], -v[45:46]
	v_add_f64 v[31:32], v[51:52], v[31:32]
	v_add_f64 v[35:36], v[47:48], -v[35:36]
	v_mul_f64 v[31:32], v[33:34], v[31:32]
	v_add_f64 v[31:32], v[35:36], v[31:32]
	v_add_f64 v[33:34], v[41:42], v[31:32]
	v_mul_f64 v[35:36], v[33:34], v[33:34]
	v_fma_f64 v[43:44], v[35:36], s[14:15], s[10:11]
	s_mov_b32 s10, 0xd7f4df2e
	s_mov_b32 s11, 0x3fc7474d
	v_mul_f64 v[45:46], v[33:34], v[35:36]
	v_fma_f64 v[43:44], v[35:36], v[43:44], s[10:11]
	s_mov_b32 s10, 0x16291751
	s_mov_b32 s11, 0x3fcc71c0
	v_fma_f64 v[43:44], v[35:36], v[43:44], s[10:11]
	s_mov_b32 s10, 0x9b27acf1
	s_mov_b32 s11, 0x3fd24924
	;; [unrolled: 3-line block ×3, first 2 shown]
	v_fma_f64 v[43:44], v[35:36], v[43:44], s[10:11]
	v_fma_f64 v[35:36], v[35:36], v[43:44], s[6:7]
	v_ldexp_f64 v[43:44], v[33:34], 1
	v_add_f64 v[33:34], v[33:34], -v[41:42]
	v_mul_f64 v[35:36], v[45:46], v[35:36]
	v_cvt_f64_i32_e32 v[45:46], v57
	v_add_f64 v[31:32], v[31:32], -v[33:34]
	v_add_f64 v[41:42], v[43:44], v[35:36]
	v_mul_f64 v[47:48], v[45:46], s[2:3]
	v_ldexp_f64 v[31:32], v[31:32], 1
	v_add_f64 v[33:34], v[41:42], -v[43:44]
	v_fma_f64 v[43:44], v[45:46], s[2:3], -v[47:48]
	v_cmp_ngt_f64_e64 s2, -1.0, v[23:24]
	v_add_f64 v[33:34], v[35:36], -v[33:34]
	v_fma_f64 v[35:36], v[45:46], s[4:5], v[43:44]
	v_add_f64 v[31:32], v[31:32], v[33:34]
	v_add_f64 v[33:34], v[47:48], v[35:36]
	;; [unrolled: 1-line block ×3, first 2 shown]
	v_add_f64 v[47:48], v[33:34], -v[47:48]
	v_add_f64 v[45:46], v[33:34], v[43:44]
	v_add_f64 v[41:42], v[43:44], -v[41:42]
	v_add_f64 v[35:36], v[35:36], -v[47:48]
	;; [unrolled: 1-line block ×6, first 2 shown]
	v_add_f64 v[43:44], v[35:36], v[31:32]
	v_add_f64 v[33:34], v[33:34], -v[51:52]
	v_add_f64 v[33:34], v[41:42], v[33:34]
	v_add_f64 v[41:42], v[43:44], -v[35:36]
	;; [unrolled: 2-line block ×3, first 2 shown]
	v_add_f64 v[31:32], v[31:32], -v[41:42]
	v_add_f64 v[47:48], v[45:46], v[33:34]
	v_add_f64 v[35:36], v[35:36], -v[43:44]
	v_add_f64 v[41:42], v[47:48], -v[45:46]
	v_add_f64 v[31:32], v[31:32], v[35:36]
	v_add_f64 v[33:34], v[33:34], -v[41:42]
	v_add_f64 v[31:32], v[31:32], v[33:34]
	v_add_f64 v[31:32], v[47:48], v[31:32]
	v_cndmask_b32_e32 v31, 0, v31, vcc_lo
	v_cmp_neq_f64_e32 vcc_lo, -1.0, v[23:24]
	v_cndmask_b32_e64 v32, 0x7ff00000, v32, s1
	v_cndmask_b32_e64 v32, 0x7ff80000, v32, s2
	v_cndmask_b32_e32 v32, 0xfff00000, v32, vcc_lo
	v_add_f64 v[23:24], v[29:30], v[31:32]
.LBB74_288:
	s_or_b32 exec_lo, exec_lo, s8
	v_max_f64 v[29:30], v[23:24], v[23:24]
	v_cmp_u_f64_e32 vcc_lo, v[23:24], v[23:24]
	v_min_f64 v[31:32], v[29:30], v[25:26]
	v_max_f64 v[25:26], v[29:30], v[25:26]
	v_cndmask_b32_e32 v29, v31, v23, vcc_lo
	v_cndmask_b32_e32 v30, v32, v24, vcc_lo
	;; [unrolled: 1-line block ×4, first 2 shown]
	v_cndmask_b32_e64 v31, v29, v37, s12
	v_cndmask_b32_e64 v32, v30, v38, s12
	;; [unrolled: 1-line block ×4, first 2 shown]
	v_mov_b32_e32 v26, v24
	v_mov_b32_e32 v25, v23
	v_cmp_class_f64_e64 s1, v[31:32], 0x1f8
	v_cmp_neq_f64_e32 vcc_lo, v[31:32], v[29:30]
	s_or_b32 s1, vcc_lo, s1
	s_and_saveexec_b32 s8, s1
	s_cbranch_execz .LBB74_290
; %bb.289:
	v_add_f64 v[25:26], v[31:32], -v[29:30]
	s_mov_b32 s2, 0x652b82fe
	s_mov_b32 s3, 0x3ff71547
	;; [unrolled: 1-line block ×10, first 2 shown]
	v_mul_f64 v[31:32], v[25:26], s[2:3]
	s_mov_b32 s3, 0xbfe62e42
	s_mov_b32 s2, 0xfefa39ef
	v_cmp_nlt_f64_e32 vcc_lo, 0x40900000, v[25:26]
	v_cmp_ngt_f64_e64 s1, 0xc090cc00, v[25:26]
	v_rndne_f64_e32 v[31:32], v[31:32]
	v_fma_f64 v[33:34], v[31:32], s[2:3], v[25:26]
	v_cvt_i32_f64_e32 v37, v[31:32]
	s_mov_b32 s3, 0x3fe62e42
	v_fma_f64 v[33:34], v[31:32], s[4:5], v[33:34]
	s_mov_b32 s5, 0x3c7abc9e
	s_waitcnt lgkmcnt(0)
	v_fma_f64 v[35:36], v[33:34], s[10:11], s[6:7]
	s_mov_b32 s6, 0x623fde64
	s_mov_b32 s7, 0x3ec71dee
	;; [unrolled: 1-line block ×4, first 2 shown]
	v_fma_f64 v[35:36], v[33:34], v[35:36], s[6:7]
	s_mov_b32 s6, 0x7c89e6b0
	s_mov_b32 s7, 0x3efa0199
	v_fma_f64 v[35:36], v[33:34], v[35:36], s[6:7]
	s_mov_b32 s6, 0x14761f6e
	s_mov_b32 s7, 0x3f2a01a0
	;; [unrolled: 3-line block ×8, first 2 shown]
	v_fma_f64 v[35:36], v[33:34], v[35:36], 1.0
	v_fma_f64 v[31:32], v[33:34], v[35:36], 1.0
	v_ldexp_f64 v[31:32], v[31:32], v37
	v_cndmask_b32_e32 v32, 0x7ff00000, v32, vcc_lo
	s_and_b32 vcc_lo, s1, vcc_lo
	v_cndmask_b32_e32 v25, 0, v31, vcc_lo
	v_cndmask_b32_e64 v26, 0, v32, s1
	v_add_f64 v[31:32], v[25:26], 1.0
	v_cmp_neq_f64_e64 s1, 0x7ff00000, v[25:26]
	v_frexp_mant_f64_e32 v[33:34], v[31:32]
	v_frexp_exp_i32_f64_e32 v37, v[31:32]
	v_add_f64 v[35:36], v[31:32], -1.0
	v_cmp_gt_f64_e32 vcc_lo, s[6:7], v[33:34]
	s_mov_b32 s6, 0x55555780
	v_add_f64 v[33:34], v[35:36], -v[31:32]
	v_add_f64 v[35:36], v[25:26], -v[35:36]
	v_subrev_co_ci_u32_e64 v55, null, 0, v37, vcc_lo
	v_add_f64 v[33:34], v[33:34], 1.0
	v_cmp_nge_f64_e32 vcc_lo, -1.0, v[25:26]
	v_sub_nc_u32_e32 v41, 0, v55
	v_ldexp_f64 v[31:32], v[31:32], v41
	v_add_f64 v[33:34], v[35:36], v[33:34]
	s_and_b32 vcc_lo, vcc_lo, s1
	v_add_f64 v[37:38], v[31:32], 1.0
	v_add_f64 v[45:46], v[31:32], -1.0
	v_ldexp_f64 v[33:34], v[33:34], v41
	v_add_f64 v[35:36], v[37:38], -1.0
	v_add_f64 v[47:48], v[45:46], 1.0
	v_add_f64 v[35:36], v[31:32], -v[35:36]
	v_add_f64 v[31:32], v[31:32], -v[47:48]
	v_add_f64 v[35:36], v[33:34], v[35:36]
	v_add_f64 v[31:32], v[33:34], v[31:32]
	;; [unrolled: 1-line block ×4, first 2 shown]
	v_rcp_f64_e32 v[43:44], v[41:42]
	v_add_f64 v[37:38], v[41:42], -v[37:38]
	v_add_f64 v[45:46], v[47:48], -v[45:46]
	;; [unrolled: 1-line block ×3, first 2 shown]
	v_fma_f64 v[49:50], -v[41:42], v[43:44], 1.0
	v_add_f64 v[31:32], v[31:32], -v[45:46]
	v_fma_f64 v[43:44], v[49:50], v[43:44], v[43:44]
	v_fma_f64 v[33:34], -v[41:42], v[43:44], 1.0
	v_fma_f64 v[33:34], v[33:34], v[43:44], v[43:44]
	v_mul_f64 v[43:44], v[47:48], v[33:34]
	v_mul_f64 v[49:50], v[41:42], v[43:44]
	v_fma_f64 v[37:38], v[43:44], v[41:42], -v[49:50]
	v_fma_f64 v[37:38], v[43:44], v[35:36], v[37:38]
	v_add_f64 v[51:52], v[49:50], v[37:38]
	v_add_f64 v[53:54], v[47:48], -v[51:52]
	v_add_f64 v[45:46], v[51:52], -v[49:50]
	;; [unrolled: 1-line block ×5, first 2 shown]
	v_add_f64 v[31:32], v[31:32], v[47:48]
	v_add_f64 v[31:32], v[37:38], v[31:32]
	;; [unrolled: 1-line block ×3, first 2 shown]
	v_mul_f64 v[45:46], v[33:34], v[37:38]
	v_add_f64 v[51:52], v[53:54], -v[37:38]
	v_mul_f64 v[47:48], v[41:42], v[45:46]
	v_add_f64 v[31:32], v[31:32], v[51:52]
	v_fma_f64 v[41:42], v[45:46], v[41:42], -v[47:48]
	v_fma_f64 v[35:36], v[45:46], v[35:36], v[41:42]
	v_add_f64 v[41:42], v[47:48], v[35:36]
	v_add_f64 v[49:50], v[37:38], -v[41:42]
	v_add_f64 v[47:48], v[41:42], -v[47:48]
	;; [unrolled: 1-line block ×5, first 2 shown]
	v_add_f64 v[31:32], v[31:32], v[37:38]
	v_add_f64 v[37:38], v[43:44], v[45:46]
	;; [unrolled: 1-line block ×3, first 2 shown]
	v_add_f64 v[35:36], v[37:38], -v[43:44]
	v_add_f64 v[31:32], v[49:50], v[31:32]
	v_add_f64 v[35:36], v[45:46], -v[35:36]
	v_mul_f64 v[31:32], v[33:34], v[31:32]
	v_add_f64 v[31:32], v[35:36], v[31:32]
	v_add_f64 v[33:34], v[37:38], v[31:32]
	v_mul_f64 v[35:36], v[33:34], v[33:34]
	v_fma_f64 v[41:42], v[35:36], s[14:15], s[10:11]
	s_mov_b32 s10, 0xd7f4df2e
	s_mov_b32 s11, 0x3fc7474d
	v_mul_f64 v[43:44], v[33:34], v[35:36]
	v_fma_f64 v[41:42], v[35:36], v[41:42], s[10:11]
	s_mov_b32 s10, 0x16291751
	s_mov_b32 s11, 0x3fcc71c0
	v_fma_f64 v[41:42], v[35:36], v[41:42], s[10:11]
	s_mov_b32 s10, 0x9b27acf1
	s_mov_b32 s11, 0x3fd24924
	;; [unrolled: 3-line block ×3, first 2 shown]
	v_fma_f64 v[41:42], v[35:36], v[41:42], s[10:11]
	v_fma_f64 v[35:36], v[35:36], v[41:42], s[6:7]
	v_ldexp_f64 v[41:42], v[33:34], 1
	v_add_f64 v[33:34], v[33:34], -v[37:38]
	v_mul_f64 v[35:36], v[43:44], v[35:36]
	v_cvt_f64_i32_e32 v[43:44], v55
	v_add_f64 v[31:32], v[31:32], -v[33:34]
	v_add_f64 v[37:38], v[41:42], v[35:36]
	v_mul_f64 v[45:46], v[43:44], s[2:3]
	v_ldexp_f64 v[31:32], v[31:32], 1
	v_add_f64 v[33:34], v[37:38], -v[41:42]
	v_fma_f64 v[41:42], v[43:44], s[2:3], -v[45:46]
	v_cmp_ngt_f64_e64 s2, -1.0, v[25:26]
	v_add_f64 v[33:34], v[35:36], -v[33:34]
	v_fma_f64 v[35:36], v[43:44], s[4:5], v[41:42]
	v_add_f64 v[31:32], v[31:32], v[33:34]
	v_add_f64 v[33:34], v[45:46], v[35:36]
	;; [unrolled: 1-line block ×3, first 2 shown]
	v_add_f64 v[45:46], v[33:34], -v[45:46]
	v_add_f64 v[43:44], v[33:34], v[41:42]
	v_add_f64 v[37:38], v[41:42], -v[37:38]
	v_add_f64 v[35:36], v[35:36], -v[45:46]
	;; [unrolled: 1-line block ×6, first 2 shown]
	v_add_f64 v[41:42], v[35:36], v[31:32]
	v_add_f64 v[33:34], v[33:34], -v[49:50]
	v_add_f64 v[33:34], v[37:38], v[33:34]
	v_add_f64 v[37:38], v[41:42], -v[35:36]
	;; [unrolled: 2-line block ×3, first 2 shown]
	v_add_f64 v[31:32], v[31:32], -v[37:38]
	v_add_f64 v[45:46], v[43:44], v[33:34]
	v_add_f64 v[35:36], v[35:36], -v[41:42]
	v_add_f64 v[37:38], v[45:46], -v[43:44]
	v_add_f64 v[31:32], v[31:32], v[35:36]
	v_add_f64 v[33:34], v[33:34], -v[37:38]
	v_add_f64 v[31:32], v[31:32], v[33:34]
	v_add_f64 v[31:32], v[45:46], v[31:32]
	v_cndmask_b32_e32 v31, 0, v31, vcc_lo
	v_cmp_neq_f64_e32 vcc_lo, -1.0, v[25:26]
	v_cndmask_b32_e64 v32, 0x7ff00000, v32, s1
	v_cndmask_b32_e64 v32, 0x7ff80000, v32, s2
	v_cndmask_b32_e32 v32, 0xfff00000, v32, vcc_lo
	v_add_f64 v[25:26], v[29:30], v[31:32]
.LBB74_290:
	s_or_b32 exec_lo, exec_lo, s8
	v_max_f64 v[29:30], v[25:26], v[25:26]
	v_cmp_u_f64_e32 vcc_lo, v[25:26], v[25:26]
	v_min_f64 v[31:32], v[29:30], v[27:28]
	v_max_f64 v[27:28], v[29:30], v[27:28]
	v_cndmask_b32_e32 v29, v31, v25, vcc_lo
	v_cndmask_b32_e32 v30, v32, v26, vcc_lo
	;; [unrolled: 1-line block ×4, first 2 shown]
	v_cndmask_b32_e64 v31, v29, v39, s13
	v_cndmask_b32_e64 v32, v30, v40, s13
	;; [unrolled: 1-line block ×4, first 2 shown]
	v_mov_b32_e32 v28, v26
	v_mov_b32_e32 v27, v25
	v_cmp_class_f64_e64 s1, v[31:32], 0x1f8
	v_cmp_neq_f64_e32 vcc_lo, v[31:32], v[29:30]
	s_or_b32 s1, vcc_lo, s1
	s_and_saveexec_b32 s8, s1
	s_cbranch_execz .LBB74_292
; %bb.291:
	v_add_f64 v[27:28], v[31:32], -v[29:30]
	s_mov_b32 s2, 0x652b82fe
	s_mov_b32 s3, 0x3ff71547
	;; [unrolled: 1-line block ×10, first 2 shown]
	v_mul_f64 v[31:32], v[27:28], s[2:3]
	s_mov_b32 s3, 0xbfe62e42
	s_mov_b32 s2, 0xfefa39ef
	v_cmp_nlt_f64_e32 vcc_lo, 0x40900000, v[27:28]
	v_cmp_ngt_f64_e64 s1, 0xc090cc00, v[27:28]
	v_rndne_f64_e32 v[31:32], v[31:32]
	v_fma_f64 v[33:34], v[31:32], s[2:3], v[27:28]
	v_cvt_i32_f64_e32 v37, v[31:32]
	s_mov_b32 s3, 0x3fe62e42
	v_fma_f64 v[33:34], v[31:32], s[4:5], v[33:34]
	s_mov_b32 s5, 0x3c7abc9e
	s_waitcnt lgkmcnt(0)
	v_fma_f64 v[35:36], v[33:34], s[10:11], s[6:7]
	s_mov_b32 s6, 0x623fde64
	s_mov_b32 s7, 0x3ec71dee
	s_mov_b32 s10, 0x6b47b09a
	s_mov_b32 s11, 0x3fc38538
	v_fma_f64 v[35:36], v[33:34], v[35:36], s[6:7]
	s_mov_b32 s6, 0x7c89e6b0
	s_mov_b32 s7, 0x3efa0199
	v_fma_f64 v[35:36], v[33:34], v[35:36], s[6:7]
	s_mov_b32 s6, 0x14761f6e
	s_mov_b32 s7, 0x3f2a01a0
	;; [unrolled: 3-line block ×8, first 2 shown]
	v_fma_f64 v[35:36], v[33:34], v[35:36], 1.0
	v_fma_f64 v[31:32], v[33:34], v[35:36], 1.0
	v_ldexp_f64 v[31:32], v[31:32], v37
	v_cndmask_b32_e32 v32, 0x7ff00000, v32, vcc_lo
	s_and_b32 vcc_lo, s1, vcc_lo
	v_cndmask_b32_e32 v27, 0, v31, vcc_lo
	v_cndmask_b32_e64 v28, 0, v32, s1
	v_add_f64 v[31:32], v[27:28], 1.0
	v_cmp_neq_f64_e64 s1, 0x7ff00000, v[27:28]
	v_frexp_mant_f64_e32 v[33:34], v[31:32]
	v_frexp_exp_i32_f64_e32 v37, v[31:32]
	v_add_f64 v[35:36], v[31:32], -1.0
	v_cmp_gt_f64_e32 vcc_lo, s[6:7], v[33:34]
	s_mov_b32 s6, 0x55555780
	v_add_f64 v[33:34], v[35:36], -v[31:32]
	v_add_f64 v[35:36], v[27:28], -v[35:36]
	v_subrev_co_ci_u32_e64 v53, null, 0, v37, vcc_lo
	v_add_f64 v[33:34], v[33:34], 1.0
	v_cmp_nge_f64_e32 vcc_lo, -1.0, v[27:28]
	v_sub_nc_u32_e32 v39, 0, v53
	v_ldexp_f64 v[31:32], v[31:32], v39
	v_add_f64 v[33:34], v[35:36], v[33:34]
	s_and_b32 vcc_lo, vcc_lo, s1
	v_add_f64 v[37:38], v[31:32], 1.0
	v_add_f64 v[43:44], v[31:32], -1.0
	v_ldexp_f64 v[33:34], v[33:34], v39
	v_add_f64 v[35:36], v[37:38], -1.0
	v_add_f64 v[45:46], v[43:44], 1.0
	v_add_f64 v[35:36], v[31:32], -v[35:36]
	v_add_f64 v[31:32], v[31:32], -v[45:46]
	v_add_f64 v[35:36], v[33:34], v[35:36]
	v_add_f64 v[31:32], v[33:34], v[31:32]
	;; [unrolled: 1-line block ×4, first 2 shown]
	v_rcp_f64_e32 v[41:42], v[39:40]
	v_add_f64 v[37:38], v[39:40], -v[37:38]
	v_add_f64 v[43:44], v[45:46], -v[43:44]
	;; [unrolled: 1-line block ×3, first 2 shown]
	v_fma_f64 v[47:48], -v[39:40], v[41:42], 1.0
	v_add_f64 v[31:32], v[31:32], -v[43:44]
	v_fma_f64 v[41:42], v[47:48], v[41:42], v[41:42]
	v_fma_f64 v[33:34], -v[39:40], v[41:42], 1.0
	v_fma_f64 v[33:34], v[33:34], v[41:42], v[41:42]
	v_mul_f64 v[41:42], v[45:46], v[33:34]
	v_mul_f64 v[47:48], v[39:40], v[41:42]
	v_fma_f64 v[37:38], v[41:42], v[39:40], -v[47:48]
	v_fma_f64 v[37:38], v[41:42], v[35:36], v[37:38]
	v_add_f64 v[49:50], v[47:48], v[37:38]
	v_add_f64 v[51:52], v[45:46], -v[49:50]
	v_add_f64 v[43:44], v[49:50], -v[47:48]
	v_add_f64 v[45:46], v[45:46], -v[51:52]
	v_add_f64 v[37:38], v[43:44], -v[37:38]
	v_add_f64 v[45:46], v[45:46], -v[49:50]
	v_add_f64 v[31:32], v[31:32], v[45:46]
	v_add_f64 v[31:32], v[37:38], v[31:32]
	;; [unrolled: 1-line block ×3, first 2 shown]
	v_mul_f64 v[43:44], v[33:34], v[37:38]
	v_add_f64 v[49:50], v[51:52], -v[37:38]
	v_mul_f64 v[45:46], v[39:40], v[43:44]
	v_add_f64 v[31:32], v[31:32], v[49:50]
	v_fma_f64 v[39:40], v[43:44], v[39:40], -v[45:46]
	v_fma_f64 v[35:36], v[43:44], v[35:36], v[39:40]
	v_add_f64 v[39:40], v[45:46], v[35:36]
	v_add_f64 v[47:48], v[37:38], -v[39:40]
	v_add_f64 v[45:46], v[39:40], -v[45:46]
	;; [unrolled: 1-line block ×5, first 2 shown]
	v_add_f64 v[31:32], v[31:32], v[37:38]
	v_add_f64 v[37:38], v[41:42], v[43:44]
	;; [unrolled: 1-line block ×3, first 2 shown]
	v_add_f64 v[35:36], v[37:38], -v[41:42]
	v_add_f64 v[31:32], v[47:48], v[31:32]
	v_add_f64 v[35:36], v[43:44], -v[35:36]
	v_mul_f64 v[31:32], v[33:34], v[31:32]
	v_add_f64 v[31:32], v[35:36], v[31:32]
	v_add_f64 v[33:34], v[37:38], v[31:32]
	v_mul_f64 v[35:36], v[33:34], v[33:34]
	v_fma_f64 v[39:40], v[35:36], s[12:13], s[10:11]
	s_mov_b32 s10, 0xd7f4df2e
	s_mov_b32 s11, 0x3fc7474d
	v_mul_f64 v[41:42], v[33:34], v[35:36]
	v_fma_f64 v[39:40], v[35:36], v[39:40], s[10:11]
	s_mov_b32 s10, 0x16291751
	s_mov_b32 s11, 0x3fcc71c0
	v_fma_f64 v[39:40], v[35:36], v[39:40], s[10:11]
	s_mov_b32 s10, 0x9b27acf1
	s_mov_b32 s11, 0x3fd24924
	;; [unrolled: 3-line block ×3, first 2 shown]
	v_fma_f64 v[39:40], v[35:36], v[39:40], s[10:11]
	v_fma_f64 v[35:36], v[35:36], v[39:40], s[6:7]
	v_ldexp_f64 v[39:40], v[33:34], 1
	v_add_f64 v[33:34], v[33:34], -v[37:38]
	v_mul_f64 v[35:36], v[41:42], v[35:36]
	v_cvt_f64_i32_e32 v[41:42], v53
	v_add_f64 v[31:32], v[31:32], -v[33:34]
	v_add_f64 v[37:38], v[39:40], v[35:36]
	v_mul_f64 v[43:44], v[41:42], s[2:3]
	v_ldexp_f64 v[31:32], v[31:32], 1
	v_add_f64 v[33:34], v[37:38], -v[39:40]
	v_fma_f64 v[39:40], v[41:42], s[2:3], -v[43:44]
	v_cmp_ngt_f64_e64 s2, -1.0, v[27:28]
	v_add_f64 v[33:34], v[35:36], -v[33:34]
	v_fma_f64 v[35:36], v[41:42], s[4:5], v[39:40]
	v_add_f64 v[31:32], v[31:32], v[33:34]
	v_add_f64 v[33:34], v[43:44], v[35:36]
	;; [unrolled: 1-line block ×3, first 2 shown]
	v_add_f64 v[43:44], v[33:34], -v[43:44]
	v_add_f64 v[41:42], v[33:34], v[39:40]
	v_add_f64 v[37:38], v[39:40], -v[37:38]
	v_add_f64 v[35:36], v[35:36], -v[43:44]
	;; [unrolled: 1-line block ×6, first 2 shown]
	v_add_f64 v[39:40], v[35:36], v[31:32]
	v_add_f64 v[33:34], v[33:34], -v[47:48]
	v_add_f64 v[33:34], v[37:38], v[33:34]
	v_add_f64 v[37:38], v[39:40], -v[35:36]
	;; [unrolled: 2-line block ×3, first 2 shown]
	v_add_f64 v[31:32], v[31:32], -v[37:38]
	v_add_f64 v[43:44], v[41:42], v[33:34]
	v_add_f64 v[35:36], v[35:36], -v[39:40]
	v_add_f64 v[37:38], v[43:44], -v[41:42]
	v_add_f64 v[31:32], v[31:32], v[35:36]
	v_add_f64 v[33:34], v[33:34], -v[37:38]
	v_add_f64 v[31:32], v[31:32], v[33:34]
	v_add_f64 v[31:32], v[43:44], v[31:32]
	v_cndmask_b32_e32 v31, 0, v31, vcc_lo
	v_cmp_neq_f64_e32 vcc_lo, -1.0, v[27:28]
	v_cndmask_b32_e64 v32, 0x7ff00000, v32, s1
	v_cndmask_b32_e64 v32, 0x7ff80000, v32, s2
	v_cndmask_b32_e32 v32, 0xfff00000, v32, vcc_lo
	v_add_f64 v[27:28], v[29:30], v[31:32]
.LBB74_292:
	s_or_b32 exec_lo, exec_lo, s8
	s_mov_b32 s1, exec_lo
	v_cmpx_eq_u32_e32 0x7f, v0
	s_cbranch_execz .LBB74_294
; %bb.293:
	s_add_u32 s2, s28, 0x200
	s_addc_u32 s3, s29, 0
	v_mov_b32_e32 v29, 2
	v_mov_b32_e32 v32, s3
	;; [unrolled: 1-line block ×4, first 2 shown]
	;;#ASMSTART
	global_store_dwordx4 v[31:32], v[27:30] off	
s_waitcnt vmcnt(0)
	;;#ASMEND
.LBB74_294:
	s_or_b32 exec_lo, exec_lo, s1
	s_waitcnt lgkmcnt(0)
	v_mov_b32_e32 v36, v32
	v_mov_b32_e32 v35, v31
	;; [unrolled: 1-line block ×32, first 2 shown]
.LBB74_295:
	s_add_u32 s1, s40, s30
	s_addc_u32 s3, s41, s31
	s_add_u32 s2, s1, s34
	s_addc_u32 s3, s3, s35
	s_and_b32 vcc_lo, exec_lo, s0
	s_mov_b32 s0, -1
	s_barrier
	buffer_gl0_inv
	s_cbranch_vccz .LBB74_297
; %bb.296:
	ds_write_b128 v76, v[5:8]
	ds_write_b128 v76, v[9:12] offset:16
	ds_write_b128 v76, v[13:16] offset:32
	;; [unrolled: 1-line block ×6, first 2 shown]
	s_waitcnt lgkmcnt(0)
	s_barrier
	buffer_gl0_inv
	ds_read2st64_b64 v[1:4], v75 offset1:2
	ds_read2st64_b64 v[33:36], v75 offset0:4 offset1:6
	ds_read2st64_b64 v[37:40], v75 offset0:8 offset1:10
	;; [unrolled: 1-line block ×6, first 2 shown]
	v_add_co_u32 v61, s0, s2, v75
	v_add_co_ci_u32_e64 v62, null, s3, 0, s0
	s_mov_b32 s0, 0
	s_waitcnt lgkmcnt(6)
	global_store_dwordx2 v75, v[1:2], s[2:3]
	global_store_dwordx2 v75, v[3:4], s[2:3] offset:1024
	v_add_co_u32 v1, vcc_lo, v61, 0x1000
	v_add_co_ci_u32_e64 v2, null, 0, v62, vcc_lo
	v_add_co_u32 v3, vcc_lo, 0x800, v61
	v_add_co_ci_u32_e64 v4, null, 0, v62, vcc_lo
	s_waitcnt lgkmcnt(5)
	global_store_dwordx2 v[1:2], v[33:34], off offset:-2048
	v_add_co_u32 v33, vcc_lo, 0x1000, v61
	v_add_co_ci_u32_e64 v34, null, 0, v62, vcc_lo
	v_add_co_u32 v57, vcc_lo, v61, 0x2000
	v_add_co_ci_u32_e64 v58, null, 0, v62, vcc_lo
	;; [unrolled: 2-line block ×3, first 2 shown]
	global_store_dwordx2 v[3:4], v[35:36], off offset:1024
	s_waitcnt lgkmcnt(4)
	global_store_dwordx2 v[1:2], v[37:38], off
	global_store_dwordx2 v[33:34], v[39:40], off offset:1024
	s_waitcnt lgkmcnt(3)
	global_store_dwordx2 v[57:58], v[41:42], off offset:-2048
	global_store_dwordx2 v[59:60], v[43:44], off offset:1024
	v_add_co_u32 v1, vcc_lo, 0x2000, v61
	v_add_co_ci_u32_e64 v2, null, 0, v62, vcc_lo
	v_add_co_u32 v3, vcc_lo, 0x2800, v61
	v_add_co_ci_u32_e64 v4, null, 0, v62, vcc_lo
	;; [unrolled: 2-line block ×4, first 2 shown]
	s_waitcnt lgkmcnt(2)
	global_store_dwordx2 v[57:58], v[45:46], off
	global_store_dwordx2 v[1:2], v[47:48], off offset:1024
	s_waitcnt lgkmcnt(1)
	global_store_dwordx2 v[33:34], v[49:50], off offset:-2048
	global_store_dwordx2 v[3:4], v[51:52], off offset:1024
	s_waitcnt lgkmcnt(0)
	global_store_dwordx2 v[33:34], v[53:54], off
	global_store_dwordx2 v[35:36], v[55:56], off offset:1024
.LBB74_297:
	s_andn2_b32 vcc_lo, exec_lo, s0
	s_cbranch_vccnz .LBB74_377
; %bb.298:
	ds_write_b128 v76, v[5:8]
	ds_write_b128 v76, v[9:12] offset:16
	ds_write_b128 v76, v[13:16] offset:32
	;; [unrolled: 1-line block ×6, first 2 shown]
	s_waitcnt lgkmcnt(0)
	s_waitcnt_vscnt null, 0x0
	s_barrier
	buffer_gl0_inv
	ds_read2st64_b64 v[6:9], v75 offset1:2
	ds_read2st64_b64 v[10:13], v75 offset0:4 offset1:6
	ds_read2st64_b64 v[14:17], v75 offset0:8 offset1:10
	;; [unrolled: 1-line block ×6, first 2 shown]
	v_add_co_u32 v30, s0, s2, v75
	v_mov_b32_e32 v1, 0
	v_add_co_ci_u32_e64 v31, null, s3, 0, s0
	s_mov_b32 s0, exec_lo
	v_cmpx_gt_u32_e64 s33, v0
	s_cbranch_execz .LBB74_300
; %bb.299:
	s_waitcnt lgkmcnt(6)
	global_store_dwordx2 v[30:31], v[6:7], off
.LBB74_300:
	s_or_b32 exec_lo, exec_lo, s0
	v_or_b32_e32 v32, 0x80, v0
	s_mov_b32 s0, exec_lo
	v_cmpx_gt_u32_e64 s33, v32
	s_cbranch_execz .LBB74_302
; %bb.301:
	s_waitcnt lgkmcnt(6)
	global_store_dwordx2 v[30:31], v[8:9], off offset:1024
.LBB74_302:
	s_or_b32 exec_lo, exec_lo, s0
	v_or_b32_e32 v32, 0x100, v0
	s_mov_b32 s0, exec_lo
	v_cmpx_gt_u32_e64 s33, v32
	s_cbranch_execz .LBB74_304
; %bb.303:
	v_add_co_u32 v32, vcc_lo, 0x800, v30
	v_add_co_ci_u32_e64 v33, null, 0, v31, vcc_lo
	s_waitcnt lgkmcnt(5)
	global_store_dwordx2 v[32:33], v[10:11], off
.LBB74_304:
	s_or_b32 exec_lo, exec_lo, s0
	v_or_b32_e32 v32, 0x180, v0
	s_mov_b32 s0, exec_lo
	v_cmpx_gt_u32_e64 s33, v32
	s_cbranch_execz .LBB74_306
; %bb.305:
	v_add_co_u32 v32, vcc_lo, 0x800, v30
	v_add_co_ci_u32_e64 v33, null, 0, v31, vcc_lo
	s_waitcnt lgkmcnt(5)
	global_store_dwordx2 v[32:33], v[12:13], off offset:1024
.LBB74_306:
	s_or_b32 exec_lo, exec_lo, s0
	v_or_b32_e32 v32, 0x200, v0
	s_mov_b32 s0, exec_lo
	v_cmpx_gt_u32_e64 s33, v32
	s_cbranch_execz .LBB74_308
; %bb.307:
	v_add_co_u32 v32, vcc_lo, 0x1000, v30
	v_add_co_ci_u32_e64 v33, null, 0, v31, vcc_lo
	s_waitcnt lgkmcnt(4)
	global_store_dwordx2 v[32:33], v[14:15], off
.LBB74_308:
	s_or_b32 exec_lo, exec_lo, s0
	v_or_b32_e32 v32, 0x280, v0
	s_mov_b32 s0, exec_lo
	v_cmpx_gt_u32_e64 s33, v32
	s_cbranch_execz .LBB74_310
; %bb.309:
	v_add_co_u32 v32, vcc_lo, 0x1000, v30
	v_add_co_ci_u32_e64 v33, null, 0, v31, vcc_lo
	s_waitcnt lgkmcnt(4)
	global_store_dwordx2 v[32:33], v[16:17], off offset:1024
.LBB74_310:
	;; [unrolled: 22-line block ×6, first 2 shown]
	s_or_b32 exec_lo, exec_lo, s0
	v_cmp_lt_u64_e64 s0, s[26:27], 2
	s_and_b32 vcc_lo, exec_lo, s0
	s_cbranch_vccnz .LBB74_377
; %bb.327:
	s_add_u32 s0, s33, -1
	s_addc_u32 s1, s84, -1
	s_lshr_b64 s[2:3], s[0:1], 1
	s_lshr_b32 s3, s1, 1
	s_mul_hi_u32 s4, s2, 0x49249249
	s_mul_i32 s5, s2, 0x49249249
	s_mul_i32 s6, s3, 0x24924925
	s_mul_hi_u32 s2, s2, 0x24924925
	s_mul_hi_u32 s7, s3, 0x24924925
	s_add_u32 s2, s6, s2
	s_addc_u32 s6, s7, 0
	s_add_u32 s2, s5, s2
	s_addc_u32 s2, s4, 0
	s_mul_i32 s5, s3, 0x49249249
	s_add_u32 s2, s6, s2
	s_addc_u32 s4, 0, 0
	s_mul_hi_u32 s3, s3, 0x49249249
	s_add_u32 s2, s5, s2
	s_addc_u32 s3, s3, s4
	s_lshr_b64 s[2:3], s[2:3], 1
	v_cmp_eq_u64_e32 vcc_lo, s[2:3], v[0:1]
	s_and_saveexec_b32 s2, vcc_lo
	s_cbranch_execz .LBB74_377
; %bb.328:
	v_mul_u32_u24_e32 v1, 14, v0
	v_mul_hi_u32_u24_e32 v30, 14, v0
	v_sub_co_u32 v0, vcc_lo, s0, v1
	v_sub_co_ci_u32_e64 v1, null, s1, v30, vcc_lo
	s_mov_b32 s0, exec_lo
	v_cmpx_lt_i64_e32 6, v[0:1]
	s_xor_b32 s0, exec_lo, s0
	s_cbranch_execz .LBB74_354
; %bb.329:
	s_mov_b32 s1, exec_lo
	v_cmpx_lt_i64_e32 9, v[0:1]
	s_xor_b32 s1, exec_lo, s1
	s_cbranch_execz .LBB74_343
; %bb.330:
	;; [unrolled: 5-line block ×4, first 2 shown]
	v_mov_b32_e32 v0, 0
	s_waitcnt lgkmcnt(0)
	global_store_dwordx2 v0, v[28:29], s[22:23]
                                        ; implicit-def: $vgpr26_vgpr27_vgpr28_vgpr29
.LBB74_333:
	s_andn2_saveexec_b32 s3, s3
	s_cbranch_execz .LBB74_335
; %bb.334:
	v_mov_b32_e32 v0, 0
	s_waitcnt lgkmcnt(0)
	global_store_dwordx2 v0, v[26:27], s[22:23]
.LBB74_335:
	s_or_b32 exec_lo, exec_lo, s3
                                        ; implicit-def: $vgpr18_vgpr19_vgpr20_vgpr21
                                        ; implicit-def: $vgpr0_vgpr1
.LBB74_336:
	s_andn2_saveexec_b32 s2, s2
	s_cbranch_execz .LBB74_342
; %bb.337:
	s_mov_b32 s3, exec_lo
	v_cmpx_lt_i64_e32 10, v[0:1]
	s_xor_b32 s3, exec_lo, s3
	s_cbranch_execz .LBB74_339
; %bb.338:
	v_mov_b32_e32 v0, 0
	s_waitcnt lgkmcnt(1)
	global_store_dwordx2 v0, v[20:21], s[22:23]
                                        ; implicit-def: $vgpr18_vgpr19_vgpr20_vgpr21
.LBB74_339:
	s_andn2_saveexec_b32 s3, s3
	s_cbranch_execz .LBB74_341
; %bb.340:
	v_mov_b32_e32 v0, 0
	s_waitcnt lgkmcnt(1)
	global_store_dwordx2 v0, v[18:19], s[22:23]
.LBB74_341:
	s_or_b32 exec_lo, exec_lo, s3
.LBB74_342:
	s_or_b32 exec_lo, exec_lo, s2
                                        ; implicit-def: $vgpr2_vgpr3_vgpr4_vgpr5
                                        ; implicit-def: $vgpr0_vgpr1
                                        ; implicit-def: $vgpr22_vgpr23_vgpr24_vgpr25
.LBB74_343:
	s_andn2_saveexec_b32 s1, s1
	s_cbranch_execz .LBB74_353
; %bb.344:
	s_mov_b32 s2, exec_lo
	v_cmpx_lt_i64_e32 7, v[0:1]
	s_xor_b32 s2, exec_lo, s2
	s_cbranch_execz .LBB74_350
; %bb.345:
	s_mov_b32 s3, exec_lo
	v_cmpx_lt_i64_e32 8, v[0:1]
	s_xor_b32 s3, exec_lo, s3
	s_cbranch_execz .LBB74_347
; %bb.346:
	v_mov_b32_e32 v0, 0
	s_waitcnt lgkmcnt(2)
	global_store_dwordx2 v0, v[24:25], s[22:23]
                                        ; implicit-def: $vgpr22_vgpr23_vgpr24_vgpr25
.LBB74_347:
	s_andn2_saveexec_b32 s3, s3
	s_cbranch_execz .LBB74_349
; %bb.348:
	v_mov_b32_e32 v0, 0
	s_waitcnt lgkmcnt(2)
	global_store_dwordx2 v0, v[22:23], s[22:23]
.LBB74_349:
	s_or_b32 exec_lo, exec_lo, s3
                                        ; implicit-def: $vgpr2_vgpr3_vgpr4_vgpr5
.LBB74_350:
	s_andn2_saveexec_b32 s2, s2
	s_cbranch_execz .LBB74_352
; %bb.351:
	v_mov_b32_e32 v0, 0
	s_waitcnt lgkmcnt(3)
	global_store_dwordx2 v0, v[4:5], s[22:23]
.LBB74_352:
	s_or_b32 exec_lo, exec_lo, s2
.LBB74_353:
	s_or_b32 exec_lo, exec_lo, s1
                                        ; implicit-def: $vgpr0_vgpr1
                                        ; implicit-def: $vgpr14_vgpr15_vgpr16_vgpr17
                                        ; implicit-def: $vgpr6_vgpr7_vgpr8_vgpr9
                                        ; implicit-def: $vgpr10_vgpr11_vgpr12_vgpr13
                                        ; implicit-def: $vgpr2_vgpr3_vgpr4_vgpr5
.LBB74_354:
	s_andn2_saveexec_b32 s0, s0
	s_cbranch_execz .LBB74_377
; %bb.355:
	s_mov_b32 s0, exec_lo
	v_cmpx_lt_i64_e32 3, v[0:1]
	s_xor_b32 s0, exec_lo, s0
	s_cbranch_execz .LBB74_365
; %bb.356:
	s_mov_b32 s1, exec_lo
	v_cmpx_lt_i64_e32 4, v[0:1]
	s_xor_b32 s1, exec_lo, s1
	;; [unrolled: 5-line block ×3, first 2 shown]
	s_cbranch_execz .LBB74_359
; %bb.358:
	v_mov_b32_e32 v0, 0
                                        ; implicit-def: $vgpr14_vgpr15_vgpr16_vgpr17
	s_waitcnt lgkmcnt(3)
	global_store_dwordx2 v0, v[2:3], s[22:23]
.LBB74_359:
	s_andn2_saveexec_b32 s2, s2
	s_cbranch_execz .LBB74_361
; %bb.360:
	v_mov_b32_e32 v0, 0
	s_waitcnt lgkmcnt(4)
	global_store_dwordx2 v0, v[16:17], s[22:23]
.LBB74_361:
	s_or_b32 exec_lo, exec_lo, s2
                                        ; implicit-def: $vgpr14_vgpr15_vgpr16_vgpr17
.LBB74_362:
	s_andn2_saveexec_b32 s1, s1
	s_cbranch_execz .LBB74_364
; %bb.363:
	v_mov_b32_e32 v0, 0
	s_waitcnt lgkmcnt(4)
	global_store_dwordx2 v0, v[14:15], s[22:23]
.LBB74_364:
	s_or_b32 exec_lo, exec_lo, s1
                                        ; implicit-def: $vgpr0_vgpr1
                                        ; implicit-def: $vgpr6_vgpr7_vgpr8_vgpr9
                                        ; implicit-def: $vgpr10_vgpr11_vgpr12_vgpr13
.LBB74_365:
	s_andn2_saveexec_b32 s0, s0
	s_cbranch_execz .LBB74_377
; %bb.366:
	s_mov_b32 s0, exec_lo
	v_cmpx_lt_i64_e32 1, v[0:1]
	s_xor_b32 s0, exec_lo, s0
	s_cbranch_execz .LBB74_372
; %bb.367:
	s_mov_b32 s1, exec_lo
	v_cmpx_lt_i64_e32 2, v[0:1]
	s_xor_b32 s1, exec_lo, s1
	s_cbranch_execz .LBB74_369
; %bb.368:
	v_mov_b32_e32 v0, 0
	s_waitcnt lgkmcnt(5)
	global_store_dwordx2 v0, v[12:13], s[22:23]
                                        ; implicit-def: $vgpr10_vgpr11_vgpr12_vgpr13
.LBB74_369:
	s_andn2_saveexec_b32 s1, s1
	s_cbranch_execz .LBB74_371
; %bb.370:
	v_mov_b32_e32 v0, 0
	s_waitcnt lgkmcnt(5)
	global_store_dwordx2 v0, v[10:11], s[22:23]
.LBB74_371:
	s_or_b32 exec_lo, exec_lo, s1
                                        ; implicit-def: $vgpr6_vgpr7_vgpr8_vgpr9
                                        ; implicit-def: $vgpr0_vgpr1
.LBB74_372:
	s_andn2_saveexec_b32 s0, s0
	s_cbranch_execz .LBB74_377
; %bb.373:
	s_mov_b32 s0, exec_lo
	v_cmpx_ne_u64_e32 1, v[0:1]
	s_xor_b32 s0, exec_lo, s0
	s_cbranch_execz .LBB74_375
; %bb.374:
	v_mov_b32_e32 v0, 0
	s_waitcnt lgkmcnt(6)
	global_store_dwordx2 v0, v[6:7], s[22:23]
                                        ; implicit-def: $vgpr6_vgpr7_vgpr8_vgpr9
.LBB74_375:
	s_andn2_saveexec_b32 s0, s0
	s_cbranch_execz .LBB74_377
; %bb.376:
	v_mov_b32_e32 v0, 0
	s_waitcnt lgkmcnt(6)
	global_store_dwordx2 v0, v[8:9], s[22:23]
.LBB74_377:
	s_endpgm
	.section	.rodata,"a",@progbits
	.p2align	6, 0x0
	.amdhsa_kernel _ZN7rocprim17ROCPRIM_400000_NS6detail17trampoline_kernelINS0_14default_configENS1_20scan_config_selectorIdEEZZNS1_9scan_implILNS1_25lookback_scan_determinismE0ELb0ELb0ES3_PKdPddZZZN2at6native31launch_logcumsumexp_cuda_kernelERKNSB_10TensorBaseESF_lENKUlvE_clEvENKUlvE_clEvEUlddE_dEEDaPvRmT3_T4_T5_mT6_P12ihipStream_tbENKUlT_T0_E_clISt17integral_constantIbLb0EESV_IbLb1EEEEDaSR_SS_EUlSR_E_NS1_11comp_targetILNS1_3genE8ELNS1_11target_archE1030ELNS1_3gpuE2ELNS1_3repE0EEENS1_30default_config_static_selectorELNS0_4arch9wavefront6targetE0EEEvT1_
		.amdhsa_group_segment_fixed_size 14336
		.amdhsa_private_segment_fixed_size 0
		.amdhsa_kernarg_size 104
		.amdhsa_user_sgpr_count 6
		.amdhsa_user_sgpr_private_segment_buffer 1
		.amdhsa_user_sgpr_dispatch_ptr 0
		.amdhsa_user_sgpr_queue_ptr 0
		.amdhsa_user_sgpr_kernarg_segment_ptr 1
		.amdhsa_user_sgpr_dispatch_id 0
		.amdhsa_user_sgpr_flat_scratch_init 0
		.amdhsa_user_sgpr_private_segment_size 0
		.amdhsa_wavefront_size32 1
		.amdhsa_uses_dynamic_stack 0
		.amdhsa_system_sgpr_private_segment_wavefront_offset 0
		.amdhsa_system_sgpr_workgroup_id_x 1
		.amdhsa_system_sgpr_workgroup_id_y 0
		.amdhsa_system_sgpr_workgroup_id_z 0
		.amdhsa_system_sgpr_workgroup_info 0
		.amdhsa_system_vgpr_workitem_id 0
		.amdhsa_next_free_vgpr 110
		.amdhsa_next_free_sgpr 89
		.amdhsa_reserve_vcc 1
		.amdhsa_reserve_flat_scratch 0
		.amdhsa_float_round_mode_32 0
		.amdhsa_float_round_mode_16_64 0
		.amdhsa_float_denorm_mode_32 3
		.amdhsa_float_denorm_mode_16_64 3
		.amdhsa_dx10_clamp 1
		.amdhsa_ieee_mode 1
		.amdhsa_fp16_overflow 0
		.amdhsa_workgroup_processor_mode 1
		.amdhsa_memory_ordered 1
		.amdhsa_forward_progress 1
		.amdhsa_shared_vgpr_count 0
		.amdhsa_exception_fp_ieee_invalid_op 0
		.amdhsa_exception_fp_denorm_src 0
		.amdhsa_exception_fp_ieee_div_zero 0
		.amdhsa_exception_fp_ieee_overflow 0
		.amdhsa_exception_fp_ieee_underflow 0
		.amdhsa_exception_fp_ieee_inexact 0
		.amdhsa_exception_int_div_zero 0
	.end_amdhsa_kernel
	.section	.text._ZN7rocprim17ROCPRIM_400000_NS6detail17trampoline_kernelINS0_14default_configENS1_20scan_config_selectorIdEEZZNS1_9scan_implILNS1_25lookback_scan_determinismE0ELb0ELb0ES3_PKdPddZZZN2at6native31launch_logcumsumexp_cuda_kernelERKNSB_10TensorBaseESF_lENKUlvE_clEvENKUlvE_clEvEUlddE_dEEDaPvRmT3_T4_T5_mT6_P12ihipStream_tbENKUlT_T0_E_clISt17integral_constantIbLb0EESV_IbLb1EEEEDaSR_SS_EUlSR_E_NS1_11comp_targetILNS1_3genE8ELNS1_11target_archE1030ELNS1_3gpuE2ELNS1_3repE0EEENS1_30default_config_static_selectorELNS0_4arch9wavefront6targetE0EEEvT1_,"axG",@progbits,_ZN7rocprim17ROCPRIM_400000_NS6detail17trampoline_kernelINS0_14default_configENS1_20scan_config_selectorIdEEZZNS1_9scan_implILNS1_25lookback_scan_determinismE0ELb0ELb0ES3_PKdPddZZZN2at6native31launch_logcumsumexp_cuda_kernelERKNSB_10TensorBaseESF_lENKUlvE_clEvENKUlvE_clEvEUlddE_dEEDaPvRmT3_T4_T5_mT6_P12ihipStream_tbENKUlT_T0_E_clISt17integral_constantIbLb0EESV_IbLb1EEEEDaSR_SS_EUlSR_E_NS1_11comp_targetILNS1_3genE8ELNS1_11target_archE1030ELNS1_3gpuE2ELNS1_3repE0EEENS1_30default_config_static_selectorELNS0_4arch9wavefront6targetE0EEEvT1_,comdat
.Lfunc_end74:
	.size	_ZN7rocprim17ROCPRIM_400000_NS6detail17trampoline_kernelINS0_14default_configENS1_20scan_config_selectorIdEEZZNS1_9scan_implILNS1_25lookback_scan_determinismE0ELb0ELb0ES3_PKdPddZZZN2at6native31launch_logcumsumexp_cuda_kernelERKNSB_10TensorBaseESF_lENKUlvE_clEvENKUlvE_clEvEUlddE_dEEDaPvRmT3_T4_T5_mT6_P12ihipStream_tbENKUlT_T0_E_clISt17integral_constantIbLb0EESV_IbLb1EEEEDaSR_SS_EUlSR_E_NS1_11comp_targetILNS1_3genE8ELNS1_11target_archE1030ELNS1_3gpuE2ELNS1_3repE0EEENS1_30default_config_static_selectorELNS0_4arch9wavefront6targetE0EEEvT1_, .Lfunc_end74-_ZN7rocprim17ROCPRIM_400000_NS6detail17trampoline_kernelINS0_14default_configENS1_20scan_config_selectorIdEEZZNS1_9scan_implILNS1_25lookback_scan_determinismE0ELb0ELb0ES3_PKdPddZZZN2at6native31launch_logcumsumexp_cuda_kernelERKNSB_10TensorBaseESF_lENKUlvE_clEvENKUlvE_clEvEUlddE_dEEDaPvRmT3_T4_T5_mT6_P12ihipStream_tbENKUlT_T0_E_clISt17integral_constantIbLb0EESV_IbLb1EEEEDaSR_SS_EUlSR_E_NS1_11comp_targetILNS1_3genE8ELNS1_11target_archE1030ELNS1_3gpuE2ELNS1_3repE0EEENS1_30default_config_static_selectorELNS0_4arch9wavefront6targetE0EEEvT1_
                                        ; -- End function
	.set _ZN7rocprim17ROCPRIM_400000_NS6detail17trampoline_kernelINS0_14default_configENS1_20scan_config_selectorIdEEZZNS1_9scan_implILNS1_25lookback_scan_determinismE0ELb0ELb0ES3_PKdPddZZZN2at6native31launch_logcumsumexp_cuda_kernelERKNSB_10TensorBaseESF_lENKUlvE_clEvENKUlvE_clEvEUlddE_dEEDaPvRmT3_T4_T5_mT6_P12ihipStream_tbENKUlT_T0_E_clISt17integral_constantIbLb0EESV_IbLb1EEEEDaSR_SS_EUlSR_E_NS1_11comp_targetILNS1_3genE8ELNS1_11target_archE1030ELNS1_3gpuE2ELNS1_3repE0EEENS1_30default_config_static_selectorELNS0_4arch9wavefront6targetE0EEEvT1_.num_vgpr, 110
	.set _ZN7rocprim17ROCPRIM_400000_NS6detail17trampoline_kernelINS0_14default_configENS1_20scan_config_selectorIdEEZZNS1_9scan_implILNS1_25lookback_scan_determinismE0ELb0ELb0ES3_PKdPddZZZN2at6native31launch_logcumsumexp_cuda_kernelERKNSB_10TensorBaseESF_lENKUlvE_clEvENKUlvE_clEvEUlddE_dEEDaPvRmT3_T4_T5_mT6_P12ihipStream_tbENKUlT_T0_E_clISt17integral_constantIbLb0EESV_IbLb1EEEEDaSR_SS_EUlSR_E_NS1_11comp_targetILNS1_3genE8ELNS1_11target_archE1030ELNS1_3gpuE2ELNS1_3repE0EEENS1_30default_config_static_selectorELNS0_4arch9wavefront6targetE0EEEvT1_.num_agpr, 0
	.set _ZN7rocprim17ROCPRIM_400000_NS6detail17trampoline_kernelINS0_14default_configENS1_20scan_config_selectorIdEEZZNS1_9scan_implILNS1_25lookback_scan_determinismE0ELb0ELb0ES3_PKdPddZZZN2at6native31launch_logcumsumexp_cuda_kernelERKNSB_10TensorBaseESF_lENKUlvE_clEvENKUlvE_clEvEUlddE_dEEDaPvRmT3_T4_T5_mT6_P12ihipStream_tbENKUlT_T0_E_clISt17integral_constantIbLb0EESV_IbLb1EEEEDaSR_SS_EUlSR_E_NS1_11comp_targetILNS1_3genE8ELNS1_11target_archE1030ELNS1_3gpuE2ELNS1_3repE0EEENS1_30default_config_static_selectorELNS0_4arch9wavefront6targetE0EEEvT1_.numbered_sgpr, 89
	.set _ZN7rocprim17ROCPRIM_400000_NS6detail17trampoline_kernelINS0_14default_configENS1_20scan_config_selectorIdEEZZNS1_9scan_implILNS1_25lookback_scan_determinismE0ELb0ELb0ES3_PKdPddZZZN2at6native31launch_logcumsumexp_cuda_kernelERKNSB_10TensorBaseESF_lENKUlvE_clEvENKUlvE_clEvEUlddE_dEEDaPvRmT3_T4_T5_mT6_P12ihipStream_tbENKUlT_T0_E_clISt17integral_constantIbLb0EESV_IbLb1EEEEDaSR_SS_EUlSR_E_NS1_11comp_targetILNS1_3genE8ELNS1_11target_archE1030ELNS1_3gpuE2ELNS1_3repE0EEENS1_30default_config_static_selectorELNS0_4arch9wavefront6targetE0EEEvT1_.num_named_barrier, 0
	.set _ZN7rocprim17ROCPRIM_400000_NS6detail17trampoline_kernelINS0_14default_configENS1_20scan_config_selectorIdEEZZNS1_9scan_implILNS1_25lookback_scan_determinismE0ELb0ELb0ES3_PKdPddZZZN2at6native31launch_logcumsumexp_cuda_kernelERKNSB_10TensorBaseESF_lENKUlvE_clEvENKUlvE_clEvEUlddE_dEEDaPvRmT3_T4_T5_mT6_P12ihipStream_tbENKUlT_T0_E_clISt17integral_constantIbLb0EESV_IbLb1EEEEDaSR_SS_EUlSR_E_NS1_11comp_targetILNS1_3genE8ELNS1_11target_archE1030ELNS1_3gpuE2ELNS1_3repE0EEENS1_30default_config_static_selectorELNS0_4arch9wavefront6targetE0EEEvT1_.private_seg_size, 0
	.set _ZN7rocprim17ROCPRIM_400000_NS6detail17trampoline_kernelINS0_14default_configENS1_20scan_config_selectorIdEEZZNS1_9scan_implILNS1_25lookback_scan_determinismE0ELb0ELb0ES3_PKdPddZZZN2at6native31launch_logcumsumexp_cuda_kernelERKNSB_10TensorBaseESF_lENKUlvE_clEvENKUlvE_clEvEUlddE_dEEDaPvRmT3_T4_T5_mT6_P12ihipStream_tbENKUlT_T0_E_clISt17integral_constantIbLb0EESV_IbLb1EEEEDaSR_SS_EUlSR_E_NS1_11comp_targetILNS1_3genE8ELNS1_11target_archE1030ELNS1_3gpuE2ELNS1_3repE0EEENS1_30default_config_static_selectorELNS0_4arch9wavefront6targetE0EEEvT1_.uses_vcc, 1
	.set _ZN7rocprim17ROCPRIM_400000_NS6detail17trampoline_kernelINS0_14default_configENS1_20scan_config_selectorIdEEZZNS1_9scan_implILNS1_25lookback_scan_determinismE0ELb0ELb0ES3_PKdPddZZZN2at6native31launch_logcumsumexp_cuda_kernelERKNSB_10TensorBaseESF_lENKUlvE_clEvENKUlvE_clEvEUlddE_dEEDaPvRmT3_T4_T5_mT6_P12ihipStream_tbENKUlT_T0_E_clISt17integral_constantIbLb0EESV_IbLb1EEEEDaSR_SS_EUlSR_E_NS1_11comp_targetILNS1_3genE8ELNS1_11target_archE1030ELNS1_3gpuE2ELNS1_3repE0EEENS1_30default_config_static_selectorELNS0_4arch9wavefront6targetE0EEEvT1_.uses_flat_scratch, 0
	.set _ZN7rocprim17ROCPRIM_400000_NS6detail17trampoline_kernelINS0_14default_configENS1_20scan_config_selectorIdEEZZNS1_9scan_implILNS1_25lookback_scan_determinismE0ELb0ELb0ES3_PKdPddZZZN2at6native31launch_logcumsumexp_cuda_kernelERKNSB_10TensorBaseESF_lENKUlvE_clEvENKUlvE_clEvEUlddE_dEEDaPvRmT3_T4_T5_mT6_P12ihipStream_tbENKUlT_T0_E_clISt17integral_constantIbLb0EESV_IbLb1EEEEDaSR_SS_EUlSR_E_NS1_11comp_targetILNS1_3genE8ELNS1_11target_archE1030ELNS1_3gpuE2ELNS1_3repE0EEENS1_30default_config_static_selectorELNS0_4arch9wavefront6targetE0EEEvT1_.has_dyn_sized_stack, 0
	.set _ZN7rocprim17ROCPRIM_400000_NS6detail17trampoline_kernelINS0_14default_configENS1_20scan_config_selectorIdEEZZNS1_9scan_implILNS1_25lookback_scan_determinismE0ELb0ELb0ES3_PKdPddZZZN2at6native31launch_logcumsumexp_cuda_kernelERKNSB_10TensorBaseESF_lENKUlvE_clEvENKUlvE_clEvEUlddE_dEEDaPvRmT3_T4_T5_mT6_P12ihipStream_tbENKUlT_T0_E_clISt17integral_constantIbLb0EESV_IbLb1EEEEDaSR_SS_EUlSR_E_NS1_11comp_targetILNS1_3genE8ELNS1_11target_archE1030ELNS1_3gpuE2ELNS1_3repE0EEENS1_30default_config_static_selectorELNS0_4arch9wavefront6targetE0EEEvT1_.has_recursion, 0
	.set _ZN7rocprim17ROCPRIM_400000_NS6detail17trampoline_kernelINS0_14default_configENS1_20scan_config_selectorIdEEZZNS1_9scan_implILNS1_25lookback_scan_determinismE0ELb0ELb0ES3_PKdPddZZZN2at6native31launch_logcumsumexp_cuda_kernelERKNSB_10TensorBaseESF_lENKUlvE_clEvENKUlvE_clEvEUlddE_dEEDaPvRmT3_T4_T5_mT6_P12ihipStream_tbENKUlT_T0_E_clISt17integral_constantIbLb0EESV_IbLb1EEEEDaSR_SS_EUlSR_E_NS1_11comp_targetILNS1_3genE8ELNS1_11target_archE1030ELNS1_3gpuE2ELNS1_3repE0EEENS1_30default_config_static_selectorELNS0_4arch9wavefront6targetE0EEEvT1_.has_indirect_call, 0
	.section	.AMDGPU.csdata,"",@progbits
; Kernel info:
; codeLenInByte = 139544
; TotalNumSgprs: 91
; NumVgprs: 110
; ScratchSize: 0
; MemoryBound: 0
; FloatMode: 240
; IeeeMode: 1
; LDSByteSize: 14336 bytes/workgroup (compile time only)
; SGPRBlocks: 0
; VGPRBlocks: 13
; NumSGPRsForWavesPerEU: 91
; NumVGPRsForWavesPerEU: 110
; Occupancy: 9
; WaveLimiterHint : 1
; COMPUTE_PGM_RSRC2:SCRATCH_EN: 0
; COMPUTE_PGM_RSRC2:USER_SGPR: 6
; COMPUTE_PGM_RSRC2:TRAP_HANDLER: 0
; COMPUTE_PGM_RSRC2:TGID_X_EN: 1
; COMPUTE_PGM_RSRC2:TGID_Y_EN: 0
; COMPUTE_PGM_RSRC2:TGID_Z_EN: 0
; COMPUTE_PGM_RSRC2:TIDIG_COMP_CNT: 0
	.section	.text._ZN7rocprim17ROCPRIM_400000_NS6detail17trampoline_kernelINS0_14default_configENS1_20scan_config_selectorIdEEZZNS1_9scan_implILNS1_25lookback_scan_determinismE0ELb0ELb0ES3_PKdPddZZZN2at6native31launch_logcumsumexp_cuda_kernelERKNSB_10TensorBaseESF_lENKUlvE_clEvENKUlvE_clEvEUlddE_dEEDaPvRmT3_T4_T5_mT6_P12ihipStream_tbENKUlT_T0_E_clISt17integral_constantIbLb0EESV_IbLb1EEEEDaSR_SS_EUlSR_E0_NS1_11comp_targetILNS1_3genE0ELNS1_11target_archE4294967295ELNS1_3gpuE0ELNS1_3repE0EEENS1_30default_config_static_selectorELNS0_4arch9wavefront6targetE0EEEvT1_,"axG",@progbits,_ZN7rocprim17ROCPRIM_400000_NS6detail17trampoline_kernelINS0_14default_configENS1_20scan_config_selectorIdEEZZNS1_9scan_implILNS1_25lookback_scan_determinismE0ELb0ELb0ES3_PKdPddZZZN2at6native31launch_logcumsumexp_cuda_kernelERKNSB_10TensorBaseESF_lENKUlvE_clEvENKUlvE_clEvEUlddE_dEEDaPvRmT3_T4_T5_mT6_P12ihipStream_tbENKUlT_T0_E_clISt17integral_constantIbLb0EESV_IbLb1EEEEDaSR_SS_EUlSR_E0_NS1_11comp_targetILNS1_3genE0ELNS1_11target_archE4294967295ELNS1_3gpuE0ELNS1_3repE0EEENS1_30default_config_static_selectorELNS0_4arch9wavefront6targetE0EEEvT1_,comdat
	.globl	_ZN7rocprim17ROCPRIM_400000_NS6detail17trampoline_kernelINS0_14default_configENS1_20scan_config_selectorIdEEZZNS1_9scan_implILNS1_25lookback_scan_determinismE0ELb0ELb0ES3_PKdPddZZZN2at6native31launch_logcumsumexp_cuda_kernelERKNSB_10TensorBaseESF_lENKUlvE_clEvENKUlvE_clEvEUlddE_dEEDaPvRmT3_T4_T5_mT6_P12ihipStream_tbENKUlT_T0_E_clISt17integral_constantIbLb0EESV_IbLb1EEEEDaSR_SS_EUlSR_E0_NS1_11comp_targetILNS1_3genE0ELNS1_11target_archE4294967295ELNS1_3gpuE0ELNS1_3repE0EEENS1_30default_config_static_selectorELNS0_4arch9wavefront6targetE0EEEvT1_ ; -- Begin function _ZN7rocprim17ROCPRIM_400000_NS6detail17trampoline_kernelINS0_14default_configENS1_20scan_config_selectorIdEEZZNS1_9scan_implILNS1_25lookback_scan_determinismE0ELb0ELb0ES3_PKdPddZZZN2at6native31launch_logcumsumexp_cuda_kernelERKNSB_10TensorBaseESF_lENKUlvE_clEvENKUlvE_clEvEUlddE_dEEDaPvRmT3_T4_T5_mT6_P12ihipStream_tbENKUlT_T0_E_clISt17integral_constantIbLb0EESV_IbLb1EEEEDaSR_SS_EUlSR_E0_NS1_11comp_targetILNS1_3genE0ELNS1_11target_archE4294967295ELNS1_3gpuE0ELNS1_3repE0EEENS1_30default_config_static_selectorELNS0_4arch9wavefront6targetE0EEEvT1_
	.p2align	8
	.type	_ZN7rocprim17ROCPRIM_400000_NS6detail17trampoline_kernelINS0_14default_configENS1_20scan_config_selectorIdEEZZNS1_9scan_implILNS1_25lookback_scan_determinismE0ELb0ELb0ES3_PKdPddZZZN2at6native31launch_logcumsumexp_cuda_kernelERKNSB_10TensorBaseESF_lENKUlvE_clEvENKUlvE_clEvEUlddE_dEEDaPvRmT3_T4_T5_mT6_P12ihipStream_tbENKUlT_T0_E_clISt17integral_constantIbLb0EESV_IbLb1EEEEDaSR_SS_EUlSR_E0_NS1_11comp_targetILNS1_3genE0ELNS1_11target_archE4294967295ELNS1_3gpuE0ELNS1_3repE0EEENS1_30default_config_static_selectorELNS0_4arch9wavefront6targetE0EEEvT1_,@function
_ZN7rocprim17ROCPRIM_400000_NS6detail17trampoline_kernelINS0_14default_configENS1_20scan_config_selectorIdEEZZNS1_9scan_implILNS1_25lookback_scan_determinismE0ELb0ELb0ES3_PKdPddZZZN2at6native31launch_logcumsumexp_cuda_kernelERKNSB_10TensorBaseESF_lENKUlvE_clEvENKUlvE_clEvEUlddE_dEEDaPvRmT3_T4_T5_mT6_P12ihipStream_tbENKUlT_T0_E_clISt17integral_constantIbLb0EESV_IbLb1EEEEDaSR_SS_EUlSR_E0_NS1_11comp_targetILNS1_3genE0ELNS1_11target_archE4294967295ELNS1_3gpuE0ELNS1_3repE0EEENS1_30default_config_static_selectorELNS0_4arch9wavefront6targetE0EEEvT1_: ; @_ZN7rocprim17ROCPRIM_400000_NS6detail17trampoline_kernelINS0_14default_configENS1_20scan_config_selectorIdEEZZNS1_9scan_implILNS1_25lookback_scan_determinismE0ELb0ELb0ES3_PKdPddZZZN2at6native31launch_logcumsumexp_cuda_kernelERKNSB_10TensorBaseESF_lENKUlvE_clEvENKUlvE_clEvEUlddE_dEEDaPvRmT3_T4_T5_mT6_P12ihipStream_tbENKUlT_T0_E_clISt17integral_constantIbLb0EESV_IbLb1EEEEDaSR_SS_EUlSR_E0_NS1_11comp_targetILNS1_3genE0ELNS1_11target_archE4294967295ELNS1_3gpuE0ELNS1_3repE0EEENS1_30default_config_static_selectorELNS0_4arch9wavefront6targetE0EEEvT1_
; %bb.0:
	.section	.rodata,"a",@progbits
	.p2align	6, 0x0
	.amdhsa_kernel _ZN7rocprim17ROCPRIM_400000_NS6detail17trampoline_kernelINS0_14default_configENS1_20scan_config_selectorIdEEZZNS1_9scan_implILNS1_25lookback_scan_determinismE0ELb0ELb0ES3_PKdPddZZZN2at6native31launch_logcumsumexp_cuda_kernelERKNSB_10TensorBaseESF_lENKUlvE_clEvENKUlvE_clEvEUlddE_dEEDaPvRmT3_T4_T5_mT6_P12ihipStream_tbENKUlT_T0_E_clISt17integral_constantIbLb0EESV_IbLb1EEEEDaSR_SS_EUlSR_E0_NS1_11comp_targetILNS1_3genE0ELNS1_11target_archE4294967295ELNS1_3gpuE0ELNS1_3repE0EEENS1_30default_config_static_selectorELNS0_4arch9wavefront6targetE0EEEvT1_
		.amdhsa_group_segment_fixed_size 0
		.amdhsa_private_segment_fixed_size 0
		.amdhsa_kernarg_size 40
		.amdhsa_user_sgpr_count 6
		.amdhsa_user_sgpr_private_segment_buffer 1
		.amdhsa_user_sgpr_dispatch_ptr 0
		.amdhsa_user_sgpr_queue_ptr 0
		.amdhsa_user_sgpr_kernarg_segment_ptr 1
		.amdhsa_user_sgpr_dispatch_id 0
		.amdhsa_user_sgpr_flat_scratch_init 0
		.amdhsa_user_sgpr_private_segment_size 0
		.amdhsa_wavefront_size32 1
		.amdhsa_uses_dynamic_stack 0
		.amdhsa_system_sgpr_private_segment_wavefront_offset 0
		.amdhsa_system_sgpr_workgroup_id_x 1
		.amdhsa_system_sgpr_workgroup_id_y 0
		.amdhsa_system_sgpr_workgroup_id_z 0
		.amdhsa_system_sgpr_workgroup_info 0
		.amdhsa_system_vgpr_workitem_id 0
		.amdhsa_next_free_vgpr 1
		.amdhsa_next_free_sgpr 1
		.amdhsa_reserve_vcc 0
		.amdhsa_reserve_flat_scratch 0
		.amdhsa_float_round_mode_32 0
		.amdhsa_float_round_mode_16_64 0
		.amdhsa_float_denorm_mode_32 3
		.amdhsa_float_denorm_mode_16_64 3
		.amdhsa_dx10_clamp 1
		.amdhsa_ieee_mode 1
		.amdhsa_fp16_overflow 0
		.amdhsa_workgroup_processor_mode 1
		.amdhsa_memory_ordered 1
		.amdhsa_forward_progress 1
		.amdhsa_shared_vgpr_count 0
		.amdhsa_exception_fp_ieee_invalid_op 0
		.amdhsa_exception_fp_denorm_src 0
		.amdhsa_exception_fp_ieee_div_zero 0
		.amdhsa_exception_fp_ieee_overflow 0
		.amdhsa_exception_fp_ieee_underflow 0
		.amdhsa_exception_fp_ieee_inexact 0
		.amdhsa_exception_int_div_zero 0
	.end_amdhsa_kernel
	.section	.text._ZN7rocprim17ROCPRIM_400000_NS6detail17trampoline_kernelINS0_14default_configENS1_20scan_config_selectorIdEEZZNS1_9scan_implILNS1_25lookback_scan_determinismE0ELb0ELb0ES3_PKdPddZZZN2at6native31launch_logcumsumexp_cuda_kernelERKNSB_10TensorBaseESF_lENKUlvE_clEvENKUlvE_clEvEUlddE_dEEDaPvRmT3_T4_T5_mT6_P12ihipStream_tbENKUlT_T0_E_clISt17integral_constantIbLb0EESV_IbLb1EEEEDaSR_SS_EUlSR_E0_NS1_11comp_targetILNS1_3genE0ELNS1_11target_archE4294967295ELNS1_3gpuE0ELNS1_3repE0EEENS1_30default_config_static_selectorELNS0_4arch9wavefront6targetE0EEEvT1_,"axG",@progbits,_ZN7rocprim17ROCPRIM_400000_NS6detail17trampoline_kernelINS0_14default_configENS1_20scan_config_selectorIdEEZZNS1_9scan_implILNS1_25lookback_scan_determinismE0ELb0ELb0ES3_PKdPddZZZN2at6native31launch_logcumsumexp_cuda_kernelERKNSB_10TensorBaseESF_lENKUlvE_clEvENKUlvE_clEvEUlddE_dEEDaPvRmT3_T4_T5_mT6_P12ihipStream_tbENKUlT_T0_E_clISt17integral_constantIbLb0EESV_IbLb1EEEEDaSR_SS_EUlSR_E0_NS1_11comp_targetILNS1_3genE0ELNS1_11target_archE4294967295ELNS1_3gpuE0ELNS1_3repE0EEENS1_30default_config_static_selectorELNS0_4arch9wavefront6targetE0EEEvT1_,comdat
.Lfunc_end75:
	.size	_ZN7rocprim17ROCPRIM_400000_NS6detail17trampoline_kernelINS0_14default_configENS1_20scan_config_selectorIdEEZZNS1_9scan_implILNS1_25lookback_scan_determinismE0ELb0ELb0ES3_PKdPddZZZN2at6native31launch_logcumsumexp_cuda_kernelERKNSB_10TensorBaseESF_lENKUlvE_clEvENKUlvE_clEvEUlddE_dEEDaPvRmT3_T4_T5_mT6_P12ihipStream_tbENKUlT_T0_E_clISt17integral_constantIbLb0EESV_IbLb1EEEEDaSR_SS_EUlSR_E0_NS1_11comp_targetILNS1_3genE0ELNS1_11target_archE4294967295ELNS1_3gpuE0ELNS1_3repE0EEENS1_30default_config_static_selectorELNS0_4arch9wavefront6targetE0EEEvT1_, .Lfunc_end75-_ZN7rocprim17ROCPRIM_400000_NS6detail17trampoline_kernelINS0_14default_configENS1_20scan_config_selectorIdEEZZNS1_9scan_implILNS1_25lookback_scan_determinismE0ELb0ELb0ES3_PKdPddZZZN2at6native31launch_logcumsumexp_cuda_kernelERKNSB_10TensorBaseESF_lENKUlvE_clEvENKUlvE_clEvEUlddE_dEEDaPvRmT3_T4_T5_mT6_P12ihipStream_tbENKUlT_T0_E_clISt17integral_constantIbLb0EESV_IbLb1EEEEDaSR_SS_EUlSR_E0_NS1_11comp_targetILNS1_3genE0ELNS1_11target_archE4294967295ELNS1_3gpuE0ELNS1_3repE0EEENS1_30default_config_static_selectorELNS0_4arch9wavefront6targetE0EEEvT1_
                                        ; -- End function
	.set _ZN7rocprim17ROCPRIM_400000_NS6detail17trampoline_kernelINS0_14default_configENS1_20scan_config_selectorIdEEZZNS1_9scan_implILNS1_25lookback_scan_determinismE0ELb0ELb0ES3_PKdPddZZZN2at6native31launch_logcumsumexp_cuda_kernelERKNSB_10TensorBaseESF_lENKUlvE_clEvENKUlvE_clEvEUlddE_dEEDaPvRmT3_T4_T5_mT6_P12ihipStream_tbENKUlT_T0_E_clISt17integral_constantIbLb0EESV_IbLb1EEEEDaSR_SS_EUlSR_E0_NS1_11comp_targetILNS1_3genE0ELNS1_11target_archE4294967295ELNS1_3gpuE0ELNS1_3repE0EEENS1_30default_config_static_selectorELNS0_4arch9wavefront6targetE0EEEvT1_.num_vgpr, 0
	.set _ZN7rocprim17ROCPRIM_400000_NS6detail17trampoline_kernelINS0_14default_configENS1_20scan_config_selectorIdEEZZNS1_9scan_implILNS1_25lookback_scan_determinismE0ELb0ELb0ES3_PKdPddZZZN2at6native31launch_logcumsumexp_cuda_kernelERKNSB_10TensorBaseESF_lENKUlvE_clEvENKUlvE_clEvEUlddE_dEEDaPvRmT3_T4_T5_mT6_P12ihipStream_tbENKUlT_T0_E_clISt17integral_constantIbLb0EESV_IbLb1EEEEDaSR_SS_EUlSR_E0_NS1_11comp_targetILNS1_3genE0ELNS1_11target_archE4294967295ELNS1_3gpuE0ELNS1_3repE0EEENS1_30default_config_static_selectorELNS0_4arch9wavefront6targetE0EEEvT1_.num_agpr, 0
	.set _ZN7rocprim17ROCPRIM_400000_NS6detail17trampoline_kernelINS0_14default_configENS1_20scan_config_selectorIdEEZZNS1_9scan_implILNS1_25lookback_scan_determinismE0ELb0ELb0ES3_PKdPddZZZN2at6native31launch_logcumsumexp_cuda_kernelERKNSB_10TensorBaseESF_lENKUlvE_clEvENKUlvE_clEvEUlddE_dEEDaPvRmT3_T4_T5_mT6_P12ihipStream_tbENKUlT_T0_E_clISt17integral_constantIbLb0EESV_IbLb1EEEEDaSR_SS_EUlSR_E0_NS1_11comp_targetILNS1_3genE0ELNS1_11target_archE4294967295ELNS1_3gpuE0ELNS1_3repE0EEENS1_30default_config_static_selectorELNS0_4arch9wavefront6targetE0EEEvT1_.numbered_sgpr, 0
	.set _ZN7rocprim17ROCPRIM_400000_NS6detail17trampoline_kernelINS0_14default_configENS1_20scan_config_selectorIdEEZZNS1_9scan_implILNS1_25lookback_scan_determinismE0ELb0ELb0ES3_PKdPddZZZN2at6native31launch_logcumsumexp_cuda_kernelERKNSB_10TensorBaseESF_lENKUlvE_clEvENKUlvE_clEvEUlddE_dEEDaPvRmT3_T4_T5_mT6_P12ihipStream_tbENKUlT_T0_E_clISt17integral_constantIbLb0EESV_IbLb1EEEEDaSR_SS_EUlSR_E0_NS1_11comp_targetILNS1_3genE0ELNS1_11target_archE4294967295ELNS1_3gpuE0ELNS1_3repE0EEENS1_30default_config_static_selectorELNS0_4arch9wavefront6targetE0EEEvT1_.num_named_barrier, 0
	.set _ZN7rocprim17ROCPRIM_400000_NS6detail17trampoline_kernelINS0_14default_configENS1_20scan_config_selectorIdEEZZNS1_9scan_implILNS1_25lookback_scan_determinismE0ELb0ELb0ES3_PKdPddZZZN2at6native31launch_logcumsumexp_cuda_kernelERKNSB_10TensorBaseESF_lENKUlvE_clEvENKUlvE_clEvEUlddE_dEEDaPvRmT3_T4_T5_mT6_P12ihipStream_tbENKUlT_T0_E_clISt17integral_constantIbLb0EESV_IbLb1EEEEDaSR_SS_EUlSR_E0_NS1_11comp_targetILNS1_3genE0ELNS1_11target_archE4294967295ELNS1_3gpuE0ELNS1_3repE0EEENS1_30default_config_static_selectorELNS0_4arch9wavefront6targetE0EEEvT1_.private_seg_size, 0
	.set _ZN7rocprim17ROCPRIM_400000_NS6detail17trampoline_kernelINS0_14default_configENS1_20scan_config_selectorIdEEZZNS1_9scan_implILNS1_25lookback_scan_determinismE0ELb0ELb0ES3_PKdPddZZZN2at6native31launch_logcumsumexp_cuda_kernelERKNSB_10TensorBaseESF_lENKUlvE_clEvENKUlvE_clEvEUlddE_dEEDaPvRmT3_T4_T5_mT6_P12ihipStream_tbENKUlT_T0_E_clISt17integral_constantIbLb0EESV_IbLb1EEEEDaSR_SS_EUlSR_E0_NS1_11comp_targetILNS1_3genE0ELNS1_11target_archE4294967295ELNS1_3gpuE0ELNS1_3repE0EEENS1_30default_config_static_selectorELNS0_4arch9wavefront6targetE0EEEvT1_.uses_vcc, 0
	.set _ZN7rocprim17ROCPRIM_400000_NS6detail17trampoline_kernelINS0_14default_configENS1_20scan_config_selectorIdEEZZNS1_9scan_implILNS1_25lookback_scan_determinismE0ELb0ELb0ES3_PKdPddZZZN2at6native31launch_logcumsumexp_cuda_kernelERKNSB_10TensorBaseESF_lENKUlvE_clEvENKUlvE_clEvEUlddE_dEEDaPvRmT3_T4_T5_mT6_P12ihipStream_tbENKUlT_T0_E_clISt17integral_constantIbLb0EESV_IbLb1EEEEDaSR_SS_EUlSR_E0_NS1_11comp_targetILNS1_3genE0ELNS1_11target_archE4294967295ELNS1_3gpuE0ELNS1_3repE0EEENS1_30default_config_static_selectorELNS0_4arch9wavefront6targetE0EEEvT1_.uses_flat_scratch, 0
	.set _ZN7rocprim17ROCPRIM_400000_NS6detail17trampoline_kernelINS0_14default_configENS1_20scan_config_selectorIdEEZZNS1_9scan_implILNS1_25lookback_scan_determinismE0ELb0ELb0ES3_PKdPddZZZN2at6native31launch_logcumsumexp_cuda_kernelERKNSB_10TensorBaseESF_lENKUlvE_clEvENKUlvE_clEvEUlddE_dEEDaPvRmT3_T4_T5_mT6_P12ihipStream_tbENKUlT_T0_E_clISt17integral_constantIbLb0EESV_IbLb1EEEEDaSR_SS_EUlSR_E0_NS1_11comp_targetILNS1_3genE0ELNS1_11target_archE4294967295ELNS1_3gpuE0ELNS1_3repE0EEENS1_30default_config_static_selectorELNS0_4arch9wavefront6targetE0EEEvT1_.has_dyn_sized_stack, 0
	.set _ZN7rocprim17ROCPRIM_400000_NS6detail17trampoline_kernelINS0_14default_configENS1_20scan_config_selectorIdEEZZNS1_9scan_implILNS1_25lookback_scan_determinismE0ELb0ELb0ES3_PKdPddZZZN2at6native31launch_logcumsumexp_cuda_kernelERKNSB_10TensorBaseESF_lENKUlvE_clEvENKUlvE_clEvEUlddE_dEEDaPvRmT3_T4_T5_mT6_P12ihipStream_tbENKUlT_T0_E_clISt17integral_constantIbLb0EESV_IbLb1EEEEDaSR_SS_EUlSR_E0_NS1_11comp_targetILNS1_3genE0ELNS1_11target_archE4294967295ELNS1_3gpuE0ELNS1_3repE0EEENS1_30default_config_static_selectorELNS0_4arch9wavefront6targetE0EEEvT1_.has_recursion, 0
	.set _ZN7rocprim17ROCPRIM_400000_NS6detail17trampoline_kernelINS0_14default_configENS1_20scan_config_selectorIdEEZZNS1_9scan_implILNS1_25lookback_scan_determinismE0ELb0ELb0ES3_PKdPddZZZN2at6native31launch_logcumsumexp_cuda_kernelERKNSB_10TensorBaseESF_lENKUlvE_clEvENKUlvE_clEvEUlddE_dEEDaPvRmT3_T4_T5_mT6_P12ihipStream_tbENKUlT_T0_E_clISt17integral_constantIbLb0EESV_IbLb1EEEEDaSR_SS_EUlSR_E0_NS1_11comp_targetILNS1_3genE0ELNS1_11target_archE4294967295ELNS1_3gpuE0ELNS1_3repE0EEENS1_30default_config_static_selectorELNS0_4arch9wavefront6targetE0EEEvT1_.has_indirect_call, 0
	.section	.AMDGPU.csdata,"",@progbits
; Kernel info:
; codeLenInByte = 0
; TotalNumSgprs: 0
; NumVgprs: 0
; ScratchSize: 0
; MemoryBound: 0
; FloatMode: 240
; IeeeMode: 1
; LDSByteSize: 0 bytes/workgroup (compile time only)
; SGPRBlocks: 0
; VGPRBlocks: 0
; NumSGPRsForWavesPerEU: 1
; NumVGPRsForWavesPerEU: 1
; Occupancy: 16
; WaveLimiterHint : 0
; COMPUTE_PGM_RSRC2:SCRATCH_EN: 0
; COMPUTE_PGM_RSRC2:USER_SGPR: 6
; COMPUTE_PGM_RSRC2:TRAP_HANDLER: 0
; COMPUTE_PGM_RSRC2:TGID_X_EN: 1
; COMPUTE_PGM_RSRC2:TGID_Y_EN: 0
; COMPUTE_PGM_RSRC2:TGID_Z_EN: 0
; COMPUTE_PGM_RSRC2:TIDIG_COMP_CNT: 0
	.section	.text._ZN7rocprim17ROCPRIM_400000_NS6detail17trampoline_kernelINS0_14default_configENS1_20scan_config_selectorIdEEZZNS1_9scan_implILNS1_25lookback_scan_determinismE0ELb0ELb0ES3_PKdPddZZZN2at6native31launch_logcumsumexp_cuda_kernelERKNSB_10TensorBaseESF_lENKUlvE_clEvENKUlvE_clEvEUlddE_dEEDaPvRmT3_T4_T5_mT6_P12ihipStream_tbENKUlT_T0_E_clISt17integral_constantIbLb0EESV_IbLb1EEEEDaSR_SS_EUlSR_E0_NS1_11comp_targetILNS1_3genE5ELNS1_11target_archE942ELNS1_3gpuE9ELNS1_3repE0EEENS1_30default_config_static_selectorELNS0_4arch9wavefront6targetE0EEEvT1_,"axG",@progbits,_ZN7rocprim17ROCPRIM_400000_NS6detail17trampoline_kernelINS0_14default_configENS1_20scan_config_selectorIdEEZZNS1_9scan_implILNS1_25lookback_scan_determinismE0ELb0ELb0ES3_PKdPddZZZN2at6native31launch_logcumsumexp_cuda_kernelERKNSB_10TensorBaseESF_lENKUlvE_clEvENKUlvE_clEvEUlddE_dEEDaPvRmT3_T4_T5_mT6_P12ihipStream_tbENKUlT_T0_E_clISt17integral_constantIbLb0EESV_IbLb1EEEEDaSR_SS_EUlSR_E0_NS1_11comp_targetILNS1_3genE5ELNS1_11target_archE942ELNS1_3gpuE9ELNS1_3repE0EEENS1_30default_config_static_selectorELNS0_4arch9wavefront6targetE0EEEvT1_,comdat
	.globl	_ZN7rocprim17ROCPRIM_400000_NS6detail17trampoline_kernelINS0_14default_configENS1_20scan_config_selectorIdEEZZNS1_9scan_implILNS1_25lookback_scan_determinismE0ELb0ELb0ES3_PKdPddZZZN2at6native31launch_logcumsumexp_cuda_kernelERKNSB_10TensorBaseESF_lENKUlvE_clEvENKUlvE_clEvEUlddE_dEEDaPvRmT3_T4_T5_mT6_P12ihipStream_tbENKUlT_T0_E_clISt17integral_constantIbLb0EESV_IbLb1EEEEDaSR_SS_EUlSR_E0_NS1_11comp_targetILNS1_3genE5ELNS1_11target_archE942ELNS1_3gpuE9ELNS1_3repE0EEENS1_30default_config_static_selectorELNS0_4arch9wavefront6targetE0EEEvT1_ ; -- Begin function _ZN7rocprim17ROCPRIM_400000_NS6detail17trampoline_kernelINS0_14default_configENS1_20scan_config_selectorIdEEZZNS1_9scan_implILNS1_25lookback_scan_determinismE0ELb0ELb0ES3_PKdPddZZZN2at6native31launch_logcumsumexp_cuda_kernelERKNSB_10TensorBaseESF_lENKUlvE_clEvENKUlvE_clEvEUlddE_dEEDaPvRmT3_T4_T5_mT6_P12ihipStream_tbENKUlT_T0_E_clISt17integral_constantIbLb0EESV_IbLb1EEEEDaSR_SS_EUlSR_E0_NS1_11comp_targetILNS1_3genE5ELNS1_11target_archE942ELNS1_3gpuE9ELNS1_3repE0EEENS1_30default_config_static_selectorELNS0_4arch9wavefront6targetE0EEEvT1_
	.p2align	8
	.type	_ZN7rocprim17ROCPRIM_400000_NS6detail17trampoline_kernelINS0_14default_configENS1_20scan_config_selectorIdEEZZNS1_9scan_implILNS1_25lookback_scan_determinismE0ELb0ELb0ES3_PKdPddZZZN2at6native31launch_logcumsumexp_cuda_kernelERKNSB_10TensorBaseESF_lENKUlvE_clEvENKUlvE_clEvEUlddE_dEEDaPvRmT3_T4_T5_mT6_P12ihipStream_tbENKUlT_T0_E_clISt17integral_constantIbLb0EESV_IbLb1EEEEDaSR_SS_EUlSR_E0_NS1_11comp_targetILNS1_3genE5ELNS1_11target_archE942ELNS1_3gpuE9ELNS1_3repE0EEENS1_30default_config_static_selectorELNS0_4arch9wavefront6targetE0EEEvT1_,@function
_ZN7rocprim17ROCPRIM_400000_NS6detail17trampoline_kernelINS0_14default_configENS1_20scan_config_selectorIdEEZZNS1_9scan_implILNS1_25lookback_scan_determinismE0ELb0ELb0ES3_PKdPddZZZN2at6native31launch_logcumsumexp_cuda_kernelERKNSB_10TensorBaseESF_lENKUlvE_clEvENKUlvE_clEvEUlddE_dEEDaPvRmT3_T4_T5_mT6_P12ihipStream_tbENKUlT_T0_E_clISt17integral_constantIbLb0EESV_IbLb1EEEEDaSR_SS_EUlSR_E0_NS1_11comp_targetILNS1_3genE5ELNS1_11target_archE942ELNS1_3gpuE9ELNS1_3repE0EEENS1_30default_config_static_selectorELNS0_4arch9wavefront6targetE0EEEvT1_: ; @_ZN7rocprim17ROCPRIM_400000_NS6detail17trampoline_kernelINS0_14default_configENS1_20scan_config_selectorIdEEZZNS1_9scan_implILNS1_25lookback_scan_determinismE0ELb0ELb0ES3_PKdPddZZZN2at6native31launch_logcumsumexp_cuda_kernelERKNSB_10TensorBaseESF_lENKUlvE_clEvENKUlvE_clEvEUlddE_dEEDaPvRmT3_T4_T5_mT6_P12ihipStream_tbENKUlT_T0_E_clISt17integral_constantIbLb0EESV_IbLb1EEEEDaSR_SS_EUlSR_E0_NS1_11comp_targetILNS1_3genE5ELNS1_11target_archE942ELNS1_3gpuE9ELNS1_3repE0EEENS1_30default_config_static_selectorELNS0_4arch9wavefront6targetE0EEEvT1_
; %bb.0:
	.section	.rodata,"a",@progbits
	.p2align	6, 0x0
	.amdhsa_kernel _ZN7rocprim17ROCPRIM_400000_NS6detail17trampoline_kernelINS0_14default_configENS1_20scan_config_selectorIdEEZZNS1_9scan_implILNS1_25lookback_scan_determinismE0ELb0ELb0ES3_PKdPddZZZN2at6native31launch_logcumsumexp_cuda_kernelERKNSB_10TensorBaseESF_lENKUlvE_clEvENKUlvE_clEvEUlddE_dEEDaPvRmT3_T4_T5_mT6_P12ihipStream_tbENKUlT_T0_E_clISt17integral_constantIbLb0EESV_IbLb1EEEEDaSR_SS_EUlSR_E0_NS1_11comp_targetILNS1_3genE5ELNS1_11target_archE942ELNS1_3gpuE9ELNS1_3repE0EEENS1_30default_config_static_selectorELNS0_4arch9wavefront6targetE0EEEvT1_
		.amdhsa_group_segment_fixed_size 0
		.amdhsa_private_segment_fixed_size 0
		.amdhsa_kernarg_size 40
		.amdhsa_user_sgpr_count 6
		.amdhsa_user_sgpr_private_segment_buffer 1
		.amdhsa_user_sgpr_dispatch_ptr 0
		.amdhsa_user_sgpr_queue_ptr 0
		.amdhsa_user_sgpr_kernarg_segment_ptr 1
		.amdhsa_user_sgpr_dispatch_id 0
		.amdhsa_user_sgpr_flat_scratch_init 0
		.amdhsa_user_sgpr_private_segment_size 0
		.amdhsa_wavefront_size32 1
		.amdhsa_uses_dynamic_stack 0
		.amdhsa_system_sgpr_private_segment_wavefront_offset 0
		.amdhsa_system_sgpr_workgroup_id_x 1
		.amdhsa_system_sgpr_workgroup_id_y 0
		.amdhsa_system_sgpr_workgroup_id_z 0
		.amdhsa_system_sgpr_workgroup_info 0
		.amdhsa_system_vgpr_workitem_id 0
		.amdhsa_next_free_vgpr 1
		.amdhsa_next_free_sgpr 1
		.amdhsa_reserve_vcc 0
		.amdhsa_reserve_flat_scratch 0
		.amdhsa_float_round_mode_32 0
		.amdhsa_float_round_mode_16_64 0
		.amdhsa_float_denorm_mode_32 3
		.amdhsa_float_denorm_mode_16_64 3
		.amdhsa_dx10_clamp 1
		.amdhsa_ieee_mode 1
		.amdhsa_fp16_overflow 0
		.amdhsa_workgroup_processor_mode 1
		.amdhsa_memory_ordered 1
		.amdhsa_forward_progress 1
		.amdhsa_shared_vgpr_count 0
		.amdhsa_exception_fp_ieee_invalid_op 0
		.amdhsa_exception_fp_denorm_src 0
		.amdhsa_exception_fp_ieee_div_zero 0
		.amdhsa_exception_fp_ieee_overflow 0
		.amdhsa_exception_fp_ieee_underflow 0
		.amdhsa_exception_fp_ieee_inexact 0
		.amdhsa_exception_int_div_zero 0
	.end_amdhsa_kernel
	.section	.text._ZN7rocprim17ROCPRIM_400000_NS6detail17trampoline_kernelINS0_14default_configENS1_20scan_config_selectorIdEEZZNS1_9scan_implILNS1_25lookback_scan_determinismE0ELb0ELb0ES3_PKdPddZZZN2at6native31launch_logcumsumexp_cuda_kernelERKNSB_10TensorBaseESF_lENKUlvE_clEvENKUlvE_clEvEUlddE_dEEDaPvRmT3_T4_T5_mT6_P12ihipStream_tbENKUlT_T0_E_clISt17integral_constantIbLb0EESV_IbLb1EEEEDaSR_SS_EUlSR_E0_NS1_11comp_targetILNS1_3genE5ELNS1_11target_archE942ELNS1_3gpuE9ELNS1_3repE0EEENS1_30default_config_static_selectorELNS0_4arch9wavefront6targetE0EEEvT1_,"axG",@progbits,_ZN7rocprim17ROCPRIM_400000_NS6detail17trampoline_kernelINS0_14default_configENS1_20scan_config_selectorIdEEZZNS1_9scan_implILNS1_25lookback_scan_determinismE0ELb0ELb0ES3_PKdPddZZZN2at6native31launch_logcumsumexp_cuda_kernelERKNSB_10TensorBaseESF_lENKUlvE_clEvENKUlvE_clEvEUlddE_dEEDaPvRmT3_T4_T5_mT6_P12ihipStream_tbENKUlT_T0_E_clISt17integral_constantIbLb0EESV_IbLb1EEEEDaSR_SS_EUlSR_E0_NS1_11comp_targetILNS1_3genE5ELNS1_11target_archE942ELNS1_3gpuE9ELNS1_3repE0EEENS1_30default_config_static_selectorELNS0_4arch9wavefront6targetE0EEEvT1_,comdat
.Lfunc_end76:
	.size	_ZN7rocprim17ROCPRIM_400000_NS6detail17trampoline_kernelINS0_14default_configENS1_20scan_config_selectorIdEEZZNS1_9scan_implILNS1_25lookback_scan_determinismE0ELb0ELb0ES3_PKdPddZZZN2at6native31launch_logcumsumexp_cuda_kernelERKNSB_10TensorBaseESF_lENKUlvE_clEvENKUlvE_clEvEUlddE_dEEDaPvRmT3_T4_T5_mT6_P12ihipStream_tbENKUlT_T0_E_clISt17integral_constantIbLb0EESV_IbLb1EEEEDaSR_SS_EUlSR_E0_NS1_11comp_targetILNS1_3genE5ELNS1_11target_archE942ELNS1_3gpuE9ELNS1_3repE0EEENS1_30default_config_static_selectorELNS0_4arch9wavefront6targetE0EEEvT1_, .Lfunc_end76-_ZN7rocprim17ROCPRIM_400000_NS6detail17trampoline_kernelINS0_14default_configENS1_20scan_config_selectorIdEEZZNS1_9scan_implILNS1_25lookback_scan_determinismE0ELb0ELb0ES3_PKdPddZZZN2at6native31launch_logcumsumexp_cuda_kernelERKNSB_10TensorBaseESF_lENKUlvE_clEvENKUlvE_clEvEUlddE_dEEDaPvRmT3_T4_T5_mT6_P12ihipStream_tbENKUlT_T0_E_clISt17integral_constantIbLb0EESV_IbLb1EEEEDaSR_SS_EUlSR_E0_NS1_11comp_targetILNS1_3genE5ELNS1_11target_archE942ELNS1_3gpuE9ELNS1_3repE0EEENS1_30default_config_static_selectorELNS0_4arch9wavefront6targetE0EEEvT1_
                                        ; -- End function
	.set _ZN7rocprim17ROCPRIM_400000_NS6detail17trampoline_kernelINS0_14default_configENS1_20scan_config_selectorIdEEZZNS1_9scan_implILNS1_25lookback_scan_determinismE0ELb0ELb0ES3_PKdPddZZZN2at6native31launch_logcumsumexp_cuda_kernelERKNSB_10TensorBaseESF_lENKUlvE_clEvENKUlvE_clEvEUlddE_dEEDaPvRmT3_T4_T5_mT6_P12ihipStream_tbENKUlT_T0_E_clISt17integral_constantIbLb0EESV_IbLb1EEEEDaSR_SS_EUlSR_E0_NS1_11comp_targetILNS1_3genE5ELNS1_11target_archE942ELNS1_3gpuE9ELNS1_3repE0EEENS1_30default_config_static_selectorELNS0_4arch9wavefront6targetE0EEEvT1_.num_vgpr, 0
	.set _ZN7rocprim17ROCPRIM_400000_NS6detail17trampoline_kernelINS0_14default_configENS1_20scan_config_selectorIdEEZZNS1_9scan_implILNS1_25lookback_scan_determinismE0ELb0ELb0ES3_PKdPddZZZN2at6native31launch_logcumsumexp_cuda_kernelERKNSB_10TensorBaseESF_lENKUlvE_clEvENKUlvE_clEvEUlddE_dEEDaPvRmT3_T4_T5_mT6_P12ihipStream_tbENKUlT_T0_E_clISt17integral_constantIbLb0EESV_IbLb1EEEEDaSR_SS_EUlSR_E0_NS1_11comp_targetILNS1_3genE5ELNS1_11target_archE942ELNS1_3gpuE9ELNS1_3repE0EEENS1_30default_config_static_selectorELNS0_4arch9wavefront6targetE0EEEvT1_.num_agpr, 0
	.set _ZN7rocprim17ROCPRIM_400000_NS6detail17trampoline_kernelINS0_14default_configENS1_20scan_config_selectorIdEEZZNS1_9scan_implILNS1_25lookback_scan_determinismE0ELb0ELb0ES3_PKdPddZZZN2at6native31launch_logcumsumexp_cuda_kernelERKNSB_10TensorBaseESF_lENKUlvE_clEvENKUlvE_clEvEUlddE_dEEDaPvRmT3_T4_T5_mT6_P12ihipStream_tbENKUlT_T0_E_clISt17integral_constantIbLb0EESV_IbLb1EEEEDaSR_SS_EUlSR_E0_NS1_11comp_targetILNS1_3genE5ELNS1_11target_archE942ELNS1_3gpuE9ELNS1_3repE0EEENS1_30default_config_static_selectorELNS0_4arch9wavefront6targetE0EEEvT1_.numbered_sgpr, 0
	.set _ZN7rocprim17ROCPRIM_400000_NS6detail17trampoline_kernelINS0_14default_configENS1_20scan_config_selectorIdEEZZNS1_9scan_implILNS1_25lookback_scan_determinismE0ELb0ELb0ES3_PKdPddZZZN2at6native31launch_logcumsumexp_cuda_kernelERKNSB_10TensorBaseESF_lENKUlvE_clEvENKUlvE_clEvEUlddE_dEEDaPvRmT3_T4_T5_mT6_P12ihipStream_tbENKUlT_T0_E_clISt17integral_constantIbLb0EESV_IbLb1EEEEDaSR_SS_EUlSR_E0_NS1_11comp_targetILNS1_3genE5ELNS1_11target_archE942ELNS1_3gpuE9ELNS1_3repE0EEENS1_30default_config_static_selectorELNS0_4arch9wavefront6targetE0EEEvT1_.num_named_barrier, 0
	.set _ZN7rocprim17ROCPRIM_400000_NS6detail17trampoline_kernelINS0_14default_configENS1_20scan_config_selectorIdEEZZNS1_9scan_implILNS1_25lookback_scan_determinismE0ELb0ELb0ES3_PKdPddZZZN2at6native31launch_logcumsumexp_cuda_kernelERKNSB_10TensorBaseESF_lENKUlvE_clEvENKUlvE_clEvEUlddE_dEEDaPvRmT3_T4_T5_mT6_P12ihipStream_tbENKUlT_T0_E_clISt17integral_constantIbLb0EESV_IbLb1EEEEDaSR_SS_EUlSR_E0_NS1_11comp_targetILNS1_3genE5ELNS1_11target_archE942ELNS1_3gpuE9ELNS1_3repE0EEENS1_30default_config_static_selectorELNS0_4arch9wavefront6targetE0EEEvT1_.private_seg_size, 0
	.set _ZN7rocprim17ROCPRIM_400000_NS6detail17trampoline_kernelINS0_14default_configENS1_20scan_config_selectorIdEEZZNS1_9scan_implILNS1_25lookback_scan_determinismE0ELb0ELb0ES3_PKdPddZZZN2at6native31launch_logcumsumexp_cuda_kernelERKNSB_10TensorBaseESF_lENKUlvE_clEvENKUlvE_clEvEUlddE_dEEDaPvRmT3_T4_T5_mT6_P12ihipStream_tbENKUlT_T0_E_clISt17integral_constantIbLb0EESV_IbLb1EEEEDaSR_SS_EUlSR_E0_NS1_11comp_targetILNS1_3genE5ELNS1_11target_archE942ELNS1_3gpuE9ELNS1_3repE0EEENS1_30default_config_static_selectorELNS0_4arch9wavefront6targetE0EEEvT1_.uses_vcc, 0
	.set _ZN7rocprim17ROCPRIM_400000_NS6detail17trampoline_kernelINS0_14default_configENS1_20scan_config_selectorIdEEZZNS1_9scan_implILNS1_25lookback_scan_determinismE0ELb0ELb0ES3_PKdPddZZZN2at6native31launch_logcumsumexp_cuda_kernelERKNSB_10TensorBaseESF_lENKUlvE_clEvENKUlvE_clEvEUlddE_dEEDaPvRmT3_T4_T5_mT6_P12ihipStream_tbENKUlT_T0_E_clISt17integral_constantIbLb0EESV_IbLb1EEEEDaSR_SS_EUlSR_E0_NS1_11comp_targetILNS1_3genE5ELNS1_11target_archE942ELNS1_3gpuE9ELNS1_3repE0EEENS1_30default_config_static_selectorELNS0_4arch9wavefront6targetE0EEEvT1_.uses_flat_scratch, 0
	.set _ZN7rocprim17ROCPRIM_400000_NS6detail17trampoline_kernelINS0_14default_configENS1_20scan_config_selectorIdEEZZNS1_9scan_implILNS1_25lookback_scan_determinismE0ELb0ELb0ES3_PKdPddZZZN2at6native31launch_logcumsumexp_cuda_kernelERKNSB_10TensorBaseESF_lENKUlvE_clEvENKUlvE_clEvEUlddE_dEEDaPvRmT3_T4_T5_mT6_P12ihipStream_tbENKUlT_T0_E_clISt17integral_constantIbLb0EESV_IbLb1EEEEDaSR_SS_EUlSR_E0_NS1_11comp_targetILNS1_3genE5ELNS1_11target_archE942ELNS1_3gpuE9ELNS1_3repE0EEENS1_30default_config_static_selectorELNS0_4arch9wavefront6targetE0EEEvT1_.has_dyn_sized_stack, 0
	.set _ZN7rocprim17ROCPRIM_400000_NS6detail17trampoline_kernelINS0_14default_configENS1_20scan_config_selectorIdEEZZNS1_9scan_implILNS1_25lookback_scan_determinismE0ELb0ELb0ES3_PKdPddZZZN2at6native31launch_logcumsumexp_cuda_kernelERKNSB_10TensorBaseESF_lENKUlvE_clEvENKUlvE_clEvEUlddE_dEEDaPvRmT3_T4_T5_mT6_P12ihipStream_tbENKUlT_T0_E_clISt17integral_constantIbLb0EESV_IbLb1EEEEDaSR_SS_EUlSR_E0_NS1_11comp_targetILNS1_3genE5ELNS1_11target_archE942ELNS1_3gpuE9ELNS1_3repE0EEENS1_30default_config_static_selectorELNS0_4arch9wavefront6targetE0EEEvT1_.has_recursion, 0
	.set _ZN7rocprim17ROCPRIM_400000_NS6detail17trampoline_kernelINS0_14default_configENS1_20scan_config_selectorIdEEZZNS1_9scan_implILNS1_25lookback_scan_determinismE0ELb0ELb0ES3_PKdPddZZZN2at6native31launch_logcumsumexp_cuda_kernelERKNSB_10TensorBaseESF_lENKUlvE_clEvENKUlvE_clEvEUlddE_dEEDaPvRmT3_T4_T5_mT6_P12ihipStream_tbENKUlT_T0_E_clISt17integral_constantIbLb0EESV_IbLb1EEEEDaSR_SS_EUlSR_E0_NS1_11comp_targetILNS1_3genE5ELNS1_11target_archE942ELNS1_3gpuE9ELNS1_3repE0EEENS1_30default_config_static_selectorELNS0_4arch9wavefront6targetE0EEEvT1_.has_indirect_call, 0
	.section	.AMDGPU.csdata,"",@progbits
; Kernel info:
; codeLenInByte = 0
; TotalNumSgprs: 0
; NumVgprs: 0
; ScratchSize: 0
; MemoryBound: 0
; FloatMode: 240
; IeeeMode: 1
; LDSByteSize: 0 bytes/workgroup (compile time only)
; SGPRBlocks: 0
; VGPRBlocks: 0
; NumSGPRsForWavesPerEU: 1
; NumVGPRsForWavesPerEU: 1
; Occupancy: 16
; WaveLimiterHint : 0
; COMPUTE_PGM_RSRC2:SCRATCH_EN: 0
; COMPUTE_PGM_RSRC2:USER_SGPR: 6
; COMPUTE_PGM_RSRC2:TRAP_HANDLER: 0
; COMPUTE_PGM_RSRC2:TGID_X_EN: 1
; COMPUTE_PGM_RSRC2:TGID_Y_EN: 0
; COMPUTE_PGM_RSRC2:TGID_Z_EN: 0
; COMPUTE_PGM_RSRC2:TIDIG_COMP_CNT: 0
	.section	.text._ZN7rocprim17ROCPRIM_400000_NS6detail17trampoline_kernelINS0_14default_configENS1_20scan_config_selectorIdEEZZNS1_9scan_implILNS1_25lookback_scan_determinismE0ELb0ELb0ES3_PKdPddZZZN2at6native31launch_logcumsumexp_cuda_kernelERKNSB_10TensorBaseESF_lENKUlvE_clEvENKUlvE_clEvEUlddE_dEEDaPvRmT3_T4_T5_mT6_P12ihipStream_tbENKUlT_T0_E_clISt17integral_constantIbLb0EESV_IbLb1EEEEDaSR_SS_EUlSR_E0_NS1_11comp_targetILNS1_3genE4ELNS1_11target_archE910ELNS1_3gpuE8ELNS1_3repE0EEENS1_30default_config_static_selectorELNS0_4arch9wavefront6targetE0EEEvT1_,"axG",@progbits,_ZN7rocprim17ROCPRIM_400000_NS6detail17trampoline_kernelINS0_14default_configENS1_20scan_config_selectorIdEEZZNS1_9scan_implILNS1_25lookback_scan_determinismE0ELb0ELb0ES3_PKdPddZZZN2at6native31launch_logcumsumexp_cuda_kernelERKNSB_10TensorBaseESF_lENKUlvE_clEvENKUlvE_clEvEUlddE_dEEDaPvRmT3_T4_T5_mT6_P12ihipStream_tbENKUlT_T0_E_clISt17integral_constantIbLb0EESV_IbLb1EEEEDaSR_SS_EUlSR_E0_NS1_11comp_targetILNS1_3genE4ELNS1_11target_archE910ELNS1_3gpuE8ELNS1_3repE0EEENS1_30default_config_static_selectorELNS0_4arch9wavefront6targetE0EEEvT1_,comdat
	.globl	_ZN7rocprim17ROCPRIM_400000_NS6detail17trampoline_kernelINS0_14default_configENS1_20scan_config_selectorIdEEZZNS1_9scan_implILNS1_25lookback_scan_determinismE0ELb0ELb0ES3_PKdPddZZZN2at6native31launch_logcumsumexp_cuda_kernelERKNSB_10TensorBaseESF_lENKUlvE_clEvENKUlvE_clEvEUlddE_dEEDaPvRmT3_T4_T5_mT6_P12ihipStream_tbENKUlT_T0_E_clISt17integral_constantIbLb0EESV_IbLb1EEEEDaSR_SS_EUlSR_E0_NS1_11comp_targetILNS1_3genE4ELNS1_11target_archE910ELNS1_3gpuE8ELNS1_3repE0EEENS1_30default_config_static_selectorELNS0_4arch9wavefront6targetE0EEEvT1_ ; -- Begin function _ZN7rocprim17ROCPRIM_400000_NS6detail17trampoline_kernelINS0_14default_configENS1_20scan_config_selectorIdEEZZNS1_9scan_implILNS1_25lookback_scan_determinismE0ELb0ELb0ES3_PKdPddZZZN2at6native31launch_logcumsumexp_cuda_kernelERKNSB_10TensorBaseESF_lENKUlvE_clEvENKUlvE_clEvEUlddE_dEEDaPvRmT3_T4_T5_mT6_P12ihipStream_tbENKUlT_T0_E_clISt17integral_constantIbLb0EESV_IbLb1EEEEDaSR_SS_EUlSR_E0_NS1_11comp_targetILNS1_3genE4ELNS1_11target_archE910ELNS1_3gpuE8ELNS1_3repE0EEENS1_30default_config_static_selectorELNS0_4arch9wavefront6targetE0EEEvT1_
	.p2align	8
	.type	_ZN7rocprim17ROCPRIM_400000_NS6detail17trampoline_kernelINS0_14default_configENS1_20scan_config_selectorIdEEZZNS1_9scan_implILNS1_25lookback_scan_determinismE0ELb0ELb0ES3_PKdPddZZZN2at6native31launch_logcumsumexp_cuda_kernelERKNSB_10TensorBaseESF_lENKUlvE_clEvENKUlvE_clEvEUlddE_dEEDaPvRmT3_T4_T5_mT6_P12ihipStream_tbENKUlT_T0_E_clISt17integral_constantIbLb0EESV_IbLb1EEEEDaSR_SS_EUlSR_E0_NS1_11comp_targetILNS1_3genE4ELNS1_11target_archE910ELNS1_3gpuE8ELNS1_3repE0EEENS1_30default_config_static_selectorELNS0_4arch9wavefront6targetE0EEEvT1_,@function
_ZN7rocprim17ROCPRIM_400000_NS6detail17trampoline_kernelINS0_14default_configENS1_20scan_config_selectorIdEEZZNS1_9scan_implILNS1_25lookback_scan_determinismE0ELb0ELb0ES3_PKdPddZZZN2at6native31launch_logcumsumexp_cuda_kernelERKNSB_10TensorBaseESF_lENKUlvE_clEvENKUlvE_clEvEUlddE_dEEDaPvRmT3_T4_T5_mT6_P12ihipStream_tbENKUlT_T0_E_clISt17integral_constantIbLb0EESV_IbLb1EEEEDaSR_SS_EUlSR_E0_NS1_11comp_targetILNS1_3genE4ELNS1_11target_archE910ELNS1_3gpuE8ELNS1_3repE0EEENS1_30default_config_static_selectorELNS0_4arch9wavefront6targetE0EEEvT1_: ; @_ZN7rocprim17ROCPRIM_400000_NS6detail17trampoline_kernelINS0_14default_configENS1_20scan_config_selectorIdEEZZNS1_9scan_implILNS1_25lookback_scan_determinismE0ELb0ELb0ES3_PKdPddZZZN2at6native31launch_logcumsumexp_cuda_kernelERKNSB_10TensorBaseESF_lENKUlvE_clEvENKUlvE_clEvEUlddE_dEEDaPvRmT3_T4_T5_mT6_P12ihipStream_tbENKUlT_T0_E_clISt17integral_constantIbLb0EESV_IbLb1EEEEDaSR_SS_EUlSR_E0_NS1_11comp_targetILNS1_3genE4ELNS1_11target_archE910ELNS1_3gpuE8ELNS1_3repE0EEENS1_30default_config_static_selectorELNS0_4arch9wavefront6targetE0EEEvT1_
; %bb.0:
	.section	.rodata,"a",@progbits
	.p2align	6, 0x0
	.amdhsa_kernel _ZN7rocprim17ROCPRIM_400000_NS6detail17trampoline_kernelINS0_14default_configENS1_20scan_config_selectorIdEEZZNS1_9scan_implILNS1_25lookback_scan_determinismE0ELb0ELb0ES3_PKdPddZZZN2at6native31launch_logcumsumexp_cuda_kernelERKNSB_10TensorBaseESF_lENKUlvE_clEvENKUlvE_clEvEUlddE_dEEDaPvRmT3_T4_T5_mT6_P12ihipStream_tbENKUlT_T0_E_clISt17integral_constantIbLb0EESV_IbLb1EEEEDaSR_SS_EUlSR_E0_NS1_11comp_targetILNS1_3genE4ELNS1_11target_archE910ELNS1_3gpuE8ELNS1_3repE0EEENS1_30default_config_static_selectorELNS0_4arch9wavefront6targetE0EEEvT1_
		.amdhsa_group_segment_fixed_size 0
		.amdhsa_private_segment_fixed_size 0
		.amdhsa_kernarg_size 40
		.amdhsa_user_sgpr_count 6
		.amdhsa_user_sgpr_private_segment_buffer 1
		.amdhsa_user_sgpr_dispatch_ptr 0
		.amdhsa_user_sgpr_queue_ptr 0
		.amdhsa_user_sgpr_kernarg_segment_ptr 1
		.amdhsa_user_sgpr_dispatch_id 0
		.amdhsa_user_sgpr_flat_scratch_init 0
		.amdhsa_user_sgpr_private_segment_size 0
		.amdhsa_wavefront_size32 1
		.amdhsa_uses_dynamic_stack 0
		.amdhsa_system_sgpr_private_segment_wavefront_offset 0
		.amdhsa_system_sgpr_workgroup_id_x 1
		.amdhsa_system_sgpr_workgroup_id_y 0
		.amdhsa_system_sgpr_workgroup_id_z 0
		.amdhsa_system_sgpr_workgroup_info 0
		.amdhsa_system_vgpr_workitem_id 0
		.amdhsa_next_free_vgpr 1
		.amdhsa_next_free_sgpr 1
		.amdhsa_reserve_vcc 0
		.amdhsa_reserve_flat_scratch 0
		.amdhsa_float_round_mode_32 0
		.amdhsa_float_round_mode_16_64 0
		.amdhsa_float_denorm_mode_32 3
		.amdhsa_float_denorm_mode_16_64 3
		.amdhsa_dx10_clamp 1
		.amdhsa_ieee_mode 1
		.amdhsa_fp16_overflow 0
		.amdhsa_workgroup_processor_mode 1
		.amdhsa_memory_ordered 1
		.amdhsa_forward_progress 1
		.amdhsa_shared_vgpr_count 0
		.amdhsa_exception_fp_ieee_invalid_op 0
		.amdhsa_exception_fp_denorm_src 0
		.amdhsa_exception_fp_ieee_div_zero 0
		.amdhsa_exception_fp_ieee_overflow 0
		.amdhsa_exception_fp_ieee_underflow 0
		.amdhsa_exception_fp_ieee_inexact 0
		.amdhsa_exception_int_div_zero 0
	.end_amdhsa_kernel
	.section	.text._ZN7rocprim17ROCPRIM_400000_NS6detail17trampoline_kernelINS0_14default_configENS1_20scan_config_selectorIdEEZZNS1_9scan_implILNS1_25lookback_scan_determinismE0ELb0ELb0ES3_PKdPddZZZN2at6native31launch_logcumsumexp_cuda_kernelERKNSB_10TensorBaseESF_lENKUlvE_clEvENKUlvE_clEvEUlddE_dEEDaPvRmT3_T4_T5_mT6_P12ihipStream_tbENKUlT_T0_E_clISt17integral_constantIbLb0EESV_IbLb1EEEEDaSR_SS_EUlSR_E0_NS1_11comp_targetILNS1_3genE4ELNS1_11target_archE910ELNS1_3gpuE8ELNS1_3repE0EEENS1_30default_config_static_selectorELNS0_4arch9wavefront6targetE0EEEvT1_,"axG",@progbits,_ZN7rocprim17ROCPRIM_400000_NS6detail17trampoline_kernelINS0_14default_configENS1_20scan_config_selectorIdEEZZNS1_9scan_implILNS1_25lookback_scan_determinismE0ELb0ELb0ES3_PKdPddZZZN2at6native31launch_logcumsumexp_cuda_kernelERKNSB_10TensorBaseESF_lENKUlvE_clEvENKUlvE_clEvEUlddE_dEEDaPvRmT3_T4_T5_mT6_P12ihipStream_tbENKUlT_T0_E_clISt17integral_constantIbLb0EESV_IbLb1EEEEDaSR_SS_EUlSR_E0_NS1_11comp_targetILNS1_3genE4ELNS1_11target_archE910ELNS1_3gpuE8ELNS1_3repE0EEENS1_30default_config_static_selectorELNS0_4arch9wavefront6targetE0EEEvT1_,comdat
.Lfunc_end77:
	.size	_ZN7rocprim17ROCPRIM_400000_NS6detail17trampoline_kernelINS0_14default_configENS1_20scan_config_selectorIdEEZZNS1_9scan_implILNS1_25lookback_scan_determinismE0ELb0ELb0ES3_PKdPddZZZN2at6native31launch_logcumsumexp_cuda_kernelERKNSB_10TensorBaseESF_lENKUlvE_clEvENKUlvE_clEvEUlddE_dEEDaPvRmT3_T4_T5_mT6_P12ihipStream_tbENKUlT_T0_E_clISt17integral_constantIbLb0EESV_IbLb1EEEEDaSR_SS_EUlSR_E0_NS1_11comp_targetILNS1_3genE4ELNS1_11target_archE910ELNS1_3gpuE8ELNS1_3repE0EEENS1_30default_config_static_selectorELNS0_4arch9wavefront6targetE0EEEvT1_, .Lfunc_end77-_ZN7rocprim17ROCPRIM_400000_NS6detail17trampoline_kernelINS0_14default_configENS1_20scan_config_selectorIdEEZZNS1_9scan_implILNS1_25lookback_scan_determinismE0ELb0ELb0ES3_PKdPddZZZN2at6native31launch_logcumsumexp_cuda_kernelERKNSB_10TensorBaseESF_lENKUlvE_clEvENKUlvE_clEvEUlddE_dEEDaPvRmT3_T4_T5_mT6_P12ihipStream_tbENKUlT_T0_E_clISt17integral_constantIbLb0EESV_IbLb1EEEEDaSR_SS_EUlSR_E0_NS1_11comp_targetILNS1_3genE4ELNS1_11target_archE910ELNS1_3gpuE8ELNS1_3repE0EEENS1_30default_config_static_selectorELNS0_4arch9wavefront6targetE0EEEvT1_
                                        ; -- End function
	.set _ZN7rocprim17ROCPRIM_400000_NS6detail17trampoline_kernelINS0_14default_configENS1_20scan_config_selectorIdEEZZNS1_9scan_implILNS1_25lookback_scan_determinismE0ELb0ELb0ES3_PKdPddZZZN2at6native31launch_logcumsumexp_cuda_kernelERKNSB_10TensorBaseESF_lENKUlvE_clEvENKUlvE_clEvEUlddE_dEEDaPvRmT3_T4_T5_mT6_P12ihipStream_tbENKUlT_T0_E_clISt17integral_constantIbLb0EESV_IbLb1EEEEDaSR_SS_EUlSR_E0_NS1_11comp_targetILNS1_3genE4ELNS1_11target_archE910ELNS1_3gpuE8ELNS1_3repE0EEENS1_30default_config_static_selectorELNS0_4arch9wavefront6targetE0EEEvT1_.num_vgpr, 0
	.set _ZN7rocprim17ROCPRIM_400000_NS6detail17trampoline_kernelINS0_14default_configENS1_20scan_config_selectorIdEEZZNS1_9scan_implILNS1_25lookback_scan_determinismE0ELb0ELb0ES3_PKdPddZZZN2at6native31launch_logcumsumexp_cuda_kernelERKNSB_10TensorBaseESF_lENKUlvE_clEvENKUlvE_clEvEUlddE_dEEDaPvRmT3_T4_T5_mT6_P12ihipStream_tbENKUlT_T0_E_clISt17integral_constantIbLb0EESV_IbLb1EEEEDaSR_SS_EUlSR_E0_NS1_11comp_targetILNS1_3genE4ELNS1_11target_archE910ELNS1_3gpuE8ELNS1_3repE0EEENS1_30default_config_static_selectorELNS0_4arch9wavefront6targetE0EEEvT1_.num_agpr, 0
	.set _ZN7rocprim17ROCPRIM_400000_NS6detail17trampoline_kernelINS0_14default_configENS1_20scan_config_selectorIdEEZZNS1_9scan_implILNS1_25lookback_scan_determinismE0ELb0ELb0ES3_PKdPddZZZN2at6native31launch_logcumsumexp_cuda_kernelERKNSB_10TensorBaseESF_lENKUlvE_clEvENKUlvE_clEvEUlddE_dEEDaPvRmT3_T4_T5_mT6_P12ihipStream_tbENKUlT_T0_E_clISt17integral_constantIbLb0EESV_IbLb1EEEEDaSR_SS_EUlSR_E0_NS1_11comp_targetILNS1_3genE4ELNS1_11target_archE910ELNS1_3gpuE8ELNS1_3repE0EEENS1_30default_config_static_selectorELNS0_4arch9wavefront6targetE0EEEvT1_.numbered_sgpr, 0
	.set _ZN7rocprim17ROCPRIM_400000_NS6detail17trampoline_kernelINS0_14default_configENS1_20scan_config_selectorIdEEZZNS1_9scan_implILNS1_25lookback_scan_determinismE0ELb0ELb0ES3_PKdPddZZZN2at6native31launch_logcumsumexp_cuda_kernelERKNSB_10TensorBaseESF_lENKUlvE_clEvENKUlvE_clEvEUlddE_dEEDaPvRmT3_T4_T5_mT6_P12ihipStream_tbENKUlT_T0_E_clISt17integral_constantIbLb0EESV_IbLb1EEEEDaSR_SS_EUlSR_E0_NS1_11comp_targetILNS1_3genE4ELNS1_11target_archE910ELNS1_3gpuE8ELNS1_3repE0EEENS1_30default_config_static_selectorELNS0_4arch9wavefront6targetE0EEEvT1_.num_named_barrier, 0
	.set _ZN7rocprim17ROCPRIM_400000_NS6detail17trampoline_kernelINS0_14default_configENS1_20scan_config_selectorIdEEZZNS1_9scan_implILNS1_25lookback_scan_determinismE0ELb0ELb0ES3_PKdPddZZZN2at6native31launch_logcumsumexp_cuda_kernelERKNSB_10TensorBaseESF_lENKUlvE_clEvENKUlvE_clEvEUlddE_dEEDaPvRmT3_T4_T5_mT6_P12ihipStream_tbENKUlT_T0_E_clISt17integral_constantIbLb0EESV_IbLb1EEEEDaSR_SS_EUlSR_E0_NS1_11comp_targetILNS1_3genE4ELNS1_11target_archE910ELNS1_3gpuE8ELNS1_3repE0EEENS1_30default_config_static_selectorELNS0_4arch9wavefront6targetE0EEEvT1_.private_seg_size, 0
	.set _ZN7rocprim17ROCPRIM_400000_NS6detail17trampoline_kernelINS0_14default_configENS1_20scan_config_selectorIdEEZZNS1_9scan_implILNS1_25lookback_scan_determinismE0ELb0ELb0ES3_PKdPddZZZN2at6native31launch_logcumsumexp_cuda_kernelERKNSB_10TensorBaseESF_lENKUlvE_clEvENKUlvE_clEvEUlddE_dEEDaPvRmT3_T4_T5_mT6_P12ihipStream_tbENKUlT_T0_E_clISt17integral_constantIbLb0EESV_IbLb1EEEEDaSR_SS_EUlSR_E0_NS1_11comp_targetILNS1_3genE4ELNS1_11target_archE910ELNS1_3gpuE8ELNS1_3repE0EEENS1_30default_config_static_selectorELNS0_4arch9wavefront6targetE0EEEvT1_.uses_vcc, 0
	.set _ZN7rocprim17ROCPRIM_400000_NS6detail17trampoline_kernelINS0_14default_configENS1_20scan_config_selectorIdEEZZNS1_9scan_implILNS1_25lookback_scan_determinismE0ELb0ELb0ES3_PKdPddZZZN2at6native31launch_logcumsumexp_cuda_kernelERKNSB_10TensorBaseESF_lENKUlvE_clEvENKUlvE_clEvEUlddE_dEEDaPvRmT3_T4_T5_mT6_P12ihipStream_tbENKUlT_T0_E_clISt17integral_constantIbLb0EESV_IbLb1EEEEDaSR_SS_EUlSR_E0_NS1_11comp_targetILNS1_3genE4ELNS1_11target_archE910ELNS1_3gpuE8ELNS1_3repE0EEENS1_30default_config_static_selectorELNS0_4arch9wavefront6targetE0EEEvT1_.uses_flat_scratch, 0
	.set _ZN7rocprim17ROCPRIM_400000_NS6detail17trampoline_kernelINS0_14default_configENS1_20scan_config_selectorIdEEZZNS1_9scan_implILNS1_25lookback_scan_determinismE0ELb0ELb0ES3_PKdPddZZZN2at6native31launch_logcumsumexp_cuda_kernelERKNSB_10TensorBaseESF_lENKUlvE_clEvENKUlvE_clEvEUlddE_dEEDaPvRmT3_T4_T5_mT6_P12ihipStream_tbENKUlT_T0_E_clISt17integral_constantIbLb0EESV_IbLb1EEEEDaSR_SS_EUlSR_E0_NS1_11comp_targetILNS1_3genE4ELNS1_11target_archE910ELNS1_3gpuE8ELNS1_3repE0EEENS1_30default_config_static_selectorELNS0_4arch9wavefront6targetE0EEEvT1_.has_dyn_sized_stack, 0
	.set _ZN7rocprim17ROCPRIM_400000_NS6detail17trampoline_kernelINS0_14default_configENS1_20scan_config_selectorIdEEZZNS1_9scan_implILNS1_25lookback_scan_determinismE0ELb0ELb0ES3_PKdPddZZZN2at6native31launch_logcumsumexp_cuda_kernelERKNSB_10TensorBaseESF_lENKUlvE_clEvENKUlvE_clEvEUlddE_dEEDaPvRmT3_T4_T5_mT6_P12ihipStream_tbENKUlT_T0_E_clISt17integral_constantIbLb0EESV_IbLb1EEEEDaSR_SS_EUlSR_E0_NS1_11comp_targetILNS1_3genE4ELNS1_11target_archE910ELNS1_3gpuE8ELNS1_3repE0EEENS1_30default_config_static_selectorELNS0_4arch9wavefront6targetE0EEEvT1_.has_recursion, 0
	.set _ZN7rocprim17ROCPRIM_400000_NS6detail17trampoline_kernelINS0_14default_configENS1_20scan_config_selectorIdEEZZNS1_9scan_implILNS1_25lookback_scan_determinismE0ELb0ELb0ES3_PKdPddZZZN2at6native31launch_logcumsumexp_cuda_kernelERKNSB_10TensorBaseESF_lENKUlvE_clEvENKUlvE_clEvEUlddE_dEEDaPvRmT3_T4_T5_mT6_P12ihipStream_tbENKUlT_T0_E_clISt17integral_constantIbLb0EESV_IbLb1EEEEDaSR_SS_EUlSR_E0_NS1_11comp_targetILNS1_3genE4ELNS1_11target_archE910ELNS1_3gpuE8ELNS1_3repE0EEENS1_30default_config_static_selectorELNS0_4arch9wavefront6targetE0EEEvT1_.has_indirect_call, 0
	.section	.AMDGPU.csdata,"",@progbits
; Kernel info:
; codeLenInByte = 0
; TotalNumSgprs: 0
; NumVgprs: 0
; ScratchSize: 0
; MemoryBound: 0
; FloatMode: 240
; IeeeMode: 1
; LDSByteSize: 0 bytes/workgroup (compile time only)
; SGPRBlocks: 0
; VGPRBlocks: 0
; NumSGPRsForWavesPerEU: 1
; NumVGPRsForWavesPerEU: 1
; Occupancy: 16
; WaveLimiterHint : 0
; COMPUTE_PGM_RSRC2:SCRATCH_EN: 0
; COMPUTE_PGM_RSRC2:USER_SGPR: 6
; COMPUTE_PGM_RSRC2:TRAP_HANDLER: 0
; COMPUTE_PGM_RSRC2:TGID_X_EN: 1
; COMPUTE_PGM_RSRC2:TGID_Y_EN: 0
; COMPUTE_PGM_RSRC2:TGID_Z_EN: 0
; COMPUTE_PGM_RSRC2:TIDIG_COMP_CNT: 0
	.section	.text._ZN7rocprim17ROCPRIM_400000_NS6detail17trampoline_kernelINS0_14default_configENS1_20scan_config_selectorIdEEZZNS1_9scan_implILNS1_25lookback_scan_determinismE0ELb0ELb0ES3_PKdPddZZZN2at6native31launch_logcumsumexp_cuda_kernelERKNSB_10TensorBaseESF_lENKUlvE_clEvENKUlvE_clEvEUlddE_dEEDaPvRmT3_T4_T5_mT6_P12ihipStream_tbENKUlT_T0_E_clISt17integral_constantIbLb0EESV_IbLb1EEEEDaSR_SS_EUlSR_E0_NS1_11comp_targetILNS1_3genE3ELNS1_11target_archE908ELNS1_3gpuE7ELNS1_3repE0EEENS1_30default_config_static_selectorELNS0_4arch9wavefront6targetE0EEEvT1_,"axG",@progbits,_ZN7rocprim17ROCPRIM_400000_NS6detail17trampoline_kernelINS0_14default_configENS1_20scan_config_selectorIdEEZZNS1_9scan_implILNS1_25lookback_scan_determinismE0ELb0ELb0ES3_PKdPddZZZN2at6native31launch_logcumsumexp_cuda_kernelERKNSB_10TensorBaseESF_lENKUlvE_clEvENKUlvE_clEvEUlddE_dEEDaPvRmT3_T4_T5_mT6_P12ihipStream_tbENKUlT_T0_E_clISt17integral_constantIbLb0EESV_IbLb1EEEEDaSR_SS_EUlSR_E0_NS1_11comp_targetILNS1_3genE3ELNS1_11target_archE908ELNS1_3gpuE7ELNS1_3repE0EEENS1_30default_config_static_selectorELNS0_4arch9wavefront6targetE0EEEvT1_,comdat
	.globl	_ZN7rocprim17ROCPRIM_400000_NS6detail17trampoline_kernelINS0_14default_configENS1_20scan_config_selectorIdEEZZNS1_9scan_implILNS1_25lookback_scan_determinismE0ELb0ELb0ES3_PKdPddZZZN2at6native31launch_logcumsumexp_cuda_kernelERKNSB_10TensorBaseESF_lENKUlvE_clEvENKUlvE_clEvEUlddE_dEEDaPvRmT3_T4_T5_mT6_P12ihipStream_tbENKUlT_T0_E_clISt17integral_constantIbLb0EESV_IbLb1EEEEDaSR_SS_EUlSR_E0_NS1_11comp_targetILNS1_3genE3ELNS1_11target_archE908ELNS1_3gpuE7ELNS1_3repE0EEENS1_30default_config_static_selectorELNS0_4arch9wavefront6targetE0EEEvT1_ ; -- Begin function _ZN7rocprim17ROCPRIM_400000_NS6detail17trampoline_kernelINS0_14default_configENS1_20scan_config_selectorIdEEZZNS1_9scan_implILNS1_25lookback_scan_determinismE0ELb0ELb0ES3_PKdPddZZZN2at6native31launch_logcumsumexp_cuda_kernelERKNSB_10TensorBaseESF_lENKUlvE_clEvENKUlvE_clEvEUlddE_dEEDaPvRmT3_T4_T5_mT6_P12ihipStream_tbENKUlT_T0_E_clISt17integral_constantIbLb0EESV_IbLb1EEEEDaSR_SS_EUlSR_E0_NS1_11comp_targetILNS1_3genE3ELNS1_11target_archE908ELNS1_3gpuE7ELNS1_3repE0EEENS1_30default_config_static_selectorELNS0_4arch9wavefront6targetE0EEEvT1_
	.p2align	8
	.type	_ZN7rocprim17ROCPRIM_400000_NS6detail17trampoline_kernelINS0_14default_configENS1_20scan_config_selectorIdEEZZNS1_9scan_implILNS1_25lookback_scan_determinismE0ELb0ELb0ES3_PKdPddZZZN2at6native31launch_logcumsumexp_cuda_kernelERKNSB_10TensorBaseESF_lENKUlvE_clEvENKUlvE_clEvEUlddE_dEEDaPvRmT3_T4_T5_mT6_P12ihipStream_tbENKUlT_T0_E_clISt17integral_constantIbLb0EESV_IbLb1EEEEDaSR_SS_EUlSR_E0_NS1_11comp_targetILNS1_3genE3ELNS1_11target_archE908ELNS1_3gpuE7ELNS1_3repE0EEENS1_30default_config_static_selectorELNS0_4arch9wavefront6targetE0EEEvT1_,@function
_ZN7rocprim17ROCPRIM_400000_NS6detail17trampoline_kernelINS0_14default_configENS1_20scan_config_selectorIdEEZZNS1_9scan_implILNS1_25lookback_scan_determinismE0ELb0ELb0ES3_PKdPddZZZN2at6native31launch_logcumsumexp_cuda_kernelERKNSB_10TensorBaseESF_lENKUlvE_clEvENKUlvE_clEvEUlddE_dEEDaPvRmT3_T4_T5_mT6_P12ihipStream_tbENKUlT_T0_E_clISt17integral_constantIbLb0EESV_IbLb1EEEEDaSR_SS_EUlSR_E0_NS1_11comp_targetILNS1_3genE3ELNS1_11target_archE908ELNS1_3gpuE7ELNS1_3repE0EEENS1_30default_config_static_selectorELNS0_4arch9wavefront6targetE0EEEvT1_: ; @_ZN7rocprim17ROCPRIM_400000_NS6detail17trampoline_kernelINS0_14default_configENS1_20scan_config_selectorIdEEZZNS1_9scan_implILNS1_25lookback_scan_determinismE0ELb0ELb0ES3_PKdPddZZZN2at6native31launch_logcumsumexp_cuda_kernelERKNSB_10TensorBaseESF_lENKUlvE_clEvENKUlvE_clEvEUlddE_dEEDaPvRmT3_T4_T5_mT6_P12ihipStream_tbENKUlT_T0_E_clISt17integral_constantIbLb0EESV_IbLb1EEEEDaSR_SS_EUlSR_E0_NS1_11comp_targetILNS1_3genE3ELNS1_11target_archE908ELNS1_3gpuE7ELNS1_3repE0EEENS1_30default_config_static_selectorELNS0_4arch9wavefront6targetE0EEEvT1_
; %bb.0:
	.section	.rodata,"a",@progbits
	.p2align	6, 0x0
	.amdhsa_kernel _ZN7rocprim17ROCPRIM_400000_NS6detail17trampoline_kernelINS0_14default_configENS1_20scan_config_selectorIdEEZZNS1_9scan_implILNS1_25lookback_scan_determinismE0ELb0ELb0ES3_PKdPddZZZN2at6native31launch_logcumsumexp_cuda_kernelERKNSB_10TensorBaseESF_lENKUlvE_clEvENKUlvE_clEvEUlddE_dEEDaPvRmT3_T4_T5_mT6_P12ihipStream_tbENKUlT_T0_E_clISt17integral_constantIbLb0EESV_IbLb1EEEEDaSR_SS_EUlSR_E0_NS1_11comp_targetILNS1_3genE3ELNS1_11target_archE908ELNS1_3gpuE7ELNS1_3repE0EEENS1_30default_config_static_selectorELNS0_4arch9wavefront6targetE0EEEvT1_
		.amdhsa_group_segment_fixed_size 0
		.amdhsa_private_segment_fixed_size 0
		.amdhsa_kernarg_size 40
		.amdhsa_user_sgpr_count 6
		.amdhsa_user_sgpr_private_segment_buffer 1
		.amdhsa_user_sgpr_dispatch_ptr 0
		.amdhsa_user_sgpr_queue_ptr 0
		.amdhsa_user_sgpr_kernarg_segment_ptr 1
		.amdhsa_user_sgpr_dispatch_id 0
		.amdhsa_user_sgpr_flat_scratch_init 0
		.amdhsa_user_sgpr_private_segment_size 0
		.amdhsa_wavefront_size32 1
		.amdhsa_uses_dynamic_stack 0
		.amdhsa_system_sgpr_private_segment_wavefront_offset 0
		.amdhsa_system_sgpr_workgroup_id_x 1
		.amdhsa_system_sgpr_workgroup_id_y 0
		.amdhsa_system_sgpr_workgroup_id_z 0
		.amdhsa_system_sgpr_workgroup_info 0
		.amdhsa_system_vgpr_workitem_id 0
		.amdhsa_next_free_vgpr 1
		.amdhsa_next_free_sgpr 1
		.amdhsa_reserve_vcc 0
		.amdhsa_reserve_flat_scratch 0
		.amdhsa_float_round_mode_32 0
		.amdhsa_float_round_mode_16_64 0
		.amdhsa_float_denorm_mode_32 3
		.amdhsa_float_denorm_mode_16_64 3
		.amdhsa_dx10_clamp 1
		.amdhsa_ieee_mode 1
		.amdhsa_fp16_overflow 0
		.amdhsa_workgroup_processor_mode 1
		.amdhsa_memory_ordered 1
		.amdhsa_forward_progress 1
		.amdhsa_shared_vgpr_count 0
		.amdhsa_exception_fp_ieee_invalid_op 0
		.amdhsa_exception_fp_denorm_src 0
		.amdhsa_exception_fp_ieee_div_zero 0
		.amdhsa_exception_fp_ieee_overflow 0
		.amdhsa_exception_fp_ieee_underflow 0
		.amdhsa_exception_fp_ieee_inexact 0
		.amdhsa_exception_int_div_zero 0
	.end_amdhsa_kernel
	.section	.text._ZN7rocprim17ROCPRIM_400000_NS6detail17trampoline_kernelINS0_14default_configENS1_20scan_config_selectorIdEEZZNS1_9scan_implILNS1_25lookback_scan_determinismE0ELb0ELb0ES3_PKdPddZZZN2at6native31launch_logcumsumexp_cuda_kernelERKNSB_10TensorBaseESF_lENKUlvE_clEvENKUlvE_clEvEUlddE_dEEDaPvRmT3_T4_T5_mT6_P12ihipStream_tbENKUlT_T0_E_clISt17integral_constantIbLb0EESV_IbLb1EEEEDaSR_SS_EUlSR_E0_NS1_11comp_targetILNS1_3genE3ELNS1_11target_archE908ELNS1_3gpuE7ELNS1_3repE0EEENS1_30default_config_static_selectorELNS0_4arch9wavefront6targetE0EEEvT1_,"axG",@progbits,_ZN7rocprim17ROCPRIM_400000_NS6detail17trampoline_kernelINS0_14default_configENS1_20scan_config_selectorIdEEZZNS1_9scan_implILNS1_25lookback_scan_determinismE0ELb0ELb0ES3_PKdPddZZZN2at6native31launch_logcumsumexp_cuda_kernelERKNSB_10TensorBaseESF_lENKUlvE_clEvENKUlvE_clEvEUlddE_dEEDaPvRmT3_T4_T5_mT6_P12ihipStream_tbENKUlT_T0_E_clISt17integral_constantIbLb0EESV_IbLb1EEEEDaSR_SS_EUlSR_E0_NS1_11comp_targetILNS1_3genE3ELNS1_11target_archE908ELNS1_3gpuE7ELNS1_3repE0EEENS1_30default_config_static_selectorELNS0_4arch9wavefront6targetE0EEEvT1_,comdat
.Lfunc_end78:
	.size	_ZN7rocprim17ROCPRIM_400000_NS6detail17trampoline_kernelINS0_14default_configENS1_20scan_config_selectorIdEEZZNS1_9scan_implILNS1_25lookback_scan_determinismE0ELb0ELb0ES3_PKdPddZZZN2at6native31launch_logcumsumexp_cuda_kernelERKNSB_10TensorBaseESF_lENKUlvE_clEvENKUlvE_clEvEUlddE_dEEDaPvRmT3_T4_T5_mT6_P12ihipStream_tbENKUlT_T0_E_clISt17integral_constantIbLb0EESV_IbLb1EEEEDaSR_SS_EUlSR_E0_NS1_11comp_targetILNS1_3genE3ELNS1_11target_archE908ELNS1_3gpuE7ELNS1_3repE0EEENS1_30default_config_static_selectorELNS0_4arch9wavefront6targetE0EEEvT1_, .Lfunc_end78-_ZN7rocprim17ROCPRIM_400000_NS6detail17trampoline_kernelINS0_14default_configENS1_20scan_config_selectorIdEEZZNS1_9scan_implILNS1_25lookback_scan_determinismE0ELb0ELb0ES3_PKdPddZZZN2at6native31launch_logcumsumexp_cuda_kernelERKNSB_10TensorBaseESF_lENKUlvE_clEvENKUlvE_clEvEUlddE_dEEDaPvRmT3_T4_T5_mT6_P12ihipStream_tbENKUlT_T0_E_clISt17integral_constantIbLb0EESV_IbLb1EEEEDaSR_SS_EUlSR_E0_NS1_11comp_targetILNS1_3genE3ELNS1_11target_archE908ELNS1_3gpuE7ELNS1_3repE0EEENS1_30default_config_static_selectorELNS0_4arch9wavefront6targetE0EEEvT1_
                                        ; -- End function
	.set _ZN7rocprim17ROCPRIM_400000_NS6detail17trampoline_kernelINS0_14default_configENS1_20scan_config_selectorIdEEZZNS1_9scan_implILNS1_25lookback_scan_determinismE0ELb0ELb0ES3_PKdPddZZZN2at6native31launch_logcumsumexp_cuda_kernelERKNSB_10TensorBaseESF_lENKUlvE_clEvENKUlvE_clEvEUlddE_dEEDaPvRmT3_T4_T5_mT6_P12ihipStream_tbENKUlT_T0_E_clISt17integral_constantIbLb0EESV_IbLb1EEEEDaSR_SS_EUlSR_E0_NS1_11comp_targetILNS1_3genE3ELNS1_11target_archE908ELNS1_3gpuE7ELNS1_3repE0EEENS1_30default_config_static_selectorELNS0_4arch9wavefront6targetE0EEEvT1_.num_vgpr, 0
	.set _ZN7rocprim17ROCPRIM_400000_NS6detail17trampoline_kernelINS0_14default_configENS1_20scan_config_selectorIdEEZZNS1_9scan_implILNS1_25lookback_scan_determinismE0ELb0ELb0ES3_PKdPddZZZN2at6native31launch_logcumsumexp_cuda_kernelERKNSB_10TensorBaseESF_lENKUlvE_clEvENKUlvE_clEvEUlddE_dEEDaPvRmT3_T4_T5_mT6_P12ihipStream_tbENKUlT_T0_E_clISt17integral_constantIbLb0EESV_IbLb1EEEEDaSR_SS_EUlSR_E0_NS1_11comp_targetILNS1_3genE3ELNS1_11target_archE908ELNS1_3gpuE7ELNS1_3repE0EEENS1_30default_config_static_selectorELNS0_4arch9wavefront6targetE0EEEvT1_.num_agpr, 0
	.set _ZN7rocprim17ROCPRIM_400000_NS6detail17trampoline_kernelINS0_14default_configENS1_20scan_config_selectorIdEEZZNS1_9scan_implILNS1_25lookback_scan_determinismE0ELb0ELb0ES3_PKdPddZZZN2at6native31launch_logcumsumexp_cuda_kernelERKNSB_10TensorBaseESF_lENKUlvE_clEvENKUlvE_clEvEUlddE_dEEDaPvRmT3_T4_T5_mT6_P12ihipStream_tbENKUlT_T0_E_clISt17integral_constantIbLb0EESV_IbLb1EEEEDaSR_SS_EUlSR_E0_NS1_11comp_targetILNS1_3genE3ELNS1_11target_archE908ELNS1_3gpuE7ELNS1_3repE0EEENS1_30default_config_static_selectorELNS0_4arch9wavefront6targetE0EEEvT1_.numbered_sgpr, 0
	.set _ZN7rocprim17ROCPRIM_400000_NS6detail17trampoline_kernelINS0_14default_configENS1_20scan_config_selectorIdEEZZNS1_9scan_implILNS1_25lookback_scan_determinismE0ELb0ELb0ES3_PKdPddZZZN2at6native31launch_logcumsumexp_cuda_kernelERKNSB_10TensorBaseESF_lENKUlvE_clEvENKUlvE_clEvEUlddE_dEEDaPvRmT3_T4_T5_mT6_P12ihipStream_tbENKUlT_T0_E_clISt17integral_constantIbLb0EESV_IbLb1EEEEDaSR_SS_EUlSR_E0_NS1_11comp_targetILNS1_3genE3ELNS1_11target_archE908ELNS1_3gpuE7ELNS1_3repE0EEENS1_30default_config_static_selectorELNS0_4arch9wavefront6targetE0EEEvT1_.num_named_barrier, 0
	.set _ZN7rocprim17ROCPRIM_400000_NS6detail17trampoline_kernelINS0_14default_configENS1_20scan_config_selectorIdEEZZNS1_9scan_implILNS1_25lookback_scan_determinismE0ELb0ELb0ES3_PKdPddZZZN2at6native31launch_logcumsumexp_cuda_kernelERKNSB_10TensorBaseESF_lENKUlvE_clEvENKUlvE_clEvEUlddE_dEEDaPvRmT3_T4_T5_mT6_P12ihipStream_tbENKUlT_T0_E_clISt17integral_constantIbLb0EESV_IbLb1EEEEDaSR_SS_EUlSR_E0_NS1_11comp_targetILNS1_3genE3ELNS1_11target_archE908ELNS1_3gpuE7ELNS1_3repE0EEENS1_30default_config_static_selectorELNS0_4arch9wavefront6targetE0EEEvT1_.private_seg_size, 0
	.set _ZN7rocprim17ROCPRIM_400000_NS6detail17trampoline_kernelINS0_14default_configENS1_20scan_config_selectorIdEEZZNS1_9scan_implILNS1_25lookback_scan_determinismE0ELb0ELb0ES3_PKdPddZZZN2at6native31launch_logcumsumexp_cuda_kernelERKNSB_10TensorBaseESF_lENKUlvE_clEvENKUlvE_clEvEUlddE_dEEDaPvRmT3_T4_T5_mT6_P12ihipStream_tbENKUlT_T0_E_clISt17integral_constantIbLb0EESV_IbLb1EEEEDaSR_SS_EUlSR_E0_NS1_11comp_targetILNS1_3genE3ELNS1_11target_archE908ELNS1_3gpuE7ELNS1_3repE0EEENS1_30default_config_static_selectorELNS0_4arch9wavefront6targetE0EEEvT1_.uses_vcc, 0
	.set _ZN7rocprim17ROCPRIM_400000_NS6detail17trampoline_kernelINS0_14default_configENS1_20scan_config_selectorIdEEZZNS1_9scan_implILNS1_25lookback_scan_determinismE0ELb0ELb0ES3_PKdPddZZZN2at6native31launch_logcumsumexp_cuda_kernelERKNSB_10TensorBaseESF_lENKUlvE_clEvENKUlvE_clEvEUlddE_dEEDaPvRmT3_T4_T5_mT6_P12ihipStream_tbENKUlT_T0_E_clISt17integral_constantIbLb0EESV_IbLb1EEEEDaSR_SS_EUlSR_E0_NS1_11comp_targetILNS1_3genE3ELNS1_11target_archE908ELNS1_3gpuE7ELNS1_3repE0EEENS1_30default_config_static_selectorELNS0_4arch9wavefront6targetE0EEEvT1_.uses_flat_scratch, 0
	.set _ZN7rocprim17ROCPRIM_400000_NS6detail17trampoline_kernelINS0_14default_configENS1_20scan_config_selectorIdEEZZNS1_9scan_implILNS1_25lookback_scan_determinismE0ELb0ELb0ES3_PKdPddZZZN2at6native31launch_logcumsumexp_cuda_kernelERKNSB_10TensorBaseESF_lENKUlvE_clEvENKUlvE_clEvEUlddE_dEEDaPvRmT3_T4_T5_mT6_P12ihipStream_tbENKUlT_T0_E_clISt17integral_constantIbLb0EESV_IbLb1EEEEDaSR_SS_EUlSR_E0_NS1_11comp_targetILNS1_3genE3ELNS1_11target_archE908ELNS1_3gpuE7ELNS1_3repE0EEENS1_30default_config_static_selectorELNS0_4arch9wavefront6targetE0EEEvT1_.has_dyn_sized_stack, 0
	.set _ZN7rocprim17ROCPRIM_400000_NS6detail17trampoline_kernelINS0_14default_configENS1_20scan_config_selectorIdEEZZNS1_9scan_implILNS1_25lookback_scan_determinismE0ELb0ELb0ES3_PKdPddZZZN2at6native31launch_logcumsumexp_cuda_kernelERKNSB_10TensorBaseESF_lENKUlvE_clEvENKUlvE_clEvEUlddE_dEEDaPvRmT3_T4_T5_mT6_P12ihipStream_tbENKUlT_T0_E_clISt17integral_constantIbLb0EESV_IbLb1EEEEDaSR_SS_EUlSR_E0_NS1_11comp_targetILNS1_3genE3ELNS1_11target_archE908ELNS1_3gpuE7ELNS1_3repE0EEENS1_30default_config_static_selectorELNS0_4arch9wavefront6targetE0EEEvT1_.has_recursion, 0
	.set _ZN7rocprim17ROCPRIM_400000_NS6detail17trampoline_kernelINS0_14default_configENS1_20scan_config_selectorIdEEZZNS1_9scan_implILNS1_25lookback_scan_determinismE0ELb0ELb0ES3_PKdPddZZZN2at6native31launch_logcumsumexp_cuda_kernelERKNSB_10TensorBaseESF_lENKUlvE_clEvENKUlvE_clEvEUlddE_dEEDaPvRmT3_T4_T5_mT6_P12ihipStream_tbENKUlT_T0_E_clISt17integral_constantIbLb0EESV_IbLb1EEEEDaSR_SS_EUlSR_E0_NS1_11comp_targetILNS1_3genE3ELNS1_11target_archE908ELNS1_3gpuE7ELNS1_3repE0EEENS1_30default_config_static_selectorELNS0_4arch9wavefront6targetE0EEEvT1_.has_indirect_call, 0
	.section	.AMDGPU.csdata,"",@progbits
; Kernel info:
; codeLenInByte = 0
; TotalNumSgprs: 0
; NumVgprs: 0
; ScratchSize: 0
; MemoryBound: 0
; FloatMode: 240
; IeeeMode: 1
; LDSByteSize: 0 bytes/workgroup (compile time only)
; SGPRBlocks: 0
; VGPRBlocks: 0
; NumSGPRsForWavesPerEU: 1
; NumVGPRsForWavesPerEU: 1
; Occupancy: 16
; WaveLimiterHint : 0
; COMPUTE_PGM_RSRC2:SCRATCH_EN: 0
; COMPUTE_PGM_RSRC2:USER_SGPR: 6
; COMPUTE_PGM_RSRC2:TRAP_HANDLER: 0
; COMPUTE_PGM_RSRC2:TGID_X_EN: 1
; COMPUTE_PGM_RSRC2:TGID_Y_EN: 0
; COMPUTE_PGM_RSRC2:TGID_Z_EN: 0
; COMPUTE_PGM_RSRC2:TIDIG_COMP_CNT: 0
	.section	.text._ZN7rocprim17ROCPRIM_400000_NS6detail17trampoline_kernelINS0_14default_configENS1_20scan_config_selectorIdEEZZNS1_9scan_implILNS1_25lookback_scan_determinismE0ELb0ELb0ES3_PKdPddZZZN2at6native31launch_logcumsumexp_cuda_kernelERKNSB_10TensorBaseESF_lENKUlvE_clEvENKUlvE_clEvEUlddE_dEEDaPvRmT3_T4_T5_mT6_P12ihipStream_tbENKUlT_T0_E_clISt17integral_constantIbLb0EESV_IbLb1EEEEDaSR_SS_EUlSR_E0_NS1_11comp_targetILNS1_3genE2ELNS1_11target_archE906ELNS1_3gpuE6ELNS1_3repE0EEENS1_30default_config_static_selectorELNS0_4arch9wavefront6targetE0EEEvT1_,"axG",@progbits,_ZN7rocprim17ROCPRIM_400000_NS6detail17trampoline_kernelINS0_14default_configENS1_20scan_config_selectorIdEEZZNS1_9scan_implILNS1_25lookback_scan_determinismE0ELb0ELb0ES3_PKdPddZZZN2at6native31launch_logcumsumexp_cuda_kernelERKNSB_10TensorBaseESF_lENKUlvE_clEvENKUlvE_clEvEUlddE_dEEDaPvRmT3_T4_T5_mT6_P12ihipStream_tbENKUlT_T0_E_clISt17integral_constantIbLb0EESV_IbLb1EEEEDaSR_SS_EUlSR_E0_NS1_11comp_targetILNS1_3genE2ELNS1_11target_archE906ELNS1_3gpuE6ELNS1_3repE0EEENS1_30default_config_static_selectorELNS0_4arch9wavefront6targetE0EEEvT1_,comdat
	.globl	_ZN7rocprim17ROCPRIM_400000_NS6detail17trampoline_kernelINS0_14default_configENS1_20scan_config_selectorIdEEZZNS1_9scan_implILNS1_25lookback_scan_determinismE0ELb0ELb0ES3_PKdPddZZZN2at6native31launch_logcumsumexp_cuda_kernelERKNSB_10TensorBaseESF_lENKUlvE_clEvENKUlvE_clEvEUlddE_dEEDaPvRmT3_T4_T5_mT6_P12ihipStream_tbENKUlT_T0_E_clISt17integral_constantIbLb0EESV_IbLb1EEEEDaSR_SS_EUlSR_E0_NS1_11comp_targetILNS1_3genE2ELNS1_11target_archE906ELNS1_3gpuE6ELNS1_3repE0EEENS1_30default_config_static_selectorELNS0_4arch9wavefront6targetE0EEEvT1_ ; -- Begin function _ZN7rocprim17ROCPRIM_400000_NS6detail17trampoline_kernelINS0_14default_configENS1_20scan_config_selectorIdEEZZNS1_9scan_implILNS1_25lookback_scan_determinismE0ELb0ELb0ES3_PKdPddZZZN2at6native31launch_logcumsumexp_cuda_kernelERKNSB_10TensorBaseESF_lENKUlvE_clEvENKUlvE_clEvEUlddE_dEEDaPvRmT3_T4_T5_mT6_P12ihipStream_tbENKUlT_T0_E_clISt17integral_constantIbLb0EESV_IbLb1EEEEDaSR_SS_EUlSR_E0_NS1_11comp_targetILNS1_3genE2ELNS1_11target_archE906ELNS1_3gpuE6ELNS1_3repE0EEENS1_30default_config_static_selectorELNS0_4arch9wavefront6targetE0EEEvT1_
	.p2align	8
	.type	_ZN7rocprim17ROCPRIM_400000_NS6detail17trampoline_kernelINS0_14default_configENS1_20scan_config_selectorIdEEZZNS1_9scan_implILNS1_25lookback_scan_determinismE0ELb0ELb0ES3_PKdPddZZZN2at6native31launch_logcumsumexp_cuda_kernelERKNSB_10TensorBaseESF_lENKUlvE_clEvENKUlvE_clEvEUlddE_dEEDaPvRmT3_T4_T5_mT6_P12ihipStream_tbENKUlT_T0_E_clISt17integral_constantIbLb0EESV_IbLb1EEEEDaSR_SS_EUlSR_E0_NS1_11comp_targetILNS1_3genE2ELNS1_11target_archE906ELNS1_3gpuE6ELNS1_3repE0EEENS1_30default_config_static_selectorELNS0_4arch9wavefront6targetE0EEEvT1_,@function
_ZN7rocprim17ROCPRIM_400000_NS6detail17trampoline_kernelINS0_14default_configENS1_20scan_config_selectorIdEEZZNS1_9scan_implILNS1_25lookback_scan_determinismE0ELb0ELb0ES3_PKdPddZZZN2at6native31launch_logcumsumexp_cuda_kernelERKNSB_10TensorBaseESF_lENKUlvE_clEvENKUlvE_clEvEUlddE_dEEDaPvRmT3_T4_T5_mT6_P12ihipStream_tbENKUlT_T0_E_clISt17integral_constantIbLb0EESV_IbLb1EEEEDaSR_SS_EUlSR_E0_NS1_11comp_targetILNS1_3genE2ELNS1_11target_archE906ELNS1_3gpuE6ELNS1_3repE0EEENS1_30default_config_static_selectorELNS0_4arch9wavefront6targetE0EEEvT1_: ; @_ZN7rocprim17ROCPRIM_400000_NS6detail17trampoline_kernelINS0_14default_configENS1_20scan_config_selectorIdEEZZNS1_9scan_implILNS1_25lookback_scan_determinismE0ELb0ELb0ES3_PKdPddZZZN2at6native31launch_logcumsumexp_cuda_kernelERKNSB_10TensorBaseESF_lENKUlvE_clEvENKUlvE_clEvEUlddE_dEEDaPvRmT3_T4_T5_mT6_P12ihipStream_tbENKUlT_T0_E_clISt17integral_constantIbLb0EESV_IbLb1EEEEDaSR_SS_EUlSR_E0_NS1_11comp_targetILNS1_3genE2ELNS1_11target_archE906ELNS1_3gpuE6ELNS1_3repE0EEENS1_30default_config_static_selectorELNS0_4arch9wavefront6targetE0EEEvT1_
; %bb.0:
	.section	.rodata,"a",@progbits
	.p2align	6, 0x0
	.amdhsa_kernel _ZN7rocprim17ROCPRIM_400000_NS6detail17trampoline_kernelINS0_14default_configENS1_20scan_config_selectorIdEEZZNS1_9scan_implILNS1_25lookback_scan_determinismE0ELb0ELb0ES3_PKdPddZZZN2at6native31launch_logcumsumexp_cuda_kernelERKNSB_10TensorBaseESF_lENKUlvE_clEvENKUlvE_clEvEUlddE_dEEDaPvRmT3_T4_T5_mT6_P12ihipStream_tbENKUlT_T0_E_clISt17integral_constantIbLb0EESV_IbLb1EEEEDaSR_SS_EUlSR_E0_NS1_11comp_targetILNS1_3genE2ELNS1_11target_archE906ELNS1_3gpuE6ELNS1_3repE0EEENS1_30default_config_static_selectorELNS0_4arch9wavefront6targetE0EEEvT1_
		.amdhsa_group_segment_fixed_size 0
		.amdhsa_private_segment_fixed_size 0
		.amdhsa_kernarg_size 40
		.amdhsa_user_sgpr_count 6
		.amdhsa_user_sgpr_private_segment_buffer 1
		.amdhsa_user_sgpr_dispatch_ptr 0
		.amdhsa_user_sgpr_queue_ptr 0
		.amdhsa_user_sgpr_kernarg_segment_ptr 1
		.amdhsa_user_sgpr_dispatch_id 0
		.amdhsa_user_sgpr_flat_scratch_init 0
		.amdhsa_user_sgpr_private_segment_size 0
		.amdhsa_wavefront_size32 1
		.amdhsa_uses_dynamic_stack 0
		.amdhsa_system_sgpr_private_segment_wavefront_offset 0
		.amdhsa_system_sgpr_workgroup_id_x 1
		.amdhsa_system_sgpr_workgroup_id_y 0
		.amdhsa_system_sgpr_workgroup_id_z 0
		.amdhsa_system_sgpr_workgroup_info 0
		.amdhsa_system_vgpr_workitem_id 0
		.amdhsa_next_free_vgpr 1
		.amdhsa_next_free_sgpr 1
		.amdhsa_reserve_vcc 0
		.amdhsa_reserve_flat_scratch 0
		.amdhsa_float_round_mode_32 0
		.amdhsa_float_round_mode_16_64 0
		.amdhsa_float_denorm_mode_32 3
		.amdhsa_float_denorm_mode_16_64 3
		.amdhsa_dx10_clamp 1
		.amdhsa_ieee_mode 1
		.amdhsa_fp16_overflow 0
		.amdhsa_workgroup_processor_mode 1
		.amdhsa_memory_ordered 1
		.amdhsa_forward_progress 1
		.amdhsa_shared_vgpr_count 0
		.amdhsa_exception_fp_ieee_invalid_op 0
		.amdhsa_exception_fp_denorm_src 0
		.amdhsa_exception_fp_ieee_div_zero 0
		.amdhsa_exception_fp_ieee_overflow 0
		.amdhsa_exception_fp_ieee_underflow 0
		.amdhsa_exception_fp_ieee_inexact 0
		.amdhsa_exception_int_div_zero 0
	.end_amdhsa_kernel
	.section	.text._ZN7rocprim17ROCPRIM_400000_NS6detail17trampoline_kernelINS0_14default_configENS1_20scan_config_selectorIdEEZZNS1_9scan_implILNS1_25lookback_scan_determinismE0ELb0ELb0ES3_PKdPddZZZN2at6native31launch_logcumsumexp_cuda_kernelERKNSB_10TensorBaseESF_lENKUlvE_clEvENKUlvE_clEvEUlddE_dEEDaPvRmT3_T4_T5_mT6_P12ihipStream_tbENKUlT_T0_E_clISt17integral_constantIbLb0EESV_IbLb1EEEEDaSR_SS_EUlSR_E0_NS1_11comp_targetILNS1_3genE2ELNS1_11target_archE906ELNS1_3gpuE6ELNS1_3repE0EEENS1_30default_config_static_selectorELNS0_4arch9wavefront6targetE0EEEvT1_,"axG",@progbits,_ZN7rocprim17ROCPRIM_400000_NS6detail17trampoline_kernelINS0_14default_configENS1_20scan_config_selectorIdEEZZNS1_9scan_implILNS1_25lookback_scan_determinismE0ELb0ELb0ES3_PKdPddZZZN2at6native31launch_logcumsumexp_cuda_kernelERKNSB_10TensorBaseESF_lENKUlvE_clEvENKUlvE_clEvEUlddE_dEEDaPvRmT3_T4_T5_mT6_P12ihipStream_tbENKUlT_T0_E_clISt17integral_constantIbLb0EESV_IbLb1EEEEDaSR_SS_EUlSR_E0_NS1_11comp_targetILNS1_3genE2ELNS1_11target_archE906ELNS1_3gpuE6ELNS1_3repE0EEENS1_30default_config_static_selectorELNS0_4arch9wavefront6targetE0EEEvT1_,comdat
.Lfunc_end79:
	.size	_ZN7rocprim17ROCPRIM_400000_NS6detail17trampoline_kernelINS0_14default_configENS1_20scan_config_selectorIdEEZZNS1_9scan_implILNS1_25lookback_scan_determinismE0ELb0ELb0ES3_PKdPddZZZN2at6native31launch_logcumsumexp_cuda_kernelERKNSB_10TensorBaseESF_lENKUlvE_clEvENKUlvE_clEvEUlddE_dEEDaPvRmT3_T4_T5_mT6_P12ihipStream_tbENKUlT_T0_E_clISt17integral_constantIbLb0EESV_IbLb1EEEEDaSR_SS_EUlSR_E0_NS1_11comp_targetILNS1_3genE2ELNS1_11target_archE906ELNS1_3gpuE6ELNS1_3repE0EEENS1_30default_config_static_selectorELNS0_4arch9wavefront6targetE0EEEvT1_, .Lfunc_end79-_ZN7rocprim17ROCPRIM_400000_NS6detail17trampoline_kernelINS0_14default_configENS1_20scan_config_selectorIdEEZZNS1_9scan_implILNS1_25lookback_scan_determinismE0ELb0ELb0ES3_PKdPddZZZN2at6native31launch_logcumsumexp_cuda_kernelERKNSB_10TensorBaseESF_lENKUlvE_clEvENKUlvE_clEvEUlddE_dEEDaPvRmT3_T4_T5_mT6_P12ihipStream_tbENKUlT_T0_E_clISt17integral_constantIbLb0EESV_IbLb1EEEEDaSR_SS_EUlSR_E0_NS1_11comp_targetILNS1_3genE2ELNS1_11target_archE906ELNS1_3gpuE6ELNS1_3repE0EEENS1_30default_config_static_selectorELNS0_4arch9wavefront6targetE0EEEvT1_
                                        ; -- End function
	.set _ZN7rocprim17ROCPRIM_400000_NS6detail17trampoline_kernelINS0_14default_configENS1_20scan_config_selectorIdEEZZNS1_9scan_implILNS1_25lookback_scan_determinismE0ELb0ELb0ES3_PKdPddZZZN2at6native31launch_logcumsumexp_cuda_kernelERKNSB_10TensorBaseESF_lENKUlvE_clEvENKUlvE_clEvEUlddE_dEEDaPvRmT3_T4_T5_mT6_P12ihipStream_tbENKUlT_T0_E_clISt17integral_constantIbLb0EESV_IbLb1EEEEDaSR_SS_EUlSR_E0_NS1_11comp_targetILNS1_3genE2ELNS1_11target_archE906ELNS1_3gpuE6ELNS1_3repE0EEENS1_30default_config_static_selectorELNS0_4arch9wavefront6targetE0EEEvT1_.num_vgpr, 0
	.set _ZN7rocprim17ROCPRIM_400000_NS6detail17trampoline_kernelINS0_14default_configENS1_20scan_config_selectorIdEEZZNS1_9scan_implILNS1_25lookback_scan_determinismE0ELb0ELb0ES3_PKdPddZZZN2at6native31launch_logcumsumexp_cuda_kernelERKNSB_10TensorBaseESF_lENKUlvE_clEvENKUlvE_clEvEUlddE_dEEDaPvRmT3_T4_T5_mT6_P12ihipStream_tbENKUlT_T0_E_clISt17integral_constantIbLb0EESV_IbLb1EEEEDaSR_SS_EUlSR_E0_NS1_11comp_targetILNS1_3genE2ELNS1_11target_archE906ELNS1_3gpuE6ELNS1_3repE0EEENS1_30default_config_static_selectorELNS0_4arch9wavefront6targetE0EEEvT1_.num_agpr, 0
	.set _ZN7rocprim17ROCPRIM_400000_NS6detail17trampoline_kernelINS0_14default_configENS1_20scan_config_selectorIdEEZZNS1_9scan_implILNS1_25lookback_scan_determinismE0ELb0ELb0ES3_PKdPddZZZN2at6native31launch_logcumsumexp_cuda_kernelERKNSB_10TensorBaseESF_lENKUlvE_clEvENKUlvE_clEvEUlddE_dEEDaPvRmT3_T4_T5_mT6_P12ihipStream_tbENKUlT_T0_E_clISt17integral_constantIbLb0EESV_IbLb1EEEEDaSR_SS_EUlSR_E0_NS1_11comp_targetILNS1_3genE2ELNS1_11target_archE906ELNS1_3gpuE6ELNS1_3repE0EEENS1_30default_config_static_selectorELNS0_4arch9wavefront6targetE0EEEvT1_.numbered_sgpr, 0
	.set _ZN7rocprim17ROCPRIM_400000_NS6detail17trampoline_kernelINS0_14default_configENS1_20scan_config_selectorIdEEZZNS1_9scan_implILNS1_25lookback_scan_determinismE0ELb0ELb0ES3_PKdPddZZZN2at6native31launch_logcumsumexp_cuda_kernelERKNSB_10TensorBaseESF_lENKUlvE_clEvENKUlvE_clEvEUlddE_dEEDaPvRmT3_T4_T5_mT6_P12ihipStream_tbENKUlT_T0_E_clISt17integral_constantIbLb0EESV_IbLb1EEEEDaSR_SS_EUlSR_E0_NS1_11comp_targetILNS1_3genE2ELNS1_11target_archE906ELNS1_3gpuE6ELNS1_3repE0EEENS1_30default_config_static_selectorELNS0_4arch9wavefront6targetE0EEEvT1_.num_named_barrier, 0
	.set _ZN7rocprim17ROCPRIM_400000_NS6detail17trampoline_kernelINS0_14default_configENS1_20scan_config_selectorIdEEZZNS1_9scan_implILNS1_25lookback_scan_determinismE0ELb0ELb0ES3_PKdPddZZZN2at6native31launch_logcumsumexp_cuda_kernelERKNSB_10TensorBaseESF_lENKUlvE_clEvENKUlvE_clEvEUlddE_dEEDaPvRmT3_T4_T5_mT6_P12ihipStream_tbENKUlT_T0_E_clISt17integral_constantIbLb0EESV_IbLb1EEEEDaSR_SS_EUlSR_E0_NS1_11comp_targetILNS1_3genE2ELNS1_11target_archE906ELNS1_3gpuE6ELNS1_3repE0EEENS1_30default_config_static_selectorELNS0_4arch9wavefront6targetE0EEEvT1_.private_seg_size, 0
	.set _ZN7rocprim17ROCPRIM_400000_NS6detail17trampoline_kernelINS0_14default_configENS1_20scan_config_selectorIdEEZZNS1_9scan_implILNS1_25lookback_scan_determinismE0ELb0ELb0ES3_PKdPddZZZN2at6native31launch_logcumsumexp_cuda_kernelERKNSB_10TensorBaseESF_lENKUlvE_clEvENKUlvE_clEvEUlddE_dEEDaPvRmT3_T4_T5_mT6_P12ihipStream_tbENKUlT_T0_E_clISt17integral_constantIbLb0EESV_IbLb1EEEEDaSR_SS_EUlSR_E0_NS1_11comp_targetILNS1_3genE2ELNS1_11target_archE906ELNS1_3gpuE6ELNS1_3repE0EEENS1_30default_config_static_selectorELNS0_4arch9wavefront6targetE0EEEvT1_.uses_vcc, 0
	.set _ZN7rocprim17ROCPRIM_400000_NS6detail17trampoline_kernelINS0_14default_configENS1_20scan_config_selectorIdEEZZNS1_9scan_implILNS1_25lookback_scan_determinismE0ELb0ELb0ES3_PKdPddZZZN2at6native31launch_logcumsumexp_cuda_kernelERKNSB_10TensorBaseESF_lENKUlvE_clEvENKUlvE_clEvEUlddE_dEEDaPvRmT3_T4_T5_mT6_P12ihipStream_tbENKUlT_T0_E_clISt17integral_constantIbLb0EESV_IbLb1EEEEDaSR_SS_EUlSR_E0_NS1_11comp_targetILNS1_3genE2ELNS1_11target_archE906ELNS1_3gpuE6ELNS1_3repE0EEENS1_30default_config_static_selectorELNS0_4arch9wavefront6targetE0EEEvT1_.uses_flat_scratch, 0
	.set _ZN7rocprim17ROCPRIM_400000_NS6detail17trampoline_kernelINS0_14default_configENS1_20scan_config_selectorIdEEZZNS1_9scan_implILNS1_25lookback_scan_determinismE0ELb0ELb0ES3_PKdPddZZZN2at6native31launch_logcumsumexp_cuda_kernelERKNSB_10TensorBaseESF_lENKUlvE_clEvENKUlvE_clEvEUlddE_dEEDaPvRmT3_T4_T5_mT6_P12ihipStream_tbENKUlT_T0_E_clISt17integral_constantIbLb0EESV_IbLb1EEEEDaSR_SS_EUlSR_E0_NS1_11comp_targetILNS1_3genE2ELNS1_11target_archE906ELNS1_3gpuE6ELNS1_3repE0EEENS1_30default_config_static_selectorELNS0_4arch9wavefront6targetE0EEEvT1_.has_dyn_sized_stack, 0
	.set _ZN7rocprim17ROCPRIM_400000_NS6detail17trampoline_kernelINS0_14default_configENS1_20scan_config_selectorIdEEZZNS1_9scan_implILNS1_25lookback_scan_determinismE0ELb0ELb0ES3_PKdPddZZZN2at6native31launch_logcumsumexp_cuda_kernelERKNSB_10TensorBaseESF_lENKUlvE_clEvENKUlvE_clEvEUlddE_dEEDaPvRmT3_T4_T5_mT6_P12ihipStream_tbENKUlT_T0_E_clISt17integral_constantIbLb0EESV_IbLb1EEEEDaSR_SS_EUlSR_E0_NS1_11comp_targetILNS1_3genE2ELNS1_11target_archE906ELNS1_3gpuE6ELNS1_3repE0EEENS1_30default_config_static_selectorELNS0_4arch9wavefront6targetE0EEEvT1_.has_recursion, 0
	.set _ZN7rocprim17ROCPRIM_400000_NS6detail17trampoline_kernelINS0_14default_configENS1_20scan_config_selectorIdEEZZNS1_9scan_implILNS1_25lookback_scan_determinismE0ELb0ELb0ES3_PKdPddZZZN2at6native31launch_logcumsumexp_cuda_kernelERKNSB_10TensorBaseESF_lENKUlvE_clEvENKUlvE_clEvEUlddE_dEEDaPvRmT3_T4_T5_mT6_P12ihipStream_tbENKUlT_T0_E_clISt17integral_constantIbLb0EESV_IbLb1EEEEDaSR_SS_EUlSR_E0_NS1_11comp_targetILNS1_3genE2ELNS1_11target_archE906ELNS1_3gpuE6ELNS1_3repE0EEENS1_30default_config_static_selectorELNS0_4arch9wavefront6targetE0EEEvT1_.has_indirect_call, 0
	.section	.AMDGPU.csdata,"",@progbits
; Kernel info:
; codeLenInByte = 0
; TotalNumSgprs: 0
; NumVgprs: 0
; ScratchSize: 0
; MemoryBound: 0
; FloatMode: 240
; IeeeMode: 1
; LDSByteSize: 0 bytes/workgroup (compile time only)
; SGPRBlocks: 0
; VGPRBlocks: 0
; NumSGPRsForWavesPerEU: 1
; NumVGPRsForWavesPerEU: 1
; Occupancy: 16
; WaveLimiterHint : 0
; COMPUTE_PGM_RSRC2:SCRATCH_EN: 0
; COMPUTE_PGM_RSRC2:USER_SGPR: 6
; COMPUTE_PGM_RSRC2:TRAP_HANDLER: 0
; COMPUTE_PGM_RSRC2:TGID_X_EN: 1
; COMPUTE_PGM_RSRC2:TGID_Y_EN: 0
; COMPUTE_PGM_RSRC2:TGID_Z_EN: 0
; COMPUTE_PGM_RSRC2:TIDIG_COMP_CNT: 0
	.section	.text._ZN7rocprim17ROCPRIM_400000_NS6detail17trampoline_kernelINS0_14default_configENS1_20scan_config_selectorIdEEZZNS1_9scan_implILNS1_25lookback_scan_determinismE0ELb0ELb0ES3_PKdPddZZZN2at6native31launch_logcumsumexp_cuda_kernelERKNSB_10TensorBaseESF_lENKUlvE_clEvENKUlvE_clEvEUlddE_dEEDaPvRmT3_T4_T5_mT6_P12ihipStream_tbENKUlT_T0_E_clISt17integral_constantIbLb0EESV_IbLb1EEEEDaSR_SS_EUlSR_E0_NS1_11comp_targetILNS1_3genE10ELNS1_11target_archE1201ELNS1_3gpuE5ELNS1_3repE0EEENS1_30default_config_static_selectorELNS0_4arch9wavefront6targetE0EEEvT1_,"axG",@progbits,_ZN7rocprim17ROCPRIM_400000_NS6detail17trampoline_kernelINS0_14default_configENS1_20scan_config_selectorIdEEZZNS1_9scan_implILNS1_25lookback_scan_determinismE0ELb0ELb0ES3_PKdPddZZZN2at6native31launch_logcumsumexp_cuda_kernelERKNSB_10TensorBaseESF_lENKUlvE_clEvENKUlvE_clEvEUlddE_dEEDaPvRmT3_T4_T5_mT6_P12ihipStream_tbENKUlT_T0_E_clISt17integral_constantIbLb0EESV_IbLb1EEEEDaSR_SS_EUlSR_E0_NS1_11comp_targetILNS1_3genE10ELNS1_11target_archE1201ELNS1_3gpuE5ELNS1_3repE0EEENS1_30default_config_static_selectorELNS0_4arch9wavefront6targetE0EEEvT1_,comdat
	.globl	_ZN7rocprim17ROCPRIM_400000_NS6detail17trampoline_kernelINS0_14default_configENS1_20scan_config_selectorIdEEZZNS1_9scan_implILNS1_25lookback_scan_determinismE0ELb0ELb0ES3_PKdPddZZZN2at6native31launch_logcumsumexp_cuda_kernelERKNSB_10TensorBaseESF_lENKUlvE_clEvENKUlvE_clEvEUlddE_dEEDaPvRmT3_T4_T5_mT6_P12ihipStream_tbENKUlT_T0_E_clISt17integral_constantIbLb0EESV_IbLb1EEEEDaSR_SS_EUlSR_E0_NS1_11comp_targetILNS1_3genE10ELNS1_11target_archE1201ELNS1_3gpuE5ELNS1_3repE0EEENS1_30default_config_static_selectorELNS0_4arch9wavefront6targetE0EEEvT1_ ; -- Begin function _ZN7rocprim17ROCPRIM_400000_NS6detail17trampoline_kernelINS0_14default_configENS1_20scan_config_selectorIdEEZZNS1_9scan_implILNS1_25lookback_scan_determinismE0ELb0ELb0ES3_PKdPddZZZN2at6native31launch_logcumsumexp_cuda_kernelERKNSB_10TensorBaseESF_lENKUlvE_clEvENKUlvE_clEvEUlddE_dEEDaPvRmT3_T4_T5_mT6_P12ihipStream_tbENKUlT_T0_E_clISt17integral_constantIbLb0EESV_IbLb1EEEEDaSR_SS_EUlSR_E0_NS1_11comp_targetILNS1_3genE10ELNS1_11target_archE1201ELNS1_3gpuE5ELNS1_3repE0EEENS1_30default_config_static_selectorELNS0_4arch9wavefront6targetE0EEEvT1_
	.p2align	8
	.type	_ZN7rocprim17ROCPRIM_400000_NS6detail17trampoline_kernelINS0_14default_configENS1_20scan_config_selectorIdEEZZNS1_9scan_implILNS1_25lookback_scan_determinismE0ELb0ELb0ES3_PKdPddZZZN2at6native31launch_logcumsumexp_cuda_kernelERKNSB_10TensorBaseESF_lENKUlvE_clEvENKUlvE_clEvEUlddE_dEEDaPvRmT3_T4_T5_mT6_P12ihipStream_tbENKUlT_T0_E_clISt17integral_constantIbLb0EESV_IbLb1EEEEDaSR_SS_EUlSR_E0_NS1_11comp_targetILNS1_3genE10ELNS1_11target_archE1201ELNS1_3gpuE5ELNS1_3repE0EEENS1_30default_config_static_selectorELNS0_4arch9wavefront6targetE0EEEvT1_,@function
_ZN7rocprim17ROCPRIM_400000_NS6detail17trampoline_kernelINS0_14default_configENS1_20scan_config_selectorIdEEZZNS1_9scan_implILNS1_25lookback_scan_determinismE0ELb0ELb0ES3_PKdPddZZZN2at6native31launch_logcumsumexp_cuda_kernelERKNSB_10TensorBaseESF_lENKUlvE_clEvENKUlvE_clEvEUlddE_dEEDaPvRmT3_T4_T5_mT6_P12ihipStream_tbENKUlT_T0_E_clISt17integral_constantIbLb0EESV_IbLb1EEEEDaSR_SS_EUlSR_E0_NS1_11comp_targetILNS1_3genE10ELNS1_11target_archE1201ELNS1_3gpuE5ELNS1_3repE0EEENS1_30default_config_static_selectorELNS0_4arch9wavefront6targetE0EEEvT1_: ; @_ZN7rocprim17ROCPRIM_400000_NS6detail17trampoline_kernelINS0_14default_configENS1_20scan_config_selectorIdEEZZNS1_9scan_implILNS1_25lookback_scan_determinismE0ELb0ELb0ES3_PKdPddZZZN2at6native31launch_logcumsumexp_cuda_kernelERKNSB_10TensorBaseESF_lENKUlvE_clEvENKUlvE_clEvEUlddE_dEEDaPvRmT3_T4_T5_mT6_P12ihipStream_tbENKUlT_T0_E_clISt17integral_constantIbLb0EESV_IbLb1EEEEDaSR_SS_EUlSR_E0_NS1_11comp_targetILNS1_3genE10ELNS1_11target_archE1201ELNS1_3gpuE5ELNS1_3repE0EEENS1_30default_config_static_selectorELNS0_4arch9wavefront6targetE0EEEvT1_
; %bb.0:
	.section	.rodata,"a",@progbits
	.p2align	6, 0x0
	.amdhsa_kernel _ZN7rocprim17ROCPRIM_400000_NS6detail17trampoline_kernelINS0_14default_configENS1_20scan_config_selectorIdEEZZNS1_9scan_implILNS1_25lookback_scan_determinismE0ELb0ELb0ES3_PKdPddZZZN2at6native31launch_logcumsumexp_cuda_kernelERKNSB_10TensorBaseESF_lENKUlvE_clEvENKUlvE_clEvEUlddE_dEEDaPvRmT3_T4_T5_mT6_P12ihipStream_tbENKUlT_T0_E_clISt17integral_constantIbLb0EESV_IbLb1EEEEDaSR_SS_EUlSR_E0_NS1_11comp_targetILNS1_3genE10ELNS1_11target_archE1201ELNS1_3gpuE5ELNS1_3repE0EEENS1_30default_config_static_selectorELNS0_4arch9wavefront6targetE0EEEvT1_
		.amdhsa_group_segment_fixed_size 0
		.amdhsa_private_segment_fixed_size 0
		.amdhsa_kernarg_size 40
		.amdhsa_user_sgpr_count 6
		.amdhsa_user_sgpr_private_segment_buffer 1
		.amdhsa_user_sgpr_dispatch_ptr 0
		.amdhsa_user_sgpr_queue_ptr 0
		.amdhsa_user_sgpr_kernarg_segment_ptr 1
		.amdhsa_user_sgpr_dispatch_id 0
		.amdhsa_user_sgpr_flat_scratch_init 0
		.amdhsa_user_sgpr_private_segment_size 0
		.amdhsa_wavefront_size32 1
		.amdhsa_uses_dynamic_stack 0
		.amdhsa_system_sgpr_private_segment_wavefront_offset 0
		.amdhsa_system_sgpr_workgroup_id_x 1
		.amdhsa_system_sgpr_workgroup_id_y 0
		.amdhsa_system_sgpr_workgroup_id_z 0
		.amdhsa_system_sgpr_workgroup_info 0
		.amdhsa_system_vgpr_workitem_id 0
		.amdhsa_next_free_vgpr 1
		.amdhsa_next_free_sgpr 1
		.amdhsa_reserve_vcc 0
		.amdhsa_reserve_flat_scratch 0
		.amdhsa_float_round_mode_32 0
		.amdhsa_float_round_mode_16_64 0
		.amdhsa_float_denorm_mode_32 3
		.amdhsa_float_denorm_mode_16_64 3
		.amdhsa_dx10_clamp 1
		.amdhsa_ieee_mode 1
		.amdhsa_fp16_overflow 0
		.amdhsa_workgroup_processor_mode 1
		.amdhsa_memory_ordered 1
		.amdhsa_forward_progress 1
		.amdhsa_shared_vgpr_count 0
		.amdhsa_exception_fp_ieee_invalid_op 0
		.amdhsa_exception_fp_denorm_src 0
		.amdhsa_exception_fp_ieee_div_zero 0
		.amdhsa_exception_fp_ieee_overflow 0
		.amdhsa_exception_fp_ieee_underflow 0
		.amdhsa_exception_fp_ieee_inexact 0
		.amdhsa_exception_int_div_zero 0
	.end_amdhsa_kernel
	.section	.text._ZN7rocprim17ROCPRIM_400000_NS6detail17trampoline_kernelINS0_14default_configENS1_20scan_config_selectorIdEEZZNS1_9scan_implILNS1_25lookback_scan_determinismE0ELb0ELb0ES3_PKdPddZZZN2at6native31launch_logcumsumexp_cuda_kernelERKNSB_10TensorBaseESF_lENKUlvE_clEvENKUlvE_clEvEUlddE_dEEDaPvRmT3_T4_T5_mT6_P12ihipStream_tbENKUlT_T0_E_clISt17integral_constantIbLb0EESV_IbLb1EEEEDaSR_SS_EUlSR_E0_NS1_11comp_targetILNS1_3genE10ELNS1_11target_archE1201ELNS1_3gpuE5ELNS1_3repE0EEENS1_30default_config_static_selectorELNS0_4arch9wavefront6targetE0EEEvT1_,"axG",@progbits,_ZN7rocprim17ROCPRIM_400000_NS6detail17trampoline_kernelINS0_14default_configENS1_20scan_config_selectorIdEEZZNS1_9scan_implILNS1_25lookback_scan_determinismE0ELb0ELb0ES3_PKdPddZZZN2at6native31launch_logcumsumexp_cuda_kernelERKNSB_10TensorBaseESF_lENKUlvE_clEvENKUlvE_clEvEUlddE_dEEDaPvRmT3_T4_T5_mT6_P12ihipStream_tbENKUlT_T0_E_clISt17integral_constantIbLb0EESV_IbLb1EEEEDaSR_SS_EUlSR_E0_NS1_11comp_targetILNS1_3genE10ELNS1_11target_archE1201ELNS1_3gpuE5ELNS1_3repE0EEENS1_30default_config_static_selectorELNS0_4arch9wavefront6targetE0EEEvT1_,comdat
.Lfunc_end80:
	.size	_ZN7rocprim17ROCPRIM_400000_NS6detail17trampoline_kernelINS0_14default_configENS1_20scan_config_selectorIdEEZZNS1_9scan_implILNS1_25lookback_scan_determinismE0ELb0ELb0ES3_PKdPddZZZN2at6native31launch_logcumsumexp_cuda_kernelERKNSB_10TensorBaseESF_lENKUlvE_clEvENKUlvE_clEvEUlddE_dEEDaPvRmT3_T4_T5_mT6_P12ihipStream_tbENKUlT_T0_E_clISt17integral_constantIbLb0EESV_IbLb1EEEEDaSR_SS_EUlSR_E0_NS1_11comp_targetILNS1_3genE10ELNS1_11target_archE1201ELNS1_3gpuE5ELNS1_3repE0EEENS1_30default_config_static_selectorELNS0_4arch9wavefront6targetE0EEEvT1_, .Lfunc_end80-_ZN7rocprim17ROCPRIM_400000_NS6detail17trampoline_kernelINS0_14default_configENS1_20scan_config_selectorIdEEZZNS1_9scan_implILNS1_25lookback_scan_determinismE0ELb0ELb0ES3_PKdPddZZZN2at6native31launch_logcumsumexp_cuda_kernelERKNSB_10TensorBaseESF_lENKUlvE_clEvENKUlvE_clEvEUlddE_dEEDaPvRmT3_T4_T5_mT6_P12ihipStream_tbENKUlT_T0_E_clISt17integral_constantIbLb0EESV_IbLb1EEEEDaSR_SS_EUlSR_E0_NS1_11comp_targetILNS1_3genE10ELNS1_11target_archE1201ELNS1_3gpuE5ELNS1_3repE0EEENS1_30default_config_static_selectorELNS0_4arch9wavefront6targetE0EEEvT1_
                                        ; -- End function
	.set _ZN7rocprim17ROCPRIM_400000_NS6detail17trampoline_kernelINS0_14default_configENS1_20scan_config_selectorIdEEZZNS1_9scan_implILNS1_25lookback_scan_determinismE0ELb0ELb0ES3_PKdPddZZZN2at6native31launch_logcumsumexp_cuda_kernelERKNSB_10TensorBaseESF_lENKUlvE_clEvENKUlvE_clEvEUlddE_dEEDaPvRmT3_T4_T5_mT6_P12ihipStream_tbENKUlT_T0_E_clISt17integral_constantIbLb0EESV_IbLb1EEEEDaSR_SS_EUlSR_E0_NS1_11comp_targetILNS1_3genE10ELNS1_11target_archE1201ELNS1_3gpuE5ELNS1_3repE0EEENS1_30default_config_static_selectorELNS0_4arch9wavefront6targetE0EEEvT1_.num_vgpr, 0
	.set _ZN7rocprim17ROCPRIM_400000_NS6detail17trampoline_kernelINS0_14default_configENS1_20scan_config_selectorIdEEZZNS1_9scan_implILNS1_25lookback_scan_determinismE0ELb0ELb0ES3_PKdPddZZZN2at6native31launch_logcumsumexp_cuda_kernelERKNSB_10TensorBaseESF_lENKUlvE_clEvENKUlvE_clEvEUlddE_dEEDaPvRmT3_T4_T5_mT6_P12ihipStream_tbENKUlT_T0_E_clISt17integral_constantIbLb0EESV_IbLb1EEEEDaSR_SS_EUlSR_E0_NS1_11comp_targetILNS1_3genE10ELNS1_11target_archE1201ELNS1_3gpuE5ELNS1_3repE0EEENS1_30default_config_static_selectorELNS0_4arch9wavefront6targetE0EEEvT1_.num_agpr, 0
	.set _ZN7rocprim17ROCPRIM_400000_NS6detail17trampoline_kernelINS0_14default_configENS1_20scan_config_selectorIdEEZZNS1_9scan_implILNS1_25lookback_scan_determinismE0ELb0ELb0ES3_PKdPddZZZN2at6native31launch_logcumsumexp_cuda_kernelERKNSB_10TensorBaseESF_lENKUlvE_clEvENKUlvE_clEvEUlddE_dEEDaPvRmT3_T4_T5_mT6_P12ihipStream_tbENKUlT_T0_E_clISt17integral_constantIbLb0EESV_IbLb1EEEEDaSR_SS_EUlSR_E0_NS1_11comp_targetILNS1_3genE10ELNS1_11target_archE1201ELNS1_3gpuE5ELNS1_3repE0EEENS1_30default_config_static_selectorELNS0_4arch9wavefront6targetE0EEEvT1_.numbered_sgpr, 0
	.set _ZN7rocprim17ROCPRIM_400000_NS6detail17trampoline_kernelINS0_14default_configENS1_20scan_config_selectorIdEEZZNS1_9scan_implILNS1_25lookback_scan_determinismE0ELb0ELb0ES3_PKdPddZZZN2at6native31launch_logcumsumexp_cuda_kernelERKNSB_10TensorBaseESF_lENKUlvE_clEvENKUlvE_clEvEUlddE_dEEDaPvRmT3_T4_T5_mT6_P12ihipStream_tbENKUlT_T0_E_clISt17integral_constantIbLb0EESV_IbLb1EEEEDaSR_SS_EUlSR_E0_NS1_11comp_targetILNS1_3genE10ELNS1_11target_archE1201ELNS1_3gpuE5ELNS1_3repE0EEENS1_30default_config_static_selectorELNS0_4arch9wavefront6targetE0EEEvT1_.num_named_barrier, 0
	.set _ZN7rocprim17ROCPRIM_400000_NS6detail17trampoline_kernelINS0_14default_configENS1_20scan_config_selectorIdEEZZNS1_9scan_implILNS1_25lookback_scan_determinismE0ELb0ELb0ES3_PKdPddZZZN2at6native31launch_logcumsumexp_cuda_kernelERKNSB_10TensorBaseESF_lENKUlvE_clEvENKUlvE_clEvEUlddE_dEEDaPvRmT3_T4_T5_mT6_P12ihipStream_tbENKUlT_T0_E_clISt17integral_constantIbLb0EESV_IbLb1EEEEDaSR_SS_EUlSR_E0_NS1_11comp_targetILNS1_3genE10ELNS1_11target_archE1201ELNS1_3gpuE5ELNS1_3repE0EEENS1_30default_config_static_selectorELNS0_4arch9wavefront6targetE0EEEvT1_.private_seg_size, 0
	.set _ZN7rocprim17ROCPRIM_400000_NS6detail17trampoline_kernelINS0_14default_configENS1_20scan_config_selectorIdEEZZNS1_9scan_implILNS1_25lookback_scan_determinismE0ELb0ELb0ES3_PKdPddZZZN2at6native31launch_logcumsumexp_cuda_kernelERKNSB_10TensorBaseESF_lENKUlvE_clEvENKUlvE_clEvEUlddE_dEEDaPvRmT3_T4_T5_mT6_P12ihipStream_tbENKUlT_T0_E_clISt17integral_constantIbLb0EESV_IbLb1EEEEDaSR_SS_EUlSR_E0_NS1_11comp_targetILNS1_3genE10ELNS1_11target_archE1201ELNS1_3gpuE5ELNS1_3repE0EEENS1_30default_config_static_selectorELNS0_4arch9wavefront6targetE0EEEvT1_.uses_vcc, 0
	.set _ZN7rocprim17ROCPRIM_400000_NS6detail17trampoline_kernelINS0_14default_configENS1_20scan_config_selectorIdEEZZNS1_9scan_implILNS1_25lookback_scan_determinismE0ELb0ELb0ES3_PKdPddZZZN2at6native31launch_logcumsumexp_cuda_kernelERKNSB_10TensorBaseESF_lENKUlvE_clEvENKUlvE_clEvEUlddE_dEEDaPvRmT3_T4_T5_mT6_P12ihipStream_tbENKUlT_T0_E_clISt17integral_constantIbLb0EESV_IbLb1EEEEDaSR_SS_EUlSR_E0_NS1_11comp_targetILNS1_3genE10ELNS1_11target_archE1201ELNS1_3gpuE5ELNS1_3repE0EEENS1_30default_config_static_selectorELNS0_4arch9wavefront6targetE0EEEvT1_.uses_flat_scratch, 0
	.set _ZN7rocprim17ROCPRIM_400000_NS6detail17trampoline_kernelINS0_14default_configENS1_20scan_config_selectorIdEEZZNS1_9scan_implILNS1_25lookback_scan_determinismE0ELb0ELb0ES3_PKdPddZZZN2at6native31launch_logcumsumexp_cuda_kernelERKNSB_10TensorBaseESF_lENKUlvE_clEvENKUlvE_clEvEUlddE_dEEDaPvRmT3_T4_T5_mT6_P12ihipStream_tbENKUlT_T0_E_clISt17integral_constantIbLb0EESV_IbLb1EEEEDaSR_SS_EUlSR_E0_NS1_11comp_targetILNS1_3genE10ELNS1_11target_archE1201ELNS1_3gpuE5ELNS1_3repE0EEENS1_30default_config_static_selectorELNS0_4arch9wavefront6targetE0EEEvT1_.has_dyn_sized_stack, 0
	.set _ZN7rocprim17ROCPRIM_400000_NS6detail17trampoline_kernelINS0_14default_configENS1_20scan_config_selectorIdEEZZNS1_9scan_implILNS1_25lookback_scan_determinismE0ELb0ELb0ES3_PKdPddZZZN2at6native31launch_logcumsumexp_cuda_kernelERKNSB_10TensorBaseESF_lENKUlvE_clEvENKUlvE_clEvEUlddE_dEEDaPvRmT3_T4_T5_mT6_P12ihipStream_tbENKUlT_T0_E_clISt17integral_constantIbLb0EESV_IbLb1EEEEDaSR_SS_EUlSR_E0_NS1_11comp_targetILNS1_3genE10ELNS1_11target_archE1201ELNS1_3gpuE5ELNS1_3repE0EEENS1_30default_config_static_selectorELNS0_4arch9wavefront6targetE0EEEvT1_.has_recursion, 0
	.set _ZN7rocprim17ROCPRIM_400000_NS6detail17trampoline_kernelINS0_14default_configENS1_20scan_config_selectorIdEEZZNS1_9scan_implILNS1_25lookback_scan_determinismE0ELb0ELb0ES3_PKdPddZZZN2at6native31launch_logcumsumexp_cuda_kernelERKNSB_10TensorBaseESF_lENKUlvE_clEvENKUlvE_clEvEUlddE_dEEDaPvRmT3_T4_T5_mT6_P12ihipStream_tbENKUlT_T0_E_clISt17integral_constantIbLb0EESV_IbLb1EEEEDaSR_SS_EUlSR_E0_NS1_11comp_targetILNS1_3genE10ELNS1_11target_archE1201ELNS1_3gpuE5ELNS1_3repE0EEENS1_30default_config_static_selectorELNS0_4arch9wavefront6targetE0EEEvT1_.has_indirect_call, 0
	.section	.AMDGPU.csdata,"",@progbits
; Kernel info:
; codeLenInByte = 0
; TotalNumSgprs: 0
; NumVgprs: 0
; ScratchSize: 0
; MemoryBound: 0
; FloatMode: 240
; IeeeMode: 1
; LDSByteSize: 0 bytes/workgroup (compile time only)
; SGPRBlocks: 0
; VGPRBlocks: 0
; NumSGPRsForWavesPerEU: 1
; NumVGPRsForWavesPerEU: 1
; Occupancy: 16
; WaveLimiterHint : 0
; COMPUTE_PGM_RSRC2:SCRATCH_EN: 0
; COMPUTE_PGM_RSRC2:USER_SGPR: 6
; COMPUTE_PGM_RSRC2:TRAP_HANDLER: 0
; COMPUTE_PGM_RSRC2:TGID_X_EN: 1
; COMPUTE_PGM_RSRC2:TGID_Y_EN: 0
; COMPUTE_PGM_RSRC2:TGID_Z_EN: 0
; COMPUTE_PGM_RSRC2:TIDIG_COMP_CNT: 0
	.section	.text._ZN7rocprim17ROCPRIM_400000_NS6detail17trampoline_kernelINS0_14default_configENS1_20scan_config_selectorIdEEZZNS1_9scan_implILNS1_25lookback_scan_determinismE0ELb0ELb0ES3_PKdPddZZZN2at6native31launch_logcumsumexp_cuda_kernelERKNSB_10TensorBaseESF_lENKUlvE_clEvENKUlvE_clEvEUlddE_dEEDaPvRmT3_T4_T5_mT6_P12ihipStream_tbENKUlT_T0_E_clISt17integral_constantIbLb0EESV_IbLb1EEEEDaSR_SS_EUlSR_E0_NS1_11comp_targetILNS1_3genE10ELNS1_11target_archE1200ELNS1_3gpuE4ELNS1_3repE0EEENS1_30default_config_static_selectorELNS0_4arch9wavefront6targetE0EEEvT1_,"axG",@progbits,_ZN7rocprim17ROCPRIM_400000_NS6detail17trampoline_kernelINS0_14default_configENS1_20scan_config_selectorIdEEZZNS1_9scan_implILNS1_25lookback_scan_determinismE0ELb0ELb0ES3_PKdPddZZZN2at6native31launch_logcumsumexp_cuda_kernelERKNSB_10TensorBaseESF_lENKUlvE_clEvENKUlvE_clEvEUlddE_dEEDaPvRmT3_T4_T5_mT6_P12ihipStream_tbENKUlT_T0_E_clISt17integral_constantIbLb0EESV_IbLb1EEEEDaSR_SS_EUlSR_E0_NS1_11comp_targetILNS1_3genE10ELNS1_11target_archE1200ELNS1_3gpuE4ELNS1_3repE0EEENS1_30default_config_static_selectorELNS0_4arch9wavefront6targetE0EEEvT1_,comdat
	.globl	_ZN7rocprim17ROCPRIM_400000_NS6detail17trampoline_kernelINS0_14default_configENS1_20scan_config_selectorIdEEZZNS1_9scan_implILNS1_25lookback_scan_determinismE0ELb0ELb0ES3_PKdPddZZZN2at6native31launch_logcumsumexp_cuda_kernelERKNSB_10TensorBaseESF_lENKUlvE_clEvENKUlvE_clEvEUlddE_dEEDaPvRmT3_T4_T5_mT6_P12ihipStream_tbENKUlT_T0_E_clISt17integral_constantIbLb0EESV_IbLb1EEEEDaSR_SS_EUlSR_E0_NS1_11comp_targetILNS1_3genE10ELNS1_11target_archE1200ELNS1_3gpuE4ELNS1_3repE0EEENS1_30default_config_static_selectorELNS0_4arch9wavefront6targetE0EEEvT1_ ; -- Begin function _ZN7rocprim17ROCPRIM_400000_NS6detail17trampoline_kernelINS0_14default_configENS1_20scan_config_selectorIdEEZZNS1_9scan_implILNS1_25lookback_scan_determinismE0ELb0ELb0ES3_PKdPddZZZN2at6native31launch_logcumsumexp_cuda_kernelERKNSB_10TensorBaseESF_lENKUlvE_clEvENKUlvE_clEvEUlddE_dEEDaPvRmT3_T4_T5_mT6_P12ihipStream_tbENKUlT_T0_E_clISt17integral_constantIbLb0EESV_IbLb1EEEEDaSR_SS_EUlSR_E0_NS1_11comp_targetILNS1_3genE10ELNS1_11target_archE1200ELNS1_3gpuE4ELNS1_3repE0EEENS1_30default_config_static_selectorELNS0_4arch9wavefront6targetE0EEEvT1_
	.p2align	8
	.type	_ZN7rocprim17ROCPRIM_400000_NS6detail17trampoline_kernelINS0_14default_configENS1_20scan_config_selectorIdEEZZNS1_9scan_implILNS1_25lookback_scan_determinismE0ELb0ELb0ES3_PKdPddZZZN2at6native31launch_logcumsumexp_cuda_kernelERKNSB_10TensorBaseESF_lENKUlvE_clEvENKUlvE_clEvEUlddE_dEEDaPvRmT3_T4_T5_mT6_P12ihipStream_tbENKUlT_T0_E_clISt17integral_constantIbLb0EESV_IbLb1EEEEDaSR_SS_EUlSR_E0_NS1_11comp_targetILNS1_3genE10ELNS1_11target_archE1200ELNS1_3gpuE4ELNS1_3repE0EEENS1_30default_config_static_selectorELNS0_4arch9wavefront6targetE0EEEvT1_,@function
_ZN7rocprim17ROCPRIM_400000_NS6detail17trampoline_kernelINS0_14default_configENS1_20scan_config_selectorIdEEZZNS1_9scan_implILNS1_25lookback_scan_determinismE0ELb0ELb0ES3_PKdPddZZZN2at6native31launch_logcumsumexp_cuda_kernelERKNSB_10TensorBaseESF_lENKUlvE_clEvENKUlvE_clEvEUlddE_dEEDaPvRmT3_T4_T5_mT6_P12ihipStream_tbENKUlT_T0_E_clISt17integral_constantIbLb0EESV_IbLb1EEEEDaSR_SS_EUlSR_E0_NS1_11comp_targetILNS1_3genE10ELNS1_11target_archE1200ELNS1_3gpuE4ELNS1_3repE0EEENS1_30default_config_static_selectorELNS0_4arch9wavefront6targetE0EEEvT1_: ; @_ZN7rocprim17ROCPRIM_400000_NS6detail17trampoline_kernelINS0_14default_configENS1_20scan_config_selectorIdEEZZNS1_9scan_implILNS1_25lookback_scan_determinismE0ELb0ELb0ES3_PKdPddZZZN2at6native31launch_logcumsumexp_cuda_kernelERKNSB_10TensorBaseESF_lENKUlvE_clEvENKUlvE_clEvEUlddE_dEEDaPvRmT3_T4_T5_mT6_P12ihipStream_tbENKUlT_T0_E_clISt17integral_constantIbLb0EESV_IbLb1EEEEDaSR_SS_EUlSR_E0_NS1_11comp_targetILNS1_3genE10ELNS1_11target_archE1200ELNS1_3gpuE4ELNS1_3repE0EEENS1_30default_config_static_selectorELNS0_4arch9wavefront6targetE0EEEvT1_
; %bb.0:
	.section	.rodata,"a",@progbits
	.p2align	6, 0x0
	.amdhsa_kernel _ZN7rocprim17ROCPRIM_400000_NS6detail17trampoline_kernelINS0_14default_configENS1_20scan_config_selectorIdEEZZNS1_9scan_implILNS1_25lookback_scan_determinismE0ELb0ELb0ES3_PKdPddZZZN2at6native31launch_logcumsumexp_cuda_kernelERKNSB_10TensorBaseESF_lENKUlvE_clEvENKUlvE_clEvEUlddE_dEEDaPvRmT3_T4_T5_mT6_P12ihipStream_tbENKUlT_T0_E_clISt17integral_constantIbLb0EESV_IbLb1EEEEDaSR_SS_EUlSR_E0_NS1_11comp_targetILNS1_3genE10ELNS1_11target_archE1200ELNS1_3gpuE4ELNS1_3repE0EEENS1_30default_config_static_selectorELNS0_4arch9wavefront6targetE0EEEvT1_
		.amdhsa_group_segment_fixed_size 0
		.amdhsa_private_segment_fixed_size 0
		.amdhsa_kernarg_size 40
		.amdhsa_user_sgpr_count 6
		.amdhsa_user_sgpr_private_segment_buffer 1
		.amdhsa_user_sgpr_dispatch_ptr 0
		.amdhsa_user_sgpr_queue_ptr 0
		.amdhsa_user_sgpr_kernarg_segment_ptr 1
		.amdhsa_user_sgpr_dispatch_id 0
		.amdhsa_user_sgpr_flat_scratch_init 0
		.amdhsa_user_sgpr_private_segment_size 0
		.amdhsa_wavefront_size32 1
		.amdhsa_uses_dynamic_stack 0
		.amdhsa_system_sgpr_private_segment_wavefront_offset 0
		.amdhsa_system_sgpr_workgroup_id_x 1
		.amdhsa_system_sgpr_workgroup_id_y 0
		.amdhsa_system_sgpr_workgroup_id_z 0
		.amdhsa_system_sgpr_workgroup_info 0
		.amdhsa_system_vgpr_workitem_id 0
		.amdhsa_next_free_vgpr 1
		.amdhsa_next_free_sgpr 1
		.amdhsa_reserve_vcc 0
		.amdhsa_reserve_flat_scratch 0
		.amdhsa_float_round_mode_32 0
		.amdhsa_float_round_mode_16_64 0
		.amdhsa_float_denorm_mode_32 3
		.amdhsa_float_denorm_mode_16_64 3
		.amdhsa_dx10_clamp 1
		.amdhsa_ieee_mode 1
		.amdhsa_fp16_overflow 0
		.amdhsa_workgroup_processor_mode 1
		.amdhsa_memory_ordered 1
		.amdhsa_forward_progress 1
		.amdhsa_shared_vgpr_count 0
		.amdhsa_exception_fp_ieee_invalid_op 0
		.amdhsa_exception_fp_denorm_src 0
		.amdhsa_exception_fp_ieee_div_zero 0
		.amdhsa_exception_fp_ieee_overflow 0
		.amdhsa_exception_fp_ieee_underflow 0
		.amdhsa_exception_fp_ieee_inexact 0
		.amdhsa_exception_int_div_zero 0
	.end_amdhsa_kernel
	.section	.text._ZN7rocprim17ROCPRIM_400000_NS6detail17trampoline_kernelINS0_14default_configENS1_20scan_config_selectorIdEEZZNS1_9scan_implILNS1_25lookback_scan_determinismE0ELb0ELb0ES3_PKdPddZZZN2at6native31launch_logcumsumexp_cuda_kernelERKNSB_10TensorBaseESF_lENKUlvE_clEvENKUlvE_clEvEUlddE_dEEDaPvRmT3_T4_T5_mT6_P12ihipStream_tbENKUlT_T0_E_clISt17integral_constantIbLb0EESV_IbLb1EEEEDaSR_SS_EUlSR_E0_NS1_11comp_targetILNS1_3genE10ELNS1_11target_archE1200ELNS1_3gpuE4ELNS1_3repE0EEENS1_30default_config_static_selectorELNS0_4arch9wavefront6targetE0EEEvT1_,"axG",@progbits,_ZN7rocprim17ROCPRIM_400000_NS6detail17trampoline_kernelINS0_14default_configENS1_20scan_config_selectorIdEEZZNS1_9scan_implILNS1_25lookback_scan_determinismE0ELb0ELb0ES3_PKdPddZZZN2at6native31launch_logcumsumexp_cuda_kernelERKNSB_10TensorBaseESF_lENKUlvE_clEvENKUlvE_clEvEUlddE_dEEDaPvRmT3_T4_T5_mT6_P12ihipStream_tbENKUlT_T0_E_clISt17integral_constantIbLb0EESV_IbLb1EEEEDaSR_SS_EUlSR_E0_NS1_11comp_targetILNS1_3genE10ELNS1_11target_archE1200ELNS1_3gpuE4ELNS1_3repE0EEENS1_30default_config_static_selectorELNS0_4arch9wavefront6targetE0EEEvT1_,comdat
.Lfunc_end81:
	.size	_ZN7rocprim17ROCPRIM_400000_NS6detail17trampoline_kernelINS0_14default_configENS1_20scan_config_selectorIdEEZZNS1_9scan_implILNS1_25lookback_scan_determinismE0ELb0ELb0ES3_PKdPddZZZN2at6native31launch_logcumsumexp_cuda_kernelERKNSB_10TensorBaseESF_lENKUlvE_clEvENKUlvE_clEvEUlddE_dEEDaPvRmT3_T4_T5_mT6_P12ihipStream_tbENKUlT_T0_E_clISt17integral_constantIbLb0EESV_IbLb1EEEEDaSR_SS_EUlSR_E0_NS1_11comp_targetILNS1_3genE10ELNS1_11target_archE1200ELNS1_3gpuE4ELNS1_3repE0EEENS1_30default_config_static_selectorELNS0_4arch9wavefront6targetE0EEEvT1_, .Lfunc_end81-_ZN7rocprim17ROCPRIM_400000_NS6detail17trampoline_kernelINS0_14default_configENS1_20scan_config_selectorIdEEZZNS1_9scan_implILNS1_25lookback_scan_determinismE0ELb0ELb0ES3_PKdPddZZZN2at6native31launch_logcumsumexp_cuda_kernelERKNSB_10TensorBaseESF_lENKUlvE_clEvENKUlvE_clEvEUlddE_dEEDaPvRmT3_T4_T5_mT6_P12ihipStream_tbENKUlT_T0_E_clISt17integral_constantIbLb0EESV_IbLb1EEEEDaSR_SS_EUlSR_E0_NS1_11comp_targetILNS1_3genE10ELNS1_11target_archE1200ELNS1_3gpuE4ELNS1_3repE0EEENS1_30default_config_static_selectorELNS0_4arch9wavefront6targetE0EEEvT1_
                                        ; -- End function
	.set _ZN7rocprim17ROCPRIM_400000_NS6detail17trampoline_kernelINS0_14default_configENS1_20scan_config_selectorIdEEZZNS1_9scan_implILNS1_25lookback_scan_determinismE0ELb0ELb0ES3_PKdPddZZZN2at6native31launch_logcumsumexp_cuda_kernelERKNSB_10TensorBaseESF_lENKUlvE_clEvENKUlvE_clEvEUlddE_dEEDaPvRmT3_T4_T5_mT6_P12ihipStream_tbENKUlT_T0_E_clISt17integral_constantIbLb0EESV_IbLb1EEEEDaSR_SS_EUlSR_E0_NS1_11comp_targetILNS1_3genE10ELNS1_11target_archE1200ELNS1_3gpuE4ELNS1_3repE0EEENS1_30default_config_static_selectorELNS0_4arch9wavefront6targetE0EEEvT1_.num_vgpr, 0
	.set _ZN7rocprim17ROCPRIM_400000_NS6detail17trampoline_kernelINS0_14default_configENS1_20scan_config_selectorIdEEZZNS1_9scan_implILNS1_25lookback_scan_determinismE0ELb0ELb0ES3_PKdPddZZZN2at6native31launch_logcumsumexp_cuda_kernelERKNSB_10TensorBaseESF_lENKUlvE_clEvENKUlvE_clEvEUlddE_dEEDaPvRmT3_T4_T5_mT6_P12ihipStream_tbENKUlT_T0_E_clISt17integral_constantIbLb0EESV_IbLb1EEEEDaSR_SS_EUlSR_E0_NS1_11comp_targetILNS1_3genE10ELNS1_11target_archE1200ELNS1_3gpuE4ELNS1_3repE0EEENS1_30default_config_static_selectorELNS0_4arch9wavefront6targetE0EEEvT1_.num_agpr, 0
	.set _ZN7rocprim17ROCPRIM_400000_NS6detail17trampoline_kernelINS0_14default_configENS1_20scan_config_selectorIdEEZZNS1_9scan_implILNS1_25lookback_scan_determinismE0ELb0ELb0ES3_PKdPddZZZN2at6native31launch_logcumsumexp_cuda_kernelERKNSB_10TensorBaseESF_lENKUlvE_clEvENKUlvE_clEvEUlddE_dEEDaPvRmT3_T4_T5_mT6_P12ihipStream_tbENKUlT_T0_E_clISt17integral_constantIbLb0EESV_IbLb1EEEEDaSR_SS_EUlSR_E0_NS1_11comp_targetILNS1_3genE10ELNS1_11target_archE1200ELNS1_3gpuE4ELNS1_3repE0EEENS1_30default_config_static_selectorELNS0_4arch9wavefront6targetE0EEEvT1_.numbered_sgpr, 0
	.set _ZN7rocprim17ROCPRIM_400000_NS6detail17trampoline_kernelINS0_14default_configENS1_20scan_config_selectorIdEEZZNS1_9scan_implILNS1_25lookback_scan_determinismE0ELb0ELb0ES3_PKdPddZZZN2at6native31launch_logcumsumexp_cuda_kernelERKNSB_10TensorBaseESF_lENKUlvE_clEvENKUlvE_clEvEUlddE_dEEDaPvRmT3_T4_T5_mT6_P12ihipStream_tbENKUlT_T0_E_clISt17integral_constantIbLb0EESV_IbLb1EEEEDaSR_SS_EUlSR_E0_NS1_11comp_targetILNS1_3genE10ELNS1_11target_archE1200ELNS1_3gpuE4ELNS1_3repE0EEENS1_30default_config_static_selectorELNS0_4arch9wavefront6targetE0EEEvT1_.num_named_barrier, 0
	.set _ZN7rocprim17ROCPRIM_400000_NS6detail17trampoline_kernelINS0_14default_configENS1_20scan_config_selectorIdEEZZNS1_9scan_implILNS1_25lookback_scan_determinismE0ELb0ELb0ES3_PKdPddZZZN2at6native31launch_logcumsumexp_cuda_kernelERKNSB_10TensorBaseESF_lENKUlvE_clEvENKUlvE_clEvEUlddE_dEEDaPvRmT3_T4_T5_mT6_P12ihipStream_tbENKUlT_T0_E_clISt17integral_constantIbLb0EESV_IbLb1EEEEDaSR_SS_EUlSR_E0_NS1_11comp_targetILNS1_3genE10ELNS1_11target_archE1200ELNS1_3gpuE4ELNS1_3repE0EEENS1_30default_config_static_selectorELNS0_4arch9wavefront6targetE0EEEvT1_.private_seg_size, 0
	.set _ZN7rocprim17ROCPRIM_400000_NS6detail17trampoline_kernelINS0_14default_configENS1_20scan_config_selectorIdEEZZNS1_9scan_implILNS1_25lookback_scan_determinismE0ELb0ELb0ES3_PKdPddZZZN2at6native31launch_logcumsumexp_cuda_kernelERKNSB_10TensorBaseESF_lENKUlvE_clEvENKUlvE_clEvEUlddE_dEEDaPvRmT3_T4_T5_mT6_P12ihipStream_tbENKUlT_T0_E_clISt17integral_constantIbLb0EESV_IbLb1EEEEDaSR_SS_EUlSR_E0_NS1_11comp_targetILNS1_3genE10ELNS1_11target_archE1200ELNS1_3gpuE4ELNS1_3repE0EEENS1_30default_config_static_selectorELNS0_4arch9wavefront6targetE0EEEvT1_.uses_vcc, 0
	.set _ZN7rocprim17ROCPRIM_400000_NS6detail17trampoline_kernelINS0_14default_configENS1_20scan_config_selectorIdEEZZNS1_9scan_implILNS1_25lookback_scan_determinismE0ELb0ELb0ES3_PKdPddZZZN2at6native31launch_logcumsumexp_cuda_kernelERKNSB_10TensorBaseESF_lENKUlvE_clEvENKUlvE_clEvEUlddE_dEEDaPvRmT3_T4_T5_mT6_P12ihipStream_tbENKUlT_T0_E_clISt17integral_constantIbLb0EESV_IbLb1EEEEDaSR_SS_EUlSR_E0_NS1_11comp_targetILNS1_3genE10ELNS1_11target_archE1200ELNS1_3gpuE4ELNS1_3repE0EEENS1_30default_config_static_selectorELNS0_4arch9wavefront6targetE0EEEvT1_.uses_flat_scratch, 0
	.set _ZN7rocprim17ROCPRIM_400000_NS6detail17trampoline_kernelINS0_14default_configENS1_20scan_config_selectorIdEEZZNS1_9scan_implILNS1_25lookback_scan_determinismE0ELb0ELb0ES3_PKdPddZZZN2at6native31launch_logcumsumexp_cuda_kernelERKNSB_10TensorBaseESF_lENKUlvE_clEvENKUlvE_clEvEUlddE_dEEDaPvRmT3_T4_T5_mT6_P12ihipStream_tbENKUlT_T0_E_clISt17integral_constantIbLb0EESV_IbLb1EEEEDaSR_SS_EUlSR_E0_NS1_11comp_targetILNS1_3genE10ELNS1_11target_archE1200ELNS1_3gpuE4ELNS1_3repE0EEENS1_30default_config_static_selectorELNS0_4arch9wavefront6targetE0EEEvT1_.has_dyn_sized_stack, 0
	.set _ZN7rocprim17ROCPRIM_400000_NS6detail17trampoline_kernelINS0_14default_configENS1_20scan_config_selectorIdEEZZNS1_9scan_implILNS1_25lookback_scan_determinismE0ELb0ELb0ES3_PKdPddZZZN2at6native31launch_logcumsumexp_cuda_kernelERKNSB_10TensorBaseESF_lENKUlvE_clEvENKUlvE_clEvEUlddE_dEEDaPvRmT3_T4_T5_mT6_P12ihipStream_tbENKUlT_T0_E_clISt17integral_constantIbLb0EESV_IbLb1EEEEDaSR_SS_EUlSR_E0_NS1_11comp_targetILNS1_3genE10ELNS1_11target_archE1200ELNS1_3gpuE4ELNS1_3repE0EEENS1_30default_config_static_selectorELNS0_4arch9wavefront6targetE0EEEvT1_.has_recursion, 0
	.set _ZN7rocprim17ROCPRIM_400000_NS6detail17trampoline_kernelINS0_14default_configENS1_20scan_config_selectorIdEEZZNS1_9scan_implILNS1_25lookback_scan_determinismE0ELb0ELb0ES3_PKdPddZZZN2at6native31launch_logcumsumexp_cuda_kernelERKNSB_10TensorBaseESF_lENKUlvE_clEvENKUlvE_clEvEUlddE_dEEDaPvRmT3_T4_T5_mT6_P12ihipStream_tbENKUlT_T0_E_clISt17integral_constantIbLb0EESV_IbLb1EEEEDaSR_SS_EUlSR_E0_NS1_11comp_targetILNS1_3genE10ELNS1_11target_archE1200ELNS1_3gpuE4ELNS1_3repE0EEENS1_30default_config_static_selectorELNS0_4arch9wavefront6targetE0EEEvT1_.has_indirect_call, 0
	.section	.AMDGPU.csdata,"",@progbits
; Kernel info:
; codeLenInByte = 0
; TotalNumSgprs: 0
; NumVgprs: 0
; ScratchSize: 0
; MemoryBound: 0
; FloatMode: 240
; IeeeMode: 1
; LDSByteSize: 0 bytes/workgroup (compile time only)
; SGPRBlocks: 0
; VGPRBlocks: 0
; NumSGPRsForWavesPerEU: 1
; NumVGPRsForWavesPerEU: 1
; Occupancy: 16
; WaveLimiterHint : 0
; COMPUTE_PGM_RSRC2:SCRATCH_EN: 0
; COMPUTE_PGM_RSRC2:USER_SGPR: 6
; COMPUTE_PGM_RSRC2:TRAP_HANDLER: 0
; COMPUTE_PGM_RSRC2:TGID_X_EN: 1
; COMPUTE_PGM_RSRC2:TGID_Y_EN: 0
; COMPUTE_PGM_RSRC2:TGID_Z_EN: 0
; COMPUTE_PGM_RSRC2:TIDIG_COMP_CNT: 0
	.section	.text._ZN7rocprim17ROCPRIM_400000_NS6detail17trampoline_kernelINS0_14default_configENS1_20scan_config_selectorIdEEZZNS1_9scan_implILNS1_25lookback_scan_determinismE0ELb0ELb0ES3_PKdPddZZZN2at6native31launch_logcumsumexp_cuda_kernelERKNSB_10TensorBaseESF_lENKUlvE_clEvENKUlvE_clEvEUlddE_dEEDaPvRmT3_T4_T5_mT6_P12ihipStream_tbENKUlT_T0_E_clISt17integral_constantIbLb0EESV_IbLb1EEEEDaSR_SS_EUlSR_E0_NS1_11comp_targetILNS1_3genE9ELNS1_11target_archE1100ELNS1_3gpuE3ELNS1_3repE0EEENS1_30default_config_static_selectorELNS0_4arch9wavefront6targetE0EEEvT1_,"axG",@progbits,_ZN7rocprim17ROCPRIM_400000_NS6detail17trampoline_kernelINS0_14default_configENS1_20scan_config_selectorIdEEZZNS1_9scan_implILNS1_25lookback_scan_determinismE0ELb0ELb0ES3_PKdPddZZZN2at6native31launch_logcumsumexp_cuda_kernelERKNSB_10TensorBaseESF_lENKUlvE_clEvENKUlvE_clEvEUlddE_dEEDaPvRmT3_T4_T5_mT6_P12ihipStream_tbENKUlT_T0_E_clISt17integral_constantIbLb0EESV_IbLb1EEEEDaSR_SS_EUlSR_E0_NS1_11comp_targetILNS1_3genE9ELNS1_11target_archE1100ELNS1_3gpuE3ELNS1_3repE0EEENS1_30default_config_static_selectorELNS0_4arch9wavefront6targetE0EEEvT1_,comdat
	.globl	_ZN7rocprim17ROCPRIM_400000_NS6detail17trampoline_kernelINS0_14default_configENS1_20scan_config_selectorIdEEZZNS1_9scan_implILNS1_25lookback_scan_determinismE0ELb0ELb0ES3_PKdPddZZZN2at6native31launch_logcumsumexp_cuda_kernelERKNSB_10TensorBaseESF_lENKUlvE_clEvENKUlvE_clEvEUlddE_dEEDaPvRmT3_T4_T5_mT6_P12ihipStream_tbENKUlT_T0_E_clISt17integral_constantIbLb0EESV_IbLb1EEEEDaSR_SS_EUlSR_E0_NS1_11comp_targetILNS1_3genE9ELNS1_11target_archE1100ELNS1_3gpuE3ELNS1_3repE0EEENS1_30default_config_static_selectorELNS0_4arch9wavefront6targetE0EEEvT1_ ; -- Begin function _ZN7rocprim17ROCPRIM_400000_NS6detail17trampoline_kernelINS0_14default_configENS1_20scan_config_selectorIdEEZZNS1_9scan_implILNS1_25lookback_scan_determinismE0ELb0ELb0ES3_PKdPddZZZN2at6native31launch_logcumsumexp_cuda_kernelERKNSB_10TensorBaseESF_lENKUlvE_clEvENKUlvE_clEvEUlddE_dEEDaPvRmT3_T4_T5_mT6_P12ihipStream_tbENKUlT_T0_E_clISt17integral_constantIbLb0EESV_IbLb1EEEEDaSR_SS_EUlSR_E0_NS1_11comp_targetILNS1_3genE9ELNS1_11target_archE1100ELNS1_3gpuE3ELNS1_3repE0EEENS1_30default_config_static_selectorELNS0_4arch9wavefront6targetE0EEEvT1_
	.p2align	8
	.type	_ZN7rocprim17ROCPRIM_400000_NS6detail17trampoline_kernelINS0_14default_configENS1_20scan_config_selectorIdEEZZNS1_9scan_implILNS1_25lookback_scan_determinismE0ELb0ELb0ES3_PKdPddZZZN2at6native31launch_logcumsumexp_cuda_kernelERKNSB_10TensorBaseESF_lENKUlvE_clEvENKUlvE_clEvEUlddE_dEEDaPvRmT3_T4_T5_mT6_P12ihipStream_tbENKUlT_T0_E_clISt17integral_constantIbLb0EESV_IbLb1EEEEDaSR_SS_EUlSR_E0_NS1_11comp_targetILNS1_3genE9ELNS1_11target_archE1100ELNS1_3gpuE3ELNS1_3repE0EEENS1_30default_config_static_selectorELNS0_4arch9wavefront6targetE0EEEvT1_,@function
_ZN7rocprim17ROCPRIM_400000_NS6detail17trampoline_kernelINS0_14default_configENS1_20scan_config_selectorIdEEZZNS1_9scan_implILNS1_25lookback_scan_determinismE0ELb0ELb0ES3_PKdPddZZZN2at6native31launch_logcumsumexp_cuda_kernelERKNSB_10TensorBaseESF_lENKUlvE_clEvENKUlvE_clEvEUlddE_dEEDaPvRmT3_T4_T5_mT6_P12ihipStream_tbENKUlT_T0_E_clISt17integral_constantIbLb0EESV_IbLb1EEEEDaSR_SS_EUlSR_E0_NS1_11comp_targetILNS1_3genE9ELNS1_11target_archE1100ELNS1_3gpuE3ELNS1_3repE0EEENS1_30default_config_static_selectorELNS0_4arch9wavefront6targetE0EEEvT1_: ; @_ZN7rocprim17ROCPRIM_400000_NS6detail17trampoline_kernelINS0_14default_configENS1_20scan_config_selectorIdEEZZNS1_9scan_implILNS1_25lookback_scan_determinismE0ELb0ELb0ES3_PKdPddZZZN2at6native31launch_logcumsumexp_cuda_kernelERKNSB_10TensorBaseESF_lENKUlvE_clEvENKUlvE_clEvEUlddE_dEEDaPvRmT3_T4_T5_mT6_P12ihipStream_tbENKUlT_T0_E_clISt17integral_constantIbLb0EESV_IbLb1EEEEDaSR_SS_EUlSR_E0_NS1_11comp_targetILNS1_3genE9ELNS1_11target_archE1100ELNS1_3gpuE3ELNS1_3repE0EEENS1_30default_config_static_selectorELNS0_4arch9wavefront6targetE0EEEvT1_
; %bb.0:
	.section	.rodata,"a",@progbits
	.p2align	6, 0x0
	.amdhsa_kernel _ZN7rocprim17ROCPRIM_400000_NS6detail17trampoline_kernelINS0_14default_configENS1_20scan_config_selectorIdEEZZNS1_9scan_implILNS1_25lookback_scan_determinismE0ELb0ELb0ES3_PKdPddZZZN2at6native31launch_logcumsumexp_cuda_kernelERKNSB_10TensorBaseESF_lENKUlvE_clEvENKUlvE_clEvEUlddE_dEEDaPvRmT3_T4_T5_mT6_P12ihipStream_tbENKUlT_T0_E_clISt17integral_constantIbLb0EESV_IbLb1EEEEDaSR_SS_EUlSR_E0_NS1_11comp_targetILNS1_3genE9ELNS1_11target_archE1100ELNS1_3gpuE3ELNS1_3repE0EEENS1_30default_config_static_selectorELNS0_4arch9wavefront6targetE0EEEvT1_
		.amdhsa_group_segment_fixed_size 0
		.amdhsa_private_segment_fixed_size 0
		.amdhsa_kernarg_size 40
		.amdhsa_user_sgpr_count 6
		.amdhsa_user_sgpr_private_segment_buffer 1
		.amdhsa_user_sgpr_dispatch_ptr 0
		.amdhsa_user_sgpr_queue_ptr 0
		.amdhsa_user_sgpr_kernarg_segment_ptr 1
		.amdhsa_user_sgpr_dispatch_id 0
		.amdhsa_user_sgpr_flat_scratch_init 0
		.amdhsa_user_sgpr_private_segment_size 0
		.amdhsa_wavefront_size32 1
		.amdhsa_uses_dynamic_stack 0
		.amdhsa_system_sgpr_private_segment_wavefront_offset 0
		.amdhsa_system_sgpr_workgroup_id_x 1
		.amdhsa_system_sgpr_workgroup_id_y 0
		.amdhsa_system_sgpr_workgroup_id_z 0
		.amdhsa_system_sgpr_workgroup_info 0
		.amdhsa_system_vgpr_workitem_id 0
		.amdhsa_next_free_vgpr 1
		.amdhsa_next_free_sgpr 1
		.amdhsa_reserve_vcc 0
		.amdhsa_reserve_flat_scratch 0
		.amdhsa_float_round_mode_32 0
		.amdhsa_float_round_mode_16_64 0
		.amdhsa_float_denorm_mode_32 3
		.amdhsa_float_denorm_mode_16_64 3
		.amdhsa_dx10_clamp 1
		.amdhsa_ieee_mode 1
		.amdhsa_fp16_overflow 0
		.amdhsa_workgroup_processor_mode 1
		.amdhsa_memory_ordered 1
		.amdhsa_forward_progress 1
		.amdhsa_shared_vgpr_count 0
		.amdhsa_exception_fp_ieee_invalid_op 0
		.amdhsa_exception_fp_denorm_src 0
		.amdhsa_exception_fp_ieee_div_zero 0
		.amdhsa_exception_fp_ieee_overflow 0
		.amdhsa_exception_fp_ieee_underflow 0
		.amdhsa_exception_fp_ieee_inexact 0
		.amdhsa_exception_int_div_zero 0
	.end_amdhsa_kernel
	.section	.text._ZN7rocprim17ROCPRIM_400000_NS6detail17trampoline_kernelINS0_14default_configENS1_20scan_config_selectorIdEEZZNS1_9scan_implILNS1_25lookback_scan_determinismE0ELb0ELb0ES3_PKdPddZZZN2at6native31launch_logcumsumexp_cuda_kernelERKNSB_10TensorBaseESF_lENKUlvE_clEvENKUlvE_clEvEUlddE_dEEDaPvRmT3_T4_T5_mT6_P12ihipStream_tbENKUlT_T0_E_clISt17integral_constantIbLb0EESV_IbLb1EEEEDaSR_SS_EUlSR_E0_NS1_11comp_targetILNS1_3genE9ELNS1_11target_archE1100ELNS1_3gpuE3ELNS1_3repE0EEENS1_30default_config_static_selectorELNS0_4arch9wavefront6targetE0EEEvT1_,"axG",@progbits,_ZN7rocprim17ROCPRIM_400000_NS6detail17trampoline_kernelINS0_14default_configENS1_20scan_config_selectorIdEEZZNS1_9scan_implILNS1_25lookback_scan_determinismE0ELb0ELb0ES3_PKdPddZZZN2at6native31launch_logcumsumexp_cuda_kernelERKNSB_10TensorBaseESF_lENKUlvE_clEvENKUlvE_clEvEUlddE_dEEDaPvRmT3_T4_T5_mT6_P12ihipStream_tbENKUlT_T0_E_clISt17integral_constantIbLb0EESV_IbLb1EEEEDaSR_SS_EUlSR_E0_NS1_11comp_targetILNS1_3genE9ELNS1_11target_archE1100ELNS1_3gpuE3ELNS1_3repE0EEENS1_30default_config_static_selectorELNS0_4arch9wavefront6targetE0EEEvT1_,comdat
.Lfunc_end82:
	.size	_ZN7rocprim17ROCPRIM_400000_NS6detail17trampoline_kernelINS0_14default_configENS1_20scan_config_selectorIdEEZZNS1_9scan_implILNS1_25lookback_scan_determinismE0ELb0ELb0ES3_PKdPddZZZN2at6native31launch_logcumsumexp_cuda_kernelERKNSB_10TensorBaseESF_lENKUlvE_clEvENKUlvE_clEvEUlddE_dEEDaPvRmT3_T4_T5_mT6_P12ihipStream_tbENKUlT_T0_E_clISt17integral_constantIbLb0EESV_IbLb1EEEEDaSR_SS_EUlSR_E0_NS1_11comp_targetILNS1_3genE9ELNS1_11target_archE1100ELNS1_3gpuE3ELNS1_3repE0EEENS1_30default_config_static_selectorELNS0_4arch9wavefront6targetE0EEEvT1_, .Lfunc_end82-_ZN7rocprim17ROCPRIM_400000_NS6detail17trampoline_kernelINS0_14default_configENS1_20scan_config_selectorIdEEZZNS1_9scan_implILNS1_25lookback_scan_determinismE0ELb0ELb0ES3_PKdPddZZZN2at6native31launch_logcumsumexp_cuda_kernelERKNSB_10TensorBaseESF_lENKUlvE_clEvENKUlvE_clEvEUlddE_dEEDaPvRmT3_T4_T5_mT6_P12ihipStream_tbENKUlT_T0_E_clISt17integral_constantIbLb0EESV_IbLb1EEEEDaSR_SS_EUlSR_E0_NS1_11comp_targetILNS1_3genE9ELNS1_11target_archE1100ELNS1_3gpuE3ELNS1_3repE0EEENS1_30default_config_static_selectorELNS0_4arch9wavefront6targetE0EEEvT1_
                                        ; -- End function
	.set _ZN7rocprim17ROCPRIM_400000_NS6detail17trampoline_kernelINS0_14default_configENS1_20scan_config_selectorIdEEZZNS1_9scan_implILNS1_25lookback_scan_determinismE0ELb0ELb0ES3_PKdPddZZZN2at6native31launch_logcumsumexp_cuda_kernelERKNSB_10TensorBaseESF_lENKUlvE_clEvENKUlvE_clEvEUlddE_dEEDaPvRmT3_T4_T5_mT6_P12ihipStream_tbENKUlT_T0_E_clISt17integral_constantIbLb0EESV_IbLb1EEEEDaSR_SS_EUlSR_E0_NS1_11comp_targetILNS1_3genE9ELNS1_11target_archE1100ELNS1_3gpuE3ELNS1_3repE0EEENS1_30default_config_static_selectorELNS0_4arch9wavefront6targetE0EEEvT1_.num_vgpr, 0
	.set _ZN7rocprim17ROCPRIM_400000_NS6detail17trampoline_kernelINS0_14default_configENS1_20scan_config_selectorIdEEZZNS1_9scan_implILNS1_25lookback_scan_determinismE0ELb0ELb0ES3_PKdPddZZZN2at6native31launch_logcumsumexp_cuda_kernelERKNSB_10TensorBaseESF_lENKUlvE_clEvENKUlvE_clEvEUlddE_dEEDaPvRmT3_T4_T5_mT6_P12ihipStream_tbENKUlT_T0_E_clISt17integral_constantIbLb0EESV_IbLb1EEEEDaSR_SS_EUlSR_E0_NS1_11comp_targetILNS1_3genE9ELNS1_11target_archE1100ELNS1_3gpuE3ELNS1_3repE0EEENS1_30default_config_static_selectorELNS0_4arch9wavefront6targetE0EEEvT1_.num_agpr, 0
	.set _ZN7rocprim17ROCPRIM_400000_NS6detail17trampoline_kernelINS0_14default_configENS1_20scan_config_selectorIdEEZZNS1_9scan_implILNS1_25lookback_scan_determinismE0ELb0ELb0ES3_PKdPddZZZN2at6native31launch_logcumsumexp_cuda_kernelERKNSB_10TensorBaseESF_lENKUlvE_clEvENKUlvE_clEvEUlddE_dEEDaPvRmT3_T4_T5_mT6_P12ihipStream_tbENKUlT_T0_E_clISt17integral_constantIbLb0EESV_IbLb1EEEEDaSR_SS_EUlSR_E0_NS1_11comp_targetILNS1_3genE9ELNS1_11target_archE1100ELNS1_3gpuE3ELNS1_3repE0EEENS1_30default_config_static_selectorELNS0_4arch9wavefront6targetE0EEEvT1_.numbered_sgpr, 0
	.set _ZN7rocprim17ROCPRIM_400000_NS6detail17trampoline_kernelINS0_14default_configENS1_20scan_config_selectorIdEEZZNS1_9scan_implILNS1_25lookback_scan_determinismE0ELb0ELb0ES3_PKdPddZZZN2at6native31launch_logcumsumexp_cuda_kernelERKNSB_10TensorBaseESF_lENKUlvE_clEvENKUlvE_clEvEUlddE_dEEDaPvRmT3_T4_T5_mT6_P12ihipStream_tbENKUlT_T0_E_clISt17integral_constantIbLb0EESV_IbLb1EEEEDaSR_SS_EUlSR_E0_NS1_11comp_targetILNS1_3genE9ELNS1_11target_archE1100ELNS1_3gpuE3ELNS1_3repE0EEENS1_30default_config_static_selectorELNS0_4arch9wavefront6targetE0EEEvT1_.num_named_barrier, 0
	.set _ZN7rocprim17ROCPRIM_400000_NS6detail17trampoline_kernelINS0_14default_configENS1_20scan_config_selectorIdEEZZNS1_9scan_implILNS1_25lookback_scan_determinismE0ELb0ELb0ES3_PKdPddZZZN2at6native31launch_logcumsumexp_cuda_kernelERKNSB_10TensorBaseESF_lENKUlvE_clEvENKUlvE_clEvEUlddE_dEEDaPvRmT3_T4_T5_mT6_P12ihipStream_tbENKUlT_T0_E_clISt17integral_constantIbLb0EESV_IbLb1EEEEDaSR_SS_EUlSR_E0_NS1_11comp_targetILNS1_3genE9ELNS1_11target_archE1100ELNS1_3gpuE3ELNS1_3repE0EEENS1_30default_config_static_selectorELNS0_4arch9wavefront6targetE0EEEvT1_.private_seg_size, 0
	.set _ZN7rocprim17ROCPRIM_400000_NS6detail17trampoline_kernelINS0_14default_configENS1_20scan_config_selectorIdEEZZNS1_9scan_implILNS1_25lookback_scan_determinismE0ELb0ELb0ES3_PKdPddZZZN2at6native31launch_logcumsumexp_cuda_kernelERKNSB_10TensorBaseESF_lENKUlvE_clEvENKUlvE_clEvEUlddE_dEEDaPvRmT3_T4_T5_mT6_P12ihipStream_tbENKUlT_T0_E_clISt17integral_constantIbLb0EESV_IbLb1EEEEDaSR_SS_EUlSR_E0_NS1_11comp_targetILNS1_3genE9ELNS1_11target_archE1100ELNS1_3gpuE3ELNS1_3repE0EEENS1_30default_config_static_selectorELNS0_4arch9wavefront6targetE0EEEvT1_.uses_vcc, 0
	.set _ZN7rocprim17ROCPRIM_400000_NS6detail17trampoline_kernelINS0_14default_configENS1_20scan_config_selectorIdEEZZNS1_9scan_implILNS1_25lookback_scan_determinismE0ELb0ELb0ES3_PKdPddZZZN2at6native31launch_logcumsumexp_cuda_kernelERKNSB_10TensorBaseESF_lENKUlvE_clEvENKUlvE_clEvEUlddE_dEEDaPvRmT3_T4_T5_mT6_P12ihipStream_tbENKUlT_T0_E_clISt17integral_constantIbLb0EESV_IbLb1EEEEDaSR_SS_EUlSR_E0_NS1_11comp_targetILNS1_3genE9ELNS1_11target_archE1100ELNS1_3gpuE3ELNS1_3repE0EEENS1_30default_config_static_selectorELNS0_4arch9wavefront6targetE0EEEvT1_.uses_flat_scratch, 0
	.set _ZN7rocprim17ROCPRIM_400000_NS6detail17trampoline_kernelINS0_14default_configENS1_20scan_config_selectorIdEEZZNS1_9scan_implILNS1_25lookback_scan_determinismE0ELb0ELb0ES3_PKdPddZZZN2at6native31launch_logcumsumexp_cuda_kernelERKNSB_10TensorBaseESF_lENKUlvE_clEvENKUlvE_clEvEUlddE_dEEDaPvRmT3_T4_T5_mT6_P12ihipStream_tbENKUlT_T0_E_clISt17integral_constantIbLb0EESV_IbLb1EEEEDaSR_SS_EUlSR_E0_NS1_11comp_targetILNS1_3genE9ELNS1_11target_archE1100ELNS1_3gpuE3ELNS1_3repE0EEENS1_30default_config_static_selectorELNS0_4arch9wavefront6targetE0EEEvT1_.has_dyn_sized_stack, 0
	.set _ZN7rocprim17ROCPRIM_400000_NS6detail17trampoline_kernelINS0_14default_configENS1_20scan_config_selectorIdEEZZNS1_9scan_implILNS1_25lookback_scan_determinismE0ELb0ELb0ES3_PKdPddZZZN2at6native31launch_logcumsumexp_cuda_kernelERKNSB_10TensorBaseESF_lENKUlvE_clEvENKUlvE_clEvEUlddE_dEEDaPvRmT3_T4_T5_mT6_P12ihipStream_tbENKUlT_T0_E_clISt17integral_constantIbLb0EESV_IbLb1EEEEDaSR_SS_EUlSR_E0_NS1_11comp_targetILNS1_3genE9ELNS1_11target_archE1100ELNS1_3gpuE3ELNS1_3repE0EEENS1_30default_config_static_selectorELNS0_4arch9wavefront6targetE0EEEvT1_.has_recursion, 0
	.set _ZN7rocprim17ROCPRIM_400000_NS6detail17trampoline_kernelINS0_14default_configENS1_20scan_config_selectorIdEEZZNS1_9scan_implILNS1_25lookback_scan_determinismE0ELb0ELb0ES3_PKdPddZZZN2at6native31launch_logcumsumexp_cuda_kernelERKNSB_10TensorBaseESF_lENKUlvE_clEvENKUlvE_clEvEUlddE_dEEDaPvRmT3_T4_T5_mT6_P12ihipStream_tbENKUlT_T0_E_clISt17integral_constantIbLb0EESV_IbLb1EEEEDaSR_SS_EUlSR_E0_NS1_11comp_targetILNS1_3genE9ELNS1_11target_archE1100ELNS1_3gpuE3ELNS1_3repE0EEENS1_30default_config_static_selectorELNS0_4arch9wavefront6targetE0EEEvT1_.has_indirect_call, 0
	.section	.AMDGPU.csdata,"",@progbits
; Kernel info:
; codeLenInByte = 0
; TotalNumSgprs: 0
; NumVgprs: 0
; ScratchSize: 0
; MemoryBound: 0
; FloatMode: 240
; IeeeMode: 1
; LDSByteSize: 0 bytes/workgroup (compile time only)
; SGPRBlocks: 0
; VGPRBlocks: 0
; NumSGPRsForWavesPerEU: 1
; NumVGPRsForWavesPerEU: 1
; Occupancy: 16
; WaveLimiterHint : 0
; COMPUTE_PGM_RSRC2:SCRATCH_EN: 0
; COMPUTE_PGM_RSRC2:USER_SGPR: 6
; COMPUTE_PGM_RSRC2:TRAP_HANDLER: 0
; COMPUTE_PGM_RSRC2:TGID_X_EN: 1
; COMPUTE_PGM_RSRC2:TGID_Y_EN: 0
; COMPUTE_PGM_RSRC2:TGID_Z_EN: 0
; COMPUTE_PGM_RSRC2:TIDIG_COMP_CNT: 0
	.section	.text._ZN7rocprim17ROCPRIM_400000_NS6detail17trampoline_kernelINS0_14default_configENS1_20scan_config_selectorIdEEZZNS1_9scan_implILNS1_25lookback_scan_determinismE0ELb0ELb0ES3_PKdPddZZZN2at6native31launch_logcumsumexp_cuda_kernelERKNSB_10TensorBaseESF_lENKUlvE_clEvENKUlvE_clEvEUlddE_dEEDaPvRmT3_T4_T5_mT6_P12ihipStream_tbENKUlT_T0_E_clISt17integral_constantIbLb0EESV_IbLb1EEEEDaSR_SS_EUlSR_E0_NS1_11comp_targetILNS1_3genE8ELNS1_11target_archE1030ELNS1_3gpuE2ELNS1_3repE0EEENS1_30default_config_static_selectorELNS0_4arch9wavefront6targetE0EEEvT1_,"axG",@progbits,_ZN7rocprim17ROCPRIM_400000_NS6detail17trampoline_kernelINS0_14default_configENS1_20scan_config_selectorIdEEZZNS1_9scan_implILNS1_25lookback_scan_determinismE0ELb0ELb0ES3_PKdPddZZZN2at6native31launch_logcumsumexp_cuda_kernelERKNSB_10TensorBaseESF_lENKUlvE_clEvENKUlvE_clEvEUlddE_dEEDaPvRmT3_T4_T5_mT6_P12ihipStream_tbENKUlT_T0_E_clISt17integral_constantIbLb0EESV_IbLb1EEEEDaSR_SS_EUlSR_E0_NS1_11comp_targetILNS1_3genE8ELNS1_11target_archE1030ELNS1_3gpuE2ELNS1_3repE0EEENS1_30default_config_static_selectorELNS0_4arch9wavefront6targetE0EEEvT1_,comdat
	.globl	_ZN7rocprim17ROCPRIM_400000_NS6detail17trampoline_kernelINS0_14default_configENS1_20scan_config_selectorIdEEZZNS1_9scan_implILNS1_25lookback_scan_determinismE0ELb0ELb0ES3_PKdPddZZZN2at6native31launch_logcumsumexp_cuda_kernelERKNSB_10TensorBaseESF_lENKUlvE_clEvENKUlvE_clEvEUlddE_dEEDaPvRmT3_T4_T5_mT6_P12ihipStream_tbENKUlT_T0_E_clISt17integral_constantIbLb0EESV_IbLb1EEEEDaSR_SS_EUlSR_E0_NS1_11comp_targetILNS1_3genE8ELNS1_11target_archE1030ELNS1_3gpuE2ELNS1_3repE0EEENS1_30default_config_static_selectorELNS0_4arch9wavefront6targetE0EEEvT1_ ; -- Begin function _ZN7rocprim17ROCPRIM_400000_NS6detail17trampoline_kernelINS0_14default_configENS1_20scan_config_selectorIdEEZZNS1_9scan_implILNS1_25lookback_scan_determinismE0ELb0ELb0ES3_PKdPddZZZN2at6native31launch_logcumsumexp_cuda_kernelERKNSB_10TensorBaseESF_lENKUlvE_clEvENKUlvE_clEvEUlddE_dEEDaPvRmT3_T4_T5_mT6_P12ihipStream_tbENKUlT_T0_E_clISt17integral_constantIbLb0EESV_IbLb1EEEEDaSR_SS_EUlSR_E0_NS1_11comp_targetILNS1_3genE8ELNS1_11target_archE1030ELNS1_3gpuE2ELNS1_3repE0EEENS1_30default_config_static_selectorELNS0_4arch9wavefront6targetE0EEEvT1_
	.p2align	8
	.type	_ZN7rocprim17ROCPRIM_400000_NS6detail17trampoline_kernelINS0_14default_configENS1_20scan_config_selectorIdEEZZNS1_9scan_implILNS1_25lookback_scan_determinismE0ELb0ELb0ES3_PKdPddZZZN2at6native31launch_logcumsumexp_cuda_kernelERKNSB_10TensorBaseESF_lENKUlvE_clEvENKUlvE_clEvEUlddE_dEEDaPvRmT3_T4_T5_mT6_P12ihipStream_tbENKUlT_T0_E_clISt17integral_constantIbLb0EESV_IbLb1EEEEDaSR_SS_EUlSR_E0_NS1_11comp_targetILNS1_3genE8ELNS1_11target_archE1030ELNS1_3gpuE2ELNS1_3repE0EEENS1_30default_config_static_selectorELNS0_4arch9wavefront6targetE0EEEvT1_,@function
_ZN7rocprim17ROCPRIM_400000_NS6detail17trampoline_kernelINS0_14default_configENS1_20scan_config_selectorIdEEZZNS1_9scan_implILNS1_25lookback_scan_determinismE0ELb0ELb0ES3_PKdPddZZZN2at6native31launch_logcumsumexp_cuda_kernelERKNSB_10TensorBaseESF_lENKUlvE_clEvENKUlvE_clEvEUlddE_dEEDaPvRmT3_T4_T5_mT6_P12ihipStream_tbENKUlT_T0_E_clISt17integral_constantIbLb0EESV_IbLb1EEEEDaSR_SS_EUlSR_E0_NS1_11comp_targetILNS1_3genE8ELNS1_11target_archE1030ELNS1_3gpuE2ELNS1_3repE0EEENS1_30default_config_static_selectorELNS0_4arch9wavefront6targetE0EEEvT1_: ; @_ZN7rocprim17ROCPRIM_400000_NS6detail17trampoline_kernelINS0_14default_configENS1_20scan_config_selectorIdEEZZNS1_9scan_implILNS1_25lookback_scan_determinismE0ELb0ELb0ES3_PKdPddZZZN2at6native31launch_logcumsumexp_cuda_kernelERKNSB_10TensorBaseESF_lENKUlvE_clEvENKUlvE_clEvEUlddE_dEEDaPvRmT3_T4_T5_mT6_P12ihipStream_tbENKUlT_T0_E_clISt17integral_constantIbLb0EESV_IbLb1EEEEDaSR_SS_EUlSR_E0_NS1_11comp_targetILNS1_3genE8ELNS1_11target_archE1030ELNS1_3gpuE2ELNS1_3repE0EEENS1_30default_config_static_selectorELNS0_4arch9wavefront6targetE0EEEvT1_
; %bb.0:
	s_load_dwordx4 s[16:19], s[4:5], 0x0
	v_lshlrev_b32_e32 v69, 3, v0
	s_waitcnt lgkmcnt(0)
	s_load_dwordx2 s[20:21], s[16:17], 0x0
	v_cmp_gt_u32_e32 vcc_lo, s18, v0
	s_waitcnt lgkmcnt(0)
	v_mov_b32_e32 v1, s20
	v_mov_b32_e32 v2, s21
	s_and_saveexec_b32 s0, vcc_lo
	s_cbranch_execz .LBB83_2
; %bb.1:
	global_load_dwordx2 v[1:2], v69, s[16:17]
.LBB83_2:
	s_or_b32 exec_lo, exec_lo, s0
	v_or_b32_e32 v3, 0x80, v0
	v_cmp_gt_u32_e64 s0, s18, v3
	v_mov_b32_e32 v3, s20
	v_mov_b32_e32 v4, s21
	s_and_saveexec_b32 s1, s0
	s_cbranch_execz .LBB83_4
; %bb.3:
	global_load_dwordx2 v[3:4], v69, s[16:17] offset:1024
.LBB83_4:
	s_or_b32 exec_lo, exec_lo, s1
	v_or_b32_e32 v7, 0x100, v0
	v_mov_b32_e32 v5, s20
	v_mov_b32_e32 v6, s21
	v_cmp_gt_u32_e64 s1, s18, v7
	s_and_saveexec_b32 s2, s1
	s_cbranch_execz .LBB83_6
; %bb.5:
	v_lshlrev_b32_e32 v5, 3, v7
	global_load_dwordx2 v[5:6], v5, s[16:17]
.LBB83_6:
	s_or_b32 exec_lo, exec_lo, s2
	v_or_b32_e32 v9, 0x180, v0
	v_mov_b32_e32 v7, s20
	v_mov_b32_e32 v8, s21
	v_cmp_gt_u32_e64 s2, s18, v9
	s_and_saveexec_b32 s3, s2
	s_cbranch_execz .LBB83_8
; %bb.7:
	v_lshlrev_b32_e32 v7, 3, v9
	global_load_dwordx2 v[7:8], v7, s[16:17]
.LBB83_8:
	;; [unrolled: 11-line block ×12, first 2 shown]
	s_or_b32 exec_lo, exec_lo, s15
	s_waitcnt vmcnt(0)
	ds_write2st64_b64 v69, v[1:2], v[3:4] offset1:2
	ds_write2st64_b64 v69, v[5:6], v[7:8] offset0:4 offset1:6
	ds_write2st64_b64 v69, v[9:10], v[11:12] offset0:8 offset1:10
	;; [unrolled: 1-line block ×5, first 2 shown]
	v_mad_u32_u24 v5, 0x68, v0, v69
	ds_write2st64_b64 v69, v[25:26], v[27:28] offset0:24 offset1:26
	s_waitcnt lgkmcnt(0)
	s_barrier
	buffer_gl0_inv
	ds_read_b128 v[1:4], v5
	ds_read_b128 v[25:28], v5 offset:16
	s_waitcnt lgkmcnt(1)
	v_max_f64 v[33:34], v[3:4], v[3:4]
	v_max_f64 v[55:56], v[1:2], v[1:2]
	v_cmp_u_f64_e64 s28, v[1:2], v[1:2]
	v_cmp_u_f64_e64 s15, v[3:4], v[3:4]
	v_mov_b32_e32 v62, v2
	v_mov_b32_e32 v61, v1
	v_min_f64 v[57:58], v[55:56], v[33:34]
	v_max_f64 v[59:60], v[55:56], v[33:34]
	v_cndmask_b32_e64 v6, v57, v1, s28
	v_cndmask_b32_e64 v7, v58, v2, s28
	;; [unrolled: 1-line block ×8, first 2 shown]
	ds_read_b128 v[21:24], v5 offset:32
	ds_read_b128 v[17:20], v5 offset:48
	;; [unrolled: 1-line block ×5, first 2 shown]
	s_waitcnt lgkmcnt(0)
	v_cmp_class_f64_e64 s17, v[31:32], 0x1f8
	s_barrier
	v_cmp_neq_f64_e64 s16, v[31:32], v[29:30]
	buffer_gl0_inv
	s_or_b32 s16, s16, s17
	s_and_saveexec_b32 s22, s16
	s_cbranch_execz .LBB83_30
; %bb.29:
	v_add_f64 v[31:32], v[31:32], -v[29:30]
	s_mov_b32 s16, 0x652b82fe
	s_mov_b32 s17, 0x3ff71547
	;; [unrolled: 1-line block ×10, first 2 shown]
	v_mul_f64 v[35:36], v[31:32], s[16:17]
	s_mov_b32 s16, 0xfca7ab0c
	s_mov_b32 s17, 0x3e928af3
	v_rndne_f64_e32 v[35:36], v[35:36]
	v_fma_f64 v[37:38], v[35:36], s[18:19], v[31:32]
	v_cvt_i32_f64_e32 v41, v[35:36]
	s_mov_b32 s19, 0x3fe62e42
	v_fma_f64 v[37:38], v[35:36], s[20:21], v[37:38]
	s_mov_b32 s21, 0x3c7abc9e
	v_fma_f64 v[39:40], v[37:38], s[24:25], s[16:17]
	s_mov_b32 s16, 0x623fde64
	s_mov_b32 s17, 0x3ec71dee
	;; [unrolled: 1-line block ×4, first 2 shown]
	v_fma_f64 v[39:40], v[37:38], v[39:40], s[16:17]
	s_mov_b32 s16, 0x7c89e6b0
	s_mov_b32 s17, 0x3efa0199
	v_fma_f64 v[39:40], v[37:38], v[39:40], s[16:17]
	s_mov_b32 s16, 0x14761f6e
	s_mov_b32 s17, 0x3f2a01a0
	v_fma_f64 v[39:40], v[37:38], v[39:40], s[16:17]
	s_mov_b32 s16, 0x1852b7b0
	s_mov_b32 s17, 0x3f56c16c
	v_fma_f64 v[39:40], v[37:38], v[39:40], s[16:17]
	s_mov_b32 s16, 0x11122322
	s_mov_b32 s17, 0x3f811111
	v_fma_f64 v[39:40], v[37:38], v[39:40], s[16:17]
	s_mov_b32 s16, 0x555502a1
	s_mov_b32 s17, 0x3fa55555
	v_fma_f64 v[39:40], v[37:38], v[39:40], s[16:17]
	s_mov_b32 s16, 0x55555511
	s_mov_b32 s17, 0x3fc55555
	v_fma_f64 v[39:40], v[37:38], v[39:40], s[16:17]
	s_mov_b32 s16, 11
	s_mov_b32 s17, 0x3fe00000
	v_fma_f64 v[39:40], v[37:38], v[39:40], s[16:17]
	v_cmp_nlt_f64_e64 s16, 0x40900000, v[31:32]
	v_cmp_ngt_f64_e64 s17, 0xc090cc00, v[31:32]
	v_fma_f64 v[39:40], v[37:38], v[39:40], 1.0
	v_fma_f64 v[35:36], v[37:38], v[39:40], 1.0
	v_ldexp_f64 v[35:36], v[35:36], v41
	v_cndmask_b32_e64 v36, 0x7ff00000, v36, s16
	s_and_b32 s16, s17, s16
	v_cndmask_b32_e64 v31, 0, v35, s16
	s_mov_b32 s16, 0x55555555
	v_cndmask_b32_e64 v32, 0, v36, s17
	s_mov_b32 s17, 0x3fe55555
	v_add_f64 v[35:36], v[31:32], 1.0
	v_frexp_mant_f64_e32 v[37:38], v[35:36]
	v_frexp_exp_i32_f64_e32 v41, v[35:36]
	v_add_f64 v[39:40], v[35:36], -1.0
	v_cmp_gt_f64_e64 s16, s[16:17], v[37:38]
	v_add_f64 v[37:38], v[39:40], -v[35:36]
	v_add_f64 v[39:40], v[31:32], -v[39:40]
	v_subrev_co_ci_u32_e64 v63, null, 0, v41, s16
	v_add_f64 v[37:38], v[37:38], 1.0
	s_mov_b32 s16, 0x55555780
	v_sub_nc_u32_e32 v43, 0, v63
	v_ldexp_f64 v[35:36], v[35:36], v43
	v_add_f64 v[37:38], v[39:40], v[37:38]
	v_add_f64 v[41:42], v[35:36], 1.0
	v_add_f64 v[47:48], v[35:36], -1.0
	v_ldexp_f64 v[37:38], v[37:38], v43
	v_add_f64 v[39:40], v[41:42], -1.0
	v_add_f64 v[49:50], v[47:48], 1.0
	v_add_f64 v[39:40], v[35:36], -v[39:40]
	v_add_f64 v[35:36], v[35:36], -v[49:50]
	v_add_f64 v[39:40], v[37:38], v[39:40]
	v_add_f64 v[35:36], v[37:38], v[35:36]
	;; [unrolled: 1-line block ×4, first 2 shown]
	v_rcp_f64_e32 v[45:46], v[43:44]
	v_add_f64 v[41:42], v[43:44], -v[41:42]
	v_add_f64 v[47:48], v[49:50], -v[47:48]
	;; [unrolled: 1-line block ×3, first 2 shown]
	v_fma_f64 v[51:52], -v[43:44], v[45:46], 1.0
	v_add_f64 v[35:36], v[35:36], -v[47:48]
	v_fma_f64 v[45:46], v[51:52], v[45:46], v[45:46]
	v_fma_f64 v[37:38], -v[43:44], v[45:46], 1.0
	v_fma_f64 v[37:38], v[37:38], v[45:46], v[45:46]
	v_mul_f64 v[45:46], v[49:50], v[37:38]
	v_mul_f64 v[51:52], v[43:44], v[45:46]
	v_fma_f64 v[41:42], v[45:46], v[43:44], -v[51:52]
	v_fma_f64 v[41:42], v[45:46], v[39:40], v[41:42]
	v_add_f64 v[53:54], v[51:52], v[41:42]
	v_add_f64 v[61:62], v[49:50], -v[53:54]
	v_add_f64 v[47:48], v[53:54], -v[51:52]
	;; [unrolled: 1-line block ×5, first 2 shown]
	v_add_f64 v[35:36], v[35:36], v[49:50]
	v_add_f64 v[35:36], v[41:42], v[35:36]
	;; [unrolled: 1-line block ×3, first 2 shown]
	v_mul_f64 v[47:48], v[37:38], v[41:42]
	v_add_f64 v[53:54], v[61:62], -v[41:42]
	v_mul_f64 v[49:50], v[43:44], v[47:48]
	v_add_f64 v[35:36], v[35:36], v[53:54]
	v_fma_f64 v[43:44], v[47:48], v[43:44], -v[49:50]
	v_fma_f64 v[39:40], v[47:48], v[39:40], v[43:44]
	v_add_f64 v[43:44], v[49:50], v[39:40]
	v_add_f64 v[51:52], v[41:42], -v[43:44]
	v_add_f64 v[49:50], v[43:44], -v[49:50]
	;; [unrolled: 1-line block ×5, first 2 shown]
	v_add_f64 v[35:36], v[35:36], v[41:42]
	v_add_f64 v[41:42], v[45:46], v[47:48]
	v_add_f64 v[35:36], v[39:40], v[35:36]
	v_add_f64 v[39:40], v[41:42], -v[45:46]
	v_add_f64 v[35:36], v[51:52], v[35:36]
	v_add_f64 v[39:40], v[47:48], -v[39:40]
	v_mul_f64 v[35:36], v[37:38], v[35:36]
	v_add_f64 v[35:36], v[39:40], v[35:36]
	v_add_f64 v[37:38], v[41:42], v[35:36]
	v_mul_f64 v[39:40], v[37:38], v[37:38]
	v_fma_f64 v[43:44], v[39:40], s[26:27], s[24:25]
	s_mov_b32 s24, 0xd7f4df2e
	s_mov_b32 s25, 0x3fc7474d
	v_mul_f64 v[45:46], v[37:38], v[39:40]
	v_fma_f64 v[43:44], v[39:40], v[43:44], s[24:25]
	s_mov_b32 s24, 0x16291751
	s_mov_b32 s25, 0x3fcc71c0
	v_fma_f64 v[43:44], v[39:40], v[43:44], s[24:25]
	s_mov_b32 s24, 0x9b27acf1
	s_mov_b32 s25, 0x3fd24924
	;; [unrolled: 3-line block ×3, first 2 shown]
	v_fma_f64 v[43:44], v[39:40], v[43:44], s[24:25]
	v_fma_f64 v[39:40], v[39:40], v[43:44], s[16:17]
	v_ldexp_f64 v[43:44], v[37:38], 1
	v_add_f64 v[37:38], v[37:38], -v[41:42]
	v_cmp_nge_f64_e64 s16, -1.0, v[31:32]
	v_cmp_neq_f64_e64 s17, 0x7ff00000, v[31:32]
	v_mul_f64 v[39:40], v[45:46], v[39:40]
	v_cvt_f64_i32_e32 v[45:46], v63
	v_add_f64 v[35:36], v[35:36], -v[37:38]
	s_and_b32 s16, s16, s17
	v_add_f64 v[41:42], v[43:44], v[39:40]
	v_mul_f64 v[47:48], v[45:46], s[18:19]
	v_ldexp_f64 v[35:36], v[35:36], 1
	v_add_f64 v[37:38], v[41:42], -v[43:44]
	v_fma_f64 v[43:44], v[45:46], s[18:19], -v[47:48]
	v_cmp_ngt_f64_e64 s18, -1.0, v[31:32]
	v_add_f64 v[37:38], v[39:40], -v[37:38]
	v_fma_f64 v[39:40], v[45:46], s[20:21], v[43:44]
	v_add_f64 v[35:36], v[35:36], v[37:38]
	v_add_f64 v[37:38], v[47:48], v[39:40]
	;; [unrolled: 1-line block ×3, first 2 shown]
	v_add_f64 v[47:48], v[37:38], -v[47:48]
	v_add_f64 v[45:46], v[37:38], v[43:44]
	v_add_f64 v[41:42], v[43:44], -v[41:42]
	v_add_f64 v[39:40], v[39:40], -v[47:48]
	;; [unrolled: 1-line block ×6, first 2 shown]
	v_add_f64 v[43:44], v[39:40], v[35:36]
	v_add_f64 v[37:38], v[37:38], -v[51:52]
	v_add_f64 v[37:38], v[41:42], v[37:38]
	v_add_f64 v[41:42], v[43:44], -v[39:40]
	;; [unrolled: 2-line block ×3, first 2 shown]
	v_add_f64 v[35:36], v[35:36], -v[41:42]
	v_add_f64 v[47:48], v[45:46], v[37:38]
	v_add_f64 v[39:40], v[39:40], -v[43:44]
	v_add_f64 v[41:42], v[47:48], -v[45:46]
	v_add_f64 v[35:36], v[35:36], v[39:40]
	v_add_f64 v[37:38], v[37:38], -v[41:42]
	v_add_f64 v[35:36], v[35:36], v[37:38]
	v_add_f64 v[35:36], v[47:48], v[35:36]
	v_cndmask_b32_e64 v35, 0, v35, s16
	v_cmp_neq_f64_e64 s16, -1.0, v[31:32]
	v_cndmask_b32_e64 v36, 0x7ff00000, v36, s17
	v_cndmask_b32_e64 v36, 0x7ff80000, v36, s18
	;; [unrolled: 1-line block ×3, first 2 shown]
	v_add_f64 v[61:62], v[29:30], v[35:36]
.LBB83_30:
	s_or_b32 exec_lo, exec_lo, s22
	v_max_f64 v[29:30], v[25:26], v[25:26]
	v_max_f64 v[31:32], v[61:62], v[61:62]
	v_cmp_u_f64_e64 s17, v[61:62], v[61:62]
	v_cmp_u_f64_e64 s16, v[25:26], v[25:26]
	v_min_f64 v[35:36], v[31:32], v[29:30]
	v_max_f64 v[31:32], v[31:32], v[29:30]
	v_cndmask_b32_e64 v35, v35, v61, s17
	v_cndmask_b32_e64 v36, v36, v62, s17
	;; [unrolled: 1-line block ×8, first 2 shown]
	v_cmp_class_f64_e64 s18, v[35:36], 0x1f8
	v_cmp_neq_f64_e64 s17, v[35:36], v[31:32]
	s_or_b32 s17, s17, s18
	s_and_saveexec_b32 s24, s17
	s_cbranch_execz .LBB83_32
; %bb.31:
	v_add_f64 v[35:36], v[35:36], -v[31:32]
	s_mov_b32 s18, 0x652b82fe
	s_mov_b32 s19, 0x3ff71547
	;; [unrolled: 1-line block ×10, first 2 shown]
	v_mul_f64 v[37:38], v[35:36], s[18:19]
	s_mov_b32 s18, 0xfca7ab0c
	s_mov_b32 s19, 0x3e928af3
	v_cmp_nlt_f64_e64 s17, 0x40900000, v[35:36]
	v_rndne_f64_e32 v[37:38], v[37:38]
	v_fma_f64 v[39:40], v[37:38], s[20:21], v[35:36]
	v_cvt_i32_f64_e32 v43, v[37:38]
	s_mov_b32 s21, 0x3fe62e42
	v_fma_f64 v[39:40], v[37:38], s[22:23], v[39:40]
	s_mov_b32 s23, 0x3c7abc9e
	v_fma_f64 v[41:42], v[39:40], s[26:27], s[18:19]
	s_mov_b32 s18, 0x623fde64
	s_mov_b32 s19, 0x3ec71dee
	;; [unrolled: 1-line block ×4, first 2 shown]
	v_fma_f64 v[41:42], v[39:40], v[41:42], s[18:19]
	s_mov_b32 s18, 0x7c89e6b0
	s_mov_b32 s19, 0x3efa0199
	v_fma_f64 v[41:42], v[39:40], v[41:42], s[18:19]
	s_mov_b32 s18, 0x14761f6e
	s_mov_b32 s19, 0x3f2a01a0
	;; [unrolled: 3-line block ×7, first 2 shown]
	v_fma_f64 v[41:42], v[39:40], v[41:42], s[18:19]
	v_cmp_ngt_f64_e64 s18, 0xc090cc00, v[35:36]
	s_mov_b32 s19, 0x3fe55555
	v_fma_f64 v[41:42], v[39:40], v[41:42], 1.0
	v_fma_f64 v[37:38], v[39:40], v[41:42], 1.0
	v_ldexp_f64 v[37:38], v[37:38], v43
	v_cndmask_b32_e64 v38, 0x7ff00000, v38, s17
	s_and_b32 s17, s18, s17
	v_cndmask_b32_e64 v35, 0, v37, s17
	v_cndmask_b32_e64 v36, 0, v38, s18
	s_mov_b32 s18, 0x55555555
	v_add_f64 v[37:38], v[35:36], 1.0
	v_frexp_mant_f64_e32 v[39:40], v[37:38]
	v_frexp_exp_i32_f64_e32 v43, v[37:38]
	v_add_f64 v[41:42], v[37:38], -1.0
	v_cmp_gt_f64_e64 s17, s[18:19], v[39:40]
	s_mov_b32 s18, 0x55555780
	v_add_f64 v[39:40], v[41:42], -v[37:38]
	v_add_f64 v[41:42], v[35:36], -v[41:42]
	v_subrev_co_ci_u32_e64 v65, null, 0, v43, s17
	v_add_f64 v[39:40], v[39:40], 1.0
	v_cmp_nge_f64_e64 s17, -1.0, v[35:36]
	v_sub_nc_u32_e32 v45, 0, v65
	v_ldexp_f64 v[37:38], v[37:38], v45
	v_add_f64 v[39:40], v[41:42], v[39:40]
	v_add_f64 v[43:44], v[37:38], 1.0
	v_add_f64 v[49:50], v[37:38], -1.0
	v_ldexp_f64 v[39:40], v[39:40], v45
	v_add_f64 v[41:42], v[43:44], -1.0
	v_add_f64 v[51:52], v[49:50], 1.0
	v_add_f64 v[41:42], v[37:38], -v[41:42]
	v_add_f64 v[37:38], v[37:38], -v[51:52]
	v_add_f64 v[41:42], v[39:40], v[41:42]
	v_add_f64 v[37:38], v[39:40], v[37:38]
	v_add_f64 v[45:46], v[43:44], v[41:42]
	v_add_f64 v[51:52], v[49:50], v[37:38]
	v_rcp_f64_e32 v[47:48], v[45:46]
	v_add_f64 v[43:44], v[45:46], -v[43:44]
	v_add_f64 v[49:50], v[51:52], -v[49:50]
	v_add_f64 v[41:42], v[41:42], -v[43:44]
	v_fma_f64 v[53:54], -v[45:46], v[47:48], 1.0
	v_add_f64 v[37:38], v[37:38], -v[49:50]
	v_fma_f64 v[47:48], v[53:54], v[47:48], v[47:48]
	v_fma_f64 v[39:40], -v[45:46], v[47:48], 1.0
	v_fma_f64 v[39:40], v[39:40], v[47:48], v[47:48]
	v_mul_f64 v[47:48], v[51:52], v[39:40]
	v_mul_f64 v[53:54], v[45:46], v[47:48]
	v_fma_f64 v[43:44], v[47:48], v[45:46], -v[53:54]
	v_fma_f64 v[43:44], v[47:48], v[41:42], v[43:44]
	v_add_f64 v[61:62], v[53:54], v[43:44]
	v_add_f64 v[63:64], v[51:52], -v[61:62]
	v_add_f64 v[49:50], v[61:62], -v[53:54]
	;; [unrolled: 1-line block ×5, first 2 shown]
	v_add_f64 v[37:38], v[37:38], v[51:52]
	v_add_f64 v[37:38], v[43:44], v[37:38]
	;; [unrolled: 1-line block ×3, first 2 shown]
	v_mul_f64 v[49:50], v[39:40], v[43:44]
	v_add_f64 v[61:62], v[63:64], -v[43:44]
	v_mul_f64 v[51:52], v[45:46], v[49:50]
	v_add_f64 v[37:38], v[37:38], v[61:62]
	v_fma_f64 v[45:46], v[49:50], v[45:46], -v[51:52]
	v_fma_f64 v[41:42], v[49:50], v[41:42], v[45:46]
	v_add_f64 v[45:46], v[51:52], v[41:42]
	v_add_f64 v[53:54], v[43:44], -v[45:46]
	v_add_f64 v[51:52], v[45:46], -v[51:52]
	;; [unrolled: 1-line block ×5, first 2 shown]
	v_add_f64 v[37:38], v[37:38], v[43:44]
	v_add_f64 v[43:44], v[47:48], v[49:50]
	v_add_f64 v[37:38], v[41:42], v[37:38]
	v_add_f64 v[41:42], v[43:44], -v[47:48]
	v_add_f64 v[37:38], v[53:54], v[37:38]
	v_add_f64 v[41:42], v[49:50], -v[41:42]
	v_mul_f64 v[37:38], v[39:40], v[37:38]
	v_add_f64 v[37:38], v[41:42], v[37:38]
	v_add_f64 v[39:40], v[43:44], v[37:38]
	v_mul_f64 v[41:42], v[39:40], v[39:40]
	v_fma_f64 v[45:46], v[41:42], s[30:31], s[26:27]
	s_mov_b32 s26, 0xd7f4df2e
	s_mov_b32 s27, 0x3fc7474d
	v_mul_f64 v[47:48], v[39:40], v[41:42]
	v_fma_f64 v[45:46], v[41:42], v[45:46], s[26:27]
	s_mov_b32 s26, 0x16291751
	s_mov_b32 s27, 0x3fcc71c0
	v_fma_f64 v[45:46], v[41:42], v[45:46], s[26:27]
	s_mov_b32 s26, 0x9b27acf1
	s_mov_b32 s27, 0x3fd24924
	v_fma_f64 v[45:46], v[41:42], v[45:46], s[26:27]
	s_mov_b32 s26, 0x998ef7b6
	s_mov_b32 s27, 0x3fd99999
	v_fma_f64 v[45:46], v[41:42], v[45:46], s[26:27]
	v_fma_f64 v[41:42], v[41:42], v[45:46], s[18:19]
	v_ldexp_f64 v[45:46], v[39:40], 1
	v_add_f64 v[39:40], v[39:40], -v[43:44]
	v_cmp_neq_f64_e64 s18, 0x7ff00000, v[35:36]
	v_cmp_ngt_f64_e64 s19, -1.0, v[35:36]
	v_mul_f64 v[41:42], v[47:48], v[41:42]
	v_cvt_f64_i32_e32 v[47:48], v65
	v_add_f64 v[37:38], v[37:38], -v[39:40]
	s_and_b32 s17, s17, s18
	v_add_f64 v[43:44], v[45:46], v[41:42]
	v_mul_f64 v[49:50], v[47:48], s[20:21]
	v_ldexp_f64 v[37:38], v[37:38], 1
	v_add_f64 v[39:40], v[43:44], -v[45:46]
	v_fma_f64 v[45:46], v[47:48], s[20:21], -v[49:50]
	v_add_f64 v[39:40], v[41:42], -v[39:40]
	v_fma_f64 v[41:42], v[47:48], s[22:23], v[45:46]
	v_add_f64 v[37:38], v[37:38], v[39:40]
	v_add_f64 v[39:40], v[49:50], v[41:42]
	;; [unrolled: 1-line block ×3, first 2 shown]
	v_add_f64 v[49:50], v[39:40], -v[49:50]
	v_add_f64 v[47:48], v[39:40], v[45:46]
	v_add_f64 v[43:44], v[45:46], -v[43:44]
	v_add_f64 v[41:42], v[41:42], -v[49:50]
	v_add_f64 v[51:52], v[47:48], -v[39:40]
	v_add_f64 v[37:38], v[37:38], -v[43:44]
	v_add_f64 v[53:54], v[47:48], -v[51:52]
	v_add_f64 v[43:44], v[45:46], -v[51:52]
	v_add_f64 v[45:46], v[41:42], v[37:38]
	v_add_f64 v[39:40], v[39:40], -v[53:54]
	v_add_f64 v[39:40], v[43:44], v[39:40]
	v_add_f64 v[43:44], v[45:46], -v[41:42]
	v_add_f64 v[39:40], v[45:46], v[39:40]
	v_add_f64 v[45:46], v[45:46], -v[43:44]
	v_add_f64 v[37:38], v[37:38], -v[43:44]
	v_add_f64 v[49:50], v[47:48], v[39:40]
	v_add_f64 v[41:42], v[41:42], -v[45:46]
	v_add_f64 v[43:44], v[49:50], -v[47:48]
	v_add_f64 v[37:38], v[37:38], v[41:42]
	v_add_f64 v[39:40], v[39:40], -v[43:44]
	v_add_f64 v[37:38], v[37:38], v[39:40]
	v_add_f64 v[37:38], v[49:50], v[37:38]
	v_cndmask_b32_e64 v37, 0, v37, s17
	v_cmp_neq_f64_e64 s17, -1.0, v[35:36]
	v_cndmask_b32_e64 v38, 0x7ff00000, v38, s18
	v_cndmask_b32_e64 v38, 0x7ff80000, v38, s19
	;; [unrolled: 1-line block ×3, first 2 shown]
	v_add_f64 v[61:62], v[31:32], v[37:38]
.LBB83_32:
	s_or_b32 exec_lo, exec_lo, s24
	v_max_f64 v[31:32], v[27:28], v[27:28]
	v_max_f64 v[35:36], v[61:62], v[61:62]
	v_cmp_u_f64_e64 s18, v[61:62], v[61:62]
	v_cmp_u_f64_e64 s17, v[27:28], v[27:28]
	v_min_f64 v[37:38], v[35:36], v[31:32]
	v_max_f64 v[35:36], v[35:36], v[31:32]
	v_cndmask_b32_e64 v37, v37, v61, s18
	v_cndmask_b32_e64 v38, v38, v62, s18
	v_cndmask_b32_e64 v36, v36, v62, s18
	v_cndmask_b32_e64 v35, v35, v61, s18
	v_cndmask_b32_e64 v37, v37, v27, s17
	v_cndmask_b32_e64 v38, v38, v28, s17
	v_cndmask_b32_e64 v36, v36, v28, s17
	v_cndmask_b32_e64 v35, v35, v27, s17
	v_cmp_class_f64_e64 s19, v[37:38], 0x1f8
	v_cmp_neq_f64_e64 s18, v[37:38], v[35:36]
	s_or_b32 s18, s18, s19
	s_and_saveexec_b32 s24, s18
	s_cbranch_execz .LBB83_34
; %bb.33:
	v_add_f64 v[37:38], v[37:38], -v[35:36]
	s_mov_b32 s18, 0x652b82fe
	s_mov_b32 s19, 0x3ff71547
	;; [unrolled: 1-line block ×10, first 2 shown]
	v_mul_f64 v[39:40], v[37:38], s[18:19]
	s_mov_b32 s18, 0xfca7ab0c
	s_mov_b32 s19, 0x3e928af3
	v_rndne_f64_e32 v[39:40], v[39:40]
	v_fma_f64 v[41:42], v[39:40], s[20:21], v[37:38]
	v_cvt_i32_f64_e32 v45, v[39:40]
	s_mov_b32 s21, 0x3fe62e42
	v_fma_f64 v[41:42], v[39:40], s[22:23], v[41:42]
	s_mov_b32 s23, 0x3c7abc9e
	v_fma_f64 v[43:44], v[41:42], s[26:27], s[18:19]
	s_mov_b32 s18, 0x623fde64
	s_mov_b32 s19, 0x3ec71dee
	;; [unrolled: 1-line block ×4, first 2 shown]
	v_fma_f64 v[43:44], v[41:42], v[43:44], s[18:19]
	s_mov_b32 s18, 0x7c89e6b0
	s_mov_b32 s19, 0x3efa0199
	v_fma_f64 v[43:44], v[41:42], v[43:44], s[18:19]
	s_mov_b32 s18, 0x14761f6e
	s_mov_b32 s19, 0x3f2a01a0
	;; [unrolled: 3-line block ×7, first 2 shown]
	v_fma_f64 v[43:44], v[41:42], v[43:44], s[18:19]
	v_cmp_nlt_f64_e64 s18, 0x40900000, v[37:38]
	v_cmp_ngt_f64_e64 s19, 0xc090cc00, v[37:38]
	v_fma_f64 v[43:44], v[41:42], v[43:44], 1.0
	v_fma_f64 v[39:40], v[41:42], v[43:44], 1.0
	v_ldexp_f64 v[39:40], v[39:40], v45
	v_cndmask_b32_e64 v40, 0x7ff00000, v40, s18
	s_and_b32 s18, s19, s18
	v_cndmask_b32_e64 v37, 0, v39, s18
	s_mov_b32 s18, 0x55555555
	v_cndmask_b32_e64 v38, 0, v40, s19
	s_mov_b32 s19, 0x3fe55555
	v_add_f64 v[39:40], v[37:38], 1.0
	v_frexp_mant_f64_e32 v[41:42], v[39:40]
	v_frexp_exp_i32_f64_e32 v45, v[39:40]
	v_add_f64 v[43:44], v[39:40], -1.0
	v_cmp_gt_f64_e64 s18, s[18:19], v[41:42]
	v_add_f64 v[41:42], v[43:44], -v[39:40]
	v_add_f64 v[43:44], v[37:38], -v[43:44]
	v_subrev_co_ci_u32_e64 v67, null, 0, v45, s18
	v_add_f64 v[41:42], v[41:42], 1.0
	s_mov_b32 s18, 0x55555780
	v_sub_nc_u32_e32 v47, 0, v67
	v_ldexp_f64 v[39:40], v[39:40], v47
	v_add_f64 v[41:42], v[43:44], v[41:42]
	v_add_f64 v[45:46], v[39:40], 1.0
	v_add_f64 v[51:52], v[39:40], -1.0
	v_ldexp_f64 v[41:42], v[41:42], v47
	v_add_f64 v[43:44], v[45:46], -1.0
	v_add_f64 v[53:54], v[51:52], 1.0
	v_add_f64 v[43:44], v[39:40], -v[43:44]
	v_add_f64 v[39:40], v[39:40], -v[53:54]
	v_add_f64 v[43:44], v[41:42], v[43:44]
	v_add_f64 v[39:40], v[41:42], v[39:40]
	;; [unrolled: 1-line block ×4, first 2 shown]
	v_rcp_f64_e32 v[49:50], v[47:48]
	v_add_f64 v[45:46], v[47:48], -v[45:46]
	v_add_f64 v[51:52], v[53:54], -v[51:52]
	;; [unrolled: 1-line block ×3, first 2 shown]
	v_fma_f64 v[61:62], -v[47:48], v[49:50], 1.0
	v_add_f64 v[39:40], v[39:40], -v[51:52]
	v_fma_f64 v[49:50], v[61:62], v[49:50], v[49:50]
	v_fma_f64 v[41:42], -v[47:48], v[49:50], 1.0
	v_fma_f64 v[41:42], v[41:42], v[49:50], v[49:50]
	v_mul_f64 v[49:50], v[53:54], v[41:42]
	v_mul_f64 v[61:62], v[47:48], v[49:50]
	v_fma_f64 v[45:46], v[49:50], v[47:48], -v[61:62]
	v_fma_f64 v[45:46], v[49:50], v[43:44], v[45:46]
	v_add_f64 v[63:64], v[61:62], v[45:46]
	v_add_f64 v[65:66], v[53:54], -v[63:64]
	v_add_f64 v[51:52], v[63:64], -v[61:62]
	;; [unrolled: 1-line block ×5, first 2 shown]
	v_add_f64 v[39:40], v[39:40], v[53:54]
	v_add_f64 v[39:40], v[45:46], v[39:40]
	;; [unrolled: 1-line block ×3, first 2 shown]
	v_mul_f64 v[51:52], v[41:42], v[45:46]
	v_add_f64 v[63:64], v[65:66], -v[45:46]
	v_mul_f64 v[53:54], v[47:48], v[51:52]
	v_add_f64 v[39:40], v[39:40], v[63:64]
	v_fma_f64 v[47:48], v[51:52], v[47:48], -v[53:54]
	v_fma_f64 v[43:44], v[51:52], v[43:44], v[47:48]
	v_add_f64 v[47:48], v[53:54], v[43:44]
	v_add_f64 v[61:62], v[45:46], -v[47:48]
	v_add_f64 v[53:54], v[47:48], -v[53:54]
	;; [unrolled: 1-line block ×5, first 2 shown]
	v_add_f64 v[39:40], v[39:40], v[45:46]
	v_add_f64 v[45:46], v[49:50], v[51:52]
	;; [unrolled: 1-line block ×3, first 2 shown]
	v_add_f64 v[43:44], v[45:46], -v[49:50]
	v_add_f64 v[39:40], v[61:62], v[39:40]
	v_add_f64 v[43:44], v[51:52], -v[43:44]
	v_mul_f64 v[39:40], v[41:42], v[39:40]
	v_add_f64 v[39:40], v[43:44], v[39:40]
	v_add_f64 v[41:42], v[45:46], v[39:40]
	v_mul_f64 v[43:44], v[41:42], v[41:42]
	v_fma_f64 v[47:48], v[43:44], s[30:31], s[26:27]
	s_mov_b32 s26, 0xd7f4df2e
	s_mov_b32 s27, 0x3fc7474d
	v_mul_f64 v[49:50], v[41:42], v[43:44]
	v_fma_f64 v[47:48], v[43:44], v[47:48], s[26:27]
	s_mov_b32 s26, 0x16291751
	s_mov_b32 s27, 0x3fcc71c0
	v_fma_f64 v[47:48], v[43:44], v[47:48], s[26:27]
	s_mov_b32 s26, 0x9b27acf1
	s_mov_b32 s27, 0x3fd24924
	;; [unrolled: 3-line block ×3, first 2 shown]
	v_fma_f64 v[47:48], v[43:44], v[47:48], s[26:27]
	v_fma_f64 v[43:44], v[43:44], v[47:48], s[18:19]
	v_ldexp_f64 v[47:48], v[41:42], 1
	v_add_f64 v[41:42], v[41:42], -v[45:46]
	v_cmp_nge_f64_e64 s18, -1.0, v[37:38]
	v_cmp_neq_f64_e64 s19, 0x7ff00000, v[37:38]
	v_mul_f64 v[43:44], v[49:50], v[43:44]
	v_cvt_f64_i32_e32 v[49:50], v67
	v_add_f64 v[39:40], v[39:40], -v[41:42]
	s_and_b32 s18, s18, s19
	v_add_f64 v[45:46], v[47:48], v[43:44]
	v_mul_f64 v[51:52], v[49:50], s[20:21]
	v_ldexp_f64 v[39:40], v[39:40], 1
	v_add_f64 v[41:42], v[45:46], -v[47:48]
	v_fma_f64 v[47:48], v[49:50], s[20:21], -v[51:52]
	v_cmp_ngt_f64_e64 s20, -1.0, v[37:38]
	v_add_f64 v[41:42], v[43:44], -v[41:42]
	v_fma_f64 v[43:44], v[49:50], s[22:23], v[47:48]
	v_add_f64 v[39:40], v[39:40], v[41:42]
	v_add_f64 v[41:42], v[51:52], v[43:44]
	v_add_f64 v[47:48], v[45:46], v[39:40]
	v_add_f64 v[51:52], v[41:42], -v[51:52]
	v_add_f64 v[49:50], v[41:42], v[47:48]
	v_add_f64 v[45:46], v[47:48], -v[45:46]
	v_add_f64 v[43:44], v[43:44], -v[51:52]
	;; [unrolled: 1-line block ×6, first 2 shown]
	v_add_f64 v[47:48], v[43:44], v[39:40]
	v_add_f64 v[41:42], v[41:42], -v[61:62]
	v_add_f64 v[41:42], v[45:46], v[41:42]
	v_add_f64 v[45:46], v[47:48], -v[43:44]
	;; [unrolled: 2-line block ×3, first 2 shown]
	v_add_f64 v[39:40], v[39:40], -v[45:46]
	v_add_f64 v[51:52], v[49:50], v[41:42]
	v_add_f64 v[43:44], v[43:44], -v[47:48]
	v_add_f64 v[45:46], v[51:52], -v[49:50]
	v_add_f64 v[39:40], v[39:40], v[43:44]
	v_add_f64 v[41:42], v[41:42], -v[45:46]
	v_add_f64 v[39:40], v[39:40], v[41:42]
	v_add_f64 v[39:40], v[51:52], v[39:40]
	v_cndmask_b32_e64 v39, 0, v39, s18
	v_cmp_neq_f64_e64 s18, -1.0, v[37:38]
	v_cndmask_b32_e64 v40, 0x7ff00000, v40, s19
	v_cndmask_b32_e64 v40, 0x7ff80000, v40, s20
	;; [unrolled: 1-line block ×3, first 2 shown]
	v_add_f64 v[61:62], v[35:36], v[39:40]
.LBB83_34:
	s_or_b32 exec_lo, exec_lo, s24
	v_max_f64 v[35:36], v[21:22], v[21:22]
	v_max_f64 v[37:38], v[61:62], v[61:62]
	v_cmp_u_f64_e64 s19, v[61:62], v[61:62]
	v_cmp_u_f64_e64 s18, v[21:22], v[21:22]
	v_min_f64 v[39:40], v[37:38], v[35:36]
	v_max_f64 v[37:38], v[37:38], v[35:36]
	v_cndmask_b32_e64 v39, v39, v61, s19
	v_cndmask_b32_e64 v40, v40, v62, s19
	;; [unrolled: 1-line block ×8, first 2 shown]
	v_cmp_class_f64_e64 s20, v[39:40], 0x1f8
	v_cmp_neq_f64_e64 s19, v[39:40], v[37:38]
	s_or_b32 s19, s19, s20
	s_and_saveexec_b32 s26, s19
	s_cbranch_execz .LBB83_36
; %bb.35:
	v_add_f64 v[39:40], v[39:40], -v[37:38]
	s_mov_b32 s20, 0x652b82fe
	s_mov_b32 s21, 0x3ff71547
	;; [unrolled: 1-line block ×10, first 2 shown]
	v_mul_f64 v[41:42], v[39:40], s[20:21]
	s_mov_b32 s20, 0xfca7ab0c
	s_mov_b32 s21, 0x3e928af3
	v_cmp_nlt_f64_e64 s19, 0x40900000, v[39:40]
	v_rndne_f64_e32 v[41:42], v[41:42]
	v_fma_f64 v[43:44], v[41:42], s[22:23], v[39:40]
	v_cvt_i32_f64_e32 v47, v[41:42]
	s_mov_b32 s23, 0x3fe62e42
	v_fma_f64 v[43:44], v[41:42], s[24:25], v[43:44]
	s_mov_b32 s25, 0x3c7abc9e
	v_fma_f64 v[45:46], v[43:44], s[30:31], s[20:21]
	s_mov_b32 s20, 0x623fde64
	s_mov_b32 s21, 0x3ec71dee
	;; [unrolled: 1-line block ×4, first 2 shown]
	v_fma_f64 v[45:46], v[43:44], v[45:46], s[20:21]
	s_mov_b32 s20, 0x7c89e6b0
	s_mov_b32 s21, 0x3efa0199
	v_fma_f64 v[45:46], v[43:44], v[45:46], s[20:21]
	s_mov_b32 s20, 0x14761f6e
	s_mov_b32 s21, 0x3f2a01a0
	;; [unrolled: 3-line block ×7, first 2 shown]
	v_fma_f64 v[45:46], v[43:44], v[45:46], s[20:21]
	v_cmp_ngt_f64_e64 s20, 0xc090cc00, v[39:40]
	s_mov_b32 s21, 0x3fe55555
	v_fma_f64 v[45:46], v[43:44], v[45:46], 1.0
	v_fma_f64 v[41:42], v[43:44], v[45:46], 1.0
	v_ldexp_f64 v[41:42], v[41:42], v47
	v_cndmask_b32_e64 v42, 0x7ff00000, v42, s19
	s_and_b32 s19, s20, s19
	v_cndmask_b32_e64 v39, 0, v41, s19
	v_cndmask_b32_e64 v40, 0, v42, s20
	s_mov_b32 s20, 0x55555555
	v_add_f64 v[41:42], v[39:40], 1.0
	v_frexp_mant_f64_e32 v[43:44], v[41:42]
	v_frexp_exp_i32_f64_e32 v47, v[41:42]
	v_add_f64 v[45:46], v[41:42], -1.0
	v_cmp_gt_f64_e64 s19, s[20:21], v[43:44]
	s_mov_b32 s20, 0x55555780
	v_add_f64 v[43:44], v[45:46], -v[41:42]
	v_add_f64 v[45:46], v[39:40], -v[45:46]
	v_subrev_co_ci_u32_e64 v70, null, 0, v47, s19
	v_add_f64 v[43:44], v[43:44], 1.0
	v_cmp_nge_f64_e64 s19, -1.0, v[39:40]
	v_sub_nc_u32_e32 v49, 0, v70
	v_ldexp_f64 v[41:42], v[41:42], v49
	v_add_f64 v[43:44], v[45:46], v[43:44]
	v_add_f64 v[47:48], v[41:42], 1.0
	v_add_f64 v[53:54], v[41:42], -1.0
	v_ldexp_f64 v[43:44], v[43:44], v49
	v_add_f64 v[45:46], v[47:48], -1.0
	v_add_f64 v[61:62], v[53:54], 1.0
	v_add_f64 v[45:46], v[41:42], -v[45:46]
	v_add_f64 v[41:42], v[41:42], -v[61:62]
	v_add_f64 v[45:46], v[43:44], v[45:46]
	v_add_f64 v[41:42], v[43:44], v[41:42]
	;; [unrolled: 1-line block ×4, first 2 shown]
	v_rcp_f64_e32 v[51:52], v[49:50]
	v_add_f64 v[47:48], v[49:50], -v[47:48]
	v_add_f64 v[53:54], v[61:62], -v[53:54]
	;; [unrolled: 1-line block ×3, first 2 shown]
	v_fma_f64 v[63:64], -v[49:50], v[51:52], 1.0
	v_add_f64 v[41:42], v[41:42], -v[53:54]
	v_fma_f64 v[51:52], v[63:64], v[51:52], v[51:52]
	v_fma_f64 v[43:44], -v[49:50], v[51:52], 1.0
	v_fma_f64 v[43:44], v[43:44], v[51:52], v[51:52]
	v_mul_f64 v[51:52], v[61:62], v[43:44]
	v_mul_f64 v[63:64], v[49:50], v[51:52]
	v_fma_f64 v[47:48], v[51:52], v[49:50], -v[63:64]
	v_fma_f64 v[47:48], v[51:52], v[45:46], v[47:48]
	v_add_f64 v[65:66], v[63:64], v[47:48]
	v_add_f64 v[67:68], v[61:62], -v[65:66]
	v_add_f64 v[53:54], v[65:66], -v[63:64]
	;; [unrolled: 1-line block ×5, first 2 shown]
	v_add_f64 v[41:42], v[41:42], v[61:62]
	v_add_f64 v[41:42], v[47:48], v[41:42]
	;; [unrolled: 1-line block ×3, first 2 shown]
	v_mul_f64 v[53:54], v[43:44], v[47:48]
	v_add_f64 v[65:66], v[67:68], -v[47:48]
	v_mul_f64 v[61:62], v[49:50], v[53:54]
	v_add_f64 v[41:42], v[41:42], v[65:66]
	v_fma_f64 v[49:50], v[53:54], v[49:50], -v[61:62]
	v_fma_f64 v[45:46], v[53:54], v[45:46], v[49:50]
	v_add_f64 v[49:50], v[61:62], v[45:46]
	v_add_f64 v[63:64], v[47:48], -v[49:50]
	v_add_f64 v[61:62], v[49:50], -v[61:62]
	;; [unrolled: 1-line block ×5, first 2 shown]
	v_add_f64 v[41:42], v[41:42], v[47:48]
	v_add_f64 v[47:48], v[51:52], v[53:54]
	;; [unrolled: 1-line block ×3, first 2 shown]
	v_add_f64 v[45:46], v[47:48], -v[51:52]
	v_add_f64 v[41:42], v[63:64], v[41:42]
	v_add_f64 v[45:46], v[53:54], -v[45:46]
	v_mul_f64 v[41:42], v[43:44], v[41:42]
	v_add_f64 v[41:42], v[45:46], v[41:42]
	v_add_f64 v[43:44], v[47:48], v[41:42]
	v_mul_f64 v[45:46], v[43:44], v[43:44]
	v_fma_f64 v[49:50], v[45:46], s[34:35], s[30:31]
	s_mov_b32 s30, 0xd7f4df2e
	s_mov_b32 s31, 0x3fc7474d
	v_mul_f64 v[51:52], v[43:44], v[45:46]
	v_fma_f64 v[49:50], v[45:46], v[49:50], s[30:31]
	s_mov_b32 s30, 0x16291751
	s_mov_b32 s31, 0x3fcc71c0
	v_fma_f64 v[49:50], v[45:46], v[49:50], s[30:31]
	s_mov_b32 s30, 0x9b27acf1
	s_mov_b32 s31, 0x3fd24924
	;; [unrolled: 3-line block ×3, first 2 shown]
	v_fma_f64 v[49:50], v[45:46], v[49:50], s[30:31]
	v_fma_f64 v[45:46], v[45:46], v[49:50], s[20:21]
	v_ldexp_f64 v[49:50], v[43:44], 1
	v_add_f64 v[43:44], v[43:44], -v[47:48]
	v_cmp_neq_f64_e64 s20, 0x7ff00000, v[39:40]
	v_cmp_ngt_f64_e64 s21, -1.0, v[39:40]
	v_mul_f64 v[45:46], v[51:52], v[45:46]
	v_cvt_f64_i32_e32 v[51:52], v70
	v_add_f64 v[41:42], v[41:42], -v[43:44]
	s_and_b32 s19, s19, s20
	v_add_f64 v[47:48], v[49:50], v[45:46]
	v_mul_f64 v[53:54], v[51:52], s[22:23]
	v_ldexp_f64 v[41:42], v[41:42], 1
	v_add_f64 v[43:44], v[47:48], -v[49:50]
	v_fma_f64 v[49:50], v[51:52], s[22:23], -v[53:54]
	v_add_f64 v[43:44], v[45:46], -v[43:44]
	v_fma_f64 v[45:46], v[51:52], s[24:25], v[49:50]
	v_add_f64 v[41:42], v[41:42], v[43:44]
	v_add_f64 v[43:44], v[53:54], v[45:46]
	;; [unrolled: 1-line block ×3, first 2 shown]
	v_add_f64 v[53:54], v[43:44], -v[53:54]
	v_add_f64 v[51:52], v[43:44], v[49:50]
	v_add_f64 v[47:48], v[49:50], -v[47:48]
	v_add_f64 v[45:46], v[45:46], -v[53:54]
	v_add_f64 v[61:62], v[51:52], -v[43:44]
	v_add_f64 v[41:42], v[41:42], -v[47:48]
	v_add_f64 v[63:64], v[51:52], -v[61:62]
	v_add_f64 v[47:48], v[49:50], -v[61:62]
	v_add_f64 v[49:50], v[45:46], v[41:42]
	v_add_f64 v[43:44], v[43:44], -v[63:64]
	v_add_f64 v[43:44], v[47:48], v[43:44]
	v_add_f64 v[47:48], v[49:50], -v[45:46]
	;; [unrolled: 2-line block ×3, first 2 shown]
	v_add_f64 v[41:42], v[41:42], -v[47:48]
	v_add_f64 v[53:54], v[51:52], v[43:44]
	v_add_f64 v[45:46], v[45:46], -v[49:50]
	v_add_f64 v[47:48], v[53:54], -v[51:52]
	v_add_f64 v[41:42], v[41:42], v[45:46]
	v_add_f64 v[43:44], v[43:44], -v[47:48]
	v_add_f64 v[41:42], v[41:42], v[43:44]
	v_add_f64 v[41:42], v[53:54], v[41:42]
	v_cndmask_b32_e64 v41, 0, v41, s19
	v_cmp_neq_f64_e64 s19, -1.0, v[39:40]
	v_cndmask_b32_e64 v42, 0x7ff00000, v42, s20
	v_cndmask_b32_e64 v42, 0x7ff80000, v42, s21
	;; [unrolled: 1-line block ×3, first 2 shown]
	v_add_f64 v[61:62], v[37:38], v[41:42]
.LBB83_36:
	s_or_b32 exec_lo, exec_lo, s26
	v_max_f64 v[37:38], v[23:24], v[23:24]
	v_max_f64 v[39:40], v[61:62], v[61:62]
	v_cmp_u_f64_e64 s20, v[61:62], v[61:62]
	v_cmp_u_f64_e64 s19, v[23:24], v[23:24]
	v_min_f64 v[41:42], v[39:40], v[37:38]
	v_max_f64 v[39:40], v[39:40], v[37:38]
	v_cndmask_b32_e64 v41, v41, v61, s20
	v_cndmask_b32_e64 v42, v42, v62, s20
	;; [unrolled: 1-line block ×8, first 2 shown]
	v_cmp_class_f64_e64 s21, v[41:42], 0x1f8
	v_cmp_neq_f64_e64 s20, v[41:42], v[39:40]
	s_or_b32 s20, s20, s21
	s_and_saveexec_b32 s26, s20
	s_cbranch_execz .LBB83_38
; %bb.37:
	v_add_f64 v[41:42], v[41:42], -v[39:40]
	s_mov_b32 s20, 0x652b82fe
	s_mov_b32 s21, 0x3ff71547
	;; [unrolled: 1-line block ×10, first 2 shown]
	v_mul_f64 v[43:44], v[41:42], s[20:21]
	s_mov_b32 s20, 0xfca7ab0c
	s_mov_b32 s21, 0x3e928af3
	v_rndne_f64_e32 v[43:44], v[43:44]
	v_fma_f64 v[45:46], v[43:44], s[22:23], v[41:42]
	v_cvt_i32_f64_e32 v49, v[43:44]
	s_mov_b32 s23, 0x3fe62e42
	v_fma_f64 v[45:46], v[43:44], s[24:25], v[45:46]
	s_mov_b32 s25, 0x3c7abc9e
	v_fma_f64 v[47:48], v[45:46], s[30:31], s[20:21]
	s_mov_b32 s20, 0x623fde64
	s_mov_b32 s21, 0x3ec71dee
	;; [unrolled: 1-line block ×4, first 2 shown]
	v_fma_f64 v[47:48], v[45:46], v[47:48], s[20:21]
	s_mov_b32 s20, 0x7c89e6b0
	s_mov_b32 s21, 0x3efa0199
	v_fma_f64 v[47:48], v[45:46], v[47:48], s[20:21]
	s_mov_b32 s20, 0x14761f6e
	s_mov_b32 s21, 0x3f2a01a0
	;; [unrolled: 3-line block ×7, first 2 shown]
	v_fma_f64 v[47:48], v[45:46], v[47:48], s[20:21]
	v_cmp_nlt_f64_e64 s20, 0x40900000, v[41:42]
	v_cmp_ngt_f64_e64 s21, 0xc090cc00, v[41:42]
	v_fma_f64 v[47:48], v[45:46], v[47:48], 1.0
	v_fma_f64 v[43:44], v[45:46], v[47:48], 1.0
	v_ldexp_f64 v[43:44], v[43:44], v49
	v_cndmask_b32_e64 v44, 0x7ff00000, v44, s20
	s_and_b32 s20, s21, s20
	v_cndmask_b32_e64 v41, 0, v43, s20
	s_mov_b32 s20, 0x55555555
	v_cndmask_b32_e64 v42, 0, v44, s21
	s_mov_b32 s21, 0x3fe55555
	v_add_f64 v[43:44], v[41:42], 1.0
	v_frexp_mant_f64_e32 v[45:46], v[43:44]
	v_frexp_exp_i32_f64_e32 v49, v[43:44]
	v_add_f64 v[47:48], v[43:44], -1.0
	v_cmp_gt_f64_e64 s20, s[20:21], v[45:46]
	v_add_f64 v[45:46], v[47:48], -v[43:44]
	v_add_f64 v[47:48], v[41:42], -v[47:48]
	v_subrev_co_ci_u32_e64 v72, null, 0, v49, s20
	v_add_f64 v[45:46], v[45:46], 1.0
	s_mov_b32 s20, 0x55555780
	v_sub_nc_u32_e32 v51, 0, v72
	v_ldexp_f64 v[43:44], v[43:44], v51
	v_add_f64 v[45:46], v[47:48], v[45:46]
	v_add_f64 v[49:50], v[43:44], 1.0
	v_add_f64 v[61:62], v[43:44], -1.0
	v_ldexp_f64 v[45:46], v[45:46], v51
	v_add_f64 v[47:48], v[49:50], -1.0
	v_add_f64 v[63:64], v[61:62], 1.0
	v_add_f64 v[47:48], v[43:44], -v[47:48]
	v_add_f64 v[43:44], v[43:44], -v[63:64]
	v_add_f64 v[47:48], v[45:46], v[47:48]
	v_add_f64 v[43:44], v[45:46], v[43:44]
	;; [unrolled: 1-line block ×4, first 2 shown]
	v_rcp_f64_e32 v[53:54], v[51:52]
	v_add_f64 v[49:50], v[51:52], -v[49:50]
	v_add_f64 v[61:62], v[63:64], -v[61:62]
	;; [unrolled: 1-line block ×3, first 2 shown]
	v_fma_f64 v[65:66], -v[51:52], v[53:54], 1.0
	v_add_f64 v[43:44], v[43:44], -v[61:62]
	v_fma_f64 v[53:54], v[65:66], v[53:54], v[53:54]
	v_fma_f64 v[45:46], -v[51:52], v[53:54], 1.0
	v_fma_f64 v[45:46], v[45:46], v[53:54], v[53:54]
	v_mul_f64 v[53:54], v[63:64], v[45:46]
	v_mul_f64 v[65:66], v[51:52], v[53:54]
	v_fma_f64 v[49:50], v[53:54], v[51:52], -v[65:66]
	v_fma_f64 v[49:50], v[53:54], v[47:48], v[49:50]
	v_add_f64 v[67:68], v[65:66], v[49:50]
	v_add_f64 v[70:71], v[63:64], -v[67:68]
	v_add_f64 v[61:62], v[67:68], -v[65:66]
	;; [unrolled: 1-line block ×5, first 2 shown]
	v_add_f64 v[43:44], v[43:44], v[63:64]
	v_add_f64 v[43:44], v[49:50], v[43:44]
	;; [unrolled: 1-line block ×3, first 2 shown]
	v_mul_f64 v[61:62], v[45:46], v[49:50]
	v_add_f64 v[67:68], v[70:71], -v[49:50]
	v_mul_f64 v[63:64], v[51:52], v[61:62]
	v_add_f64 v[43:44], v[43:44], v[67:68]
	v_fma_f64 v[51:52], v[61:62], v[51:52], -v[63:64]
	v_fma_f64 v[47:48], v[61:62], v[47:48], v[51:52]
	v_add_f64 v[51:52], v[63:64], v[47:48]
	v_add_f64 v[65:66], v[49:50], -v[51:52]
	v_add_f64 v[63:64], v[51:52], -v[63:64]
	;; [unrolled: 1-line block ×5, first 2 shown]
	v_add_f64 v[43:44], v[43:44], v[49:50]
	v_add_f64 v[49:50], v[53:54], v[61:62]
	v_add_f64 v[43:44], v[47:48], v[43:44]
	v_add_f64 v[47:48], v[49:50], -v[53:54]
	v_add_f64 v[43:44], v[65:66], v[43:44]
	v_add_f64 v[47:48], v[61:62], -v[47:48]
	v_mul_f64 v[43:44], v[45:46], v[43:44]
	v_add_f64 v[43:44], v[47:48], v[43:44]
	v_add_f64 v[45:46], v[49:50], v[43:44]
	v_mul_f64 v[47:48], v[45:46], v[45:46]
	v_fma_f64 v[51:52], v[47:48], s[34:35], s[30:31]
	s_mov_b32 s30, 0xd7f4df2e
	s_mov_b32 s31, 0x3fc7474d
	v_mul_f64 v[53:54], v[45:46], v[47:48]
	v_fma_f64 v[51:52], v[47:48], v[51:52], s[30:31]
	s_mov_b32 s30, 0x16291751
	s_mov_b32 s31, 0x3fcc71c0
	v_fma_f64 v[51:52], v[47:48], v[51:52], s[30:31]
	s_mov_b32 s30, 0x9b27acf1
	s_mov_b32 s31, 0x3fd24924
	;; [unrolled: 3-line block ×3, first 2 shown]
	v_fma_f64 v[51:52], v[47:48], v[51:52], s[30:31]
	v_fma_f64 v[47:48], v[47:48], v[51:52], s[20:21]
	v_ldexp_f64 v[51:52], v[45:46], 1
	v_add_f64 v[45:46], v[45:46], -v[49:50]
	v_cmp_nge_f64_e64 s20, -1.0, v[41:42]
	v_cmp_neq_f64_e64 s21, 0x7ff00000, v[41:42]
	v_mul_f64 v[47:48], v[53:54], v[47:48]
	v_cvt_f64_i32_e32 v[53:54], v72
	v_add_f64 v[43:44], v[43:44], -v[45:46]
	s_and_b32 s20, s20, s21
	v_add_f64 v[49:50], v[51:52], v[47:48]
	v_mul_f64 v[61:62], v[53:54], s[22:23]
	v_ldexp_f64 v[43:44], v[43:44], 1
	v_add_f64 v[45:46], v[49:50], -v[51:52]
	v_fma_f64 v[51:52], v[53:54], s[22:23], -v[61:62]
	v_cmp_ngt_f64_e64 s22, -1.0, v[41:42]
	v_add_f64 v[45:46], v[47:48], -v[45:46]
	v_fma_f64 v[47:48], v[53:54], s[24:25], v[51:52]
	v_add_f64 v[43:44], v[43:44], v[45:46]
	v_add_f64 v[45:46], v[61:62], v[47:48]
	;; [unrolled: 1-line block ×3, first 2 shown]
	v_add_f64 v[61:62], v[45:46], -v[61:62]
	v_add_f64 v[53:54], v[45:46], v[51:52]
	v_add_f64 v[49:50], v[51:52], -v[49:50]
	v_add_f64 v[47:48], v[47:48], -v[61:62]
	;; [unrolled: 1-line block ×6, first 2 shown]
	v_add_f64 v[51:52], v[47:48], v[43:44]
	v_add_f64 v[45:46], v[45:46], -v[65:66]
	v_add_f64 v[45:46], v[49:50], v[45:46]
	v_add_f64 v[49:50], v[51:52], -v[47:48]
	;; [unrolled: 2-line block ×3, first 2 shown]
	v_add_f64 v[43:44], v[43:44], -v[49:50]
	v_add_f64 v[61:62], v[53:54], v[45:46]
	v_add_f64 v[47:48], v[47:48], -v[51:52]
	v_add_f64 v[49:50], v[61:62], -v[53:54]
	v_add_f64 v[43:44], v[43:44], v[47:48]
	v_add_f64 v[45:46], v[45:46], -v[49:50]
	v_add_f64 v[43:44], v[43:44], v[45:46]
	v_add_f64 v[43:44], v[61:62], v[43:44]
	v_cndmask_b32_e64 v43, 0, v43, s20
	v_cmp_neq_f64_e64 s20, -1.0, v[41:42]
	v_cndmask_b32_e64 v44, 0x7ff00000, v44, s21
	v_cndmask_b32_e64 v44, 0x7ff80000, v44, s22
	v_cndmask_b32_e64 v44, 0xfff00000, v44, s20
	v_add_f64 v[61:62], v[39:40], v[43:44]
.LBB83_38:
	s_or_b32 exec_lo, exec_lo, s26
	v_max_f64 v[39:40], v[17:18], v[17:18]
	v_max_f64 v[41:42], v[61:62], v[61:62]
	v_cmp_u_f64_e64 s21, v[61:62], v[61:62]
	v_cmp_u_f64_e64 s20, v[17:18], v[17:18]
	v_min_f64 v[43:44], v[41:42], v[39:40]
	v_max_f64 v[41:42], v[41:42], v[39:40]
	v_cndmask_b32_e64 v43, v43, v61, s21
	v_cndmask_b32_e64 v44, v44, v62, s21
	;; [unrolled: 1-line block ×8, first 2 shown]
	v_cmp_class_f64_e64 s22, v[43:44], 0x1f8
	v_cmp_neq_f64_e64 s21, v[43:44], v[41:42]
	s_or_b32 s21, s21, s22
	s_and_saveexec_b32 s29, s21
	s_cbranch_execz .LBB83_40
; %bb.39:
	v_add_f64 v[43:44], v[43:44], -v[41:42]
	s_mov_b32 s22, 0x652b82fe
	s_mov_b32 s23, 0x3ff71547
	;; [unrolled: 1-line block ×10, first 2 shown]
	v_mul_f64 v[45:46], v[43:44], s[22:23]
	s_mov_b32 s22, 0xfca7ab0c
	s_mov_b32 s23, 0x3e928af3
	v_cmp_nlt_f64_e64 s21, 0x40900000, v[43:44]
	v_rndne_f64_e32 v[45:46], v[45:46]
	v_fma_f64 v[47:48], v[45:46], s[24:25], v[43:44]
	v_cvt_i32_f64_e32 v51, v[45:46]
	s_mov_b32 s25, 0x3fe62e42
	v_fma_f64 v[47:48], v[45:46], s[26:27], v[47:48]
	s_mov_b32 s27, 0x3c7abc9e
	v_fma_f64 v[49:50], v[47:48], s[30:31], s[22:23]
	s_mov_b32 s22, 0x623fde64
	s_mov_b32 s23, 0x3ec71dee
	;; [unrolled: 1-line block ×4, first 2 shown]
	v_fma_f64 v[49:50], v[47:48], v[49:50], s[22:23]
	s_mov_b32 s22, 0x7c89e6b0
	s_mov_b32 s23, 0x3efa0199
	v_fma_f64 v[49:50], v[47:48], v[49:50], s[22:23]
	s_mov_b32 s22, 0x14761f6e
	s_mov_b32 s23, 0x3f2a01a0
	;; [unrolled: 3-line block ×7, first 2 shown]
	v_fma_f64 v[49:50], v[47:48], v[49:50], s[22:23]
	v_cmp_ngt_f64_e64 s22, 0xc090cc00, v[43:44]
	s_mov_b32 s23, 0x3fe55555
	v_fma_f64 v[49:50], v[47:48], v[49:50], 1.0
	v_fma_f64 v[45:46], v[47:48], v[49:50], 1.0
	v_ldexp_f64 v[45:46], v[45:46], v51
	v_cndmask_b32_e64 v46, 0x7ff00000, v46, s21
	s_and_b32 s21, s22, s21
	v_cndmask_b32_e64 v43, 0, v45, s21
	v_cndmask_b32_e64 v44, 0, v46, s22
	s_mov_b32 s22, 0x55555555
	v_add_f64 v[45:46], v[43:44], 1.0
	v_frexp_mant_f64_e32 v[47:48], v[45:46]
	v_frexp_exp_i32_f64_e32 v51, v[45:46]
	v_add_f64 v[49:50], v[45:46], -1.0
	v_cmp_gt_f64_e64 s21, s[22:23], v[47:48]
	s_mov_b32 s22, 0x55555780
	v_add_f64 v[47:48], v[49:50], -v[45:46]
	v_add_f64 v[49:50], v[43:44], -v[49:50]
	v_subrev_co_ci_u32_e64 v74, null, 0, v51, s21
	v_add_f64 v[47:48], v[47:48], 1.0
	v_cmp_nge_f64_e64 s21, -1.0, v[43:44]
	v_sub_nc_u32_e32 v53, 0, v74
	v_ldexp_f64 v[45:46], v[45:46], v53
	v_add_f64 v[47:48], v[49:50], v[47:48]
	v_add_f64 v[51:52], v[45:46], 1.0
	v_add_f64 v[63:64], v[45:46], -1.0
	v_ldexp_f64 v[47:48], v[47:48], v53
	v_add_f64 v[49:50], v[51:52], -1.0
	v_add_f64 v[65:66], v[63:64], 1.0
	v_add_f64 v[49:50], v[45:46], -v[49:50]
	v_add_f64 v[45:46], v[45:46], -v[65:66]
	v_add_f64 v[49:50], v[47:48], v[49:50]
	v_add_f64 v[45:46], v[47:48], v[45:46]
	;; [unrolled: 1-line block ×4, first 2 shown]
	v_rcp_f64_e32 v[61:62], v[53:54]
	v_add_f64 v[51:52], v[53:54], -v[51:52]
	v_add_f64 v[63:64], v[65:66], -v[63:64]
	;; [unrolled: 1-line block ×3, first 2 shown]
	v_fma_f64 v[67:68], -v[53:54], v[61:62], 1.0
	v_add_f64 v[45:46], v[45:46], -v[63:64]
	v_fma_f64 v[61:62], v[67:68], v[61:62], v[61:62]
	v_fma_f64 v[47:48], -v[53:54], v[61:62], 1.0
	v_fma_f64 v[47:48], v[47:48], v[61:62], v[61:62]
	v_mul_f64 v[61:62], v[65:66], v[47:48]
	v_mul_f64 v[67:68], v[53:54], v[61:62]
	v_fma_f64 v[51:52], v[61:62], v[53:54], -v[67:68]
	v_fma_f64 v[51:52], v[61:62], v[49:50], v[51:52]
	v_add_f64 v[70:71], v[67:68], v[51:52]
	v_add_f64 v[72:73], v[65:66], -v[70:71]
	v_add_f64 v[63:64], v[70:71], -v[67:68]
	;; [unrolled: 1-line block ×5, first 2 shown]
	v_add_f64 v[45:46], v[45:46], v[65:66]
	v_add_f64 v[45:46], v[51:52], v[45:46]
	;; [unrolled: 1-line block ×3, first 2 shown]
	v_mul_f64 v[63:64], v[47:48], v[51:52]
	v_add_f64 v[70:71], v[72:73], -v[51:52]
	v_mul_f64 v[65:66], v[53:54], v[63:64]
	v_add_f64 v[45:46], v[45:46], v[70:71]
	v_fma_f64 v[53:54], v[63:64], v[53:54], -v[65:66]
	v_fma_f64 v[49:50], v[63:64], v[49:50], v[53:54]
	v_add_f64 v[53:54], v[65:66], v[49:50]
	v_add_f64 v[67:68], v[51:52], -v[53:54]
	v_add_f64 v[65:66], v[53:54], -v[65:66]
	;; [unrolled: 1-line block ×5, first 2 shown]
	v_add_f64 v[45:46], v[45:46], v[51:52]
	v_add_f64 v[51:52], v[61:62], v[63:64]
	v_add_f64 v[45:46], v[49:50], v[45:46]
	v_add_f64 v[49:50], v[51:52], -v[61:62]
	v_add_f64 v[45:46], v[67:68], v[45:46]
	v_add_f64 v[49:50], v[63:64], -v[49:50]
	v_mul_f64 v[45:46], v[47:48], v[45:46]
	v_add_f64 v[45:46], v[49:50], v[45:46]
	v_add_f64 v[47:48], v[51:52], v[45:46]
	v_mul_f64 v[49:50], v[47:48], v[47:48]
	v_fma_f64 v[53:54], v[49:50], s[34:35], s[30:31]
	s_mov_b32 s30, 0xd7f4df2e
	s_mov_b32 s31, 0x3fc7474d
	v_mul_f64 v[61:62], v[47:48], v[49:50]
	v_fma_f64 v[53:54], v[49:50], v[53:54], s[30:31]
	s_mov_b32 s30, 0x16291751
	s_mov_b32 s31, 0x3fcc71c0
	v_fma_f64 v[53:54], v[49:50], v[53:54], s[30:31]
	s_mov_b32 s30, 0x9b27acf1
	s_mov_b32 s31, 0x3fd24924
	v_fma_f64 v[53:54], v[49:50], v[53:54], s[30:31]
	s_mov_b32 s30, 0x998ef7b6
	s_mov_b32 s31, 0x3fd99999
	v_fma_f64 v[53:54], v[49:50], v[53:54], s[30:31]
	v_fma_f64 v[49:50], v[49:50], v[53:54], s[22:23]
	v_ldexp_f64 v[53:54], v[47:48], 1
	v_add_f64 v[47:48], v[47:48], -v[51:52]
	v_cmp_neq_f64_e64 s22, 0x7ff00000, v[43:44]
	v_cmp_ngt_f64_e64 s23, -1.0, v[43:44]
	v_mul_f64 v[49:50], v[61:62], v[49:50]
	v_cvt_f64_i32_e32 v[61:62], v74
	v_add_f64 v[45:46], v[45:46], -v[47:48]
	s_and_b32 s21, s21, s22
	v_add_f64 v[51:52], v[53:54], v[49:50]
	v_mul_f64 v[63:64], v[61:62], s[24:25]
	v_ldexp_f64 v[45:46], v[45:46], 1
	v_add_f64 v[47:48], v[51:52], -v[53:54]
	v_fma_f64 v[53:54], v[61:62], s[24:25], -v[63:64]
	v_add_f64 v[47:48], v[49:50], -v[47:48]
	v_fma_f64 v[49:50], v[61:62], s[26:27], v[53:54]
	v_add_f64 v[45:46], v[45:46], v[47:48]
	v_add_f64 v[47:48], v[63:64], v[49:50]
	;; [unrolled: 1-line block ×3, first 2 shown]
	v_add_f64 v[63:64], v[47:48], -v[63:64]
	v_add_f64 v[61:62], v[47:48], v[53:54]
	v_add_f64 v[51:52], v[53:54], -v[51:52]
	v_add_f64 v[49:50], v[49:50], -v[63:64]
	;; [unrolled: 1-line block ×6, first 2 shown]
	v_add_f64 v[53:54], v[49:50], v[45:46]
	v_add_f64 v[47:48], v[47:48], -v[67:68]
	v_add_f64 v[47:48], v[51:52], v[47:48]
	v_add_f64 v[51:52], v[53:54], -v[49:50]
	;; [unrolled: 2-line block ×3, first 2 shown]
	v_add_f64 v[45:46], v[45:46], -v[51:52]
	v_add_f64 v[63:64], v[61:62], v[47:48]
	v_add_f64 v[49:50], v[49:50], -v[53:54]
	v_add_f64 v[51:52], v[63:64], -v[61:62]
	v_add_f64 v[45:46], v[45:46], v[49:50]
	v_add_f64 v[47:48], v[47:48], -v[51:52]
	v_add_f64 v[45:46], v[45:46], v[47:48]
	v_add_f64 v[45:46], v[63:64], v[45:46]
	v_cndmask_b32_e64 v45, 0, v45, s21
	v_cmp_neq_f64_e64 s21, -1.0, v[43:44]
	v_cndmask_b32_e64 v46, 0x7ff00000, v46, s22
	v_cndmask_b32_e64 v46, 0x7ff80000, v46, s23
	;; [unrolled: 1-line block ×3, first 2 shown]
	v_add_f64 v[61:62], v[41:42], v[45:46]
.LBB83_40:
	s_or_b32 exec_lo, exec_lo, s29
	v_max_f64 v[41:42], v[19:20], v[19:20]
	v_max_f64 v[43:44], v[61:62], v[61:62]
	v_cmp_u_f64_e64 s22, v[61:62], v[61:62]
	v_cmp_u_f64_e64 s21, v[19:20], v[19:20]
	v_min_f64 v[45:46], v[43:44], v[41:42]
	v_max_f64 v[43:44], v[43:44], v[41:42]
	v_cndmask_b32_e64 v45, v45, v61, s22
	v_cndmask_b32_e64 v46, v46, v62, s22
	;; [unrolled: 1-line block ×8, first 2 shown]
	v_cmp_class_f64_e64 s23, v[45:46], 0x1f8
	v_cmp_neq_f64_e64 s22, v[45:46], v[43:44]
	s_or_b32 s22, s22, s23
	s_and_saveexec_b32 s29, s22
	s_cbranch_execz .LBB83_42
; %bb.41:
	v_add_f64 v[45:46], v[45:46], -v[43:44]
	s_mov_b32 s22, 0x652b82fe
	s_mov_b32 s23, 0x3ff71547
	;; [unrolled: 1-line block ×10, first 2 shown]
	v_mul_f64 v[47:48], v[45:46], s[22:23]
	s_mov_b32 s22, 0xfca7ab0c
	s_mov_b32 s23, 0x3e928af3
	v_rndne_f64_e32 v[47:48], v[47:48]
	v_fma_f64 v[49:50], v[47:48], s[24:25], v[45:46]
	v_cvt_i32_f64_e32 v53, v[47:48]
	s_mov_b32 s25, 0x3fe62e42
	v_fma_f64 v[49:50], v[47:48], s[26:27], v[49:50]
	s_mov_b32 s27, 0x3c7abc9e
	v_fma_f64 v[51:52], v[49:50], s[30:31], s[22:23]
	s_mov_b32 s22, 0x623fde64
	s_mov_b32 s23, 0x3ec71dee
	;; [unrolled: 1-line block ×4, first 2 shown]
	v_fma_f64 v[51:52], v[49:50], v[51:52], s[22:23]
	s_mov_b32 s22, 0x7c89e6b0
	s_mov_b32 s23, 0x3efa0199
	v_fma_f64 v[51:52], v[49:50], v[51:52], s[22:23]
	s_mov_b32 s22, 0x14761f6e
	s_mov_b32 s23, 0x3f2a01a0
	;; [unrolled: 3-line block ×7, first 2 shown]
	v_fma_f64 v[51:52], v[49:50], v[51:52], s[22:23]
	v_cmp_nlt_f64_e64 s22, 0x40900000, v[45:46]
	v_cmp_ngt_f64_e64 s23, 0xc090cc00, v[45:46]
	v_fma_f64 v[51:52], v[49:50], v[51:52], 1.0
	v_fma_f64 v[47:48], v[49:50], v[51:52], 1.0
	v_ldexp_f64 v[47:48], v[47:48], v53
	v_cndmask_b32_e64 v48, 0x7ff00000, v48, s22
	s_and_b32 s22, s23, s22
	v_cndmask_b32_e64 v45, 0, v47, s22
	s_mov_b32 s22, 0x55555555
	v_cndmask_b32_e64 v46, 0, v48, s23
	s_mov_b32 s23, 0x3fe55555
	v_add_f64 v[47:48], v[45:46], 1.0
	v_frexp_mant_f64_e32 v[49:50], v[47:48]
	v_frexp_exp_i32_f64_e32 v53, v[47:48]
	v_add_f64 v[51:52], v[47:48], -1.0
	v_cmp_gt_f64_e64 s22, s[22:23], v[49:50]
	v_add_f64 v[49:50], v[51:52], -v[47:48]
	v_add_f64 v[51:52], v[45:46], -v[51:52]
	v_subrev_co_ci_u32_e64 v76, null, 0, v53, s22
	v_add_f64 v[49:50], v[49:50], 1.0
	s_mov_b32 s22, 0x55555780
	v_sub_nc_u32_e32 v61, 0, v76
	v_ldexp_f64 v[47:48], v[47:48], v61
	v_add_f64 v[49:50], v[51:52], v[49:50]
	v_add_f64 v[53:54], v[47:48], 1.0
	v_add_f64 v[65:66], v[47:48], -1.0
	v_ldexp_f64 v[49:50], v[49:50], v61
	v_add_f64 v[51:52], v[53:54], -1.0
	v_add_f64 v[67:68], v[65:66], 1.0
	v_add_f64 v[51:52], v[47:48], -v[51:52]
	v_add_f64 v[47:48], v[47:48], -v[67:68]
	v_add_f64 v[51:52], v[49:50], v[51:52]
	v_add_f64 v[47:48], v[49:50], v[47:48]
	;; [unrolled: 1-line block ×4, first 2 shown]
	v_rcp_f64_e32 v[63:64], v[61:62]
	v_add_f64 v[53:54], v[61:62], -v[53:54]
	v_add_f64 v[65:66], v[67:68], -v[65:66]
	;; [unrolled: 1-line block ×3, first 2 shown]
	v_fma_f64 v[70:71], -v[61:62], v[63:64], 1.0
	v_add_f64 v[47:48], v[47:48], -v[65:66]
	v_fma_f64 v[63:64], v[70:71], v[63:64], v[63:64]
	v_fma_f64 v[49:50], -v[61:62], v[63:64], 1.0
	v_fma_f64 v[49:50], v[49:50], v[63:64], v[63:64]
	v_mul_f64 v[63:64], v[67:68], v[49:50]
	v_mul_f64 v[70:71], v[61:62], v[63:64]
	v_fma_f64 v[53:54], v[63:64], v[61:62], -v[70:71]
	v_fma_f64 v[53:54], v[63:64], v[51:52], v[53:54]
	v_add_f64 v[72:73], v[70:71], v[53:54]
	v_add_f64 v[74:75], v[67:68], -v[72:73]
	v_add_f64 v[65:66], v[72:73], -v[70:71]
	v_add_f64 v[67:68], v[67:68], -v[74:75]
	v_add_f64 v[53:54], v[65:66], -v[53:54]
	v_add_f64 v[67:68], v[67:68], -v[72:73]
	v_add_f64 v[47:48], v[47:48], v[67:68]
	v_add_f64 v[47:48], v[53:54], v[47:48]
	;; [unrolled: 1-line block ×3, first 2 shown]
	v_mul_f64 v[65:66], v[49:50], v[53:54]
	v_add_f64 v[72:73], v[74:75], -v[53:54]
	v_mul_f64 v[67:68], v[61:62], v[65:66]
	v_add_f64 v[47:48], v[47:48], v[72:73]
	v_fma_f64 v[61:62], v[65:66], v[61:62], -v[67:68]
	v_fma_f64 v[51:52], v[65:66], v[51:52], v[61:62]
	v_add_f64 v[61:62], v[67:68], v[51:52]
	v_add_f64 v[70:71], v[53:54], -v[61:62]
	v_add_f64 v[67:68], v[61:62], -v[67:68]
	;; [unrolled: 1-line block ×5, first 2 shown]
	v_add_f64 v[47:48], v[47:48], v[53:54]
	v_add_f64 v[53:54], v[63:64], v[65:66]
	;; [unrolled: 1-line block ×3, first 2 shown]
	v_add_f64 v[51:52], v[53:54], -v[63:64]
	v_add_f64 v[47:48], v[70:71], v[47:48]
	v_add_f64 v[51:52], v[65:66], -v[51:52]
	v_mul_f64 v[47:48], v[49:50], v[47:48]
	v_add_f64 v[47:48], v[51:52], v[47:48]
	v_add_f64 v[49:50], v[53:54], v[47:48]
	v_mul_f64 v[51:52], v[49:50], v[49:50]
	v_fma_f64 v[61:62], v[51:52], s[34:35], s[30:31]
	s_mov_b32 s30, 0xd7f4df2e
	s_mov_b32 s31, 0x3fc7474d
	v_mul_f64 v[63:64], v[49:50], v[51:52]
	v_fma_f64 v[61:62], v[51:52], v[61:62], s[30:31]
	s_mov_b32 s30, 0x16291751
	s_mov_b32 s31, 0x3fcc71c0
	v_fma_f64 v[61:62], v[51:52], v[61:62], s[30:31]
	s_mov_b32 s30, 0x9b27acf1
	s_mov_b32 s31, 0x3fd24924
	;; [unrolled: 3-line block ×3, first 2 shown]
	v_fma_f64 v[61:62], v[51:52], v[61:62], s[30:31]
	v_fma_f64 v[51:52], v[51:52], v[61:62], s[22:23]
	v_ldexp_f64 v[61:62], v[49:50], 1
	v_add_f64 v[49:50], v[49:50], -v[53:54]
	v_cmp_nge_f64_e64 s22, -1.0, v[45:46]
	v_cmp_neq_f64_e64 s23, 0x7ff00000, v[45:46]
	v_mul_f64 v[51:52], v[63:64], v[51:52]
	v_cvt_f64_i32_e32 v[63:64], v76
	v_add_f64 v[47:48], v[47:48], -v[49:50]
	s_and_b32 s22, s22, s23
	v_add_f64 v[53:54], v[61:62], v[51:52]
	v_mul_f64 v[65:66], v[63:64], s[24:25]
	v_ldexp_f64 v[47:48], v[47:48], 1
	v_add_f64 v[49:50], v[53:54], -v[61:62]
	v_fma_f64 v[61:62], v[63:64], s[24:25], -v[65:66]
	v_cmp_ngt_f64_e64 s24, -1.0, v[45:46]
	v_add_f64 v[49:50], v[51:52], -v[49:50]
	v_fma_f64 v[51:52], v[63:64], s[26:27], v[61:62]
	v_add_f64 v[47:48], v[47:48], v[49:50]
	v_add_f64 v[49:50], v[65:66], v[51:52]
	;; [unrolled: 1-line block ×3, first 2 shown]
	v_add_f64 v[65:66], v[49:50], -v[65:66]
	v_add_f64 v[63:64], v[49:50], v[61:62]
	v_add_f64 v[53:54], v[61:62], -v[53:54]
	v_add_f64 v[51:52], v[51:52], -v[65:66]
	;; [unrolled: 1-line block ×6, first 2 shown]
	v_add_f64 v[61:62], v[51:52], v[47:48]
	v_add_f64 v[49:50], v[49:50], -v[70:71]
	v_add_f64 v[49:50], v[53:54], v[49:50]
	v_add_f64 v[53:54], v[61:62], -v[51:52]
	;; [unrolled: 2-line block ×3, first 2 shown]
	v_add_f64 v[47:48], v[47:48], -v[53:54]
	v_add_f64 v[65:66], v[63:64], v[49:50]
	v_add_f64 v[51:52], v[51:52], -v[61:62]
	v_add_f64 v[53:54], v[65:66], -v[63:64]
	v_add_f64 v[47:48], v[47:48], v[51:52]
	v_add_f64 v[49:50], v[49:50], -v[53:54]
	v_add_f64 v[47:48], v[47:48], v[49:50]
	v_add_f64 v[47:48], v[65:66], v[47:48]
	v_cndmask_b32_e64 v47, 0, v47, s22
	v_cmp_neq_f64_e64 s22, -1.0, v[45:46]
	v_cndmask_b32_e64 v48, 0x7ff00000, v48, s23
	v_cndmask_b32_e64 v48, 0x7ff80000, v48, s24
	;; [unrolled: 1-line block ×3, first 2 shown]
	v_add_f64 v[61:62], v[43:44], v[47:48]
.LBB83_42:
	s_or_b32 exec_lo, exec_lo, s29
	v_max_f64 v[43:44], v[13:14], v[13:14]
	v_max_f64 v[45:46], v[61:62], v[61:62]
	v_cmp_u_f64_e64 s23, v[61:62], v[61:62]
	v_cmp_u_f64_e64 s22, v[13:14], v[13:14]
	v_min_f64 v[47:48], v[45:46], v[43:44]
	v_max_f64 v[45:46], v[45:46], v[43:44]
	v_cndmask_b32_e64 v47, v47, v61, s23
	v_cndmask_b32_e64 v48, v48, v62, s23
	;; [unrolled: 1-line block ×8, first 2 shown]
	v_cmp_class_f64_e64 s24, v[47:48], 0x1f8
	v_cmp_neq_f64_e64 s23, v[47:48], v[45:46]
	s_or_b32 s23, s23, s24
	s_and_saveexec_b32 s29, s23
	s_cbranch_execz .LBB83_44
; %bb.43:
	v_add_f64 v[47:48], v[47:48], -v[45:46]
	s_mov_b32 s24, 0x652b82fe
	s_mov_b32 s25, 0x3ff71547
	;; [unrolled: 1-line block ×10, first 2 shown]
	v_mul_f64 v[49:50], v[47:48], s[24:25]
	s_mov_b32 s24, 0xfca7ab0c
	s_mov_b32 s25, 0x3e928af3
	v_cmp_nlt_f64_e64 s23, 0x40900000, v[47:48]
	v_rndne_f64_e32 v[49:50], v[49:50]
	v_fma_f64 v[51:52], v[49:50], s[26:27], v[47:48]
	v_cvt_i32_f64_e32 v61, v[49:50]
	s_mov_b32 s27, 0x3fe62e42
	v_fma_f64 v[51:52], v[49:50], s[30:31], v[51:52]
	s_mov_b32 s31, 0x3c7abc9e
	v_fma_f64 v[53:54], v[51:52], s[34:35], s[24:25]
	s_mov_b32 s24, 0x623fde64
	s_mov_b32 s25, 0x3ec71dee
	;; [unrolled: 1-line block ×4, first 2 shown]
	v_fma_f64 v[53:54], v[51:52], v[53:54], s[24:25]
	s_mov_b32 s24, 0x7c89e6b0
	s_mov_b32 s25, 0x3efa0199
	v_fma_f64 v[53:54], v[51:52], v[53:54], s[24:25]
	s_mov_b32 s24, 0x14761f6e
	s_mov_b32 s25, 0x3f2a01a0
	;; [unrolled: 3-line block ×7, first 2 shown]
	v_fma_f64 v[53:54], v[51:52], v[53:54], s[24:25]
	v_cmp_ngt_f64_e64 s24, 0xc090cc00, v[47:48]
	s_mov_b32 s25, 0x3fe55555
	v_fma_f64 v[53:54], v[51:52], v[53:54], 1.0
	v_fma_f64 v[49:50], v[51:52], v[53:54], 1.0
	v_ldexp_f64 v[49:50], v[49:50], v61
	v_cndmask_b32_e64 v50, 0x7ff00000, v50, s23
	s_and_b32 s23, s24, s23
	v_cndmask_b32_e64 v47, 0, v49, s23
	v_cndmask_b32_e64 v48, 0, v50, s24
	s_mov_b32 s24, 0x55555555
	v_add_f64 v[49:50], v[47:48], 1.0
	v_frexp_mant_f64_e32 v[51:52], v[49:50]
	v_frexp_exp_i32_f64_e32 v61, v[49:50]
	v_add_f64 v[53:54], v[49:50], -1.0
	v_cmp_gt_f64_e64 s23, s[24:25], v[51:52]
	s_mov_b32 s24, 0x55555780
	v_add_f64 v[51:52], v[53:54], -v[49:50]
	v_add_f64 v[53:54], v[47:48], -v[53:54]
	v_subrev_co_ci_u32_e64 v78, null, 0, v61, s23
	v_add_f64 v[51:52], v[51:52], 1.0
	v_cmp_nge_f64_e64 s23, -1.0, v[47:48]
	v_sub_nc_u32_e32 v63, 0, v78
	v_ldexp_f64 v[49:50], v[49:50], v63
	v_add_f64 v[51:52], v[53:54], v[51:52]
	v_add_f64 v[61:62], v[49:50], 1.0
	v_add_f64 v[67:68], v[49:50], -1.0
	v_ldexp_f64 v[51:52], v[51:52], v63
	v_add_f64 v[53:54], v[61:62], -1.0
	v_add_f64 v[70:71], v[67:68], 1.0
	v_add_f64 v[53:54], v[49:50], -v[53:54]
	v_add_f64 v[49:50], v[49:50], -v[70:71]
	v_add_f64 v[53:54], v[51:52], v[53:54]
	v_add_f64 v[49:50], v[51:52], v[49:50]
	;; [unrolled: 1-line block ×4, first 2 shown]
	v_rcp_f64_e32 v[65:66], v[63:64]
	v_add_f64 v[61:62], v[63:64], -v[61:62]
	v_add_f64 v[67:68], v[70:71], -v[67:68]
	;; [unrolled: 1-line block ×3, first 2 shown]
	v_fma_f64 v[72:73], -v[63:64], v[65:66], 1.0
	v_add_f64 v[49:50], v[49:50], -v[67:68]
	v_fma_f64 v[65:66], v[72:73], v[65:66], v[65:66]
	v_fma_f64 v[51:52], -v[63:64], v[65:66], 1.0
	v_fma_f64 v[51:52], v[51:52], v[65:66], v[65:66]
	v_mul_f64 v[65:66], v[70:71], v[51:52]
	v_mul_f64 v[72:73], v[63:64], v[65:66]
	v_fma_f64 v[61:62], v[65:66], v[63:64], -v[72:73]
	v_fma_f64 v[61:62], v[65:66], v[53:54], v[61:62]
	v_add_f64 v[74:75], v[72:73], v[61:62]
	v_add_f64 v[76:77], v[70:71], -v[74:75]
	v_add_f64 v[67:68], v[74:75], -v[72:73]
	;; [unrolled: 1-line block ×5, first 2 shown]
	v_add_f64 v[49:50], v[49:50], v[70:71]
	v_add_f64 v[49:50], v[61:62], v[49:50]
	;; [unrolled: 1-line block ×3, first 2 shown]
	v_mul_f64 v[67:68], v[51:52], v[61:62]
	v_add_f64 v[74:75], v[76:77], -v[61:62]
	v_mul_f64 v[70:71], v[63:64], v[67:68]
	v_add_f64 v[49:50], v[49:50], v[74:75]
	v_fma_f64 v[63:64], v[67:68], v[63:64], -v[70:71]
	v_fma_f64 v[53:54], v[67:68], v[53:54], v[63:64]
	v_add_f64 v[63:64], v[70:71], v[53:54]
	v_add_f64 v[72:73], v[61:62], -v[63:64]
	v_add_f64 v[70:71], v[63:64], -v[70:71]
	;; [unrolled: 1-line block ×5, first 2 shown]
	v_add_f64 v[49:50], v[49:50], v[61:62]
	v_add_f64 v[61:62], v[65:66], v[67:68]
	;; [unrolled: 1-line block ×3, first 2 shown]
	v_add_f64 v[53:54], v[61:62], -v[65:66]
	v_add_f64 v[49:50], v[72:73], v[49:50]
	v_add_f64 v[53:54], v[67:68], -v[53:54]
	v_mul_f64 v[49:50], v[51:52], v[49:50]
	v_add_f64 v[49:50], v[53:54], v[49:50]
	v_add_f64 v[51:52], v[61:62], v[49:50]
	v_mul_f64 v[53:54], v[51:52], v[51:52]
	v_fma_f64 v[63:64], v[53:54], s[36:37], s[34:35]
	s_mov_b32 s34, 0xd7f4df2e
	s_mov_b32 s35, 0x3fc7474d
	v_mul_f64 v[65:66], v[51:52], v[53:54]
	v_fma_f64 v[63:64], v[53:54], v[63:64], s[34:35]
	s_mov_b32 s34, 0x16291751
	s_mov_b32 s35, 0x3fcc71c0
	v_fma_f64 v[63:64], v[53:54], v[63:64], s[34:35]
	s_mov_b32 s34, 0x9b27acf1
	s_mov_b32 s35, 0x3fd24924
	;; [unrolled: 3-line block ×3, first 2 shown]
	v_fma_f64 v[63:64], v[53:54], v[63:64], s[34:35]
	v_fma_f64 v[53:54], v[53:54], v[63:64], s[24:25]
	v_ldexp_f64 v[63:64], v[51:52], 1
	v_add_f64 v[51:52], v[51:52], -v[61:62]
	v_cmp_neq_f64_e64 s24, 0x7ff00000, v[47:48]
	v_cmp_ngt_f64_e64 s25, -1.0, v[47:48]
	v_mul_f64 v[53:54], v[65:66], v[53:54]
	v_cvt_f64_i32_e32 v[65:66], v78
	v_add_f64 v[49:50], v[49:50], -v[51:52]
	s_and_b32 s23, s23, s24
	v_add_f64 v[61:62], v[63:64], v[53:54]
	v_mul_f64 v[67:68], v[65:66], s[26:27]
	v_ldexp_f64 v[49:50], v[49:50], 1
	v_add_f64 v[51:52], v[61:62], -v[63:64]
	v_fma_f64 v[63:64], v[65:66], s[26:27], -v[67:68]
	v_add_f64 v[51:52], v[53:54], -v[51:52]
	v_fma_f64 v[53:54], v[65:66], s[30:31], v[63:64]
	v_add_f64 v[49:50], v[49:50], v[51:52]
	v_add_f64 v[51:52], v[67:68], v[53:54]
	;; [unrolled: 1-line block ×3, first 2 shown]
	v_add_f64 v[67:68], v[51:52], -v[67:68]
	v_add_f64 v[65:66], v[51:52], v[63:64]
	v_add_f64 v[61:62], v[63:64], -v[61:62]
	v_add_f64 v[53:54], v[53:54], -v[67:68]
	;; [unrolled: 1-line block ×6, first 2 shown]
	v_add_f64 v[63:64], v[53:54], v[49:50]
	v_add_f64 v[51:52], v[51:52], -v[72:73]
	v_add_f64 v[51:52], v[61:62], v[51:52]
	v_add_f64 v[61:62], v[63:64], -v[53:54]
	;; [unrolled: 2-line block ×3, first 2 shown]
	v_add_f64 v[49:50], v[49:50], -v[61:62]
	v_add_f64 v[67:68], v[65:66], v[51:52]
	v_add_f64 v[53:54], v[53:54], -v[63:64]
	v_add_f64 v[61:62], v[67:68], -v[65:66]
	v_add_f64 v[49:50], v[49:50], v[53:54]
	v_add_f64 v[51:52], v[51:52], -v[61:62]
	v_add_f64 v[49:50], v[49:50], v[51:52]
	v_add_f64 v[49:50], v[67:68], v[49:50]
	v_cndmask_b32_e64 v49, 0, v49, s23
	v_cmp_neq_f64_e64 s23, -1.0, v[47:48]
	v_cndmask_b32_e64 v50, 0x7ff00000, v50, s24
	v_cndmask_b32_e64 v50, 0x7ff80000, v50, s25
	;; [unrolled: 1-line block ×3, first 2 shown]
	v_add_f64 v[61:62], v[45:46], v[49:50]
.LBB83_44:
	s_or_b32 exec_lo, exec_lo, s29
	v_max_f64 v[45:46], v[15:16], v[15:16]
	v_max_f64 v[47:48], v[61:62], v[61:62]
	v_cmp_u_f64_e64 s24, v[61:62], v[61:62]
	v_cmp_u_f64_e64 s23, v[15:16], v[15:16]
	v_min_f64 v[49:50], v[47:48], v[45:46]
	v_max_f64 v[47:48], v[47:48], v[45:46]
	v_cndmask_b32_e64 v49, v49, v61, s24
	v_cndmask_b32_e64 v50, v50, v62, s24
	;; [unrolled: 1-line block ×8, first 2 shown]
	v_cmp_class_f64_e64 s25, v[49:50], 0x1f8
	v_cmp_neq_f64_e64 s24, v[49:50], v[47:48]
	s_or_b32 s24, s24, s25
	s_and_saveexec_b32 s29, s24
	s_cbranch_execz .LBB83_46
; %bb.45:
	v_add_f64 v[49:50], v[49:50], -v[47:48]
	s_mov_b32 s24, 0x652b82fe
	s_mov_b32 s25, 0x3ff71547
	;; [unrolled: 1-line block ×10, first 2 shown]
	v_mul_f64 v[51:52], v[49:50], s[24:25]
	s_mov_b32 s24, 0xfca7ab0c
	s_mov_b32 s25, 0x3e928af3
	v_rndne_f64_e32 v[51:52], v[51:52]
	v_fma_f64 v[53:54], v[51:52], s[26:27], v[49:50]
	v_cvt_i32_f64_e32 v63, v[51:52]
	s_mov_b32 s27, 0x3fe62e42
	v_fma_f64 v[53:54], v[51:52], s[30:31], v[53:54]
	s_mov_b32 s31, 0x3c7abc9e
	v_fma_f64 v[61:62], v[53:54], s[34:35], s[24:25]
	s_mov_b32 s24, 0x623fde64
	s_mov_b32 s25, 0x3ec71dee
	;; [unrolled: 1-line block ×4, first 2 shown]
	v_fma_f64 v[61:62], v[53:54], v[61:62], s[24:25]
	s_mov_b32 s24, 0x7c89e6b0
	s_mov_b32 s25, 0x3efa0199
	v_fma_f64 v[61:62], v[53:54], v[61:62], s[24:25]
	s_mov_b32 s24, 0x14761f6e
	s_mov_b32 s25, 0x3f2a01a0
	v_fma_f64 v[61:62], v[53:54], v[61:62], s[24:25]
	s_mov_b32 s24, 0x1852b7b0
	s_mov_b32 s25, 0x3f56c16c
	v_fma_f64 v[61:62], v[53:54], v[61:62], s[24:25]
	s_mov_b32 s24, 0x11122322
	s_mov_b32 s25, 0x3f811111
	v_fma_f64 v[61:62], v[53:54], v[61:62], s[24:25]
	s_mov_b32 s24, 0x555502a1
	s_mov_b32 s25, 0x3fa55555
	v_fma_f64 v[61:62], v[53:54], v[61:62], s[24:25]
	s_mov_b32 s24, 0x55555511
	s_mov_b32 s25, 0x3fc55555
	v_fma_f64 v[61:62], v[53:54], v[61:62], s[24:25]
	s_mov_b32 s24, 11
	s_mov_b32 s25, 0x3fe00000
	v_fma_f64 v[61:62], v[53:54], v[61:62], s[24:25]
	v_cmp_nlt_f64_e64 s24, 0x40900000, v[49:50]
	v_cmp_ngt_f64_e64 s25, 0xc090cc00, v[49:50]
	v_fma_f64 v[61:62], v[53:54], v[61:62], 1.0
	v_fma_f64 v[51:52], v[53:54], v[61:62], 1.0
	v_ldexp_f64 v[51:52], v[51:52], v63
	v_cndmask_b32_e64 v52, 0x7ff00000, v52, s24
	s_and_b32 s24, s25, s24
	v_cndmask_b32_e64 v49, 0, v51, s24
	s_mov_b32 s24, 0x55555555
	v_cndmask_b32_e64 v50, 0, v52, s25
	s_mov_b32 s25, 0x3fe55555
	v_add_f64 v[51:52], v[49:50], 1.0
	v_frexp_mant_f64_e32 v[53:54], v[51:52]
	v_frexp_exp_i32_f64_e32 v63, v[51:52]
	v_add_f64 v[61:62], v[51:52], -1.0
	v_cmp_gt_f64_e64 s24, s[24:25], v[53:54]
	v_add_f64 v[53:54], v[61:62], -v[51:52]
	v_add_f64 v[61:62], v[49:50], -v[61:62]
	v_subrev_co_ci_u32_e64 v80, null, 0, v63, s24
	v_add_f64 v[53:54], v[53:54], 1.0
	s_mov_b32 s24, 0x55555780
	v_sub_nc_u32_e32 v65, 0, v80
	v_ldexp_f64 v[51:52], v[51:52], v65
	v_add_f64 v[53:54], v[61:62], v[53:54]
	v_add_f64 v[63:64], v[51:52], 1.0
	v_add_f64 v[70:71], v[51:52], -1.0
	v_ldexp_f64 v[53:54], v[53:54], v65
	v_add_f64 v[61:62], v[63:64], -1.0
	v_add_f64 v[72:73], v[70:71], 1.0
	v_add_f64 v[61:62], v[51:52], -v[61:62]
	v_add_f64 v[51:52], v[51:52], -v[72:73]
	v_add_f64 v[61:62], v[53:54], v[61:62]
	v_add_f64 v[51:52], v[53:54], v[51:52]
	;; [unrolled: 1-line block ×4, first 2 shown]
	v_rcp_f64_e32 v[67:68], v[65:66]
	v_add_f64 v[63:64], v[65:66], -v[63:64]
	v_add_f64 v[70:71], v[72:73], -v[70:71]
	;; [unrolled: 1-line block ×3, first 2 shown]
	v_fma_f64 v[74:75], -v[65:66], v[67:68], 1.0
	v_add_f64 v[51:52], v[51:52], -v[70:71]
	v_fma_f64 v[67:68], v[74:75], v[67:68], v[67:68]
	v_fma_f64 v[53:54], -v[65:66], v[67:68], 1.0
	v_fma_f64 v[53:54], v[53:54], v[67:68], v[67:68]
	v_mul_f64 v[67:68], v[72:73], v[53:54]
	v_mul_f64 v[74:75], v[65:66], v[67:68]
	v_fma_f64 v[63:64], v[67:68], v[65:66], -v[74:75]
	v_fma_f64 v[63:64], v[67:68], v[61:62], v[63:64]
	v_add_f64 v[76:77], v[74:75], v[63:64]
	v_add_f64 v[78:79], v[72:73], -v[76:77]
	v_add_f64 v[70:71], v[76:77], -v[74:75]
	;; [unrolled: 1-line block ×5, first 2 shown]
	v_add_f64 v[51:52], v[51:52], v[72:73]
	v_add_f64 v[51:52], v[63:64], v[51:52]
	;; [unrolled: 1-line block ×3, first 2 shown]
	v_mul_f64 v[70:71], v[53:54], v[63:64]
	v_add_f64 v[76:77], v[78:79], -v[63:64]
	v_mul_f64 v[72:73], v[65:66], v[70:71]
	v_add_f64 v[51:52], v[51:52], v[76:77]
	v_fma_f64 v[65:66], v[70:71], v[65:66], -v[72:73]
	v_fma_f64 v[61:62], v[70:71], v[61:62], v[65:66]
	v_add_f64 v[65:66], v[72:73], v[61:62]
	v_add_f64 v[74:75], v[63:64], -v[65:66]
	v_add_f64 v[72:73], v[65:66], -v[72:73]
	;; [unrolled: 1-line block ×5, first 2 shown]
	v_add_f64 v[51:52], v[51:52], v[63:64]
	v_add_f64 v[63:64], v[67:68], v[70:71]
	;; [unrolled: 1-line block ×3, first 2 shown]
	v_add_f64 v[61:62], v[63:64], -v[67:68]
	v_add_f64 v[51:52], v[74:75], v[51:52]
	v_add_f64 v[61:62], v[70:71], -v[61:62]
	v_mul_f64 v[51:52], v[53:54], v[51:52]
	v_add_f64 v[51:52], v[61:62], v[51:52]
	v_add_f64 v[53:54], v[63:64], v[51:52]
	v_mul_f64 v[61:62], v[53:54], v[53:54]
	v_fma_f64 v[65:66], v[61:62], s[36:37], s[34:35]
	s_mov_b32 s34, 0xd7f4df2e
	s_mov_b32 s35, 0x3fc7474d
	v_mul_f64 v[67:68], v[53:54], v[61:62]
	v_fma_f64 v[65:66], v[61:62], v[65:66], s[34:35]
	s_mov_b32 s34, 0x16291751
	s_mov_b32 s35, 0x3fcc71c0
	v_fma_f64 v[65:66], v[61:62], v[65:66], s[34:35]
	s_mov_b32 s34, 0x9b27acf1
	s_mov_b32 s35, 0x3fd24924
	;; [unrolled: 3-line block ×3, first 2 shown]
	v_fma_f64 v[65:66], v[61:62], v[65:66], s[34:35]
	v_fma_f64 v[61:62], v[61:62], v[65:66], s[24:25]
	v_ldexp_f64 v[65:66], v[53:54], 1
	v_add_f64 v[53:54], v[53:54], -v[63:64]
	v_cmp_nge_f64_e64 s24, -1.0, v[49:50]
	v_cmp_neq_f64_e64 s25, 0x7ff00000, v[49:50]
	v_mul_f64 v[61:62], v[67:68], v[61:62]
	v_cvt_f64_i32_e32 v[67:68], v80
	v_add_f64 v[51:52], v[51:52], -v[53:54]
	s_and_b32 s24, s24, s25
	v_add_f64 v[63:64], v[65:66], v[61:62]
	v_mul_f64 v[70:71], v[67:68], s[26:27]
	v_ldexp_f64 v[51:52], v[51:52], 1
	v_add_f64 v[53:54], v[63:64], -v[65:66]
	v_fma_f64 v[65:66], v[67:68], s[26:27], -v[70:71]
	v_cmp_ngt_f64_e64 s26, -1.0, v[49:50]
	v_add_f64 v[53:54], v[61:62], -v[53:54]
	v_fma_f64 v[61:62], v[67:68], s[30:31], v[65:66]
	v_add_f64 v[51:52], v[51:52], v[53:54]
	v_add_f64 v[53:54], v[70:71], v[61:62]
	;; [unrolled: 1-line block ×3, first 2 shown]
	v_add_f64 v[70:71], v[53:54], -v[70:71]
	v_add_f64 v[67:68], v[53:54], v[65:66]
	v_add_f64 v[63:64], v[65:66], -v[63:64]
	v_add_f64 v[61:62], v[61:62], -v[70:71]
	v_add_f64 v[72:73], v[67:68], -v[53:54]
	v_add_f64 v[51:52], v[51:52], -v[63:64]
	v_add_f64 v[74:75], v[67:68], -v[72:73]
	v_add_f64 v[63:64], v[65:66], -v[72:73]
	v_add_f64 v[65:66], v[61:62], v[51:52]
	v_add_f64 v[53:54], v[53:54], -v[74:75]
	v_add_f64 v[53:54], v[63:64], v[53:54]
	v_add_f64 v[63:64], v[65:66], -v[61:62]
	;; [unrolled: 2-line block ×3, first 2 shown]
	v_add_f64 v[51:52], v[51:52], -v[63:64]
	v_add_f64 v[70:71], v[67:68], v[53:54]
	v_add_f64 v[61:62], v[61:62], -v[65:66]
	v_add_f64 v[63:64], v[70:71], -v[67:68]
	v_add_f64 v[51:52], v[51:52], v[61:62]
	v_add_f64 v[53:54], v[53:54], -v[63:64]
	v_add_f64 v[51:52], v[51:52], v[53:54]
	v_add_f64 v[51:52], v[70:71], v[51:52]
	v_cndmask_b32_e64 v51, 0, v51, s24
	v_cmp_neq_f64_e64 s24, -1.0, v[49:50]
	v_cndmask_b32_e64 v52, 0x7ff00000, v52, s25
	v_cndmask_b32_e64 v52, 0x7ff80000, v52, s26
	;; [unrolled: 1-line block ×3, first 2 shown]
	v_add_f64 v[61:62], v[47:48], v[51:52]
.LBB83_46:
	s_or_b32 exec_lo, exec_lo, s29
	v_max_f64 v[47:48], v[9:10], v[9:10]
	v_max_f64 v[49:50], v[61:62], v[61:62]
	v_cmp_u_f64_e64 s25, v[61:62], v[61:62]
	v_cmp_u_f64_e64 s24, v[9:10], v[9:10]
	v_min_f64 v[51:52], v[49:50], v[47:48]
	v_max_f64 v[49:50], v[49:50], v[47:48]
	v_cndmask_b32_e64 v51, v51, v61, s25
	v_cndmask_b32_e64 v52, v52, v62, s25
	v_cndmask_b32_e64 v50, v50, v62, s25
	v_cndmask_b32_e64 v49, v49, v61, s25
	v_cndmask_b32_e64 v51, v51, v9, s24
	v_cndmask_b32_e64 v52, v52, v10, s24
	v_cndmask_b32_e64 v50, v50, v10, s24
	v_cndmask_b32_e64 v49, v49, v9, s24
	v_cmp_class_f64_e64 s26, v[51:52], 0x1f8
	v_cmp_neq_f64_e64 s25, v[51:52], v[49:50]
	s_or_b32 s25, s25, s26
	s_and_saveexec_b32 s29, s25
	s_cbranch_execz .LBB83_48
; %bb.47:
	v_add_f64 v[51:52], v[51:52], -v[49:50]
	s_mov_b32 s26, 0x652b82fe
	s_mov_b32 s27, 0x3ff71547
	;; [unrolled: 1-line block ×10, first 2 shown]
	v_mul_f64 v[53:54], v[51:52], s[26:27]
	s_mov_b32 s26, 0xfca7ab0c
	s_mov_b32 s27, 0x3e928af3
	v_cmp_nlt_f64_e64 s25, 0x40900000, v[51:52]
	v_rndne_f64_e32 v[53:54], v[53:54]
	v_fma_f64 v[61:62], v[53:54], s[30:31], v[51:52]
	v_cvt_i32_f64_e32 v65, v[53:54]
	s_mov_b32 s31, 0x3fe62e42
	v_fma_f64 v[61:62], v[53:54], s[34:35], v[61:62]
	s_mov_b32 s35, 0x3c7abc9e
	v_fma_f64 v[63:64], v[61:62], s[36:37], s[26:27]
	s_mov_b32 s26, 0x623fde64
	s_mov_b32 s27, 0x3ec71dee
	;; [unrolled: 1-line block ×4, first 2 shown]
	v_fma_f64 v[63:64], v[61:62], v[63:64], s[26:27]
	s_mov_b32 s26, 0x7c89e6b0
	s_mov_b32 s27, 0x3efa0199
	v_fma_f64 v[63:64], v[61:62], v[63:64], s[26:27]
	s_mov_b32 s26, 0x14761f6e
	s_mov_b32 s27, 0x3f2a01a0
	;; [unrolled: 3-line block ×7, first 2 shown]
	v_fma_f64 v[63:64], v[61:62], v[63:64], s[26:27]
	v_cmp_ngt_f64_e64 s26, 0xc090cc00, v[51:52]
	s_mov_b32 s27, 0x3fe55555
	v_fma_f64 v[63:64], v[61:62], v[63:64], 1.0
	v_fma_f64 v[53:54], v[61:62], v[63:64], 1.0
	v_ldexp_f64 v[53:54], v[53:54], v65
	v_cndmask_b32_e64 v54, 0x7ff00000, v54, s25
	s_and_b32 s25, s26, s25
	v_cndmask_b32_e64 v51, 0, v53, s25
	v_cndmask_b32_e64 v52, 0, v54, s26
	s_mov_b32 s26, 0x55555555
	v_add_f64 v[53:54], v[51:52], 1.0
	v_frexp_mant_f64_e32 v[61:62], v[53:54]
	v_frexp_exp_i32_f64_e32 v65, v[53:54]
	v_add_f64 v[63:64], v[53:54], -1.0
	v_cmp_gt_f64_e64 s25, s[26:27], v[61:62]
	s_mov_b32 s26, 0x55555780
	v_add_f64 v[61:62], v[63:64], -v[53:54]
	v_add_f64 v[63:64], v[51:52], -v[63:64]
	v_subrev_co_ci_u32_e64 v82, null, 0, v65, s25
	v_add_f64 v[61:62], v[61:62], 1.0
	v_cmp_nge_f64_e64 s25, -1.0, v[51:52]
	v_sub_nc_u32_e32 v67, 0, v82
	v_ldexp_f64 v[53:54], v[53:54], v67
	v_add_f64 v[61:62], v[63:64], v[61:62]
	v_add_f64 v[65:66], v[53:54], 1.0
	v_add_f64 v[72:73], v[53:54], -1.0
	v_ldexp_f64 v[61:62], v[61:62], v67
	v_add_f64 v[63:64], v[65:66], -1.0
	v_add_f64 v[74:75], v[72:73], 1.0
	v_add_f64 v[63:64], v[53:54], -v[63:64]
	v_add_f64 v[53:54], v[53:54], -v[74:75]
	v_add_f64 v[63:64], v[61:62], v[63:64]
	v_add_f64 v[53:54], v[61:62], v[53:54]
	;; [unrolled: 1-line block ×4, first 2 shown]
	v_rcp_f64_e32 v[70:71], v[67:68]
	v_add_f64 v[65:66], v[67:68], -v[65:66]
	v_add_f64 v[72:73], v[74:75], -v[72:73]
	;; [unrolled: 1-line block ×3, first 2 shown]
	v_fma_f64 v[76:77], -v[67:68], v[70:71], 1.0
	v_add_f64 v[53:54], v[53:54], -v[72:73]
	v_fma_f64 v[70:71], v[76:77], v[70:71], v[70:71]
	v_fma_f64 v[61:62], -v[67:68], v[70:71], 1.0
	v_fma_f64 v[61:62], v[61:62], v[70:71], v[70:71]
	v_mul_f64 v[70:71], v[74:75], v[61:62]
	v_mul_f64 v[76:77], v[67:68], v[70:71]
	v_fma_f64 v[65:66], v[70:71], v[67:68], -v[76:77]
	v_fma_f64 v[65:66], v[70:71], v[63:64], v[65:66]
	v_add_f64 v[78:79], v[76:77], v[65:66]
	v_add_f64 v[80:81], v[74:75], -v[78:79]
	v_add_f64 v[72:73], v[78:79], -v[76:77]
	v_add_f64 v[74:75], v[74:75], -v[80:81]
	v_add_f64 v[65:66], v[72:73], -v[65:66]
	v_add_f64 v[74:75], v[74:75], -v[78:79]
	v_add_f64 v[53:54], v[53:54], v[74:75]
	v_add_f64 v[53:54], v[65:66], v[53:54]
	;; [unrolled: 1-line block ×3, first 2 shown]
	v_mul_f64 v[72:73], v[61:62], v[65:66]
	v_add_f64 v[78:79], v[80:81], -v[65:66]
	v_mul_f64 v[74:75], v[67:68], v[72:73]
	v_add_f64 v[53:54], v[53:54], v[78:79]
	v_fma_f64 v[67:68], v[72:73], v[67:68], -v[74:75]
	v_fma_f64 v[63:64], v[72:73], v[63:64], v[67:68]
	v_add_f64 v[67:68], v[74:75], v[63:64]
	v_add_f64 v[76:77], v[65:66], -v[67:68]
	v_add_f64 v[74:75], v[67:68], -v[74:75]
	;; [unrolled: 1-line block ×5, first 2 shown]
	v_add_f64 v[53:54], v[53:54], v[65:66]
	v_add_f64 v[65:66], v[70:71], v[72:73]
	;; [unrolled: 1-line block ×3, first 2 shown]
	v_add_f64 v[63:64], v[65:66], -v[70:71]
	v_add_f64 v[53:54], v[76:77], v[53:54]
	v_add_f64 v[63:64], v[72:73], -v[63:64]
	v_mul_f64 v[53:54], v[61:62], v[53:54]
	v_add_f64 v[53:54], v[63:64], v[53:54]
	v_add_f64 v[61:62], v[65:66], v[53:54]
	v_mul_f64 v[63:64], v[61:62], v[61:62]
	v_fma_f64 v[67:68], v[63:64], s[38:39], s[36:37]
	s_mov_b32 s36, 0xd7f4df2e
	s_mov_b32 s37, 0x3fc7474d
	v_mul_f64 v[70:71], v[61:62], v[63:64]
	v_fma_f64 v[67:68], v[63:64], v[67:68], s[36:37]
	s_mov_b32 s36, 0x16291751
	s_mov_b32 s37, 0x3fcc71c0
	v_fma_f64 v[67:68], v[63:64], v[67:68], s[36:37]
	s_mov_b32 s36, 0x9b27acf1
	s_mov_b32 s37, 0x3fd24924
	;; [unrolled: 3-line block ×3, first 2 shown]
	v_fma_f64 v[67:68], v[63:64], v[67:68], s[36:37]
	v_fma_f64 v[63:64], v[63:64], v[67:68], s[26:27]
	v_ldexp_f64 v[67:68], v[61:62], 1
	v_add_f64 v[61:62], v[61:62], -v[65:66]
	v_cmp_neq_f64_e64 s26, 0x7ff00000, v[51:52]
	v_cmp_ngt_f64_e64 s27, -1.0, v[51:52]
	v_mul_f64 v[63:64], v[70:71], v[63:64]
	v_cvt_f64_i32_e32 v[70:71], v82
	v_add_f64 v[53:54], v[53:54], -v[61:62]
	s_and_b32 s25, s25, s26
	v_add_f64 v[65:66], v[67:68], v[63:64]
	v_mul_f64 v[72:73], v[70:71], s[30:31]
	v_ldexp_f64 v[53:54], v[53:54], 1
	v_add_f64 v[61:62], v[65:66], -v[67:68]
	v_fma_f64 v[67:68], v[70:71], s[30:31], -v[72:73]
	v_add_f64 v[61:62], v[63:64], -v[61:62]
	v_fma_f64 v[63:64], v[70:71], s[34:35], v[67:68]
	v_add_f64 v[53:54], v[53:54], v[61:62]
	v_add_f64 v[61:62], v[72:73], v[63:64]
	v_add_f64 v[67:68], v[65:66], v[53:54]
	v_add_f64 v[72:73], v[61:62], -v[72:73]
	v_add_f64 v[70:71], v[61:62], v[67:68]
	v_add_f64 v[65:66], v[67:68], -v[65:66]
	v_add_f64 v[63:64], v[63:64], -v[72:73]
	;; [unrolled: 1-line block ×6, first 2 shown]
	v_add_f64 v[67:68], v[63:64], v[53:54]
	v_add_f64 v[61:62], v[61:62], -v[76:77]
	v_add_f64 v[61:62], v[65:66], v[61:62]
	v_add_f64 v[65:66], v[67:68], -v[63:64]
	;; [unrolled: 2-line block ×3, first 2 shown]
	v_add_f64 v[53:54], v[53:54], -v[65:66]
	v_add_f64 v[72:73], v[70:71], v[61:62]
	v_add_f64 v[63:64], v[63:64], -v[67:68]
	v_add_f64 v[65:66], v[72:73], -v[70:71]
	v_add_f64 v[53:54], v[53:54], v[63:64]
	v_add_f64 v[61:62], v[61:62], -v[65:66]
	v_add_f64 v[53:54], v[53:54], v[61:62]
	v_add_f64 v[53:54], v[72:73], v[53:54]
	v_cndmask_b32_e64 v53, 0, v53, s25
	v_cmp_neq_f64_e64 s25, -1.0, v[51:52]
	v_cndmask_b32_e64 v54, 0x7ff00000, v54, s26
	v_cndmask_b32_e64 v54, 0x7ff80000, v54, s27
	;; [unrolled: 1-line block ×3, first 2 shown]
	v_add_f64 v[61:62], v[49:50], v[53:54]
.LBB83_48:
	s_or_b32 exec_lo, exec_lo, s29
	v_max_f64 v[49:50], v[11:12], v[11:12]
	v_max_f64 v[51:52], v[61:62], v[61:62]
	v_cmp_u_f64_e64 s26, v[61:62], v[61:62]
	v_cmp_u_f64_e64 s25, v[11:12], v[11:12]
	v_min_f64 v[53:54], v[51:52], v[49:50]
	v_max_f64 v[51:52], v[51:52], v[49:50]
	v_cndmask_b32_e64 v53, v53, v61, s26
	v_cndmask_b32_e64 v54, v54, v62, s26
	v_cndmask_b32_e64 v52, v52, v62, s26
	v_cndmask_b32_e64 v51, v51, v61, s26
	v_cndmask_b32_e64 v53, v53, v11, s25
	v_cndmask_b32_e64 v54, v54, v12, s25
	v_cndmask_b32_e64 v52, v52, v12, s25
	v_cndmask_b32_e64 v51, v51, v11, s25
	v_cmp_class_f64_e64 s27, v[53:54], 0x1f8
	v_cmp_neq_f64_e64 s26, v[53:54], v[51:52]
	s_or_b32 s26, s26, s27
	s_and_saveexec_b32 s33, s26
	s_cbranch_execz .LBB83_50
; %bb.49:
	v_add_f64 v[53:54], v[53:54], -v[51:52]
	s_mov_b32 s26, 0x652b82fe
	s_mov_b32 s27, 0x3ff71547
	;; [unrolled: 1-line block ×10, first 2 shown]
	v_mul_f64 v[61:62], v[53:54], s[26:27]
	s_mov_b32 s26, 0xfca7ab0c
	s_mov_b32 s27, 0x3e928af3
	v_rndne_f64_e32 v[61:62], v[61:62]
	v_fma_f64 v[63:64], v[61:62], s[30:31], v[53:54]
	v_cvt_i32_f64_e32 v67, v[61:62]
	s_mov_b32 s31, 0x3fe62e42
	v_fma_f64 v[63:64], v[61:62], s[34:35], v[63:64]
	s_mov_b32 s35, 0x3c7abc9e
	v_fma_f64 v[65:66], v[63:64], s[36:37], s[26:27]
	s_mov_b32 s26, 0x623fde64
	s_mov_b32 s27, 0x3ec71dee
	;; [unrolled: 1-line block ×4, first 2 shown]
	v_fma_f64 v[65:66], v[63:64], v[65:66], s[26:27]
	s_mov_b32 s26, 0x7c89e6b0
	s_mov_b32 s27, 0x3efa0199
	v_fma_f64 v[65:66], v[63:64], v[65:66], s[26:27]
	s_mov_b32 s26, 0x14761f6e
	s_mov_b32 s27, 0x3f2a01a0
	;; [unrolled: 3-line block ×7, first 2 shown]
	v_fma_f64 v[65:66], v[63:64], v[65:66], s[26:27]
	v_cmp_nlt_f64_e64 s26, 0x40900000, v[53:54]
	v_cmp_ngt_f64_e64 s27, 0xc090cc00, v[53:54]
	v_fma_f64 v[65:66], v[63:64], v[65:66], 1.0
	v_fma_f64 v[61:62], v[63:64], v[65:66], 1.0
	v_ldexp_f64 v[61:62], v[61:62], v67
	v_cndmask_b32_e64 v62, 0x7ff00000, v62, s26
	s_and_b32 s26, s27, s26
	v_cndmask_b32_e64 v53, 0, v61, s26
	s_mov_b32 s26, 0x55555555
	v_cndmask_b32_e64 v54, 0, v62, s27
	s_mov_b32 s27, 0x3fe55555
	v_add_f64 v[61:62], v[53:54], 1.0
	v_cmp_ngt_f64_e64 s29, -1.0, v[53:54]
	v_frexp_mant_f64_e32 v[63:64], v[61:62]
	v_frexp_exp_i32_f64_e32 v67, v[61:62]
	v_add_f64 v[65:66], v[61:62], -1.0
	v_cmp_gt_f64_e64 s26, s[26:27], v[63:64]
	v_add_f64 v[63:64], v[65:66], -v[61:62]
	v_add_f64 v[65:66], v[53:54], -v[65:66]
	v_subrev_co_ci_u32_e64 v84, null, 0, v67, s26
	v_add_f64 v[63:64], v[63:64], 1.0
	s_mov_b32 s26, 0x55555780
	v_sub_nc_u32_e32 v70, 0, v84
	v_ldexp_f64 v[61:62], v[61:62], v70
	v_add_f64 v[63:64], v[65:66], v[63:64]
	v_add_f64 v[67:68], v[61:62], 1.0
	v_add_f64 v[74:75], v[61:62], -1.0
	v_ldexp_f64 v[63:64], v[63:64], v70
	v_add_f64 v[65:66], v[67:68], -1.0
	v_add_f64 v[76:77], v[74:75], 1.0
	v_add_f64 v[65:66], v[61:62], -v[65:66]
	v_add_f64 v[61:62], v[61:62], -v[76:77]
	v_add_f64 v[65:66], v[63:64], v[65:66]
	v_add_f64 v[61:62], v[63:64], v[61:62]
	;; [unrolled: 1-line block ×4, first 2 shown]
	v_rcp_f64_e32 v[72:73], v[70:71]
	v_add_f64 v[67:68], v[70:71], -v[67:68]
	v_add_f64 v[74:75], v[76:77], -v[74:75]
	;; [unrolled: 1-line block ×3, first 2 shown]
	v_fma_f64 v[78:79], -v[70:71], v[72:73], 1.0
	v_add_f64 v[61:62], v[61:62], -v[74:75]
	v_fma_f64 v[72:73], v[78:79], v[72:73], v[72:73]
	v_fma_f64 v[63:64], -v[70:71], v[72:73], 1.0
	v_fma_f64 v[63:64], v[63:64], v[72:73], v[72:73]
	v_mul_f64 v[72:73], v[76:77], v[63:64]
	v_mul_f64 v[78:79], v[70:71], v[72:73]
	v_fma_f64 v[67:68], v[72:73], v[70:71], -v[78:79]
	v_fma_f64 v[67:68], v[72:73], v[65:66], v[67:68]
	v_add_f64 v[80:81], v[78:79], v[67:68]
	v_add_f64 v[82:83], v[76:77], -v[80:81]
	v_add_f64 v[74:75], v[80:81], -v[78:79]
	;; [unrolled: 1-line block ×5, first 2 shown]
	v_add_f64 v[61:62], v[61:62], v[76:77]
	v_add_f64 v[61:62], v[67:68], v[61:62]
	;; [unrolled: 1-line block ×3, first 2 shown]
	v_mul_f64 v[74:75], v[63:64], v[67:68]
	v_add_f64 v[80:81], v[82:83], -v[67:68]
	v_mul_f64 v[76:77], v[70:71], v[74:75]
	v_add_f64 v[61:62], v[61:62], v[80:81]
	v_fma_f64 v[70:71], v[74:75], v[70:71], -v[76:77]
	v_fma_f64 v[65:66], v[74:75], v[65:66], v[70:71]
	v_add_f64 v[70:71], v[76:77], v[65:66]
	v_add_f64 v[78:79], v[67:68], -v[70:71]
	v_add_f64 v[76:77], v[70:71], -v[76:77]
	;; [unrolled: 1-line block ×5, first 2 shown]
	v_add_f64 v[61:62], v[61:62], v[67:68]
	v_add_f64 v[67:68], v[72:73], v[74:75]
	;; [unrolled: 1-line block ×3, first 2 shown]
	v_add_f64 v[65:66], v[67:68], -v[72:73]
	v_add_f64 v[61:62], v[78:79], v[61:62]
	v_add_f64 v[65:66], v[74:75], -v[65:66]
	v_mul_f64 v[61:62], v[63:64], v[61:62]
	v_add_f64 v[61:62], v[65:66], v[61:62]
	v_add_f64 v[63:64], v[67:68], v[61:62]
	v_mul_f64 v[65:66], v[63:64], v[63:64]
	v_fma_f64 v[70:71], v[65:66], s[38:39], s[36:37]
	s_mov_b32 s36, 0xd7f4df2e
	s_mov_b32 s37, 0x3fc7474d
	v_mul_f64 v[72:73], v[63:64], v[65:66]
	v_fma_f64 v[70:71], v[65:66], v[70:71], s[36:37]
	s_mov_b32 s36, 0x16291751
	s_mov_b32 s37, 0x3fcc71c0
	v_fma_f64 v[70:71], v[65:66], v[70:71], s[36:37]
	s_mov_b32 s36, 0x9b27acf1
	s_mov_b32 s37, 0x3fd24924
	;; [unrolled: 3-line block ×3, first 2 shown]
	v_fma_f64 v[70:71], v[65:66], v[70:71], s[36:37]
	v_fma_f64 v[65:66], v[65:66], v[70:71], s[26:27]
	v_ldexp_f64 v[70:71], v[63:64], 1
	v_add_f64 v[63:64], v[63:64], -v[67:68]
	v_cmp_nge_f64_e64 s26, -1.0, v[53:54]
	v_cmp_neq_f64_e64 s27, 0x7ff00000, v[53:54]
	v_mul_f64 v[65:66], v[72:73], v[65:66]
	v_cvt_f64_i32_e32 v[72:73], v84
	v_add_f64 v[61:62], v[61:62], -v[63:64]
	s_and_b32 s26, s26, s27
	v_add_f64 v[67:68], v[70:71], v[65:66]
	v_mul_f64 v[74:75], v[72:73], s[30:31]
	v_ldexp_f64 v[61:62], v[61:62], 1
	v_add_f64 v[63:64], v[67:68], -v[70:71]
	v_fma_f64 v[70:71], v[72:73], s[30:31], -v[74:75]
	v_add_f64 v[63:64], v[65:66], -v[63:64]
	v_fma_f64 v[65:66], v[72:73], s[34:35], v[70:71]
	v_add_f64 v[61:62], v[61:62], v[63:64]
	v_add_f64 v[63:64], v[74:75], v[65:66]
	;; [unrolled: 1-line block ×3, first 2 shown]
	v_add_f64 v[74:75], v[63:64], -v[74:75]
	v_add_f64 v[72:73], v[63:64], v[70:71]
	v_add_f64 v[67:68], v[70:71], -v[67:68]
	v_add_f64 v[65:66], v[65:66], -v[74:75]
	;; [unrolled: 1-line block ×6, first 2 shown]
	v_add_f64 v[70:71], v[65:66], v[61:62]
	v_add_f64 v[63:64], v[63:64], -v[78:79]
	v_add_f64 v[63:64], v[67:68], v[63:64]
	v_add_f64 v[67:68], v[70:71], -v[65:66]
	;; [unrolled: 2-line block ×3, first 2 shown]
	v_add_f64 v[61:62], v[61:62], -v[67:68]
	v_add_f64 v[74:75], v[72:73], v[63:64]
	v_add_f64 v[65:66], v[65:66], -v[70:71]
	v_add_f64 v[67:68], v[74:75], -v[72:73]
	v_add_f64 v[61:62], v[61:62], v[65:66]
	v_add_f64 v[63:64], v[63:64], -v[67:68]
	v_add_f64 v[61:62], v[61:62], v[63:64]
	v_add_f64 v[61:62], v[74:75], v[61:62]
	v_cndmask_b32_e64 v61, 0, v61, s26
	v_cmp_neq_f64_e64 s26, -1.0, v[53:54]
	v_cndmask_b32_e64 v62, 0x7ff00000, v62, s27
	v_cndmask_b32_e64 v62, 0x7ff80000, v62, s29
	;; [unrolled: 1-line block ×3, first 2 shown]
	v_add_f64 v[61:62], v[51:52], v[61:62]
.LBB83_50:
	s_or_b32 exec_lo, exec_lo, s33
	v_max_f64 v[51:52], v[5:6], v[5:6]
	v_max_f64 v[53:54], v[61:62], v[61:62]
	v_cmp_u_f64_e64 s27, v[61:62], v[61:62]
	v_cmp_u_f64_e64 s26, v[5:6], v[5:6]
	v_min_f64 v[63:64], v[53:54], v[51:52]
	v_max_f64 v[53:54], v[53:54], v[51:52]
	v_cndmask_b32_e64 v63, v63, v61, s27
	v_cndmask_b32_e64 v64, v64, v62, s27
	;; [unrolled: 1-line block ×8, first 2 shown]
	v_cmp_class_f64_e64 s29, v[63:64], 0x1f8
	v_cmp_neq_f64_e64 s27, v[63:64], v[53:54]
	s_or_b32 s27, s27, s29
	s_and_saveexec_b32 s33, s27
	s_cbranch_execz .LBB83_52
; %bb.51:
	v_add_f64 v[61:62], v[63:64], -v[53:54]
	s_mov_b32 s30, 0x652b82fe
	s_mov_b32 s31, 0x3ff71547
	;; [unrolled: 1-line block ×10, first 2 shown]
	v_mul_f64 v[63:64], v[61:62], s[30:31]
	s_mov_b32 s31, 0xbfe62e42
	s_mov_b32 s30, 0xfefa39ef
	v_cmp_nlt_f64_e64 s27, 0x40900000, v[61:62]
	v_cmp_ngt_f64_e64 s29, 0xc090cc00, v[61:62]
	v_rndne_f64_e32 v[63:64], v[63:64]
	v_fma_f64 v[65:66], v[63:64], s[30:31], v[61:62]
	v_cvt_i32_f64_e32 v70, v[63:64]
	s_mov_b32 s31, 0x3fe62e42
	v_fma_f64 v[65:66], v[63:64], s[34:35], v[65:66]
	s_mov_b32 s35, 0x3c7abc9e
	v_fma_f64 v[67:68], v[65:66], s[38:39], s[36:37]
	s_mov_b32 s36, 0x623fde64
	s_mov_b32 s37, 0x3ec71dee
	;; [unrolled: 1-line block ×4, first 2 shown]
	v_fma_f64 v[67:68], v[65:66], v[67:68], s[36:37]
	s_mov_b32 s36, 0x7c89e6b0
	s_mov_b32 s37, 0x3efa0199
	v_fma_f64 v[67:68], v[65:66], v[67:68], s[36:37]
	s_mov_b32 s36, 0x14761f6e
	s_mov_b32 s37, 0x3f2a01a0
	;; [unrolled: 3-line block ×8, first 2 shown]
	v_fma_f64 v[67:68], v[65:66], v[67:68], 1.0
	v_fma_f64 v[63:64], v[65:66], v[67:68], 1.0
	v_ldexp_f64 v[63:64], v[63:64], v70
	v_cndmask_b32_e64 v64, 0x7ff00000, v64, s27
	s_and_b32 s27, s29, s27
	v_cndmask_b32_e64 v61, 0, v63, s27
	v_cndmask_b32_e64 v62, 0, v64, s29
	v_add_f64 v[63:64], v[61:62], 1.0
	v_cmp_neq_f64_e64 s29, 0x7ff00000, v[61:62]
	v_frexp_mant_f64_e32 v[65:66], v[63:64]
	v_frexp_exp_i32_f64_e32 v70, v[63:64]
	v_add_f64 v[67:68], v[63:64], -1.0
	v_cmp_gt_f64_e64 s27, s[36:37], v[65:66]
	s_mov_b32 s36, 0x55555780
	v_add_f64 v[65:66], v[67:68], -v[63:64]
	v_add_f64 v[67:68], v[61:62], -v[67:68]
	v_subrev_co_ci_u32_e64 v86, null, 0, v70, s27
	v_add_f64 v[65:66], v[65:66], 1.0
	v_cmp_nge_f64_e64 s27, -1.0, v[61:62]
	v_sub_nc_u32_e32 v72, 0, v86
	v_ldexp_f64 v[63:64], v[63:64], v72
	v_add_f64 v[65:66], v[67:68], v[65:66]
	s_and_b32 s27, s27, s29
	v_add_f64 v[70:71], v[63:64], 1.0
	v_add_f64 v[76:77], v[63:64], -1.0
	v_ldexp_f64 v[65:66], v[65:66], v72
	v_add_f64 v[67:68], v[70:71], -1.0
	v_add_f64 v[78:79], v[76:77], 1.0
	v_add_f64 v[67:68], v[63:64], -v[67:68]
	v_add_f64 v[63:64], v[63:64], -v[78:79]
	v_add_f64 v[67:68], v[65:66], v[67:68]
	v_add_f64 v[63:64], v[65:66], v[63:64]
	v_add_f64 v[72:73], v[70:71], v[67:68]
	v_add_f64 v[78:79], v[76:77], v[63:64]
	v_rcp_f64_e32 v[74:75], v[72:73]
	v_add_f64 v[70:71], v[72:73], -v[70:71]
	v_add_f64 v[76:77], v[78:79], -v[76:77]
	v_add_f64 v[67:68], v[67:68], -v[70:71]
	v_fma_f64 v[80:81], -v[72:73], v[74:75], 1.0
	v_add_f64 v[63:64], v[63:64], -v[76:77]
	v_fma_f64 v[74:75], v[80:81], v[74:75], v[74:75]
	v_fma_f64 v[65:66], -v[72:73], v[74:75], 1.0
	v_fma_f64 v[65:66], v[65:66], v[74:75], v[74:75]
	v_mul_f64 v[74:75], v[78:79], v[65:66]
	v_mul_f64 v[80:81], v[72:73], v[74:75]
	v_fma_f64 v[70:71], v[74:75], v[72:73], -v[80:81]
	v_fma_f64 v[70:71], v[74:75], v[67:68], v[70:71]
	v_add_f64 v[82:83], v[80:81], v[70:71]
	v_add_f64 v[84:85], v[78:79], -v[82:83]
	v_add_f64 v[76:77], v[82:83], -v[80:81]
	v_add_f64 v[78:79], v[78:79], -v[84:85]
	v_add_f64 v[70:71], v[76:77], -v[70:71]
	v_add_f64 v[78:79], v[78:79], -v[82:83]
	v_add_f64 v[63:64], v[63:64], v[78:79]
	v_add_f64 v[63:64], v[70:71], v[63:64]
	;; [unrolled: 1-line block ×3, first 2 shown]
	v_mul_f64 v[76:77], v[65:66], v[70:71]
	v_add_f64 v[82:83], v[84:85], -v[70:71]
	v_mul_f64 v[78:79], v[72:73], v[76:77]
	v_add_f64 v[63:64], v[63:64], v[82:83]
	v_fma_f64 v[72:73], v[76:77], v[72:73], -v[78:79]
	v_fma_f64 v[67:68], v[76:77], v[67:68], v[72:73]
	v_add_f64 v[72:73], v[78:79], v[67:68]
	v_add_f64 v[80:81], v[70:71], -v[72:73]
	v_add_f64 v[78:79], v[72:73], -v[78:79]
	;; [unrolled: 1-line block ×5, first 2 shown]
	v_add_f64 v[63:64], v[63:64], v[70:71]
	v_add_f64 v[70:71], v[74:75], v[76:77]
	;; [unrolled: 1-line block ×3, first 2 shown]
	v_add_f64 v[67:68], v[70:71], -v[74:75]
	v_add_f64 v[63:64], v[80:81], v[63:64]
	v_add_f64 v[67:68], v[76:77], -v[67:68]
	v_mul_f64 v[63:64], v[65:66], v[63:64]
	v_add_f64 v[63:64], v[67:68], v[63:64]
	v_add_f64 v[65:66], v[70:71], v[63:64]
	v_mul_f64 v[67:68], v[65:66], v[65:66]
	v_fma_f64 v[72:73], v[67:68], s[40:41], s[38:39]
	s_mov_b32 s38, 0xd7f4df2e
	s_mov_b32 s39, 0x3fc7474d
	v_mul_f64 v[74:75], v[65:66], v[67:68]
	v_fma_f64 v[72:73], v[67:68], v[72:73], s[38:39]
	s_mov_b32 s38, 0x16291751
	s_mov_b32 s39, 0x3fcc71c0
	v_fma_f64 v[72:73], v[67:68], v[72:73], s[38:39]
	s_mov_b32 s38, 0x9b27acf1
	s_mov_b32 s39, 0x3fd24924
	;; [unrolled: 3-line block ×3, first 2 shown]
	v_fma_f64 v[72:73], v[67:68], v[72:73], s[38:39]
	v_fma_f64 v[67:68], v[67:68], v[72:73], s[36:37]
	v_ldexp_f64 v[72:73], v[65:66], 1
	v_add_f64 v[65:66], v[65:66], -v[70:71]
	v_mul_f64 v[67:68], v[74:75], v[67:68]
	v_cvt_f64_i32_e32 v[74:75], v86
	v_add_f64 v[63:64], v[63:64], -v[65:66]
	v_add_f64 v[70:71], v[72:73], v[67:68]
	v_mul_f64 v[76:77], v[74:75], s[30:31]
	v_ldexp_f64 v[63:64], v[63:64], 1
	v_add_f64 v[65:66], v[70:71], -v[72:73]
	v_fma_f64 v[72:73], v[74:75], s[30:31], -v[76:77]
	v_cmp_ngt_f64_e64 s30, -1.0, v[61:62]
	v_add_f64 v[65:66], v[67:68], -v[65:66]
	v_fma_f64 v[67:68], v[74:75], s[34:35], v[72:73]
	v_add_f64 v[63:64], v[63:64], v[65:66]
	v_add_f64 v[65:66], v[76:77], v[67:68]
	;; [unrolled: 1-line block ×3, first 2 shown]
	v_add_f64 v[76:77], v[65:66], -v[76:77]
	v_add_f64 v[74:75], v[65:66], v[72:73]
	v_add_f64 v[70:71], v[72:73], -v[70:71]
	v_add_f64 v[67:68], v[67:68], -v[76:77]
	v_add_f64 v[78:79], v[74:75], -v[65:66]
	v_add_f64 v[63:64], v[63:64], -v[70:71]
	v_add_f64 v[80:81], v[74:75], -v[78:79]
	v_add_f64 v[70:71], v[72:73], -v[78:79]
	v_add_f64 v[72:73], v[67:68], v[63:64]
	v_add_f64 v[65:66], v[65:66], -v[80:81]
	v_add_f64 v[65:66], v[70:71], v[65:66]
	v_add_f64 v[70:71], v[72:73], -v[67:68]
	;; [unrolled: 2-line block ×3, first 2 shown]
	v_add_f64 v[63:64], v[63:64], -v[70:71]
	v_add_f64 v[76:77], v[74:75], v[65:66]
	v_add_f64 v[67:68], v[67:68], -v[72:73]
	v_add_f64 v[70:71], v[76:77], -v[74:75]
	v_add_f64 v[63:64], v[63:64], v[67:68]
	v_add_f64 v[65:66], v[65:66], -v[70:71]
	v_add_f64 v[63:64], v[63:64], v[65:66]
	v_add_f64 v[63:64], v[76:77], v[63:64]
	v_cndmask_b32_e64 v63, 0, v63, s27
	v_cmp_neq_f64_e64 s27, -1.0, v[61:62]
	v_cndmask_b32_e64 v64, 0x7ff00000, v64, s29
	v_cndmask_b32_e64 v64, 0x7ff80000, v64, s30
	;; [unrolled: 1-line block ×3, first 2 shown]
	v_add_f64 v[61:62], v[53:54], v[63:64]
.LBB83_52:
	s_or_b32 exec_lo, exec_lo, s33
	v_max_f64 v[53:54], v[7:8], v[7:8]
	v_max_f64 v[63:64], v[61:62], v[61:62]
	v_cmp_u_f64_e64 s29, v[61:62], v[61:62]
	v_cmp_u_f64_e64 s27, v[7:8], v[7:8]
	v_min_f64 v[65:66], v[63:64], v[53:54]
	v_max_f64 v[63:64], v[63:64], v[53:54]
	v_cndmask_b32_e64 v65, v65, v61, s29
	v_cndmask_b32_e64 v66, v66, v62, s29
	;; [unrolled: 1-line block ×8, first 2 shown]
	v_cmp_class_f64_e64 s30, v[65:66], 0x1f8
	v_cmp_neq_f64_e64 s29, v[65:66], v[63:64]
	s_or_b32 s29, s29, s30
	s_and_saveexec_b32 s33, s29
	s_cbranch_execz .LBB83_54
; %bb.53:
	v_add_f64 v[61:62], v[65:66], -v[63:64]
	s_mov_b32 s30, 0x652b82fe
	s_mov_b32 s31, 0x3ff71547
	;; [unrolled: 1-line block ×10, first 2 shown]
	v_mul_f64 v[65:66], v[61:62], s[30:31]
	s_mov_b32 s30, 0xfca7ab0c
	s_mov_b32 s31, 0x3e928af3
	v_cmp_nlt_f64_e64 s29, 0x40900000, v[61:62]
	v_rndne_f64_e32 v[65:66], v[65:66]
	v_fma_f64 v[67:68], v[65:66], s[34:35], v[61:62]
	v_cvt_i32_f64_e32 v72, v[65:66]
	s_mov_b32 s35, 0x3fe62e42
	v_fma_f64 v[67:68], v[65:66], s[36:37], v[67:68]
	s_mov_b32 s37, 0x3c7abc9e
	v_fma_f64 v[70:71], v[67:68], s[38:39], s[30:31]
	s_mov_b32 s30, 0x623fde64
	s_mov_b32 s31, 0x3ec71dee
	;; [unrolled: 1-line block ×4, first 2 shown]
	v_fma_f64 v[70:71], v[67:68], v[70:71], s[30:31]
	s_mov_b32 s30, 0x7c89e6b0
	s_mov_b32 s31, 0x3efa0199
	v_fma_f64 v[70:71], v[67:68], v[70:71], s[30:31]
	s_mov_b32 s30, 0x14761f6e
	s_mov_b32 s31, 0x3f2a01a0
	;; [unrolled: 3-line block ×7, first 2 shown]
	v_fma_f64 v[70:71], v[67:68], v[70:71], s[30:31]
	v_cmp_ngt_f64_e64 s30, 0xc090cc00, v[61:62]
	s_mov_b32 s31, 0x3fe55555
	v_fma_f64 v[70:71], v[67:68], v[70:71], 1.0
	v_fma_f64 v[65:66], v[67:68], v[70:71], 1.0
	v_ldexp_f64 v[65:66], v[65:66], v72
	v_cndmask_b32_e64 v66, 0x7ff00000, v66, s29
	s_and_b32 s29, s30, s29
	v_cndmask_b32_e64 v61, 0, v65, s29
	v_cndmask_b32_e64 v62, 0, v66, s30
	s_mov_b32 s30, 0x55555555
	v_add_f64 v[65:66], v[61:62], 1.0
	v_frexp_mant_f64_e32 v[67:68], v[65:66]
	v_frexp_exp_i32_f64_e32 v72, v[65:66]
	v_add_f64 v[70:71], v[65:66], -1.0
	v_cmp_gt_f64_e64 s29, s[30:31], v[67:68]
	s_mov_b32 s30, 0x55555780
	v_add_f64 v[67:68], v[70:71], -v[65:66]
	v_add_f64 v[70:71], v[61:62], -v[70:71]
	v_subrev_co_ci_u32_e64 v88, null, 0, v72, s29
	v_add_f64 v[67:68], v[67:68], 1.0
	v_cmp_nge_f64_e64 s29, -1.0, v[61:62]
	v_sub_nc_u32_e32 v74, 0, v88
	v_ldexp_f64 v[65:66], v[65:66], v74
	v_add_f64 v[67:68], v[70:71], v[67:68]
	v_add_f64 v[72:73], v[65:66], 1.0
	v_add_f64 v[78:79], v[65:66], -1.0
	v_ldexp_f64 v[67:68], v[67:68], v74
	v_add_f64 v[70:71], v[72:73], -1.0
	v_add_f64 v[80:81], v[78:79], 1.0
	v_add_f64 v[70:71], v[65:66], -v[70:71]
	v_add_f64 v[65:66], v[65:66], -v[80:81]
	v_add_f64 v[70:71], v[67:68], v[70:71]
	v_add_f64 v[65:66], v[67:68], v[65:66]
	;; [unrolled: 1-line block ×4, first 2 shown]
	v_rcp_f64_e32 v[76:77], v[74:75]
	v_add_f64 v[72:73], v[74:75], -v[72:73]
	v_add_f64 v[78:79], v[80:81], -v[78:79]
	;; [unrolled: 1-line block ×3, first 2 shown]
	v_fma_f64 v[82:83], -v[74:75], v[76:77], 1.0
	v_add_f64 v[65:66], v[65:66], -v[78:79]
	v_fma_f64 v[76:77], v[82:83], v[76:77], v[76:77]
	v_fma_f64 v[67:68], -v[74:75], v[76:77], 1.0
	v_fma_f64 v[67:68], v[67:68], v[76:77], v[76:77]
	v_mul_f64 v[76:77], v[80:81], v[67:68]
	v_mul_f64 v[82:83], v[74:75], v[76:77]
	v_fma_f64 v[72:73], v[76:77], v[74:75], -v[82:83]
	v_fma_f64 v[72:73], v[76:77], v[70:71], v[72:73]
	v_add_f64 v[84:85], v[82:83], v[72:73]
	v_add_f64 v[86:87], v[80:81], -v[84:85]
	v_add_f64 v[78:79], v[84:85], -v[82:83]
	;; [unrolled: 1-line block ×5, first 2 shown]
	v_add_f64 v[65:66], v[65:66], v[80:81]
	v_add_f64 v[65:66], v[72:73], v[65:66]
	;; [unrolled: 1-line block ×3, first 2 shown]
	v_mul_f64 v[78:79], v[67:68], v[72:73]
	v_add_f64 v[84:85], v[86:87], -v[72:73]
	v_mul_f64 v[80:81], v[74:75], v[78:79]
	v_add_f64 v[65:66], v[65:66], v[84:85]
	v_fma_f64 v[74:75], v[78:79], v[74:75], -v[80:81]
	v_fma_f64 v[70:71], v[78:79], v[70:71], v[74:75]
	v_add_f64 v[74:75], v[80:81], v[70:71]
	v_add_f64 v[82:83], v[72:73], -v[74:75]
	v_add_f64 v[80:81], v[74:75], -v[80:81]
	;; [unrolled: 1-line block ×5, first 2 shown]
	v_add_f64 v[65:66], v[65:66], v[72:73]
	v_add_f64 v[72:73], v[76:77], v[78:79]
	;; [unrolled: 1-line block ×3, first 2 shown]
	v_add_f64 v[70:71], v[72:73], -v[76:77]
	v_add_f64 v[65:66], v[82:83], v[65:66]
	v_add_f64 v[70:71], v[78:79], -v[70:71]
	v_mul_f64 v[65:66], v[67:68], v[65:66]
	v_add_f64 v[65:66], v[70:71], v[65:66]
	v_add_f64 v[67:68], v[72:73], v[65:66]
	v_mul_f64 v[70:71], v[67:68], v[67:68]
	v_fma_f64 v[74:75], v[70:71], s[40:41], s[38:39]
	s_mov_b32 s38, 0xd7f4df2e
	s_mov_b32 s39, 0x3fc7474d
	v_mul_f64 v[76:77], v[67:68], v[70:71]
	v_fma_f64 v[74:75], v[70:71], v[74:75], s[38:39]
	s_mov_b32 s38, 0x16291751
	s_mov_b32 s39, 0x3fcc71c0
	v_fma_f64 v[74:75], v[70:71], v[74:75], s[38:39]
	s_mov_b32 s38, 0x9b27acf1
	s_mov_b32 s39, 0x3fd24924
	;; [unrolled: 3-line block ×3, first 2 shown]
	v_fma_f64 v[74:75], v[70:71], v[74:75], s[38:39]
	v_fma_f64 v[70:71], v[70:71], v[74:75], s[30:31]
	v_ldexp_f64 v[74:75], v[67:68], 1
	v_add_f64 v[67:68], v[67:68], -v[72:73]
	v_cmp_neq_f64_e64 s30, 0x7ff00000, v[61:62]
	v_cmp_ngt_f64_e64 s31, -1.0, v[61:62]
	v_mul_f64 v[70:71], v[76:77], v[70:71]
	v_cvt_f64_i32_e32 v[76:77], v88
	v_add_f64 v[65:66], v[65:66], -v[67:68]
	s_and_b32 s29, s29, s30
	v_add_f64 v[72:73], v[74:75], v[70:71]
	v_mul_f64 v[78:79], v[76:77], s[34:35]
	v_ldexp_f64 v[65:66], v[65:66], 1
	v_add_f64 v[67:68], v[72:73], -v[74:75]
	v_fma_f64 v[74:75], v[76:77], s[34:35], -v[78:79]
	v_add_f64 v[67:68], v[70:71], -v[67:68]
	v_fma_f64 v[70:71], v[76:77], s[36:37], v[74:75]
	v_add_f64 v[65:66], v[65:66], v[67:68]
	v_add_f64 v[67:68], v[78:79], v[70:71]
	v_add_f64 v[74:75], v[72:73], v[65:66]
	v_add_f64 v[78:79], v[67:68], -v[78:79]
	v_add_f64 v[76:77], v[67:68], v[74:75]
	v_add_f64 v[72:73], v[74:75], -v[72:73]
	v_add_f64 v[70:71], v[70:71], -v[78:79]
	;; [unrolled: 1-line block ×6, first 2 shown]
	v_add_f64 v[74:75], v[70:71], v[65:66]
	v_add_f64 v[67:68], v[67:68], -v[82:83]
	v_add_f64 v[67:68], v[72:73], v[67:68]
	v_add_f64 v[72:73], v[74:75], -v[70:71]
	v_add_f64 v[67:68], v[74:75], v[67:68]
	v_add_f64 v[74:75], v[74:75], -v[72:73]
	v_add_f64 v[65:66], v[65:66], -v[72:73]
	v_add_f64 v[78:79], v[76:77], v[67:68]
	v_add_f64 v[70:71], v[70:71], -v[74:75]
	v_add_f64 v[72:73], v[78:79], -v[76:77]
	v_add_f64 v[65:66], v[65:66], v[70:71]
	v_add_f64 v[67:68], v[67:68], -v[72:73]
	v_add_f64 v[65:66], v[65:66], v[67:68]
	v_add_f64 v[65:66], v[78:79], v[65:66]
	v_cndmask_b32_e64 v65, 0, v65, s29
	v_cmp_neq_f64_e64 s29, -1.0, v[61:62]
	v_cndmask_b32_e64 v66, 0x7ff00000, v66, s30
	v_cndmask_b32_e64 v66, 0x7ff80000, v66, s31
	;; [unrolled: 1-line block ×3, first 2 shown]
	v_add_f64 v[61:62], v[63:64], v[65:66]
.LBB83_54:
	s_or_b32 exec_lo, exec_lo, s33
	s_load_dwordx2 s[30:31], s[4:5], 0x20
	v_mbcnt_lo_u32_b32 v71, -1, 0
	v_mov_b32_dpp v63, v61 row_shr:1 row_mask:0xf bank_mask:0xf
	v_mov_b32_dpp v64, v62 row_shr:1 row_mask:0xf bank_mask:0xf
	v_mov_b32_e32 v65, v61
	v_mov_b32_e32 v66, v62
	v_and_b32_e32 v67, 15, v71
	s_mov_b32 s33, exec_lo
	v_cmpx_ne_u32_e32 0, v67
	s_cbranch_execz .LBB83_58
; %bb.55:
	v_max_f64 v[65:66], v[63:64], v[63:64]
	v_max_f64 v[72:73], v[61:62], v[61:62]
	v_cmp_u_f64_e64 s4, v[63:64], v[63:64]
	v_cmp_u_f64_e64 s5, v[61:62], v[61:62]
	v_min_f64 v[74:75], v[65:66], v[72:73]
	v_max_f64 v[65:66], v[65:66], v[72:73]
	v_cndmask_b32_e64 v68, v75, v64, s4
	v_cndmask_b32_e64 v70, v74, v63, s4
	;; [unrolled: 1-line block ×8, first 2 shown]
	v_cmp_class_f64_e64 s5, v[65:66], 0x1f8
	v_cmp_neq_f64_e64 s4, v[65:66], v[61:62]
	s_or_b32 s4, s4, s5
	s_and_saveexec_b32 s38, s4
	s_cbranch_execz .LBB83_57
; %bb.56:
	v_add_f64 v[63:64], v[65:66], -v[61:62]
	s_mov_b32 s4, 0x652b82fe
	s_mov_b32 s5, 0x3ff71547
	;; [unrolled: 1-line block ×10, first 2 shown]
	v_mul_f64 v[65:66], v[63:64], s[4:5]
	s_mov_b32 s4, 0xfca7ab0c
	s_mov_b32 s5, 0x3e928af3
	v_rndne_f64_e32 v[65:66], v[65:66]
	v_fma_f64 v[72:73], v[65:66], s[34:35], v[63:64]
	v_cvt_i32_f64_e32 v68, v[65:66]
	s_mov_b32 s35, 0x3fe62e42
	v_fma_f64 v[72:73], v[65:66], s[36:37], v[72:73]
	s_mov_b32 s37, 0x3c7abc9e
	v_fma_f64 v[74:75], v[72:73], s[40:41], s[4:5]
	s_mov_b32 s4, 0x623fde64
	s_mov_b32 s5, 0x3ec71dee
	;; [unrolled: 1-line block ×4, first 2 shown]
	v_fma_f64 v[74:75], v[72:73], v[74:75], s[4:5]
	s_mov_b32 s4, 0x7c89e6b0
	s_mov_b32 s5, 0x3efa0199
	v_fma_f64 v[74:75], v[72:73], v[74:75], s[4:5]
	s_mov_b32 s4, 0x14761f6e
	s_mov_b32 s5, 0x3f2a01a0
	;; [unrolled: 3-line block ×7, first 2 shown]
	v_fma_f64 v[74:75], v[72:73], v[74:75], s[4:5]
	v_cmp_nlt_f64_e64 s4, 0x40900000, v[63:64]
	v_cmp_ngt_f64_e64 s5, 0xc090cc00, v[63:64]
	v_fma_f64 v[74:75], v[72:73], v[74:75], 1.0
	v_fma_f64 v[65:66], v[72:73], v[74:75], 1.0
	v_ldexp_f64 v[65:66], v[65:66], v68
	v_cndmask_b32_e64 v66, 0x7ff00000, v66, s4
	s_and_b32 s4, s5, s4
	v_cndmask_b32_e64 v63, 0, v65, s4
	s_mov_b32 s4, 0x55555555
	v_cndmask_b32_e64 v64, 0, v66, s5
	s_mov_b32 s5, 0x3fe55555
	v_add_f64 v[65:66], v[63:64], 1.0
	v_cmp_ngt_f64_e64 s29, -1.0, v[63:64]
	v_frexp_mant_f64_e32 v[72:73], v[65:66]
	v_frexp_exp_i32_f64_e32 v68, v[65:66]
	v_add_f64 v[74:75], v[65:66], -1.0
	v_cmp_gt_f64_e64 s4, s[4:5], v[72:73]
	v_add_f64 v[72:73], v[74:75], -v[65:66]
	v_add_f64 v[74:75], v[63:64], -v[74:75]
	v_subrev_co_ci_u32_e64 v68, null, 0, v68, s4
	v_add_f64 v[72:73], v[72:73], 1.0
	s_mov_b32 s4, 0x55555780
	v_sub_nc_u32_e32 v70, 0, v68
	v_ldexp_f64 v[65:66], v[65:66], v70
	v_add_f64 v[72:73], v[74:75], v[72:73]
	v_add_f64 v[76:77], v[65:66], 1.0
	v_add_f64 v[82:83], v[65:66], -1.0
	v_ldexp_f64 v[72:73], v[72:73], v70
	v_add_f64 v[74:75], v[76:77], -1.0
	v_add_f64 v[84:85], v[82:83], 1.0
	v_add_f64 v[74:75], v[65:66], -v[74:75]
	v_add_f64 v[65:66], v[65:66], -v[84:85]
	v_add_f64 v[74:75], v[72:73], v[74:75]
	v_add_f64 v[65:66], v[72:73], v[65:66]
	;; [unrolled: 1-line block ×4, first 2 shown]
	v_rcp_f64_e32 v[80:81], v[78:79]
	v_add_f64 v[76:77], v[78:79], -v[76:77]
	v_add_f64 v[82:83], v[84:85], -v[82:83]
	;; [unrolled: 1-line block ×3, first 2 shown]
	v_fma_f64 v[86:87], -v[78:79], v[80:81], 1.0
	v_add_f64 v[65:66], v[65:66], -v[82:83]
	v_fma_f64 v[80:81], v[86:87], v[80:81], v[80:81]
	v_fma_f64 v[72:73], -v[78:79], v[80:81], 1.0
	v_fma_f64 v[72:73], v[72:73], v[80:81], v[80:81]
	v_mul_f64 v[80:81], v[84:85], v[72:73]
	v_mul_f64 v[86:87], v[78:79], v[80:81]
	v_fma_f64 v[76:77], v[80:81], v[78:79], -v[86:87]
	v_fma_f64 v[76:77], v[80:81], v[74:75], v[76:77]
	v_add_f64 v[88:89], v[86:87], v[76:77]
	v_add_f64 v[90:91], v[84:85], -v[88:89]
	v_add_f64 v[82:83], v[88:89], -v[86:87]
	;; [unrolled: 1-line block ×5, first 2 shown]
	v_add_f64 v[65:66], v[65:66], v[84:85]
	v_add_f64 v[65:66], v[76:77], v[65:66]
	;; [unrolled: 1-line block ×3, first 2 shown]
	v_mul_f64 v[82:83], v[72:73], v[76:77]
	v_add_f64 v[88:89], v[90:91], -v[76:77]
	v_mul_f64 v[84:85], v[78:79], v[82:83]
	v_add_f64 v[65:66], v[65:66], v[88:89]
	v_fma_f64 v[78:79], v[82:83], v[78:79], -v[84:85]
	v_fma_f64 v[74:75], v[82:83], v[74:75], v[78:79]
	v_add_f64 v[78:79], v[84:85], v[74:75]
	v_add_f64 v[86:87], v[76:77], -v[78:79]
	v_add_f64 v[84:85], v[78:79], -v[84:85]
	;; [unrolled: 1-line block ×5, first 2 shown]
	v_add_f64 v[65:66], v[65:66], v[76:77]
	v_add_f64 v[76:77], v[80:81], v[82:83]
	;; [unrolled: 1-line block ×3, first 2 shown]
	v_add_f64 v[74:75], v[76:77], -v[80:81]
	v_add_f64 v[65:66], v[86:87], v[65:66]
	v_add_f64 v[74:75], v[82:83], -v[74:75]
	v_mul_f64 v[65:66], v[72:73], v[65:66]
	v_add_f64 v[65:66], v[74:75], v[65:66]
	v_add_f64 v[72:73], v[76:77], v[65:66]
	v_mul_f64 v[74:75], v[72:73], v[72:73]
	v_fma_f64 v[78:79], v[74:75], s[42:43], s[40:41]
	s_mov_b32 s40, 0xd7f4df2e
	s_mov_b32 s41, 0x3fc7474d
	v_mul_f64 v[80:81], v[72:73], v[74:75]
	v_fma_f64 v[78:79], v[74:75], v[78:79], s[40:41]
	s_mov_b32 s40, 0x16291751
	s_mov_b32 s41, 0x3fcc71c0
	v_fma_f64 v[78:79], v[74:75], v[78:79], s[40:41]
	s_mov_b32 s40, 0x9b27acf1
	s_mov_b32 s41, 0x3fd24924
	;; [unrolled: 3-line block ×3, first 2 shown]
	v_fma_f64 v[78:79], v[74:75], v[78:79], s[40:41]
	v_fma_f64 v[74:75], v[74:75], v[78:79], s[4:5]
	v_ldexp_f64 v[78:79], v[72:73], 1
	v_add_f64 v[72:73], v[72:73], -v[76:77]
	v_cmp_nge_f64_e64 s4, -1.0, v[63:64]
	v_cmp_neq_f64_e64 s5, 0x7ff00000, v[63:64]
	v_mul_f64 v[74:75], v[80:81], v[74:75]
	v_cvt_f64_i32_e32 v[80:81], v68
	v_add_f64 v[65:66], v[65:66], -v[72:73]
	s_and_b32 s4, s4, s5
	v_add_f64 v[76:77], v[78:79], v[74:75]
	v_mul_f64 v[82:83], v[80:81], s[34:35]
	v_ldexp_f64 v[65:66], v[65:66], 1
	v_add_f64 v[72:73], v[76:77], -v[78:79]
	v_fma_f64 v[78:79], v[80:81], s[34:35], -v[82:83]
	v_add_f64 v[72:73], v[74:75], -v[72:73]
	v_fma_f64 v[74:75], v[80:81], s[36:37], v[78:79]
	v_add_f64 v[65:66], v[65:66], v[72:73]
	v_add_f64 v[72:73], v[82:83], v[74:75]
	v_add_f64 v[78:79], v[76:77], v[65:66]
	v_add_f64 v[82:83], v[72:73], -v[82:83]
	v_add_f64 v[80:81], v[72:73], v[78:79]
	v_add_f64 v[76:77], v[78:79], -v[76:77]
	v_add_f64 v[74:75], v[74:75], -v[82:83]
	;; [unrolled: 1-line block ×6, first 2 shown]
	v_add_f64 v[78:79], v[74:75], v[65:66]
	v_add_f64 v[72:73], v[72:73], -v[86:87]
	v_add_f64 v[72:73], v[76:77], v[72:73]
	v_add_f64 v[76:77], v[78:79], -v[74:75]
	;; [unrolled: 2-line block ×3, first 2 shown]
	v_add_f64 v[65:66], v[65:66], -v[76:77]
	v_add_f64 v[82:83], v[80:81], v[72:73]
	v_add_f64 v[74:75], v[74:75], -v[78:79]
	v_add_f64 v[76:77], v[82:83], -v[80:81]
	v_add_f64 v[65:66], v[65:66], v[74:75]
	v_add_f64 v[72:73], v[72:73], -v[76:77]
	v_add_f64 v[65:66], v[65:66], v[72:73]
	v_add_f64 v[65:66], v[82:83], v[65:66]
	v_cndmask_b32_e64 v65, 0, v65, s4
	v_cmp_neq_f64_e64 s4, -1.0, v[63:64]
	v_cndmask_b32_e64 v66, 0x7ff00000, v66, s5
	v_cndmask_b32_e64 v66, 0x7ff80000, v66, s29
	;; [unrolled: 1-line block ×3, first 2 shown]
	v_add_f64 v[63:64], v[61:62], v[65:66]
.LBB83_57:
	s_or_b32 exec_lo, exec_lo, s38
	v_mov_b32_e32 v61, v63
	v_mov_b32_e32 v65, v63
	;; [unrolled: 1-line block ×4, first 2 shown]
.LBB83_58:
	s_or_b32 exec_lo, exec_lo, s33
	v_mul_u32_u24_e32 v70, 0x68, v0
	v_mov_b32_dpp v63, v65 row_shr:2 row_mask:0xf bank_mask:0xf
	v_mov_b32_dpp v64, v66 row_shr:2 row_mask:0xf bank_mask:0xf
	s_mov_b32 s33, exec_lo
	v_cmpx_lt_u32_e32 1, v67
	s_cbranch_execz .LBB83_62
; %bb.59:
	v_max_f64 v[65:66], v[63:64], v[63:64]
	v_max_f64 v[72:73], v[61:62], v[61:62]
	v_cmp_u_f64_e64 s4, v[63:64], v[63:64]
	v_cmp_u_f64_e64 s5, v[61:62], v[61:62]
	v_min_f64 v[74:75], v[65:66], v[72:73]
	v_max_f64 v[65:66], v[65:66], v[72:73]
	v_cndmask_b32_e64 v68, v75, v64, s4
	v_cndmask_b32_e64 v72, v74, v63, s4
	;; [unrolled: 1-line block ×8, first 2 shown]
	v_cmp_class_f64_e64 s5, v[65:66], 0x1f8
	v_cmp_neq_f64_e64 s4, v[65:66], v[61:62]
	s_or_b32 s4, s4, s5
	s_and_saveexec_b32 s38, s4
	s_cbranch_execz .LBB83_61
; %bb.60:
	v_add_f64 v[63:64], v[65:66], -v[61:62]
	s_mov_b32 s4, 0x652b82fe
	s_mov_b32 s5, 0x3ff71547
	;; [unrolled: 1-line block ×10, first 2 shown]
	v_mul_f64 v[65:66], v[63:64], s[4:5]
	s_mov_b32 s4, 0xfca7ab0c
	s_mov_b32 s5, 0x3e928af3
	v_rndne_f64_e32 v[65:66], v[65:66]
	v_fma_f64 v[72:73], v[65:66], s[34:35], v[63:64]
	v_cvt_i32_f64_e32 v68, v[65:66]
	s_mov_b32 s35, 0x3fe62e42
	v_fma_f64 v[72:73], v[65:66], s[36:37], v[72:73]
	s_mov_b32 s37, 0x3c7abc9e
	v_fma_f64 v[74:75], v[72:73], s[40:41], s[4:5]
	s_mov_b32 s4, 0x623fde64
	s_mov_b32 s5, 0x3ec71dee
	;; [unrolled: 1-line block ×4, first 2 shown]
	v_fma_f64 v[74:75], v[72:73], v[74:75], s[4:5]
	s_mov_b32 s4, 0x7c89e6b0
	s_mov_b32 s5, 0x3efa0199
	v_fma_f64 v[74:75], v[72:73], v[74:75], s[4:5]
	s_mov_b32 s4, 0x14761f6e
	s_mov_b32 s5, 0x3f2a01a0
	;; [unrolled: 3-line block ×7, first 2 shown]
	v_fma_f64 v[74:75], v[72:73], v[74:75], s[4:5]
	v_cmp_nlt_f64_e64 s4, 0x40900000, v[63:64]
	v_cmp_ngt_f64_e64 s5, 0xc090cc00, v[63:64]
	v_fma_f64 v[74:75], v[72:73], v[74:75], 1.0
	v_fma_f64 v[65:66], v[72:73], v[74:75], 1.0
	v_ldexp_f64 v[65:66], v[65:66], v68
	v_cndmask_b32_e64 v66, 0x7ff00000, v66, s4
	s_and_b32 s4, s5, s4
	v_cndmask_b32_e64 v63, 0, v65, s4
	s_mov_b32 s4, 0x55555555
	v_cndmask_b32_e64 v64, 0, v66, s5
	s_mov_b32 s5, 0x3fe55555
	v_add_f64 v[65:66], v[63:64], 1.0
	v_cmp_ngt_f64_e64 s29, -1.0, v[63:64]
	v_frexp_mant_f64_e32 v[72:73], v[65:66]
	v_frexp_exp_i32_f64_e32 v68, v[65:66]
	v_add_f64 v[74:75], v[65:66], -1.0
	v_cmp_gt_f64_e64 s4, s[4:5], v[72:73]
	v_add_f64 v[72:73], v[74:75], -v[65:66]
	v_add_f64 v[74:75], v[63:64], -v[74:75]
	v_subrev_co_ci_u32_e64 v68, null, 0, v68, s4
	v_add_f64 v[72:73], v[72:73], 1.0
	s_mov_b32 s4, 0x55555780
	v_sub_nc_u32_e32 v78, 0, v68
	v_ldexp_f64 v[65:66], v[65:66], v78
	v_add_f64 v[72:73], v[74:75], v[72:73]
	v_add_f64 v[76:77], v[65:66], 1.0
	v_add_f64 v[82:83], v[65:66], -1.0
	v_ldexp_f64 v[72:73], v[72:73], v78
	v_add_f64 v[74:75], v[76:77], -1.0
	v_add_f64 v[84:85], v[82:83], 1.0
	v_add_f64 v[74:75], v[65:66], -v[74:75]
	v_add_f64 v[65:66], v[65:66], -v[84:85]
	v_add_f64 v[74:75], v[72:73], v[74:75]
	v_add_f64 v[65:66], v[72:73], v[65:66]
	;; [unrolled: 1-line block ×4, first 2 shown]
	v_rcp_f64_e32 v[80:81], v[78:79]
	v_add_f64 v[76:77], v[78:79], -v[76:77]
	v_add_f64 v[82:83], v[84:85], -v[82:83]
	;; [unrolled: 1-line block ×3, first 2 shown]
	v_fma_f64 v[86:87], -v[78:79], v[80:81], 1.0
	v_add_f64 v[65:66], v[65:66], -v[82:83]
	v_fma_f64 v[80:81], v[86:87], v[80:81], v[80:81]
	v_fma_f64 v[72:73], -v[78:79], v[80:81], 1.0
	v_fma_f64 v[72:73], v[72:73], v[80:81], v[80:81]
	v_mul_f64 v[80:81], v[84:85], v[72:73]
	v_mul_f64 v[86:87], v[78:79], v[80:81]
	v_fma_f64 v[76:77], v[80:81], v[78:79], -v[86:87]
	v_fma_f64 v[76:77], v[80:81], v[74:75], v[76:77]
	v_add_f64 v[88:89], v[86:87], v[76:77]
	v_add_f64 v[90:91], v[84:85], -v[88:89]
	v_add_f64 v[82:83], v[88:89], -v[86:87]
	v_add_f64 v[84:85], v[84:85], -v[90:91]
	v_add_f64 v[76:77], v[82:83], -v[76:77]
	v_add_f64 v[84:85], v[84:85], -v[88:89]
	v_add_f64 v[65:66], v[65:66], v[84:85]
	v_add_f64 v[65:66], v[76:77], v[65:66]
	;; [unrolled: 1-line block ×3, first 2 shown]
	v_mul_f64 v[82:83], v[72:73], v[76:77]
	v_add_f64 v[88:89], v[90:91], -v[76:77]
	v_mul_f64 v[84:85], v[78:79], v[82:83]
	v_add_f64 v[65:66], v[65:66], v[88:89]
	v_fma_f64 v[78:79], v[82:83], v[78:79], -v[84:85]
	v_fma_f64 v[74:75], v[82:83], v[74:75], v[78:79]
	v_add_f64 v[78:79], v[84:85], v[74:75]
	v_add_f64 v[86:87], v[76:77], -v[78:79]
	v_add_f64 v[84:85], v[78:79], -v[84:85]
	;; [unrolled: 1-line block ×5, first 2 shown]
	v_add_f64 v[65:66], v[65:66], v[76:77]
	v_add_f64 v[76:77], v[80:81], v[82:83]
	;; [unrolled: 1-line block ×3, first 2 shown]
	v_add_f64 v[74:75], v[76:77], -v[80:81]
	v_add_f64 v[65:66], v[86:87], v[65:66]
	v_add_f64 v[74:75], v[82:83], -v[74:75]
	v_mul_f64 v[65:66], v[72:73], v[65:66]
	v_add_f64 v[65:66], v[74:75], v[65:66]
	v_add_f64 v[72:73], v[76:77], v[65:66]
	v_mul_f64 v[74:75], v[72:73], v[72:73]
	v_fma_f64 v[78:79], v[74:75], s[42:43], s[40:41]
	s_mov_b32 s40, 0xd7f4df2e
	s_mov_b32 s41, 0x3fc7474d
	v_mul_f64 v[80:81], v[72:73], v[74:75]
	v_fma_f64 v[78:79], v[74:75], v[78:79], s[40:41]
	s_mov_b32 s40, 0x16291751
	s_mov_b32 s41, 0x3fcc71c0
	v_fma_f64 v[78:79], v[74:75], v[78:79], s[40:41]
	s_mov_b32 s40, 0x9b27acf1
	s_mov_b32 s41, 0x3fd24924
	;; [unrolled: 3-line block ×3, first 2 shown]
	v_fma_f64 v[78:79], v[74:75], v[78:79], s[40:41]
	v_fma_f64 v[74:75], v[74:75], v[78:79], s[4:5]
	v_ldexp_f64 v[78:79], v[72:73], 1
	v_add_f64 v[72:73], v[72:73], -v[76:77]
	v_cmp_nge_f64_e64 s4, -1.0, v[63:64]
	v_cmp_neq_f64_e64 s5, 0x7ff00000, v[63:64]
	v_mul_f64 v[74:75], v[80:81], v[74:75]
	v_cvt_f64_i32_e32 v[80:81], v68
	v_add_f64 v[65:66], v[65:66], -v[72:73]
	s_and_b32 s4, s4, s5
	v_add_f64 v[76:77], v[78:79], v[74:75]
	v_mul_f64 v[82:83], v[80:81], s[34:35]
	v_ldexp_f64 v[65:66], v[65:66], 1
	v_add_f64 v[72:73], v[76:77], -v[78:79]
	v_fma_f64 v[78:79], v[80:81], s[34:35], -v[82:83]
	v_add_f64 v[72:73], v[74:75], -v[72:73]
	v_fma_f64 v[74:75], v[80:81], s[36:37], v[78:79]
	v_add_f64 v[65:66], v[65:66], v[72:73]
	v_add_f64 v[72:73], v[82:83], v[74:75]
	;; [unrolled: 1-line block ×3, first 2 shown]
	v_add_f64 v[82:83], v[72:73], -v[82:83]
	v_add_f64 v[80:81], v[72:73], v[78:79]
	v_add_f64 v[76:77], v[78:79], -v[76:77]
	v_add_f64 v[74:75], v[74:75], -v[82:83]
	;; [unrolled: 1-line block ×6, first 2 shown]
	v_add_f64 v[78:79], v[74:75], v[65:66]
	v_add_f64 v[72:73], v[72:73], -v[86:87]
	v_add_f64 v[72:73], v[76:77], v[72:73]
	v_add_f64 v[76:77], v[78:79], -v[74:75]
	;; [unrolled: 2-line block ×3, first 2 shown]
	v_add_f64 v[65:66], v[65:66], -v[76:77]
	v_add_f64 v[82:83], v[80:81], v[72:73]
	v_add_f64 v[74:75], v[74:75], -v[78:79]
	v_add_f64 v[76:77], v[82:83], -v[80:81]
	v_add_f64 v[65:66], v[65:66], v[74:75]
	v_add_f64 v[72:73], v[72:73], -v[76:77]
	v_add_f64 v[65:66], v[65:66], v[72:73]
	v_add_f64 v[65:66], v[82:83], v[65:66]
	v_cndmask_b32_e64 v65, 0, v65, s4
	v_cmp_neq_f64_e64 s4, -1.0, v[63:64]
	v_cndmask_b32_e64 v66, 0x7ff00000, v66, s5
	v_cndmask_b32_e64 v66, 0x7ff80000, v66, s29
	;; [unrolled: 1-line block ×3, first 2 shown]
	v_add_f64 v[63:64], v[61:62], v[65:66]
.LBB83_61:
	s_or_b32 exec_lo, exec_lo, s38
	v_mov_b32_e32 v61, v63
	v_mov_b32_e32 v62, v64
	v_mov_b32_e32 v65, v63
	v_mov_b32_e32 v66, v64
.LBB83_62:
	s_or_b32 exec_lo, exec_lo, s33
	v_mov_b32_dpp v63, v65 row_shr:4 row_mask:0xf bank_mask:0xf
	v_mov_b32_dpp v64, v66 row_shr:4 row_mask:0xf bank_mask:0xf
	s_mov_b32 s33, exec_lo
	v_cmpx_lt_u32_e32 3, v67
	s_cbranch_execz .LBB83_66
; %bb.63:
	v_max_f64 v[65:66], v[63:64], v[63:64]
	v_max_f64 v[72:73], v[61:62], v[61:62]
	v_cmp_u_f64_e64 s4, v[63:64], v[63:64]
	v_cmp_u_f64_e64 s5, v[61:62], v[61:62]
	v_min_f64 v[74:75], v[65:66], v[72:73]
	v_max_f64 v[65:66], v[65:66], v[72:73]
	v_cndmask_b32_e64 v68, v75, v64, s4
	v_cndmask_b32_e64 v72, v74, v63, s4
	;; [unrolled: 1-line block ×8, first 2 shown]
	v_cmp_class_f64_e64 s5, v[65:66], 0x1f8
	v_cmp_neq_f64_e64 s4, v[65:66], v[61:62]
	s_or_b32 s4, s4, s5
	s_and_saveexec_b32 s38, s4
	s_cbranch_execz .LBB83_65
; %bb.64:
	v_add_f64 v[63:64], v[65:66], -v[61:62]
	s_mov_b32 s4, 0x652b82fe
	s_mov_b32 s5, 0x3ff71547
	;; [unrolled: 1-line block ×10, first 2 shown]
	v_mul_f64 v[65:66], v[63:64], s[4:5]
	s_mov_b32 s4, 0xfca7ab0c
	s_mov_b32 s5, 0x3e928af3
	v_rndne_f64_e32 v[65:66], v[65:66]
	v_fma_f64 v[72:73], v[65:66], s[34:35], v[63:64]
	v_cvt_i32_f64_e32 v68, v[65:66]
	s_mov_b32 s35, 0x3fe62e42
	v_fma_f64 v[72:73], v[65:66], s[36:37], v[72:73]
	s_mov_b32 s37, 0x3c7abc9e
	v_fma_f64 v[74:75], v[72:73], s[40:41], s[4:5]
	s_mov_b32 s4, 0x623fde64
	s_mov_b32 s5, 0x3ec71dee
	;; [unrolled: 1-line block ×4, first 2 shown]
	v_fma_f64 v[74:75], v[72:73], v[74:75], s[4:5]
	s_mov_b32 s4, 0x7c89e6b0
	s_mov_b32 s5, 0x3efa0199
	v_fma_f64 v[74:75], v[72:73], v[74:75], s[4:5]
	s_mov_b32 s4, 0x14761f6e
	s_mov_b32 s5, 0x3f2a01a0
	;; [unrolled: 3-line block ×7, first 2 shown]
	v_fma_f64 v[74:75], v[72:73], v[74:75], s[4:5]
	v_cmp_nlt_f64_e64 s4, 0x40900000, v[63:64]
	v_cmp_ngt_f64_e64 s5, 0xc090cc00, v[63:64]
	v_fma_f64 v[74:75], v[72:73], v[74:75], 1.0
	v_fma_f64 v[65:66], v[72:73], v[74:75], 1.0
	v_ldexp_f64 v[65:66], v[65:66], v68
	v_cndmask_b32_e64 v66, 0x7ff00000, v66, s4
	s_and_b32 s4, s5, s4
	v_cndmask_b32_e64 v63, 0, v65, s4
	s_mov_b32 s4, 0x55555555
	v_cndmask_b32_e64 v64, 0, v66, s5
	s_mov_b32 s5, 0x3fe55555
	v_add_f64 v[65:66], v[63:64], 1.0
	v_cmp_ngt_f64_e64 s29, -1.0, v[63:64]
	v_frexp_mant_f64_e32 v[72:73], v[65:66]
	v_frexp_exp_i32_f64_e32 v68, v[65:66]
	v_add_f64 v[74:75], v[65:66], -1.0
	v_cmp_gt_f64_e64 s4, s[4:5], v[72:73]
	v_add_f64 v[72:73], v[74:75], -v[65:66]
	v_add_f64 v[74:75], v[63:64], -v[74:75]
	v_subrev_co_ci_u32_e64 v68, null, 0, v68, s4
	v_add_f64 v[72:73], v[72:73], 1.0
	s_mov_b32 s4, 0x55555780
	v_sub_nc_u32_e32 v78, 0, v68
	v_ldexp_f64 v[65:66], v[65:66], v78
	v_add_f64 v[72:73], v[74:75], v[72:73]
	v_add_f64 v[76:77], v[65:66], 1.0
	v_add_f64 v[82:83], v[65:66], -1.0
	v_ldexp_f64 v[72:73], v[72:73], v78
	v_add_f64 v[74:75], v[76:77], -1.0
	v_add_f64 v[84:85], v[82:83], 1.0
	v_add_f64 v[74:75], v[65:66], -v[74:75]
	v_add_f64 v[65:66], v[65:66], -v[84:85]
	v_add_f64 v[74:75], v[72:73], v[74:75]
	v_add_f64 v[65:66], v[72:73], v[65:66]
	;; [unrolled: 1-line block ×4, first 2 shown]
	v_rcp_f64_e32 v[80:81], v[78:79]
	v_add_f64 v[76:77], v[78:79], -v[76:77]
	v_add_f64 v[82:83], v[84:85], -v[82:83]
	;; [unrolled: 1-line block ×3, first 2 shown]
	v_fma_f64 v[86:87], -v[78:79], v[80:81], 1.0
	v_add_f64 v[65:66], v[65:66], -v[82:83]
	v_fma_f64 v[80:81], v[86:87], v[80:81], v[80:81]
	v_fma_f64 v[72:73], -v[78:79], v[80:81], 1.0
	v_fma_f64 v[72:73], v[72:73], v[80:81], v[80:81]
	v_mul_f64 v[80:81], v[84:85], v[72:73]
	v_mul_f64 v[86:87], v[78:79], v[80:81]
	v_fma_f64 v[76:77], v[80:81], v[78:79], -v[86:87]
	v_fma_f64 v[76:77], v[80:81], v[74:75], v[76:77]
	v_add_f64 v[88:89], v[86:87], v[76:77]
	v_add_f64 v[90:91], v[84:85], -v[88:89]
	v_add_f64 v[82:83], v[88:89], -v[86:87]
	;; [unrolled: 1-line block ×5, first 2 shown]
	v_add_f64 v[65:66], v[65:66], v[84:85]
	v_add_f64 v[65:66], v[76:77], v[65:66]
	;; [unrolled: 1-line block ×3, first 2 shown]
	v_mul_f64 v[82:83], v[72:73], v[76:77]
	v_add_f64 v[88:89], v[90:91], -v[76:77]
	v_mul_f64 v[84:85], v[78:79], v[82:83]
	v_add_f64 v[65:66], v[65:66], v[88:89]
	v_fma_f64 v[78:79], v[82:83], v[78:79], -v[84:85]
	v_fma_f64 v[74:75], v[82:83], v[74:75], v[78:79]
	v_add_f64 v[78:79], v[84:85], v[74:75]
	v_add_f64 v[86:87], v[76:77], -v[78:79]
	v_add_f64 v[84:85], v[78:79], -v[84:85]
	;; [unrolled: 1-line block ×5, first 2 shown]
	v_add_f64 v[65:66], v[65:66], v[76:77]
	v_add_f64 v[76:77], v[80:81], v[82:83]
	;; [unrolled: 1-line block ×3, first 2 shown]
	v_add_f64 v[74:75], v[76:77], -v[80:81]
	v_add_f64 v[65:66], v[86:87], v[65:66]
	v_add_f64 v[74:75], v[82:83], -v[74:75]
	v_mul_f64 v[65:66], v[72:73], v[65:66]
	v_add_f64 v[65:66], v[74:75], v[65:66]
	v_add_f64 v[72:73], v[76:77], v[65:66]
	v_mul_f64 v[74:75], v[72:73], v[72:73]
	v_fma_f64 v[78:79], v[74:75], s[42:43], s[40:41]
	s_mov_b32 s40, 0xd7f4df2e
	s_mov_b32 s41, 0x3fc7474d
	v_mul_f64 v[80:81], v[72:73], v[74:75]
	v_fma_f64 v[78:79], v[74:75], v[78:79], s[40:41]
	s_mov_b32 s40, 0x16291751
	s_mov_b32 s41, 0x3fcc71c0
	v_fma_f64 v[78:79], v[74:75], v[78:79], s[40:41]
	s_mov_b32 s40, 0x9b27acf1
	s_mov_b32 s41, 0x3fd24924
	;; [unrolled: 3-line block ×3, first 2 shown]
	v_fma_f64 v[78:79], v[74:75], v[78:79], s[40:41]
	v_fma_f64 v[74:75], v[74:75], v[78:79], s[4:5]
	v_ldexp_f64 v[78:79], v[72:73], 1
	v_add_f64 v[72:73], v[72:73], -v[76:77]
	v_cmp_nge_f64_e64 s4, -1.0, v[63:64]
	v_cmp_neq_f64_e64 s5, 0x7ff00000, v[63:64]
	v_mul_f64 v[74:75], v[80:81], v[74:75]
	v_cvt_f64_i32_e32 v[80:81], v68
	v_add_f64 v[65:66], v[65:66], -v[72:73]
	s_and_b32 s4, s4, s5
	v_add_f64 v[76:77], v[78:79], v[74:75]
	v_mul_f64 v[82:83], v[80:81], s[34:35]
	v_ldexp_f64 v[65:66], v[65:66], 1
	v_add_f64 v[72:73], v[76:77], -v[78:79]
	v_fma_f64 v[78:79], v[80:81], s[34:35], -v[82:83]
	v_add_f64 v[72:73], v[74:75], -v[72:73]
	v_fma_f64 v[74:75], v[80:81], s[36:37], v[78:79]
	v_add_f64 v[65:66], v[65:66], v[72:73]
	v_add_f64 v[72:73], v[82:83], v[74:75]
	;; [unrolled: 1-line block ×3, first 2 shown]
	v_add_f64 v[82:83], v[72:73], -v[82:83]
	v_add_f64 v[80:81], v[72:73], v[78:79]
	v_add_f64 v[76:77], v[78:79], -v[76:77]
	v_add_f64 v[74:75], v[74:75], -v[82:83]
	;; [unrolled: 1-line block ×6, first 2 shown]
	v_add_f64 v[78:79], v[74:75], v[65:66]
	v_add_f64 v[72:73], v[72:73], -v[86:87]
	v_add_f64 v[72:73], v[76:77], v[72:73]
	v_add_f64 v[76:77], v[78:79], -v[74:75]
	;; [unrolled: 2-line block ×3, first 2 shown]
	v_add_f64 v[65:66], v[65:66], -v[76:77]
	v_add_f64 v[82:83], v[80:81], v[72:73]
	v_add_f64 v[74:75], v[74:75], -v[78:79]
	v_add_f64 v[76:77], v[82:83], -v[80:81]
	v_add_f64 v[65:66], v[65:66], v[74:75]
	v_add_f64 v[72:73], v[72:73], -v[76:77]
	v_add_f64 v[65:66], v[65:66], v[72:73]
	v_add_f64 v[65:66], v[82:83], v[65:66]
	v_cndmask_b32_e64 v65, 0, v65, s4
	v_cmp_neq_f64_e64 s4, -1.0, v[63:64]
	v_cndmask_b32_e64 v66, 0x7ff00000, v66, s5
	v_cndmask_b32_e64 v66, 0x7ff80000, v66, s29
	;; [unrolled: 1-line block ×3, first 2 shown]
	v_add_f64 v[63:64], v[61:62], v[65:66]
.LBB83_65:
	s_or_b32 exec_lo, exec_lo, s38
	v_mov_b32_e32 v61, v63
	v_mov_b32_e32 v62, v64
	;; [unrolled: 1-line block ×4, first 2 shown]
.LBB83_66:
	s_or_b32 exec_lo, exec_lo, s33
	v_mov_b32_dpp v63, v65 row_shr:8 row_mask:0xf bank_mask:0xf
	v_mov_b32_dpp v64, v66 row_shr:8 row_mask:0xf bank_mask:0xf
	s_mov_b32 s33, exec_lo
	v_cmpx_lt_u32_e32 7, v67
	s_cbranch_execz .LBB83_70
; %bb.67:
	v_max_f64 v[65:66], v[63:64], v[63:64]
	v_max_f64 v[67:68], v[61:62], v[61:62]
	v_cmp_u_f64_e64 s4, v[63:64], v[63:64]
	v_cmp_u_f64_e64 s5, v[61:62], v[61:62]
	v_min_f64 v[72:73], v[65:66], v[67:68]
	v_max_f64 v[65:66], v[65:66], v[67:68]
	v_cndmask_b32_e64 v67, v73, v64, s4
	v_cndmask_b32_e64 v68, v72, v63, s4
	;; [unrolled: 1-line block ×8, first 2 shown]
	v_cmp_class_f64_e64 s5, v[65:66], 0x1f8
	v_cmp_neq_f64_e64 s4, v[65:66], v[61:62]
	s_or_b32 s4, s4, s5
	s_and_saveexec_b32 s38, s4
	s_cbranch_execz .LBB83_69
; %bb.68:
	v_add_f64 v[63:64], v[65:66], -v[61:62]
	s_mov_b32 s4, 0x652b82fe
	s_mov_b32 s5, 0x3ff71547
	;; [unrolled: 1-line block ×10, first 2 shown]
	v_mul_f64 v[65:66], v[63:64], s[4:5]
	s_mov_b32 s4, 0xfca7ab0c
	s_mov_b32 s5, 0x3e928af3
	v_rndne_f64_e32 v[65:66], v[65:66]
	v_fma_f64 v[67:68], v[65:66], s[34:35], v[63:64]
	v_cvt_i32_f64_e32 v74, v[65:66]
	s_mov_b32 s35, 0x3fe62e42
	v_fma_f64 v[67:68], v[65:66], s[36:37], v[67:68]
	s_mov_b32 s37, 0x3c7abc9e
	v_fma_f64 v[72:73], v[67:68], s[40:41], s[4:5]
	s_mov_b32 s4, 0x623fde64
	s_mov_b32 s5, 0x3ec71dee
	;; [unrolled: 1-line block ×4, first 2 shown]
	v_fma_f64 v[72:73], v[67:68], v[72:73], s[4:5]
	s_mov_b32 s4, 0x7c89e6b0
	s_mov_b32 s5, 0x3efa0199
	v_fma_f64 v[72:73], v[67:68], v[72:73], s[4:5]
	s_mov_b32 s4, 0x14761f6e
	s_mov_b32 s5, 0x3f2a01a0
	;; [unrolled: 3-line block ×7, first 2 shown]
	v_fma_f64 v[72:73], v[67:68], v[72:73], s[4:5]
	v_cmp_nlt_f64_e64 s4, 0x40900000, v[63:64]
	v_cmp_ngt_f64_e64 s5, 0xc090cc00, v[63:64]
	v_fma_f64 v[72:73], v[67:68], v[72:73], 1.0
	v_fma_f64 v[65:66], v[67:68], v[72:73], 1.0
	v_ldexp_f64 v[65:66], v[65:66], v74
	v_cndmask_b32_e64 v66, 0x7ff00000, v66, s4
	s_and_b32 s4, s5, s4
	v_cndmask_b32_e64 v63, 0, v65, s4
	s_mov_b32 s4, 0x55555555
	v_cndmask_b32_e64 v64, 0, v66, s5
	s_mov_b32 s5, 0x3fe55555
	v_add_f64 v[65:66], v[63:64], 1.0
	v_cmp_ngt_f64_e64 s29, -1.0, v[63:64]
	v_frexp_mant_f64_e32 v[67:68], v[65:66]
	v_frexp_exp_i32_f64_e32 v74, v[65:66]
	v_add_f64 v[72:73], v[65:66], -1.0
	v_cmp_gt_f64_e64 s4, s[4:5], v[67:68]
	v_add_f64 v[67:68], v[72:73], -v[65:66]
	v_add_f64 v[72:73], v[63:64], -v[72:73]
	v_subrev_co_ci_u32_e64 v90, null, 0, v74, s4
	v_add_f64 v[67:68], v[67:68], 1.0
	s_mov_b32 s4, 0x55555780
	v_sub_nc_u32_e32 v76, 0, v90
	v_ldexp_f64 v[65:66], v[65:66], v76
	v_add_f64 v[67:68], v[72:73], v[67:68]
	v_add_f64 v[74:75], v[65:66], 1.0
	v_add_f64 v[80:81], v[65:66], -1.0
	v_ldexp_f64 v[67:68], v[67:68], v76
	v_add_f64 v[72:73], v[74:75], -1.0
	v_add_f64 v[82:83], v[80:81], 1.0
	v_add_f64 v[72:73], v[65:66], -v[72:73]
	v_add_f64 v[65:66], v[65:66], -v[82:83]
	v_add_f64 v[72:73], v[67:68], v[72:73]
	v_add_f64 v[65:66], v[67:68], v[65:66]
	;; [unrolled: 1-line block ×4, first 2 shown]
	v_rcp_f64_e32 v[78:79], v[76:77]
	v_add_f64 v[74:75], v[76:77], -v[74:75]
	v_add_f64 v[80:81], v[82:83], -v[80:81]
	;; [unrolled: 1-line block ×3, first 2 shown]
	v_fma_f64 v[84:85], -v[76:77], v[78:79], 1.0
	v_add_f64 v[65:66], v[65:66], -v[80:81]
	v_fma_f64 v[78:79], v[84:85], v[78:79], v[78:79]
	v_fma_f64 v[67:68], -v[76:77], v[78:79], 1.0
	v_fma_f64 v[67:68], v[67:68], v[78:79], v[78:79]
	v_mul_f64 v[78:79], v[82:83], v[67:68]
	v_mul_f64 v[84:85], v[76:77], v[78:79]
	v_fma_f64 v[74:75], v[78:79], v[76:77], -v[84:85]
	v_fma_f64 v[74:75], v[78:79], v[72:73], v[74:75]
	v_add_f64 v[86:87], v[84:85], v[74:75]
	v_add_f64 v[88:89], v[82:83], -v[86:87]
	v_add_f64 v[80:81], v[86:87], -v[84:85]
	;; [unrolled: 1-line block ×5, first 2 shown]
	v_add_f64 v[65:66], v[65:66], v[82:83]
	v_add_f64 v[65:66], v[74:75], v[65:66]
	;; [unrolled: 1-line block ×3, first 2 shown]
	v_mul_f64 v[80:81], v[67:68], v[74:75]
	v_add_f64 v[86:87], v[88:89], -v[74:75]
	v_mul_f64 v[82:83], v[76:77], v[80:81]
	v_add_f64 v[65:66], v[65:66], v[86:87]
	v_fma_f64 v[76:77], v[80:81], v[76:77], -v[82:83]
	v_fma_f64 v[72:73], v[80:81], v[72:73], v[76:77]
	v_add_f64 v[76:77], v[82:83], v[72:73]
	v_add_f64 v[84:85], v[74:75], -v[76:77]
	v_add_f64 v[82:83], v[76:77], -v[82:83]
	;; [unrolled: 1-line block ×5, first 2 shown]
	v_add_f64 v[65:66], v[65:66], v[74:75]
	v_add_f64 v[74:75], v[78:79], v[80:81]
	;; [unrolled: 1-line block ×3, first 2 shown]
	v_add_f64 v[72:73], v[74:75], -v[78:79]
	v_add_f64 v[65:66], v[84:85], v[65:66]
	v_add_f64 v[72:73], v[80:81], -v[72:73]
	v_mul_f64 v[65:66], v[67:68], v[65:66]
	v_add_f64 v[65:66], v[72:73], v[65:66]
	v_add_f64 v[67:68], v[74:75], v[65:66]
	v_mul_f64 v[72:73], v[67:68], v[67:68]
	v_fma_f64 v[76:77], v[72:73], s[42:43], s[40:41]
	s_mov_b32 s40, 0xd7f4df2e
	s_mov_b32 s41, 0x3fc7474d
	v_mul_f64 v[78:79], v[67:68], v[72:73]
	v_fma_f64 v[76:77], v[72:73], v[76:77], s[40:41]
	s_mov_b32 s40, 0x16291751
	s_mov_b32 s41, 0x3fcc71c0
	v_fma_f64 v[76:77], v[72:73], v[76:77], s[40:41]
	s_mov_b32 s40, 0x9b27acf1
	s_mov_b32 s41, 0x3fd24924
	;; [unrolled: 3-line block ×3, first 2 shown]
	v_fma_f64 v[76:77], v[72:73], v[76:77], s[40:41]
	v_fma_f64 v[72:73], v[72:73], v[76:77], s[4:5]
	v_ldexp_f64 v[76:77], v[67:68], 1
	v_add_f64 v[67:68], v[67:68], -v[74:75]
	v_cmp_nge_f64_e64 s4, -1.0, v[63:64]
	v_cmp_neq_f64_e64 s5, 0x7ff00000, v[63:64]
	v_mul_f64 v[72:73], v[78:79], v[72:73]
	v_cvt_f64_i32_e32 v[78:79], v90
	v_add_f64 v[65:66], v[65:66], -v[67:68]
	s_and_b32 s4, s4, s5
	v_add_f64 v[74:75], v[76:77], v[72:73]
	v_mul_f64 v[80:81], v[78:79], s[34:35]
	v_ldexp_f64 v[65:66], v[65:66], 1
	v_add_f64 v[67:68], v[74:75], -v[76:77]
	v_fma_f64 v[76:77], v[78:79], s[34:35], -v[80:81]
	v_add_f64 v[67:68], v[72:73], -v[67:68]
	v_fma_f64 v[72:73], v[78:79], s[36:37], v[76:77]
	v_add_f64 v[65:66], v[65:66], v[67:68]
	v_add_f64 v[67:68], v[80:81], v[72:73]
	;; [unrolled: 1-line block ×3, first 2 shown]
	v_add_f64 v[80:81], v[67:68], -v[80:81]
	v_add_f64 v[78:79], v[67:68], v[76:77]
	v_add_f64 v[74:75], v[76:77], -v[74:75]
	v_add_f64 v[72:73], v[72:73], -v[80:81]
	;; [unrolled: 1-line block ×6, first 2 shown]
	v_add_f64 v[76:77], v[72:73], v[65:66]
	v_add_f64 v[67:68], v[67:68], -v[84:85]
	v_add_f64 v[67:68], v[74:75], v[67:68]
	v_add_f64 v[74:75], v[76:77], -v[72:73]
	;; [unrolled: 2-line block ×3, first 2 shown]
	v_add_f64 v[65:66], v[65:66], -v[74:75]
	v_add_f64 v[80:81], v[78:79], v[67:68]
	v_add_f64 v[72:73], v[72:73], -v[76:77]
	v_add_f64 v[74:75], v[80:81], -v[78:79]
	v_add_f64 v[65:66], v[65:66], v[72:73]
	v_add_f64 v[67:68], v[67:68], -v[74:75]
	v_add_f64 v[65:66], v[65:66], v[67:68]
	v_add_f64 v[65:66], v[80:81], v[65:66]
	v_cndmask_b32_e64 v65, 0, v65, s4
	v_cmp_neq_f64_e64 s4, -1.0, v[63:64]
	v_cndmask_b32_e64 v66, 0x7ff00000, v66, s5
	v_cndmask_b32_e64 v66, 0x7ff80000, v66, s29
	;; [unrolled: 1-line block ×3, first 2 shown]
	v_add_f64 v[63:64], v[61:62], v[65:66]
.LBB83_69:
	s_or_b32 exec_lo, exec_lo, s38
	v_mov_b32_e32 v61, v63
	v_mov_b32_e32 v65, v63
	v_mov_b32_e32 v66, v64
	v_mov_b32_e32 v62, v64
.LBB83_70:
	s_or_b32 exec_lo, exec_lo, s33
	ds_swizzle_b32 v63, v65 offset:swizzle(BROADCAST,32,15)
	ds_swizzle_b32 v64, v66 offset:swizzle(BROADCAST,32,15)
	v_and_b32_e32 v65, 16, v71
	s_mov_b32 s33, exec_lo
	v_cmpx_ne_u32_e32 0, v65
	s_cbranch_execz .LBB83_74
; %bb.71:
	s_waitcnt lgkmcnt(0)
	v_max_f64 v[65:66], v[63:64], v[63:64]
	v_max_f64 v[67:68], v[61:62], v[61:62]
	v_cmp_u_f64_e64 s4, v[63:64], v[63:64]
	v_cmp_u_f64_e64 s5, v[61:62], v[61:62]
	v_min_f64 v[72:73], v[65:66], v[67:68]
	v_max_f64 v[65:66], v[65:66], v[67:68]
	v_cndmask_b32_e64 v67, v73, v64, s4
	v_cndmask_b32_e64 v68, v72, v63, s4
	;; [unrolled: 1-line block ×8, first 2 shown]
	v_cmp_class_f64_e64 s5, v[65:66], 0x1f8
	v_cmp_neq_f64_e64 s4, v[65:66], v[61:62]
	s_or_b32 s4, s4, s5
	s_and_saveexec_b32 s38, s4
	s_cbranch_execz .LBB83_73
; %bb.72:
	v_add_f64 v[63:64], v[65:66], -v[61:62]
	s_mov_b32 s4, 0x652b82fe
	s_mov_b32 s5, 0x3ff71547
	s_mov_b32 s35, 0xbfe62e42
	s_mov_b32 s34, 0xfefa39ef
	s_mov_b32 s37, 0xbc7abc9e
	s_mov_b32 s36, 0x3b39803f
	s_mov_b32 s40, 0x6a5dcb37
	s_mov_b32 s41, 0x3e5ade15
	s_mov_b32 s42, 0xbf559e2b
	s_mov_b32 s43, 0x3fc3ab76
	v_mul_f64 v[65:66], v[63:64], s[4:5]
	s_mov_b32 s4, 0xfca7ab0c
	s_mov_b32 s5, 0x3e928af3
	v_rndne_f64_e32 v[65:66], v[65:66]
	v_fma_f64 v[67:68], v[65:66], s[34:35], v[63:64]
	v_cvt_i32_f64_e32 v74, v[65:66]
	s_mov_b32 s35, 0x3fe62e42
	v_fma_f64 v[67:68], v[65:66], s[36:37], v[67:68]
	s_mov_b32 s37, 0x3c7abc9e
	v_fma_f64 v[72:73], v[67:68], s[40:41], s[4:5]
	s_mov_b32 s4, 0x623fde64
	s_mov_b32 s5, 0x3ec71dee
	s_mov_b32 s40, 0x6b47b09a
	s_mov_b32 s41, 0x3fc38538
	v_fma_f64 v[72:73], v[67:68], v[72:73], s[4:5]
	s_mov_b32 s4, 0x7c89e6b0
	s_mov_b32 s5, 0x3efa0199
	v_fma_f64 v[72:73], v[67:68], v[72:73], s[4:5]
	s_mov_b32 s4, 0x14761f6e
	s_mov_b32 s5, 0x3f2a01a0
	;; [unrolled: 3-line block ×7, first 2 shown]
	v_fma_f64 v[72:73], v[67:68], v[72:73], s[4:5]
	v_cmp_nlt_f64_e64 s4, 0x40900000, v[63:64]
	v_cmp_ngt_f64_e64 s5, 0xc090cc00, v[63:64]
	v_fma_f64 v[72:73], v[67:68], v[72:73], 1.0
	v_fma_f64 v[65:66], v[67:68], v[72:73], 1.0
	v_ldexp_f64 v[65:66], v[65:66], v74
	v_cndmask_b32_e64 v66, 0x7ff00000, v66, s4
	s_and_b32 s4, s5, s4
	v_cndmask_b32_e64 v63, 0, v65, s4
	s_mov_b32 s4, 0x55555555
	v_cndmask_b32_e64 v64, 0, v66, s5
	s_mov_b32 s5, 0x3fe55555
	v_add_f64 v[65:66], v[63:64], 1.0
	v_cmp_ngt_f64_e64 s29, -1.0, v[63:64]
	v_frexp_mant_f64_e32 v[67:68], v[65:66]
	v_frexp_exp_i32_f64_e32 v74, v[65:66]
	v_add_f64 v[72:73], v[65:66], -1.0
	v_cmp_gt_f64_e64 s4, s[4:5], v[67:68]
	v_add_f64 v[67:68], v[72:73], -v[65:66]
	v_add_f64 v[72:73], v[63:64], -v[72:73]
	v_subrev_co_ci_u32_e64 v90, null, 0, v74, s4
	v_add_f64 v[67:68], v[67:68], 1.0
	s_mov_b32 s4, 0x55555780
	v_sub_nc_u32_e32 v76, 0, v90
	v_ldexp_f64 v[65:66], v[65:66], v76
	v_add_f64 v[67:68], v[72:73], v[67:68]
	v_add_f64 v[74:75], v[65:66], 1.0
	v_add_f64 v[80:81], v[65:66], -1.0
	v_ldexp_f64 v[67:68], v[67:68], v76
	v_add_f64 v[72:73], v[74:75], -1.0
	v_add_f64 v[82:83], v[80:81], 1.0
	v_add_f64 v[72:73], v[65:66], -v[72:73]
	v_add_f64 v[65:66], v[65:66], -v[82:83]
	v_add_f64 v[72:73], v[67:68], v[72:73]
	v_add_f64 v[65:66], v[67:68], v[65:66]
	v_add_f64 v[76:77], v[74:75], v[72:73]
	v_add_f64 v[82:83], v[80:81], v[65:66]
	v_rcp_f64_e32 v[78:79], v[76:77]
	v_add_f64 v[74:75], v[76:77], -v[74:75]
	v_add_f64 v[80:81], v[82:83], -v[80:81]
	;; [unrolled: 1-line block ×3, first 2 shown]
	v_fma_f64 v[84:85], -v[76:77], v[78:79], 1.0
	v_add_f64 v[65:66], v[65:66], -v[80:81]
	v_fma_f64 v[78:79], v[84:85], v[78:79], v[78:79]
	v_fma_f64 v[67:68], -v[76:77], v[78:79], 1.0
	v_fma_f64 v[67:68], v[67:68], v[78:79], v[78:79]
	v_mul_f64 v[78:79], v[82:83], v[67:68]
	v_mul_f64 v[84:85], v[76:77], v[78:79]
	v_fma_f64 v[74:75], v[78:79], v[76:77], -v[84:85]
	v_fma_f64 v[74:75], v[78:79], v[72:73], v[74:75]
	v_add_f64 v[86:87], v[84:85], v[74:75]
	v_add_f64 v[88:89], v[82:83], -v[86:87]
	v_add_f64 v[80:81], v[86:87], -v[84:85]
	;; [unrolled: 1-line block ×5, first 2 shown]
	v_add_f64 v[65:66], v[65:66], v[82:83]
	v_add_f64 v[65:66], v[74:75], v[65:66]
	;; [unrolled: 1-line block ×3, first 2 shown]
	v_mul_f64 v[80:81], v[67:68], v[74:75]
	v_add_f64 v[86:87], v[88:89], -v[74:75]
	v_mul_f64 v[82:83], v[76:77], v[80:81]
	v_add_f64 v[65:66], v[65:66], v[86:87]
	v_fma_f64 v[76:77], v[80:81], v[76:77], -v[82:83]
	v_fma_f64 v[72:73], v[80:81], v[72:73], v[76:77]
	v_add_f64 v[76:77], v[82:83], v[72:73]
	v_add_f64 v[84:85], v[74:75], -v[76:77]
	v_add_f64 v[82:83], v[76:77], -v[82:83]
	;; [unrolled: 1-line block ×5, first 2 shown]
	v_add_f64 v[65:66], v[65:66], v[74:75]
	v_add_f64 v[74:75], v[78:79], v[80:81]
	;; [unrolled: 1-line block ×3, first 2 shown]
	v_add_f64 v[72:73], v[74:75], -v[78:79]
	v_add_f64 v[65:66], v[84:85], v[65:66]
	v_add_f64 v[72:73], v[80:81], -v[72:73]
	v_mul_f64 v[65:66], v[67:68], v[65:66]
	v_add_f64 v[65:66], v[72:73], v[65:66]
	v_add_f64 v[67:68], v[74:75], v[65:66]
	v_mul_f64 v[72:73], v[67:68], v[67:68]
	v_fma_f64 v[76:77], v[72:73], s[42:43], s[40:41]
	s_mov_b32 s40, 0xd7f4df2e
	s_mov_b32 s41, 0x3fc7474d
	v_mul_f64 v[78:79], v[67:68], v[72:73]
	v_fma_f64 v[76:77], v[72:73], v[76:77], s[40:41]
	s_mov_b32 s40, 0x16291751
	s_mov_b32 s41, 0x3fcc71c0
	v_fma_f64 v[76:77], v[72:73], v[76:77], s[40:41]
	s_mov_b32 s40, 0x9b27acf1
	s_mov_b32 s41, 0x3fd24924
	;; [unrolled: 3-line block ×3, first 2 shown]
	v_fma_f64 v[76:77], v[72:73], v[76:77], s[40:41]
	v_fma_f64 v[72:73], v[72:73], v[76:77], s[4:5]
	v_ldexp_f64 v[76:77], v[67:68], 1
	v_add_f64 v[67:68], v[67:68], -v[74:75]
	v_cmp_nge_f64_e64 s4, -1.0, v[63:64]
	v_cmp_neq_f64_e64 s5, 0x7ff00000, v[63:64]
	v_mul_f64 v[72:73], v[78:79], v[72:73]
	v_cvt_f64_i32_e32 v[78:79], v90
	v_add_f64 v[65:66], v[65:66], -v[67:68]
	s_and_b32 s4, s4, s5
	v_add_f64 v[74:75], v[76:77], v[72:73]
	v_mul_f64 v[80:81], v[78:79], s[34:35]
	v_ldexp_f64 v[65:66], v[65:66], 1
	v_add_f64 v[67:68], v[74:75], -v[76:77]
	v_fma_f64 v[76:77], v[78:79], s[34:35], -v[80:81]
	v_add_f64 v[67:68], v[72:73], -v[67:68]
	v_fma_f64 v[72:73], v[78:79], s[36:37], v[76:77]
	v_add_f64 v[65:66], v[65:66], v[67:68]
	v_add_f64 v[67:68], v[80:81], v[72:73]
	;; [unrolled: 1-line block ×3, first 2 shown]
	v_add_f64 v[80:81], v[67:68], -v[80:81]
	v_add_f64 v[78:79], v[67:68], v[76:77]
	v_add_f64 v[74:75], v[76:77], -v[74:75]
	v_add_f64 v[72:73], v[72:73], -v[80:81]
	;; [unrolled: 1-line block ×6, first 2 shown]
	v_add_f64 v[76:77], v[72:73], v[65:66]
	v_add_f64 v[67:68], v[67:68], -v[84:85]
	v_add_f64 v[67:68], v[74:75], v[67:68]
	v_add_f64 v[74:75], v[76:77], -v[72:73]
	;; [unrolled: 2-line block ×3, first 2 shown]
	v_add_f64 v[65:66], v[65:66], -v[74:75]
	v_add_f64 v[80:81], v[78:79], v[67:68]
	v_add_f64 v[72:73], v[72:73], -v[76:77]
	v_add_f64 v[74:75], v[80:81], -v[78:79]
	v_add_f64 v[65:66], v[65:66], v[72:73]
	v_add_f64 v[67:68], v[67:68], -v[74:75]
	v_add_f64 v[65:66], v[65:66], v[67:68]
	v_add_f64 v[65:66], v[80:81], v[65:66]
	v_cndmask_b32_e64 v65, 0, v65, s4
	v_cmp_neq_f64_e64 s4, -1.0, v[63:64]
	v_cndmask_b32_e64 v66, 0x7ff00000, v66, s5
	v_cndmask_b32_e64 v66, 0x7ff80000, v66, s29
	v_cndmask_b32_e64 v66, 0xfff00000, v66, s4
	v_add_f64 v[63:64], v[61:62], v[65:66]
.LBB83_73:
	s_or_b32 exec_lo, exec_lo, s38
	v_mov_b32_e32 v61, v63
	v_mov_b32_e32 v62, v64
.LBB83_74:
	s_or_b32 exec_lo, exec_lo, s33
	s_waitcnt lgkmcnt(0)
	v_or_b32_e32 v63, 31, v0
	v_lshrrev_b32_e32 v72, 5, v0
	s_mov_b32 s5, exec_lo
	v_cmpx_eq_u32_e64 v0, v63
; %bb.75:
	v_lshlrev_b32_e32 v63, 3, v72
	ds_write_b64 v63, v[61:62]
; %bb.76:
	s_or_b32 exec_lo, exec_lo, s5
	s_mov_b32 s33, exec_lo
	s_waitcnt lgkmcnt(0)
	s_barrier
	buffer_gl0_inv
	v_cmpx_gt_u32_e32 4, v0
	s_cbranch_execz .LBB83_86
; %bb.77:
	ds_read_b64 v[63:64], v69
	v_and_b32_e32 v73, 3, v71
	s_mov_b32 s38, exec_lo
	s_waitcnt lgkmcnt(0)
	v_mov_b32_dpp v65, v63 row_shr:1 row_mask:0xf bank_mask:0xf
	v_mov_b32_dpp v66, v64 row_shr:1 row_mask:0xf bank_mask:0xf
	v_mov_b32_e32 v67, v63
	v_mov_b32_e32 v68, v64
	v_cmpx_ne_u32_e32 0, v73
	s_cbranch_execz .LBB83_81
; %bb.78:
	v_max_f64 v[67:68], v[65:66], v[65:66]
	v_max_f64 v[74:75], v[63:64], v[63:64]
	v_cmp_u_f64_e64 s4, v[65:66], v[65:66]
	v_cmp_u_f64_e64 s5, v[63:64], v[63:64]
	v_min_f64 v[76:77], v[67:68], v[74:75]
	v_max_f64 v[67:68], v[67:68], v[74:75]
	v_cndmask_b32_e64 v74, v77, v66, s4
	v_cndmask_b32_e64 v75, v76, v65, s4
	;; [unrolled: 1-line block ×8, first 2 shown]
	v_cmp_class_f64_e64 s5, v[67:68], 0x1f8
	v_cmp_neq_f64_e64 s4, v[67:68], v[63:64]
	s_or_b32 s4, s4, s5
	s_and_saveexec_b32 s39, s4
	s_cbranch_execz .LBB83_80
; %bb.79:
	v_add_f64 v[65:66], v[67:68], -v[63:64]
	s_mov_b32 s4, 0x652b82fe
	s_mov_b32 s5, 0x3ff71547
	;; [unrolled: 1-line block ×10, first 2 shown]
	v_mul_f64 v[67:68], v[65:66], s[4:5]
	s_mov_b32 s4, 0xfca7ab0c
	s_mov_b32 s5, 0x3e928af3
	v_rndne_f64_e32 v[67:68], v[67:68]
	v_fma_f64 v[74:75], v[67:68], s[34:35], v[65:66]
	v_cvt_i32_f64_e32 v78, v[67:68]
	s_mov_b32 s35, 0x3fe62e42
	v_fma_f64 v[74:75], v[67:68], s[36:37], v[74:75]
	s_mov_b32 s37, 0x3c7abc9e
	v_fma_f64 v[76:77], v[74:75], s[40:41], s[4:5]
	s_mov_b32 s4, 0x623fde64
	s_mov_b32 s5, 0x3ec71dee
	;; [unrolled: 1-line block ×4, first 2 shown]
	v_fma_f64 v[76:77], v[74:75], v[76:77], s[4:5]
	s_mov_b32 s4, 0x7c89e6b0
	s_mov_b32 s5, 0x3efa0199
	v_fma_f64 v[76:77], v[74:75], v[76:77], s[4:5]
	s_mov_b32 s4, 0x14761f6e
	s_mov_b32 s5, 0x3f2a01a0
	;; [unrolled: 3-line block ×7, first 2 shown]
	v_fma_f64 v[76:77], v[74:75], v[76:77], s[4:5]
	v_cmp_nlt_f64_e64 s4, 0x40900000, v[65:66]
	v_cmp_ngt_f64_e64 s5, 0xc090cc00, v[65:66]
	v_fma_f64 v[76:77], v[74:75], v[76:77], 1.0
	v_fma_f64 v[67:68], v[74:75], v[76:77], 1.0
	v_ldexp_f64 v[67:68], v[67:68], v78
	v_cndmask_b32_e64 v68, 0x7ff00000, v68, s4
	s_and_b32 s4, s5, s4
	v_cndmask_b32_e64 v65, 0, v67, s4
	s_mov_b32 s4, 0x55555555
	v_cndmask_b32_e64 v66, 0, v68, s5
	s_mov_b32 s5, 0x3fe55555
	v_add_f64 v[67:68], v[65:66], 1.0
	v_cmp_ngt_f64_e64 s29, -1.0, v[65:66]
	v_frexp_mant_f64_e32 v[74:75], v[67:68]
	v_frexp_exp_i32_f64_e32 v78, v[67:68]
	v_add_f64 v[76:77], v[67:68], -1.0
	v_cmp_gt_f64_e64 s4, s[4:5], v[74:75]
	v_add_f64 v[74:75], v[76:77], -v[67:68]
	v_add_f64 v[76:77], v[65:66], -v[76:77]
	v_subrev_co_ci_u32_e64 v94, null, 0, v78, s4
	v_add_f64 v[74:75], v[74:75], 1.0
	s_mov_b32 s4, 0x55555780
	v_sub_nc_u32_e32 v80, 0, v94
	v_ldexp_f64 v[67:68], v[67:68], v80
	v_add_f64 v[74:75], v[76:77], v[74:75]
	v_add_f64 v[78:79], v[67:68], 1.0
	v_add_f64 v[84:85], v[67:68], -1.0
	v_ldexp_f64 v[74:75], v[74:75], v80
	v_add_f64 v[76:77], v[78:79], -1.0
	v_add_f64 v[86:87], v[84:85], 1.0
	v_add_f64 v[76:77], v[67:68], -v[76:77]
	v_add_f64 v[67:68], v[67:68], -v[86:87]
	v_add_f64 v[76:77], v[74:75], v[76:77]
	v_add_f64 v[67:68], v[74:75], v[67:68]
	;; [unrolled: 1-line block ×4, first 2 shown]
	v_rcp_f64_e32 v[82:83], v[80:81]
	v_add_f64 v[78:79], v[80:81], -v[78:79]
	v_add_f64 v[84:85], v[86:87], -v[84:85]
	;; [unrolled: 1-line block ×3, first 2 shown]
	v_fma_f64 v[88:89], -v[80:81], v[82:83], 1.0
	v_add_f64 v[67:68], v[67:68], -v[84:85]
	v_fma_f64 v[82:83], v[88:89], v[82:83], v[82:83]
	v_fma_f64 v[74:75], -v[80:81], v[82:83], 1.0
	v_fma_f64 v[74:75], v[74:75], v[82:83], v[82:83]
	v_mul_f64 v[82:83], v[86:87], v[74:75]
	v_mul_f64 v[88:89], v[80:81], v[82:83]
	v_fma_f64 v[78:79], v[82:83], v[80:81], -v[88:89]
	v_fma_f64 v[78:79], v[82:83], v[76:77], v[78:79]
	v_add_f64 v[90:91], v[88:89], v[78:79]
	v_add_f64 v[92:93], v[86:87], -v[90:91]
	v_add_f64 v[84:85], v[90:91], -v[88:89]
	;; [unrolled: 1-line block ×5, first 2 shown]
	v_add_f64 v[67:68], v[67:68], v[86:87]
	v_add_f64 v[67:68], v[78:79], v[67:68]
	;; [unrolled: 1-line block ×3, first 2 shown]
	v_mul_f64 v[84:85], v[74:75], v[78:79]
	v_add_f64 v[90:91], v[92:93], -v[78:79]
	v_mul_f64 v[86:87], v[80:81], v[84:85]
	v_add_f64 v[67:68], v[67:68], v[90:91]
	v_fma_f64 v[80:81], v[84:85], v[80:81], -v[86:87]
	v_fma_f64 v[76:77], v[84:85], v[76:77], v[80:81]
	v_add_f64 v[80:81], v[86:87], v[76:77]
	v_add_f64 v[88:89], v[78:79], -v[80:81]
	v_add_f64 v[86:87], v[80:81], -v[86:87]
	;; [unrolled: 1-line block ×5, first 2 shown]
	v_add_f64 v[67:68], v[67:68], v[78:79]
	v_add_f64 v[78:79], v[82:83], v[84:85]
	;; [unrolled: 1-line block ×3, first 2 shown]
	v_add_f64 v[76:77], v[78:79], -v[82:83]
	v_add_f64 v[67:68], v[88:89], v[67:68]
	v_add_f64 v[76:77], v[84:85], -v[76:77]
	v_mul_f64 v[67:68], v[74:75], v[67:68]
	v_add_f64 v[67:68], v[76:77], v[67:68]
	v_add_f64 v[74:75], v[78:79], v[67:68]
	v_mul_f64 v[76:77], v[74:75], v[74:75]
	v_fma_f64 v[80:81], v[76:77], s[42:43], s[40:41]
	s_mov_b32 s40, 0xd7f4df2e
	s_mov_b32 s41, 0x3fc7474d
	v_mul_f64 v[82:83], v[74:75], v[76:77]
	v_fma_f64 v[80:81], v[76:77], v[80:81], s[40:41]
	s_mov_b32 s40, 0x16291751
	s_mov_b32 s41, 0x3fcc71c0
	v_fma_f64 v[80:81], v[76:77], v[80:81], s[40:41]
	s_mov_b32 s40, 0x9b27acf1
	s_mov_b32 s41, 0x3fd24924
	;; [unrolled: 3-line block ×3, first 2 shown]
	v_fma_f64 v[80:81], v[76:77], v[80:81], s[40:41]
	v_fma_f64 v[76:77], v[76:77], v[80:81], s[4:5]
	v_ldexp_f64 v[80:81], v[74:75], 1
	v_add_f64 v[74:75], v[74:75], -v[78:79]
	v_cmp_nge_f64_e64 s4, -1.0, v[65:66]
	v_cmp_neq_f64_e64 s5, 0x7ff00000, v[65:66]
	v_mul_f64 v[76:77], v[82:83], v[76:77]
	v_cvt_f64_i32_e32 v[82:83], v94
	v_add_f64 v[67:68], v[67:68], -v[74:75]
	s_and_b32 s4, s4, s5
	v_add_f64 v[78:79], v[80:81], v[76:77]
	v_mul_f64 v[84:85], v[82:83], s[34:35]
	v_ldexp_f64 v[67:68], v[67:68], 1
	v_add_f64 v[74:75], v[78:79], -v[80:81]
	v_fma_f64 v[80:81], v[82:83], s[34:35], -v[84:85]
	v_add_f64 v[74:75], v[76:77], -v[74:75]
	v_fma_f64 v[76:77], v[82:83], s[36:37], v[80:81]
	v_add_f64 v[67:68], v[67:68], v[74:75]
	v_add_f64 v[74:75], v[84:85], v[76:77]
	;; [unrolled: 1-line block ×3, first 2 shown]
	v_add_f64 v[84:85], v[74:75], -v[84:85]
	v_add_f64 v[82:83], v[74:75], v[80:81]
	v_add_f64 v[78:79], v[80:81], -v[78:79]
	v_add_f64 v[76:77], v[76:77], -v[84:85]
	;; [unrolled: 1-line block ×6, first 2 shown]
	v_add_f64 v[80:81], v[76:77], v[67:68]
	v_add_f64 v[74:75], v[74:75], -v[88:89]
	v_add_f64 v[74:75], v[78:79], v[74:75]
	v_add_f64 v[78:79], v[80:81], -v[76:77]
	;; [unrolled: 2-line block ×3, first 2 shown]
	v_add_f64 v[67:68], v[67:68], -v[78:79]
	v_add_f64 v[84:85], v[82:83], v[74:75]
	v_add_f64 v[76:77], v[76:77], -v[80:81]
	v_add_f64 v[78:79], v[84:85], -v[82:83]
	v_add_f64 v[67:68], v[67:68], v[76:77]
	v_add_f64 v[74:75], v[74:75], -v[78:79]
	v_add_f64 v[67:68], v[67:68], v[74:75]
	v_add_f64 v[67:68], v[84:85], v[67:68]
	v_cndmask_b32_e64 v67, 0, v67, s4
	v_cmp_neq_f64_e64 s4, -1.0, v[65:66]
	v_cndmask_b32_e64 v68, 0x7ff00000, v68, s5
	v_cndmask_b32_e64 v68, 0x7ff80000, v68, s29
	;; [unrolled: 1-line block ×3, first 2 shown]
	v_add_f64 v[65:66], v[63:64], v[67:68]
.LBB83_80:
	s_or_b32 exec_lo, exec_lo, s39
	v_mov_b32_e32 v63, v65
	v_mov_b32_e32 v67, v65
	;; [unrolled: 1-line block ×4, first 2 shown]
.LBB83_81:
	s_or_b32 exec_lo, exec_lo, s38
	v_mov_b32_dpp v65, v67 row_shr:2 row_mask:0xf bank_mask:0xf
	v_mov_b32_dpp v66, v68 row_shr:2 row_mask:0xf bank_mask:0xf
	s_mov_b32 s38, exec_lo
	v_cmpx_lt_u32_e32 1, v73
	s_cbranch_execz .LBB83_85
; %bb.82:
	v_max_f64 v[67:68], v[65:66], v[65:66]
	v_max_f64 v[73:74], v[63:64], v[63:64]
	v_cmp_u_f64_e64 s4, v[65:66], v[65:66]
	v_cmp_u_f64_e64 s5, v[63:64], v[63:64]
	v_min_f64 v[75:76], v[67:68], v[73:74]
	v_max_f64 v[67:68], v[67:68], v[73:74]
	v_cndmask_b32_e64 v73, v76, v66, s4
	v_cndmask_b32_e64 v74, v75, v65, s4
	;; [unrolled: 1-line block ×8, first 2 shown]
	v_cmp_class_f64_e64 s5, v[67:68], 0x1f8
	v_cmp_neq_f64_e64 s4, v[67:68], v[63:64]
	s_or_b32 s4, s4, s5
	s_and_saveexec_b32 s39, s4
	s_cbranch_execz .LBB83_84
; %bb.83:
	v_add_f64 v[65:66], v[67:68], -v[63:64]
	s_mov_b32 s4, 0x652b82fe
	s_mov_b32 s5, 0x3ff71547
	;; [unrolled: 1-line block ×10, first 2 shown]
	v_mul_f64 v[67:68], v[65:66], s[4:5]
	s_mov_b32 s4, 0xfca7ab0c
	s_mov_b32 s5, 0x3e928af3
	v_rndne_f64_e32 v[67:68], v[67:68]
	v_fma_f64 v[73:74], v[67:68], s[34:35], v[65:66]
	v_cvt_i32_f64_e32 v77, v[67:68]
	s_mov_b32 s35, 0x3fe62e42
	v_fma_f64 v[73:74], v[67:68], s[36:37], v[73:74]
	s_mov_b32 s37, 0x3c7abc9e
	v_fma_f64 v[75:76], v[73:74], s[40:41], s[4:5]
	s_mov_b32 s4, 0x623fde64
	s_mov_b32 s5, 0x3ec71dee
	;; [unrolled: 1-line block ×4, first 2 shown]
	v_fma_f64 v[75:76], v[73:74], v[75:76], s[4:5]
	s_mov_b32 s4, 0x7c89e6b0
	s_mov_b32 s5, 0x3efa0199
	v_fma_f64 v[75:76], v[73:74], v[75:76], s[4:5]
	s_mov_b32 s4, 0x14761f6e
	s_mov_b32 s5, 0x3f2a01a0
	;; [unrolled: 3-line block ×7, first 2 shown]
	v_fma_f64 v[75:76], v[73:74], v[75:76], s[4:5]
	v_cmp_nlt_f64_e64 s4, 0x40900000, v[65:66]
	v_cmp_ngt_f64_e64 s5, 0xc090cc00, v[65:66]
	v_fma_f64 v[75:76], v[73:74], v[75:76], 1.0
	v_fma_f64 v[67:68], v[73:74], v[75:76], 1.0
	v_ldexp_f64 v[67:68], v[67:68], v77
	v_cndmask_b32_e64 v68, 0x7ff00000, v68, s4
	s_and_b32 s4, s5, s4
	v_cndmask_b32_e64 v65, 0, v67, s4
	s_mov_b32 s4, 0x55555555
	v_cndmask_b32_e64 v66, 0, v68, s5
	s_mov_b32 s5, 0x3fe55555
	v_add_f64 v[67:68], v[65:66], 1.0
	v_cmp_ngt_f64_e64 s29, -1.0, v[65:66]
	v_frexp_mant_f64_e32 v[73:74], v[67:68]
	v_frexp_exp_i32_f64_e32 v77, v[67:68]
	v_add_f64 v[75:76], v[67:68], -1.0
	v_cmp_gt_f64_e64 s4, s[4:5], v[73:74]
	v_add_f64 v[73:74], v[75:76], -v[67:68]
	v_add_f64 v[75:76], v[65:66], -v[75:76]
	v_subrev_co_ci_u32_e64 v93, null, 0, v77, s4
	v_add_f64 v[73:74], v[73:74], 1.0
	s_mov_b32 s4, 0x55555780
	v_sub_nc_u32_e32 v79, 0, v93
	v_ldexp_f64 v[67:68], v[67:68], v79
	v_add_f64 v[73:74], v[75:76], v[73:74]
	v_add_f64 v[77:78], v[67:68], 1.0
	v_add_f64 v[83:84], v[67:68], -1.0
	v_ldexp_f64 v[73:74], v[73:74], v79
	v_add_f64 v[75:76], v[77:78], -1.0
	v_add_f64 v[85:86], v[83:84], 1.0
	v_add_f64 v[75:76], v[67:68], -v[75:76]
	v_add_f64 v[67:68], v[67:68], -v[85:86]
	v_add_f64 v[75:76], v[73:74], v[75:76]
	v_add_f64 v[67:68], v[73:74], v[67:68]
	;; [unrolled: 1-line block ×4, first 2 shown]
	v_rcp_f64_e32 v[81:82], v[79:80]
	v_add_f64 v[77:78], v[79:80], -v[77:78]
	v_add_f64 v[83:84], v[85:86], -v[83:84]
	;; [unrolled: 1-line block ×3, first 2 shown]
	v_fma_f64 v[87:88], -v[79:80], v[81:82], 1.0
	v_add_f64 v[67:68], v[67:68], -v[83:84]
	v_fma_f64 v[81:82], v[87:88], v[81:82], v[81:82]
	v_fma_f64 v[73:74], -v[79:80], v[81:82], 1.0
	v_fma_f64 v[73:74], v[73:74], v[81:82], v[81:82]
	v_mul_f64 v[81:82], v[85:86], v[73:74]
	v_mul_f64 v[87:88], v[79:80], v[81:82]
	v_fma_f64 v[77:78], v[81:82], v[79:80], -v[87:88]
	v_fma_f64 v[77:78], v[81:82], v[75:76], v[77:78]
	v_add_f64 v[89:90], v[87:88], v[77:78]
	v_add_f64 v[91:92], v[85:86], -v[89:90]
	v_add_f64 v[83:84], v[89:90], -v[87:88]
	;; [unrolled: 1-line block ×5, first 2 shown]
	v_add_f64 v[67:68], v[67:68], v[85:86]
	v_add_f64 v[67:68], v[77:78], v[67:68]
	;; [unrolled: 1-line block ×3, first 2 shown]
	v_mul_f64 v[83:84], v[73:74], v[77:78]
	v_add_f64 v[89:90], v[91:92], -v[77:78]
	v_mul_f64 v[85:86], v[79:80], v[83:84]
	v_add_f64 v[67:68], v[67:68], v[89:90]
	v_fma_f64 v[79:80], v[83:84], v[79:80], -v[85:86]
	v_fma_f64 v[75:76], v[83:84], v[75:76], v[79:80]
	v_add_f64 v[79:80], v[85:86], v[75:76]
	v_add_f64 v[87:88], v[77:78], -v[79:80]
	v_add_f64 v[85:86], v[79:80], -v[85:86]
	;; [unrolled: 1-line block ×5, first 2 shown]
	v_add_f64 v[67:68], v[67:68], v[77:78]
	v_add_f64 v[77:78], v[81:82], v[83:84]
	;; [unrolled: 1-line block ×3, first 2 shown]
	v_add_f64 v[75:76], v[77:78], -v[81:82]
	v_add_f64 v[67:68], v[87:88], v[67:68]
	v_add_f64 v[75:76], v[83:84], -v[75:76]
	v_mul_f64 v[67:68], v[73:74], v[67:68]
	v_add_f64 v[67:68], v[75:76], v[67:68]
	v_add_f64 v[73:74], v[77:78], v[67:68]
	v_mul_f64 v[75:76], v[73:74], v[73:74]
	v_fma_f64 v[79:80], v[75:76], s[42:43], s[40:41]
	s_mov_b32 s40, 0xd7f4df2e
	s_mov_b32 s41, 0x3fc7474d
	v_mul_f64 v[81:82], v[73:74], v[75:76]
	v_fma_f64 v[79:80], v[75:76], v[79:80], s[40:41]
	s_mov_b32 s40, 0x16291751
	s_mov_b32 s41, 0x3fcc71c0
	v_fma_f64 v[79:80], v[75:76], v[79:80], s[40:41]
	s_mov_b32 s40, 0x9b27acf1
	s_mov_b32 s41, 0x3fd24924
	;; [unrolled: 3-line block ×3, first 2 shown]
	v_fma_f64 v[79:80], v[75:76], v[79:80], s[40:41]
	v_fma_f64 v[75:76], v[75:76], v[79:80], s[4:5]
	v_ldexp_f64 v[79:80], v[73:74], 1
	v_add_f64 v[73:74], v[73:74], -v[77:78]
	v_cmp_nge_f64_e64 s4, -1.0, v[65:66]
	v_cmp_neq_f64_e64 s5, 0x7ff00000, v[65:66]
	v_mul_f64 v[75:76], v[81:82], v[75:76]
	v_cvt_f64_i32_e32 v[81:82], v93
	v_add_f64 v[67:68], v[67:68], -v[73:74]
	s_and_b32 s4, s4, s5
	v_add_f64 v[77:78], v[79:80], v[75:76]
	v_mul_f64 v[83:84], v[81:82], s[34:35]
	v_ldexp_f64 v[67:68], v[67:68], 1
	v_add_f64 v[73:74], v[77:78], -v[79:80]
	v_fma_f64 v[79:80], v[81:82], s[34:35], -v[83:84]
	v_add_f64 v[73:74], v[75:76], -v[73:74]
	v_fma_f64 v[75:76], v[81:82], s[36:37], v[79:80]
	v_add_f64 v[67:68], v[67:68], v[73:74]
	v_add_f64 v[73:74], v[83:84], v[75:76]
	;; [unrolled: 1-line block ×3, first 2 shown]
	v_add_f64 v[83:84], v[73:74], -v[83:84]
	v_add_f64 v[81:82], v[73:74], v[79:80]
	v_add_f64 v[77:78], v[79:80], -v[77:78]
	v_add_f64 v[75:76], v[75:76], -v[83:84]
	v_add_f64 v[85:86], v[81:82], -v[73:74]
	v_add_f64 v[67:68], v[67:68], -v[77:78]
	v_add_f64 v[87:88], v[81:82], -v[85:86]
	v_add_f64 v[77:78], v[79:80], -v[85:86]
	v_add_f64 v[79:80], v[75:76], v[67:68]
	v_add_f64 v[73:74], v[73:74], -v[87:88]
	v_add_f64 v[73:74], v[77:78], v[73:74]
	v_add_f64 v[77:78], v[79:80], -v[75:76]
	v_add_f64 v[73:74], v[79:80], v[73:74]
	v_add_f64 v[79:80], v[79:80], -v[77:78]
	v_add_f64 v[67:68], v[67:68], -v[77:78]
	v_add_f64 v[83:84], v[81:82], v[73:74]
	v_add_f64 v[75:76], v[75:76], -v[79:80]
	v_add_f64 v[77:78], v[83:84], -v[81:82]
	v_add_f64 v[67:68], v[67:68], v[75:76]
	v_add_f64 v[73:74], v[73:74], -v[77:78]
	v_add_f64 v[67:68], v[67:68], v[73:74]
	v_add_f64 v[67:68], v[83:84], v[67:68]
	v_cndmask_b32_e64 v67, 0, v67, s4
	v_cmp_neq_f64_e64 s4, -1.0, v[65:66]
	v_cndmask_b32_e64 v68, 0x7ff00000, v68, s5
	v_cndmask_b32_e64 v68, 0x7ff80000, v68, s29
	;; [unrolled: 1-line block ×3, first 2 shown]
	v_add_f64 v[65:66], v[63:64], v[67:68]
.LBB83_84:
	s_or_b32 exec_lo, exec_lo, s39
	v_mov_b32_e32 v63, v65
	v_mov_b32_e32 v64, v66
.LBB83_85:
	s_or_b32 exec_lo, exec_lo, s38
	ds_write_b64 v69, v[63:64]
.LBB83_86:
	s_or_b32 exec_lo, exec_lo, s33
	s_mov_b32 s33, exec_lo
	s_waitcnt lgkmcnt(0)
	s_barrier
	buffer_gl0_inv
                                        ; implicit-def: $vgpr63_vgpr64
	v_cmpx_lt_u32_e32 31, v0
	s_cbranch_execz .LBB83_90
; %bb.87:
	v_lshl_add_u32 v63, v72, 3, -8
	v_max_f64 v[65:66], v[61:62], v[61:62]
	v_cmp_u_f64_e64 s5, v[61:62], v[61:62]
	ds_read_b64 v[63:64], v63
	s_waitcnt lgkmcnt(0)
	v_max_f64 v[67:68], v[63:64], v[63:64]
	v_cmp_u_f64_e64 s4, v[63:64], v[63:64]
	v_min_f64 v[72:73], v[67:68], v[65:66]
	v_max_f64 v[65:66], v[67:68], v[65:66]
	v_cndmask_b32_e64 v67, v72, v63, s4
	v_cndmask_b32_e64 v68, v73, v64, s4
	;; [unrolled: 1-line block ×8, first 2 shown]
	v_mov_b32_e32 v61, v63
	v_mov_b32_e32 v62, v64
	v_cmp_class_f64_e64 s5, v[67:68], 0x1f8
	v_cmp_neq_f64_e64 s4, v[67:68], v[65:66]
	s_or_b32 s4, s4, s5
	s_and_saveexec_b32 s38, s4
	s_cbranch_execz .LBB83_89
; %bb.88:
	v_add_f64 v[61:62], v[67:68], -v[65:66]
	s_mov_b32 s4, 0x652b82fe
	s_mov_b32 s5, 0x3ff71547
	;; [unrolled: 1-line block ×10, first 2 shown]
	v_mul_f64 v[67:68], v[61:62], s[4:5]
	s_mov_b32 s4, 0xfca7ab0c
	s_mov_b32 s5, 0x3e928af3
	v_rndne_f64_e32 v[67:68], v[67:68]
	v_fma_f64 v[72:73], v[67:68], s[34:35], v[61:62]
	v_cvt_i32_f64_e32 v76, v[67:68]
	s_mov_b32 s35, 0x3fe62e42
	v_fma_f64 v[72:73], v[67:68], s[36:37], v[72:73]
	s_mov_b32 s37, 0x3c7abc9e
	v_fma_f64 v[74:75], v[72:73], s[40:41], s[4:5]
	s_mov_b32 s4, 0x623fde64
	s_mov_b32 s5, 0x3ec71dee
	;; [unrolled: 1-line block ×4, first 2 shown]
	v_fma_f64 v[74:75], v[72:73], v[74:75], s[4:5]
	s_mov_b32 s4, 0x7c89e6b0
	s_mov_b32 s5, 0x3efa0199
	v_fma_f64 v[74:75], v[72:73], v[74:75], s[4:5]
	s_mov_b32 s4, 0x14761f6e
	s_mov_b32 s5, 0x3f2a01a0
	;; [unrolled: 3-line block ×7, first 2 shown]
	v_fma_f64 v[74:75], v[72:73], v[74:75], s[4:5]
	v_cmp_nlt_f64_e64 s4, 0x40900000, v[61:62]
	v_cmp_ngt_f64_e64 s5, 0xc090cc00, v[61:62]
	v_fma_f64 v[74:75], v[72:73], v[74:75], 1.0
	v_fma_f64 v[67:68], v[72:73], v[74:75], 1.0
	v_ldexp_f64 v[67:68], v[67:68], v76
	v_cndmask_b32_e64 v68, 0x7ff00000, v68, s4
	s_and_b32 s4, s5, s4
	v_cndmask_b32_e64 v61, 0, v67, s4
	s_mov_b32 s4, 0x55555555
	v_cndmask_b32_e64 v62, 0, v68, s5
	s_mov_b32 s5, 0x3fe55555
	v_add_f64 v[67:68], v[61:62], 1.0
	v_cmp_ngt_f64_e64 s29, -1.0, v[61:62]
	v_frexp_mant_f64_e32 v[72:73], v[67:68]
	v_frexp_exp_i32_f64_e32 v76, v[67:68]
	v_add_f64 v[74:75], v[67:68], -1.0
	v_cmp_gt_f64_e64 s4, s[4:5], v[72:73]
	v_add_f64 v[72:73], v[74:75], -v[67:68]
	v_add_f64 v[74:75], v[61:62], -v[74:75]
	v_subrev_co_ci_u32_e64 v92, null, 0, v76, s4
	v_add_f64 v[72:73], v[72:73], 1.0
	s_mov_b32 s4, 0x55555780
	v_sub_nc_u32_e32 v78, 0, v92
	v_ldexp_f64 v[67:68], v[67:68], v78
	v_add_f64 v[72:73], v[74:75], v[72:73]
	v_add_f64 v[76:77], v[67:68], 1.0
	v_add_f64 v[82:83], v[67:68], -1.0
	v_ldexp_f64 v[72:73], v[72:73], v78
	v_add_f64 v[74:75], v[76:77], -1.0
	v_add_f64 v[84:85], v[82:83], 1.0
	v_add_f64 v[74:75], v[67:68], -v[74:75]
	v_add_f64 v[67:68], v[67:68], -v[84:85]
	v_add_f64 v[74:75], v[72:73], v[74:75]
	v_add_f64 v[67:68], v[72:73], v[67:68]
	;; [unrolled: 1-line block ×4, first 2 shown]
	v_rcp_f64_e32 v[80:81], v[78:79]
	v_add_f64 v[76:77], v[78:79], -v[76:77]
	v_add_f64 v[82:83], v[84:85], -v[82:83]
	;; [unrolled: 1-line block ×3, first 2 shown]
	v_fma_f64 v[86:87], -v[78:79], v[80:81], 1.0
	v_add_f64 v[67:68], v[67:68], -v[82:83]
	v_fma_f64 v[80:81], v[86:87], v[80:81], v[80:81]
	v_fma_f64 v[72:73], -v[78:79], v[80:81], 1.0
	v_fma_f64 v[72:73], v[72:73], v[80:81], v[80:81]
	v_mul_f64 v[80:81], v[84:85], v[72:73]
	v_mul_f64 v[86:87], v[78:79], v[80:81]
	v_fma_f64 v[76:77], v[80:81], v[78:79], -v[86:87]
	v_fma_f64 v[76:77], v[80:81], v[74:75], v[76:77]
	v_add_f64 v[88:89], v[86:87], v[76:77]
	v_add_f64 v[90:91], v[84:85], -v[88:89]
	v_add_f64 v[82:83], v[88:89], -v[86:87]
	;; [unrolled: 1-line block ×5, first 2 shown]
	v_add_f64 v[67:68], v[67:68], v[84:85]
	v_add_f64 v[67:68], v[76:77], v[67:68]
	;; [unrolled: 1-line block ×3, first 2 shown]
	v_mul_f64 v[82:83], v[72:73], v[76:77]
	v_add_f64 v[88:89], v[90:91], -v[76:77]
	v_mul_f64 v[84:85], v[78:79], v[82:83]
	v_add_f64 v[67:68], v[67:68], v[88:89]
	v_fma_f64 v[78:79], v[82:83], v[78:79], -v[84:85]
	v_fma_f64 v[74:75], v[82:83], v[74:75], v[78:79]
	v_add_f64 v[78:79], v[84:85], v[74:75]
	v_add_f64 v[86:87], v[76:77], -v[78:79]
	v_add_f64 v[84:85], v[78:79], -v[84:85]
	;; [unrolled: 1-line block ×5, first 2 shown]
	v_add_f64 v[67:68], v[67:68], v[76:77]
	v_add_f64 v[76:77], v[80:81], v[82:83]
	;; [unrolled: 1-line block ×3, first 2 shown]
	v_add_f64 v[74:75], v[76:77], -v[80:81]
	v_add_f64 v[67:68], v[86:87], v[67:68]
	v_add_f64 v[74:75], v[82:83], -v[74:75]
	v_mul_f64 v[67:68], v[72:73], v[67:68]
	v_add_f64 v[67:68], v[74:75], v[67:68]
	v_add_f64 v[72:73], v[76:77], v[67:68]
	v_mul_f64 v[74:75], v[72:73], v[72:73]
	v_fma_f64 v[78:79], v[74:75], s[42:43], s[40:41]
	s_mov_b32 s40, 0xd7f4df2e
	s_mov_b32 s41, 0x3fc7474d
	v_mul_f64 v[80:81], v[72:73], v[74:75]
	v_fma_f64 v[78:79], v[74:75], v[78:79], s[40:41]
	s_mov_b32 s40, 0x16291751
	s_mov_b32 s41, 0x3fcc71c0
	v_fma_f64 v[78:79], v[74:75], v[78:79], s[40:41]
	s_mov_b32 s40, 0x9b27acf1
	s_mov_b32 s41, 0x3fd24924
	;; [unrolled: 3-line block ×3, first 2 shown]
	v_fma_f64 v[78:79], v[74:75], v[78:79], s[40:41]
	v_fma_f64 v[74:75], v[74:75], v[78:79], s[4:5]
	v_ldexp_f64 v[78:79], v[72:73], 1
	v_add_f64 v[72:73], v[72:73], -v[76:77]
	v_cmp_nge_f64_e64 s4, -1.0, v[61:62]
	v_cmp_neq_f64_e64 s5, 0x7ff00000, v[61:62]
	v_mul_f64 v[74:75], v[80:81], v[74:75]
	v_cvt_f64_i32_e32 v[80:81], v92
	v_add_f64 v[67:68], v[67:68], -v[72:73]
	s_and_b32 s4, s4, s5
	v_add_f64 v[76:77], v[78:79], v[74:75]
	v_mul_f64 v[82:83], v[80:81], s[34:35]
	v_ldexp_f64 v[67:68], v[67:68], 1
	v_add_f64 v[72:73], v[76:77], -v[78:79]
	v_fma_f64 v[78:79], v[80:81], s[34:35], -v[82:83]
	v_add_f64 v[72:73], v[74:75], -v[72:73]
	v_fma_f64 v[74:75], v[80:81], s[36:37], v[78:79]
	v_add_f64 v[67:68], v[67:68], v[72:73]
	v_add_f64 v[72:73], v[82:83], v[74:75]
	;; [unrolled: 1-line block ×3, first 2 shown]
	v_add_f64 v[82:83], v[72:73], -v[82:83]
	v_add_f64 v[80:81], v[72:73], v[78:79]
	v_add_f64 v[76:77], v[78:79], -v[76:77]
	v_add_f64 v[74:75], v[74:75], -v[82:83]
	;; [unrolled: 1-line block ×6, first 2 shown]
	v_add_f64 v[78:79], v[74:75], v[67:68]
	v_add_f64 v[72:73], v[72:73], -v[86:87]
	v_add_f64 v[72:73], v[76:77], v[72:73]
	v_add_f64 v[76:77], v[78:79], -v[74:75]
	;; [unrolled: 2-line block ×3, first 2 shown]
	v_add_f64 v[67:68], v[67:68], -v[76:77]
	v_add_f64 v[82:83], v[80:81], v[72:73]
	v_add_f64 v[74:75], v[74:75], -v[78:79]
	v_add_f64 v[76:77], v[82:83], -v[80:81]
	v_add_f64 v[67:68], v[67:68], v[74:75]
	v_add_f64 v[72:73], v[72:73], -v[76:77]
	v_add_f64 v[67:68], v[67:68], v[72:73]
	v_add_f64 v[67:68], v[82:83], v[67:68]
	v_cndmask_b32_e64 v67, 0, v67, s4
	v_cmp_neq_f64_e64 s4, -1.0, v[61:62]
	v_cndmask_b32_e64 v68, 0x7ff00000, v68, s5
	v_cndmask_b32_e64 v68, 0x7ff80000, v68, s29
	;; [unrolled: 1-line block ×3, first 2 shown]
	v_add_f64 v[61:62], v[65:66], v[67:68]
.LBB83_89:
	s_or_b32 exec_lo, exec_lo, s38
.LBB83_90:
	s_or_b32 exec_lo, exec_lo, s33
	v_add_nc_u32_e32 v65, -1, v71
	s_mov_b32 s33, exec_lo
	v_cmp_gt_i32_e64 s4, 0, v65
	v_cndmask_b32_e64 v65, v65, v71, s4
	v_lshlrev_b32_e32 v65, 2, v65
	ds_bpermute_b32 v61, v65, v61
	ds_bpermute_b32 v62, v65, v62
	v_cmpx_ne_u32_e32 0, v0
	s_cbranch_execz .LBB83_94
; %bb.91:
	v_cmp_eq_u32_e64 s4, 0, v71
	s_waitcnt lgkmcnt(0)
	v_cndmask_b32_e64 v62, v62, v64, s4
	v_cndmask_b32_e64 v61, v61, v63, s4
	v_max_f64 v[57:58], v[61:62], v[61:62]
	v_cmp_u_f64_e64 s4, v[61:62], v[61:62]
	v_min_f64 v[59:60], v[57:58], v[55:56]
	v_max_f64 v[55:56], v[57:58], v[55:56]
	v_cndmask_b32_e64 v0, v60, v62, s4
	v_cndmask_b32_e64 v57, v59, v61, s4
	;; [unrolled: 1-line block ×8, first 2 shown]
	v_cmp_class_f64_e64 s5, v[55:56], 0x1f8
	v_cmp_neq_f64_e64 s4, v[55:56], v[1:2]
	s_or_b32 s4, s4, s5
	s_and_saveexec_b32 s36, s4
	s_cbranch_execz .LBB83_93
; %bb.92:
	v_add_f64 v[55:56], v[55:56], -v[1:2]
	s_mov_b32 s4, 0x652b82fe
	s_mov_b32 s5, 0x3ff71547
	;; [unrolled: 1-line block ×10, first 2 shown]
	v_mul_f64 v[57:58], v[55:56], s[4:5]
	s_mov_b32 s4, 0xfca7ab0c
	s_mov_b32 s5, 0x3e928af3
	v_rndne_f64_e32 v[57:58], v[57:58]
	v_fma_f64 v[59:60], v[57:58], s[28:29], v[55:56]
	v_cvt_i32_f64_e32 v0, v[57:58]
	s_mov_b32 s29, 0x3fe62e42
	v_fma_f64 v[59:60], v[57:58], s[34:35], v[59:60]
	s_mov_b32 s35, 0x3c7abc9e
	v_fma_f64 v[61:62], v[59:60], s[38:39], s[4:5]
	s_mov_b32 s4, 0x623fde64
	s_mov_b32 s5, 0x3ec71dee
	;; [unrolled: 1-line block ×4, first 2 shown]
	v_fma_f64 v[61:62], v[59:60], v[61:62], s[4:5]
	s_mov_b32 s4, 0x7c89e6b0
	s_mov_b32 s5, 0x3efa0199
	v_fma_f64 v[61:62], v[59:60], v[61:62], s[4:5]
	s_mov_b32 s4, 0x14761f6e
	s_mov_b32 s5, 0x3f2a01a0
	;; [unrolled: 3-line block ×7, first 2 shown]
	v_fma_f64 v[61:62], v[59:60], v[61:62], s[4:5]
	v_cmp_nlt_f64_e64 s4, 0x40900000, v[55:56]
	v_cmp_ngt_f64_e64 s5, 0xc090cc00, v[55:56]
	v_fma_f64 v[61:62], v[59:60], v[61:62], 1.0
	v_fma_f64 v[57:58], v[59:60], v[61:62], 1.0
	v_ldexp_f64 v[57:58], v[57:58], v0
	v_cndmask_b32_e64 v0, 0x7ff00000, v58, s4
	s_and_b32 s4, s5, s4
	v_cndmask_b32_e64 v55, 0, v57, s4
	s_mov_b32 s4, 0x55555555
	v_cndmask_b32_e64 v56, 0, v0, s5
	s_mov_b32 s5, 0x3fe55555
	v_add_f64 v[57:58], v[55:56], 1.0
	v_frexp_mant_f64_e32 v[59:60], v[57:58]
	v_frexp_exp_i32_f64_e32 v0, v[57:58]
	v_add_f64 v[61:62], v[57:58], -1.0
	v_cmp_gt_f64_e64 s4, s[4:5], v[59:60]
	v_add_f64 v[59:60], v[61:62], -v[57:58]
	v_add_f64 v[61:62], v[55:56], -v[61:62]
	v_subrev_co_ci_u32_e64 v0, null, 0, v0, s4
	v_add_f64 v[59:60], v[59:60], 1.0
	s_mov_b32 s4, 0x55555780
	v_sub_nc_u32_e32 v65, 0, v0
	v_ldexp_f64 v[57:58], v[57:58], v65
	v_add_f64 v[59:60], v[61:62], v[59:60]
	v_add_f64 v[63:64], v[57:58], 1.0
	v_add_f64 v[71:72], v[57:58], -1.0
	v_ldexp_f64 v[59:60], v[59:60], v65
	v_add_f64 v[61:62], v[63:64], -1.0
	v_add_f64 v[73:74], v[71:72], 1.0
	v_add_f64 v[61:62], v[57:58], -v[61:62]
	v_add_f64 v[57:58], v[57:58], -v[73:74]
	v_add_f64 v[61:62], v[59:60], v[61:62]
	v_add_f64 v[57:58], v[59:60], v[57:58]
	;; [unrolled: 1-line block ×4, first 2 shown]
	v_rcp_f64_e32 v[67:68], v[65:66]
	v_add_f64 v[63:64], v[65:66], -v[63:64]
	v_add_f64 v[71:72], v[73:74], -v[71:72]
	;; [unrolled: 1-line block ×3, first 2 shown]
	v_fma_f64 v[75:76], -v[65:66], v[67:68], 1.0
	v_add_f64 v[57:58], v[57:58], -v[71:72]
	v_fma_f64 v[67:68], v[75:76], v[67:68], v[67:68]
	v_fma_f64 v[59:60], -v[65:66], v[67:68], 1.0
	v_fma_f64 v[59:60], v[59:60], v[67:68], v[67:68]
	v_mul_f64 v[67:68], v[73:74], v[59:60]
	v_mul_f64 v[75:76], v[65:66], v[67:68]
	v_fma_f64 v[63:64], v[67:68], v[65:66], -v[75:76]
	v_fma_f64 v[63:64], v[67:68], v[61:62], v[63:64]
	v_add_f64 v[77:78], v[75:76], v[63:64]
	v_add_f64 v[79:80], v[73:74], -v[77:78]
	v_add_f64 v[71:72], v[77:78], -v[75:76]
	;; [unrolled: 1-line block ×5, first 2 shown]
	v_add_f64 v[57:58], v[57:58], v[73:74]
	v_add_f64 v[57:58], v[63:64], v[57:58]
	;; [unrolled: 1-line block ×3, first 2 shown]
	v_mul_f64 v[71:72], v[59:60], v[63:64]
	v_add_f64 v[77:78], v[79:80], -v[63:64]
	v_mul_f64 v[73:74], v[65:66], v[71:72]
	v_add_f64 v[57:58], v[57:58], v[77:78]
	v_fma_f64 v[65:66], v[71:72], v[65:66], -v[73:74]
	v_fma_f64 v[61:62], v[71:72], v[61:62], v[65:66]
	v_add_f64 v[65:66], v[73:74], v[61:62]
	v_add_f64 v[75:76], v[63:64], -v[65:66]
	v_add_f64 v[73:74], v[65:66], -v[73:74]
	;; [unrolled: 1-line block ×5, first 2 shown]
	v_add_f64 v[57:58], v[57:58], v[63:64]
	v_add_f64 v[63:64], v[67:68], v[71:72]
	;; [unrolled: 1-line block ×3, first 2 shown]
	v_add_f64 v[61:62], v[63:64], -v[67:68]
	v_add_f64 v[57:58], v[75:76], v[57:58]
	v_add_f64 v[61:62], v[71:72], -v[61:62]
	v_mul_f64 v[57:58], v[59:60], v[57:58]
	v_add_f64 v[57:58], v[61:62], v[57:58]
	v_add_f64 v[59:60], v[63:64], v[57:58]
	v_mul_f64 v[61:62], v[59:60], v[59:60]
	v_fma_f64 v[65:66], v[61:62], s[40:41], s[38:39]
	s_mov_b32 s38, 0xd7f4df2e
	s_mov_b32 s39, 0x3fc7474d
	v_mul_f64 v[67:68], v[59:60], v[61:62]
	v_fma_f64 v[65:66], v[61:62], v[65:66], s[38:39]
	s_mov_b32 s38, 0x16291751
	s_mov_b32 s39, 0x3fcc71c0
	v_fma_f64 v[65:66], v[61:62], v[65:66], s[38:39]
	s_mov_b32 s38, 0x9b27acf1
	s_mov_b32 s39, 0x3fd24924
	;; [unrolled: 3-line block ×3, first 2 shown]
	v_fma_f64 v[65:66], v[61:62], v[65:66], s[38:39]
	v_fma_f64 v[61:62], v[61:62], v[65:66], s[4:5]
	v_ldexp_f64 v[65:66], v[59:60], 1
	v_add_f64 v[59:60], v[59:60], -v[63:64]
	v_cmp_nge_f64_e64 s4, -1.0, v[55:56]
	v_cmp_neq_f64_e64 s5, 0x7ff00000, v[55:56]
	v_mul_f64 v[61:62], v[67:68], v[61:62]
	v_cvt_f64_i32_e32 v[67:68], v0
	v_add_f64 v[57:58], v[57:58], -v[59:60]
	s_and_b32 s4, s4, s5
	v_add_f64 v[63:64], v[65:66], v[61:62]
	v_mul_f64 v[71:72], v[67:68], s[28:29]
	v_ldexp_f64 v[57:58], v[57:58], 1
	v_add_f64 v[59:60], v[63:64], -v[65:66]
	v_fma_f64 v[65:66], v[67:68], s[28:29], -v[71:72]
	v_cmp_ngt_f64_e64 s28, -1.0, v[55:56]
	v_add_f64 v[59:60], v[61:62], -v[59:60]
	v_fma_f64 v[61:62], v[67:68], s[34:35], v[65:66]
	v_add_f64 v[57:58], v[57:58], v[59:60]
	v_add_f64 v[59:60], v[71:72], v[61:62]
	;; [unrolled: 1-line block ×3, first 2 shown]
	v_add_f64 v[71:72], v[59:60], -v[71:72]
	v_add_f64 v[67:68], v[59:60], v[65:66]
	v_add_f64 v[63:64], v[65:66], -v[63:64]
	v_add_f64 v[61:62], v[61:62], -v[71:72]
	;; [unrolled: 1-line block ×6, first 2 shown]
	v_add_f64 v[65:66], v[61:62], v[57:58]
	v_add_f64 v[59:60], v[59:60], -v[75:76]
	v_add_f64 v[59:60], v[63:64], v[59:60]
	v_add_f64 v[63:64], v[65:66], -v[61:62]
	;; [unrolled: 2-line block ×3, first 2 shown]
	v_add_f64 v[57:58], v[57:58], -v[63:64]
	v_add_f64 v[71:72], v[67:68], v[59:60]
	v_add_f64 v[61:62], v[61:62], -v[65:66]
	v_add_f64 v[63:64], v[71:72], -v[67:68]
	v_add_f64 v[57:58], v[57:58], v[61:62]
	v_add_f64 v[59:60], v[59:60], -v[63:64]
	v_add_f64 v[57:58], v[57:58], v[59:60]
	v_add_f64 v[57:58], v[71:72], v[57:58]
	v_cndmask_b32_e64 v57, 0, v57, s4
	v_cmp_neq_f64_e64 s4, -1.0, v[55:56]
	v_cndmask_b32_e64 v0, 0x7ff00000, v58, s5
	v_cndmask_b32_e64 v0, 0x7ff80000, v0, s28
	;; [unrolled: 1-line block ×3, first 2 shown]
	v_add_f64 v[61:62], v[1:2], v[57:58]
.LBB83_93:
	s_or_b32 exec_lo, exec_lo, s36
	v_max_f64 v[0:1], v[61:62], v[61:62]
	;;#ASMSTART
	;;#ASMEND
	v_min_f64 v[57:58], v[0:1], v[33:34]
	v_max_f64 v[59:60], v[0:1], v[33:34]
	v_mov_b32_e32 v1, v61
	v_mov_b32_e32 v2, v62
.LBB83_94:
	s_or_b32 exec_lo, exec_lo, s33
	v_cmp_u_f64_e64 s4, v[1:2], v[1:2]
	v_cndmask_b32_e64 v0, v57, v1, s4
	v_cndmask_b32_e64 v33, v58, v2, s4
	;; [unrolled: 1-line block ×8, first 2 shown]
	v_mov_b32_e32 v4, v2
	v_mov_b32_e32 v3, v1
	v_cmp_class_f64_e64 s5, v[55:56], 0x1f8
	v_cmp_neq_f64_e64 s4, v[55:56], v[33:34]
	s_or_b32 s4, s4, s5
	s_and_saveexec_b32 s33, s4
	s_cbranch_execz .LBB83_96
; %bb.95:
	v_add_f64 v[3:4], v[55:56], -v[33:34]
	s_mov_b32 s4, 0x652b82fe
	s_mov_b32 s5, 0x3ff71547
	;; [unrolled: 1-line block ×10, first 2 shown]
	v_mul_f64 v[55:56], v[3:4], s[4:5]
	s_mov_b32 s4, 0xfca7ab0c
	s_mov_b32 s5, 0x3e928af3
	v_rndne_f64_e32 v[55:56], v[55:56]
	v_fma_f64 v[57:58], v[55:56], s[28:29], v[3:4]
	v_cvt_i32_f64_e32 v0, v[55:56]
	s_mov_b32 s29, 0x3fe62e42
	v_fma_f64 v[57:58], v[55:56], s[34:35], v[57:58]
	s_mov_b32 s35, 0x3c7abc9e
	v_fma_f64 v[59:60], v[57:58], s[36:37], s[4:5]
	s_mov_b32 s4, 0x623fde64
	s_mov_b32 s5, 0x3ec71dee
	;; [unrolled: 1-line block ×4, first 2 shown]
	v_fma_f64 v[59:60], v[57:58], v[59:60], s[4:5]
	s_mov_b32 s4, 0x7c89e6b0
	s_mov_b32 s5, 0x3efa0199
	v_fma_f64 v[59:60], v[57:58], v[59:60], s[4:5]
	s_mov_b32 s4, 0x14761f6e
	s_mov_b32 s5, 0x3f2a01a0
	;; [unrolled: 3-line block ×7, first 2 shown]
	v_fma_f64 v[59:60], v[57:58], v[59:60], s[4:5]
	v_cmp_nlt_f64_e64 s4, 0x40900000, v[3:4]
	v_cmp_ngt_f64_e64 s5, 0xc090cc00, v[3:4]
	v_fma_f64 v[59:60], v[57:58], v[59:60], 1.0
	v_fma_f64 v[55:56], v[57:58], v[59:60], 1.0
	v_ldexp_f64 v[55:56], v[55:56], v0
	v_cndmask_b32_e64 v0, 0x7ff00000, v56, s4
	s_and_b32 s4, s5, s4
	v_cndmask_b32_e64 v3, 0, v55, s4
	s_mov_b32 s4, 0x55555555
	v_cndmask_b32_e64 v4, 0, v0, s5
	s_mov_b32 s5, 0x3fe55555
	v_add_f64 v[55:56], v[3:4], 1.0
	v_cmp_ngt_f64_e64 s15, -1.0, v[3:4]
	v_frexp_mant_f64_e32 v[57:58], v[55:56]
	v_frexp_exp_i32_f64_e32 v0, v[55:56]
	v_add_f64 v[59:60], v[55:56], -1.0
	v_cmp_gt_f64_e64 s4, s[4:5], v[57:58]
	v_add_f64 v[57:58], v[59:60], -v[55:56]
	v_add_f64 v[59:60], v[3:4], -v[59:60]
	v_subrev_co_ci_u32_e64 v0, null, 0, v0, s4
	v_add_f64 v[57:58], v[57:58], 1.0
	s_mov_b32 s4, 0x55555780
	v_sub_nc_u32_e32 v63, 0, v0
	v_ldexp_f64 v[55:56], v[55:56], v63
	v_add_f64 v[57:58], v[59:60], v[57:58]
	s_waitcnt lgkmcnt(0)
	v_add_f64 v[61:62], v[55:56], 1.0
	v_add_f64 v[67:68], v[55:56], -1.0
	v_ldexp_f64 v[57:58], v[57:58], v63
	v_add_f64 v[59:60], v[61:62], -1.0
	v_add_f64 v[71:72], v[67:68], 1.0
	v_add_f64 v[59:60], v[55:56], -v[59:60]
	v_add_f64 v[55:56], v[55:56], -v[71:72]
	v_add_f64 v[59:60], v[57:58], v[59:60]
	v_add_f64 v[55:56], v[57:58], v[55:56]
	;; [unrolled: 1-line block ×4, first 2 shown]
	v_rcp_f64_e32 v[65:66], v[63:64]
	v_add_f64 v[61:62], v[63:64], -v[61:62]
	v_add_f64 v[67:68], v[71:72], -v[67:68]
	;; [unrolled: 1-line block ×3, first 2 shown]
	v_fma_f64 v[73:74], -v[63:64], v[65:66], 1.0
	v_add_f64 v[55:56], v[55:56], -v[67:68]
	v_fma_f64 v[65:66], v[73:74], v[65:66], v[65:66]
	v_fma_f64 v[57:58], -v[63:64], v[65:66], 1.0
	v_fma_f64 v[57:58], v[57:58], v[65:66], v[65:66]
	v_mul_f64 v[65:66], v[71:72], v[57:58]
	v_mul_f64 v[73:74], v[63:64], v[65:66]
	v_fma_f64 v[61:62], v[65:66], v[63:64], -v[73:74]
	v_fma_f64 v[61:62], v[65:66], v[59:60], v[61:62]
	v_add_f64 v[75:76], v[73:74], v[61:62]
	v_add_f64 v[77:78], v[71:72], -v[75:76]
	v_add_f64 v[67:68], v[75:76], -v[73:74]
	;; [unrolled: 1-line block ×5, first 2 shown]
	v_add_f64 v[55:56], v[55:56], v[71:72]
	v_add_f64 v[55:56], v[61:62], v[55:56]
	;; [unrolled: 1-line block ×3, first 2 shown]
	v_mul_f64 v[67:68], v[57:58], v[61:62]
	v_add_f64 v[75:76], v[77:78], -v[61:62]
	v_mul_f64 v[71:72], v[63:64], v[67:68]
	v_add_f64 v[55:56], v[55:56], v[75:76]
	v_fma_f64 v[63:64], v[67:68], v[63:64], -v[71:72]
	v_fma_f64 v[59:60], v[67:68], v[59:60], v[63:64]
	v_add_f64 v[63:64], v[71:72], v[59:60]
	v_add_f64 v[73:74], v[61:62], -v[63:64]
	v_add_f64 v[71:72], v[63:64], -v[71:72]
	;; [unrolled: 1-line block ×5, first 2 shown]
	v_add_f64 v[55:56], v[55:56], v[61:62]
	v_add_f64 v[61:62], v[65:66], v[67:68]
	;; [unrolled: 1-line block ×3, first 2 shown]
	v_add_f64 v[59:60], v[61:62], -v[65:66]
	v_add_f64 v[55:56], v[73:74], v[55:56]
	v_add_f64 v[59:60], v[67:68], -v[59:60]
	v_mul_f64 v[55:56], v[57:58], v[55:56]
	v_add_f64 v[55:56], v[59:60], v[55:56]
	v_add_f64 v[57:58], v[61:62], v[55:56]
	v_mul_f64 v[59:60], v[57:58], v[57:58]
	v_fma_f64 v[63:64], v[59:60], s[38:39], s[36:37]
	s_mov_b32 s36, 0xd7f4df2e
	s_mov_b32 s37, 0x3fc7474d
	v_mul_f64 v[65:66], v[57:58], v[59:60]
	v_fma_f64 v[63:64], v[59:60], v[63:64], s[36:37]
	s_mov_b32 s36, 0x16291751
	s_mov_b32 s37, 0x3fcc71c0
	v_fma_f64 v[63:64], v[59:60], v[63:64], s[36:37]
	s_mov_b32 s36, 0x9b27acf1
	s_mov_b32 s37, 0x3fd24924
	;; [unrolled: 3-line block ×3, first 2 shown]
	v_fma_f64 v[63:64], v[59:60], v[63:64], s[36:37]
	v_fma_f64 v[59:60], v[59:60], v[63:64], s[4:5]
	v_ldexp_f64 v[63:64], v[57:58], 1
	v_add_f64 v[57:58], v[57:58], -v[61:62]
	v_cmp_nge_f64_e64 s4, -1.0, v[3:4]
	v_cmp_neq_f64_e64 s5, 0x7ff00000, v[3:4]
	v_mul_f64 v[59:60], v[65:66], v[59:60]
	v_cvt_f64_i32_e32 v[65:66], v0
	v_add_f64 v[55:56], v[55:56], -v[57:58]
	s_and_b32 s4, s4, s5
	v_add_f64 v[61:62], v[63:64], v[59:60]
	v_mul_f64 v[67:68], v[65:66], s[28:29]
	v_ldexp_f64 v[55:56], v[55:56], 1
	v_add_f64 v[57:58], v[61:62], -v[63:64]
	v_fma_f64 v[63:64], v[65:66], s[28:29], -v[67:68]
	v_add_f64 v[57:58], v[59:60], -v[57:58]
	v_fma_f64 v[59:60], v[65:66], s[34:35], v[63:64]
	v_add_f64 v[55:56], v[55:56], v[57:58]
	v_add_f64 v[57:58], v[67:68], v[59:60]
	;; [unrolled: 1-line block ×3, first 2 shown]
	v_add_f64 v[67:68], v[57:58], -v[67:68]
	v_add_f64 v[65:66], v[57:58], v[63:64]
	v_add_f64 v[61:62], v[63:64], -v[61:62]
	v_add_f64 v[59:60], v[59:60], -v[67:68]
	;; [unrolled: 1-line block ×6, first 2 shown]
	v_add_f64 v[63:64], v[59:60], v[55:56]
	v_add_f64 v[57:58], v[57:58], -v[73:74]
	v_add_f64 v[57:58], v[61:62], v[57:58]
	v_add_f64 v[61:62], v[63:64], -v[59:60]
	;; [unrolled: 2-line block ×3, first 2 shown]
	v_add_f64 v[55:56], v[55:56], -v[61:62]
	v_add_f64 v[67:68], v[65:66], v[57:58]
	v_add_f64 v[59:60], v[59:60], -v[63:64]
	v_add_f64 v[61:62], v[67:68], -v[65:66]
	v_add_f64 v[55:56], v[55:56], v[59:60]
	v_add_f64 v[57:58], v[57:58], -v[61:62]
	v_add_f64 v[55:56], v[55:56], v[57:58]
	v_add_f64 v[55:56], v[67:68], v[55:56]
	v_cndmask_b32_e64 v55, 0, v55, s4
	v_cmp_neq_f64_e64 s4, -1.0, v[3:4]
	v_cndmask_b32_e64 v0, 0x7ff00000, v56, s5
	v_cndmask_b32_e64 v0, 0x7ff80000, v0, s15
	;; [unrolled: 1-line block ×3, first 2 shown]
	v_add_f64 v[3:4], v[33:34], v[55:56]
.LBB83_96:
	s_or_b32 exec_lo, exec_lo, s33
	v_max_f64 v[33:34], v[3:4], v[3:4]
	v_cmp_u_f64_e64 s4, v[3:4], v[3:4]
	v_min_f64 v[55:56], v[33:34], v[29:30]
	v_max_f64 v[29:30], v[33:34], v[29:30]
	v_cndmask_b32_e64 v0, v55, v3, s4
	v_cndmask_b32_e64 v33, v56, v4, s4
	;; [unrolled: 1-line block ×8, first 2 shown]
	v_mov_b32_e32 v26, v4
	v_mov_b32_e32 v25, v3
	v_cmp_class_f64_e64 s5, v[33:34], 0x1f8
	v_cmp_neq_f64_e64 s4, v[33:34], v[29:30]
	s_or_b32 s4, s4, s5
	s_and_saveexec_b32 s16, s4
	s_cbranch_execz .LBB83_98
; %bb.97:
	v_add_f64 v[25:26], v[33:34], -v[29:30]
	s_mov_b32 s4, 0x652b82fe
	s_mov_b32 s5, 0x3ff71547
	;; [unrolled: 1-line block ×10, first 2 shown]
	v_mul_f64 v[33:34], v[25:26], s[4:5]
	s_mov_b32 s4, 0xfca7ab0c
	s_mov_b32 s5, 0x3e928af3
	v_rndne_f64_e32 v[33:34], v[33:34]
	v_fma_f64 v[55:56], v[33:34], s[28:29], v[25:26]
	v_cvt_i32_f64_e32 v0, v[33:34]
	s_mov_b32 s29, 0x3fe62e42
	v_fma_f64 v[55:56], v[33:34], s[34:35], v[55:56]
	s_mov_b32 s35, 0x3c7abc9e
	v_fma_f64 v[57:58], v[55:56], s[36:37], s[4:5]
	s_mov_b32 s4, 0x623fde64
	s_mov_b32 s5, 0x3ec71dee
	;; [unrolled: 1-line block ×4, first 2 shown]
	v_fma_f64 v[57:58], v[55:56], v[57:58], s[4:5]
	s_mov_b32 s4, 0x7c89e6b0
	s_mov_b32 s5, 0x3efa0199
	v_fma_f64 v[57:58], v[55:56], v[57:58], s[4:5]
	s_mov_b32 s4, 0x14761f6e
	s_mov_b32 s5, 0x3f2a01a0
	;; [unrolled: 3-line block ×7, first 2 shown]
	v_fma_f64 v[57:58], v[55:56], v[57:58], s[4:5]
	v_cmp_nlt_f64_e64 s4, 0x40900000, v[25:26]
	v_cmp_ngt_f64_e64 s5, 0xc090cc00, v[25:26]
	v_fma_f64 v[57:58], v[55:56], v[57:58], 1.0
	v_fma_f64 v[33:34], v[55:56], v[57:58], 1.0
	v_ldexp_f64 v[33:34], v[33:34], v0
	v_cndmask_b32_e64 v0, 0x7ff00000, v34, s4
	s_and_b32 s4, s5, s4
	v_cndmask_b32_e64 v25, 0, v33, s4
	s_mov_b32 s4, 0x55555555
	v_cndmask_b32_e64 v26, 0, v0, s5
	s_mov_b32 s5, 0x3fe55555
	v_add_f64 v[33:34], v[25:26], 1.0
	v_cmp_ngt_f64_e64 s15, -1.0, v[25:26]
	v_frexp_mant_f64_e32 v[55:56], v[33:34]
	v_frexp_exp_i32_f64_e32 v0, v[33:34]
	v_add_f64 v[57:58], v[33:34], -1.0
	v_cmp_gt_f64_e64 s4, s[4:5], v[55:56]
	v_add_f64 v[55:56], v[57:58], -v[33:34]
	v_add_f64 v[57:58], v[25:26], -v[57:58]
	v_subrev_co_ci_u32_e64 v0, null, 0, v0, s4
	v_add_f64 v[55:56], v[55:56], 1.0
	s_mov_b32 s4, 0x55555780
	s_waitcnt lgkmcnt(1)
	v_sub_nc_u32_e32 v61, 0, v0
	v_ldexp_f64 v[33:34], v[33:34], v61
	v_add_f64 v[55:56], v[57:58], v[55:56]
	v_add_f64 v[59:60], v[33:34], 1.0
	v_add_f64 v[65:66], v[33:34], -1.0
	v_ldexp_f64 v[55:56], v[55:56], v61
	v_add_f64 v[57:58], v[59:60], -1.0
	v_add_f64 v[67:68], v[65:66], 1.0
	v_add_f64 v[57:58], v[33:34], -v[57:58]
	v_add_f64 v[33:34], v[33:34], -v[67:68]
	v_add_f64 v[57:58], v[55:56], v[57:58]
	v_add_f64 v[33:34], v[55:56], v[33:34]
	s_waitcnt lgkmcnt(0)
	v_add_f64 v[61:62], v[59:60], v[57:58]
	v_add_f64 v[67:68], v[65:66], v[33:34]
	v_rcp_f64_e32 v[63:64], v[61:62]
	v_add_f64 v[59:60], v[61:62], -v[59:60]
	v_add_f64 v[65:66], v[67:68], -v[65:66]
	;; [unrolled: 1-line block ×3, first 2 shown]
	v_fma_f64 v[71:72], -v[61:62], v[63:64], 1.0
	v_add_f64 v[33:34], v[33:34], -v[65:66]
	v_fma_f64 v[63:64], v[71:72], v[63:64], v[63:64]
	v_fma_f64 v[55:56], -v[61:62], v[63:64], 1.0
	v_fma_f64 v[55:56], v[55:56], v[63:64], v[63:64]
	v_mul_f64 v[63:64], v[67:68], v[55:56]
	v_mul_f64 v[71:72], v[61:62], v[63:64]
	v_fma_f64 v[59:60], v[63:64], v[61:62], -v[71:72]
	v_fma_f64 v[59:60], v[63:64], v[57:58], v[59:60]
	v_add_f64 v[73:74], v[71:72], v[59:60]
	v_add_f64 v[75:76], v[67:68], -v[73:74]
	v_add_f64 v[65:66], v[73:74], -v[71:72]
	;; [unrolled: 1-line block ×5, first 2 shown]
	v_add_f64 v[33:34], v[33:34], v[67:68]
	v_add_f64 v[33:34], v[59:60], v[33:34]
	v_add_f64 v[59:60], v[75:76], v[33:34]
	v_mul_f64 v[65:66], v[55:56], v[59:60]
	v_add_f64 v[73:74], v[75:76], -v[59:60]
	v_mul_f64 v[67:68], v[61:62], v[65:66]
	v_add_f64 v[33:34], v[33:34], v[73:74]
	v_fma_f64 v[61:62], v[65:66], v[61:62], -v[67:68]
	v_fma_f64 v[57:58], v[65:66], v[57:58], v[61:62]
	v_add_f64 v[61:62], v[67:68], v[57:58]
	v_add_f64 v[71:72], v[59:60], -v[61:62]
	v_add_f64 v[67:68], v[61:62], -v[67:68]
	;; [unrolled: 1-line block ×5, first 2 shown]
	v_add_f64 v[33:34], v[33:34], v[59:60]
	v_add_f64 v[59:60], v[63:64], v[65:66]
	;; [unrolled: 1-line block ×3, first 2 shown]
	v_add_f64 v[57:58], v[59:60], -v[63:64]
	v_add_f64 v[33:34], v[71:72], v[33:34]
	v_add_f64 v[57:58], v[65:66], -v[57:58]
	v_mul_f64 v[33:34], v[55:56], v[33:34]
	v_add_f64 v[33:34], v[57:58], v[33:34]
	v_add_f64 v[55:56], v[59:60], v[33:34]
	v_mul_f64 v[57:58], v[55:56], v[55:56]
	v_fma_f64 v[61:62], v[57:58], s[38:39], s[36:37]
	s_mov_b32 s36, 0xd7f4df2e
	s_mov_b32 s37, 0x3fc7474d
	v_mul_f64 v[63:64], v[55:56], v[57:58]
	v_fma_f64 v[61:62], v[57:58], v[61:62], s[36:37]
	s_mov_b32 s36, 0x16291751
	s_mov_b32 s37, 0x3fcc71c0
	v_fma_f64 v[61:62], v[57:58], v[61:62], s[36:37]
	s_mov_b32 s36, 0x9b27acf1
	s_mov_b32 s37, 0x3fd24924
	v_fma_f64 v[61:62], v[57:58], v[61:62], s[36:37]
	s_mov_b32 s36, 0x998ef7b6
	s_mov_b32 s37, 0x3fd99999
	v_fma_f64 v[61:62], v[57:58], v[61:62], s[36:37]
	v_fma_f64 v[57:58], v[57:58], v[61:62], s[4:5]
	v_ldexp_f64 v[61:62], v[55:56], 1
	v_add_f64 v[55:56], v[55:56], -v[59:60]
	v_cmp_nge_f64_e64 s4, -1.0, v[25:26]
	v_cmp_neq_f64_e64 s5, 0x7ff00000, v[25:26]
	v_mul_f64 v[57:58], v[63:64], v[57:58]
	v_cvt_f64_i32_e32 v[63:64], v0
	v_add_f64 v[33:34], v[33:34], -v[55:56]
	s_and_b32 s4, s4, s5
	v_add_f64 v[59:60], v[61:62], v[57:58]
	v_mul_f64 v[65:66], v[63:64], s[28:29]
	v_ldexp_f64 v[33:34], v[33:34], 1
	v_add_f64 v[55:56], v[59:60], -v[61:62]
	v_fma_f64 v[61:62], v[63:64], s[28:29], -v[65:66]
	v_add_f64 v[55:56], v[57:58], -v[55:56]
	v_fma_f64 v[57:58], v[63:64], s[34:35], v[61:62]
	v_add_f64 v[33:34], v[33:34], v[55:56]
	v_add_f64 v[55:56], v[65:66], v[57:58]
	;; [unrolled: 1-line block ×3, first 2 shown]
	v_add_f64 v[65:66], v[55:56], -v[65:66]
	v_add_f64 v[63:64], v[55:56], v[61:62]
	v_add_f64 v[59:60], v[61:62], -v[59:60]
	v_add_f64 v[57:58], v[57:58], -v[65:66]
	;; [unrolled: 1-line block ×6, first 2 shown]
	v_add_f64 v[61:62], v[57:58], v[33:34]
	v_add_f64 v[55:56], v[55:56], -v[71:72]
	v_add_f64 v[55:56], v[59:60], v[55:56]
	v_add_f64 v[59:60], v[61:62], -v[57:58]
	;; [unrolled: 2-line block ×3, first 2 shown]
	v_add_f64 v[33:34], v[33:34], -v[59:60]
	v_add_f64 v[65:66], v[63:64], v[55:56]
	v_add_f64 v[57:58], v[57:58], -v[61:62]
	v_add_f64 v[59:60], v[65:66], -v[63:64]
	v_add_f64 v[33:34], v[33:34], v[57:58]
	v_add_f64 v[55:56], v[55:56], -v[59:60]
	v_add_f64 v[33:34], v[33:34], v[55:56]
	v_add_f64 v[33:34], v[65:66], v[33:34]
	v_cndmask_b32_e64 v33, 0, v33, s4
	v_cmp_neq_f64_e64 s4, -1.0, v[25:26]
	v_cndmask_b32_e64 v0, 0x7ff00000, v34, s5
	v_cndmask_b32_e64 v0, 0x7ff80000, v0, s15
	v_cndmask_b32_e64 v34, 0xfff00000, v0, s4
	v_add_f64 v[25:26], v[29:30], v[33:34]
.LBB83_98:
	s_or_b32 exec_lo, exec_lo, s16
	v_max_f64 v[29:30], v[25:26], v[25:26]
	v_cmp_u_f64_e64 s4, v[25:26], v[25:26]
	v_min_f64 v[33:34], v[29:30], v[31:32]
	v_max_f64 v[29:30], v[29:30], v[31:32]
	v_cndmask_b32_e64 v0, v33, v25, s4
	v_cndmask_b32_e64 v31, v34, v26, s4
	;; [unrolled: 1-line block ×8, first 2 shown]
	v_mov_b32_e32 v28, v26
	v_mov_b32_e32 v27, v25
	v_cmp_class_f64_e64 s5, v[31:32], 0x1f8
	v_cmp_neq_f64_e64 s4, v[31:32], v[29:30]
	s_or_b32 s4, s4, s5
	s_and_saveexec_b32 s33, s4
	s_cbranch_execz .LBB83_100
; %bb.99:
	v_add_f64 v[27:28], v[31:32], -v[29:30]
	s_mov_b32 s4, 0x652b82fe
	s_mov_b32 s5, 0x3ff71547
	;; [unrolled: 1-line block ×10, first 2 shown]
	v_mul_f64 v[31:32], v[27:28], s[4:5]
	s_mov_b32 s4, 0xfca7ab0c
	s_mov_b32 s5, 0x3e928af3
	v_rndne_f64_e32 v[31:32], v[31:32]
	v_fma_f64 v[33:34], v[31:32], s[16:17], v[27:28]
	v_cvt_i32_f64_e32 v0, v[31:32]
	s_mov_b32 s17, 0x3fe62e42
	v_fma_f64 v[33:34], v[31:32], s[28:29], v[33:34]
	s_mov_b32 s29, 0x3c7abc9e
	v_fma_f64 v[55:56], v[33:34], s[34:35], s[4:5]
	s_mov_b32 s4, 0x623fde64
	s_mov_b32 s5, 0x3ec71dee
	;; [unrolled: 1-line block ×4, first 2 shown]
	v_fma_f64 v[55:56], v[33:34], v[55:56], s[4:5]
	s_mov_b32 s4, 0x7c89e6b0
	s_mov_b32 s5, 0x3efa0199
	v_fma_f64 v[55:56], v[33:34], v[55:56], s[4:5]
	s_mov_b32 s4, 0x14761f6e
	s_mov_b32 s5, 0x3f2a01a0
	;; [unrolled: 3-line block ×7, first 2 shown]
	v_fma_f64 v[55:56], v[33:34], v[55:56], s[4:5]
	v_cmp_nlt_f64_e64 s4, 0x40900000, v[27:28]
	v_cmp_ngt_f64_e64 s5, 0xc090cc00, v[27:28]
	v_fma_f64 v[55:56], v[33:34], v[55:56], 1.0
	v_fma_f64 v[31:32], v[33:34], v[55:56], 1.0
	v_ldexp_f64 v[31:32], v[31:32], v0
	v_cndmask_b32_e64 v0, 0x7ff00000, v32, s4
	s_and_b32 s4, s5, s4
	v_cndmask_b32_e64 v27, 0, v31, s4
	s_mov_b32 s4, 0x55555555
	v_cndmask_b32_e64 v28, 0, v0, s5
	s_mov_b32 s5, 0x3fe55555
	v_add_f64 v[31:32], v[27:28], 1.0
	v_cmp_ngt_f64_e64 s15, -1.0, v[27:28]
	v_frexp_mant_f64_e32 v[33:34], v[31:32]
	v_frexp_exp_i32_f64_e32 v0, v[31:32]
	v_add_f64 v[55:56], v[31:32], -1.0
	v_cmp_gt_f64_e64 s4, s[4:5], v[33:34]
	v_add_f64 v[33:34], v[55:56], -v[31:32]
	v_add_f64 v[55:56], v[27:28], -v[55:56]
	v_subrev_co_ci_u32_e64 v0, null, 0, v0, s4
	v_add_f64 v[33:34], v[33:34], 1.0
	s_mov_b32 s4, 0x55555780
	v_sub_nc_u32_e32 v59, 0, v0
	v_ldexp_f64 v[31:32], v[31:32], v59
	v_add_f64 v[33:34], v[55:56], v[33:34]
	v_add_f64 v[57:58], v[31:32], 1.0
	v_add_f64 v[63:64], v[31:32], -1.0
	v_ldexp_f64 v[33:34], v[33:34], v59
	v_add_f64 v[55:56], v[57:58], -1.0
	v_add_f64 v[65:66], v[63:64], 1.0
	v_add_f64 v[55:56], v[31:32], -v[55:56]
	v_add_f64 v[31:32], v[31:32], -v[65:66]
	v_add_f64 v[55:56], v[33:34], v[55:56]
	v_add_f64 v[31:32], v[33:34], v[31:32]
	;; [unrolled: 1-line block ×4, first 2 shown]
	s_waitcnt lgkmcnt(0)
	v_rcp_f64_e32 v[61:62], v[59:60]
	v_add_f64 v[57:58], v[59:60], -v[57:58]
	v_add_f64 v[63:64], v[65:66], -v[63:64]
	;; [unrolled: 1-line block ×3, first 2 shown]
	v_fma_f64 v[67:68], -v[59:60], v[61:62], 1.0
	v_add_f64 v[31:32], v[31:32], -v[63:64]
	v_fma_f64 v[61:62], v[67:68], v[61:62], v[61:62]
	v_fma_f64 v[33:34], -v[59:60], v[61:62], 1.0
	v_fma_f64 v[33:34], v[33:34], v[61:62], v[61:62]
	v_mul_f64 v[61:62], v[65:66], v[33:34]
	v_mul_f64 v[67:68], v[59:60], v[61:62]
	v_fma_f64 v[57:58], v[61:62], v[59:60], -v[67:68]
	v_fma_f64 v[57:58], v[61:62], v[55:56], v[57:58]
	v_add_f64 v[71:72], v[67:68], v[57:58]
	v_add_f64 v[73:74], v[65:66], -v[71:72]
	v_add_f64 v[63:64], v[71:72], -v[67:68]
	;; [unrolled: 1-line block ×5, first 2 shown]
	v_add_f64 v[31:32], v[31:32], v[65:66]
	v_add_f64 v[31:32], v[57:58], v[31:32]
	;; [unrolled: 1-line block ×3, first 2 shown]
	v_mul_f64 v[63:64], v[33:34], v[57:58]
	v_add_f64 v[71:72], v[73:74], -v[57:58]
	v_mul_f64 v[65:66], v[59:60], v[63:64]
	v_add_f64 v[31:32], v[31:32], v[71:72]
	v_fma_f64 v[59:60], v[63:64], v[59:60], -v[65:66]
	v_fma_f64 v[55:56], v[63:64], v[55:56], v[59:60]
	v_add_f64 v[59:60], v[65:66], v[55:56]
	v_add_f64 v[67:68], v[57:58], -v[59:60]
	v_add_f64 v[65:66], v[59:60], -v[65:66]
	;; [unrolled: 1-line block ×5, first 2 shown]
	v_add_f64 v[31:32], v[31:32], v[57:58]
	v_add_f64 v[57:58], v[61:62], v[63:64]
	;; [unrolled: 1-line block ×3, first 2 shown]
	v_add_f64 v[55:56], v[57:58], -v[61:62]
	v_add_f64 v[31:32], v[67:68], v[31:32]
	v_add_f64 v[55:56], v[63:64], -v[55:56]
	v_mul_f64 v[31:32], v[33:34], v[31:32]
	v_add_f64 v[31:32], v[55:56], v[31:32]
	v_add_f64 v[33:34], v[57:58], v[31:32]
	v_mul_f64 v[55:56], v[33:34], v[33:34]
	v_fma_f64 v[59:60], v[55:56], s[36:37], s[34:35]
	s_mov_b32 s34, 0xd7f4df2e
	s_mov_b32 s35, 0x3fc7474d
	v_mul_f64 v[61:62], v[33:34], v[55:56]
	v_fma_f64 v[59:60], v[55:56], v[59:60], s[34:35]
	s_mov_b32 s34, 0x16291751
	s_mov_b32 s35, 0x3fcc71c0
	v_fma_f64 v[59:60], v[55:56], v[59:60], s[34:35]
	s_mov_b32 s34, 0x9b27acf1
	s_mov_b32 s35, 0x3fd24924
	;; [unrolled: 3-line block ×3, first 2 shown]
	v_fma_f64 v[59:60], v[55:56], v[59:60], s[34:35]
	v_fma_f64 v[55:56], v[55:56], v[59:60], s[4:5]
	v_ldexp_f64 v[59:60], v[33:34], 1
	v_add_f64 v[33:34], v[33:34], -v[57:58]
	v_cmp_nge_f64_e64 s4, -1.0, v[27:28]
	v_cmp_neq_f64_e64 s5, 0x7ff00000, v[27:28]
	v_mul_f64 v[55:56], v[61:62], v[55:56]
	v_cvt_f64_i32_e32 v[61:62], v0
	v_add_f64 v[31:32], v[31:32], -v[33:34]
	s_and_b32 s4, s4, s5
	v_add_f64 v[57:58], v[59:60], v[55:56]
	v_mul_f64 v[63:64], v[61:62], s[16:17]
	v_ldexp_f64 v[31:32], v[31:32], 1
	v_add_f64 v[33:34], v[57:58], -v[59:60]
	v_fma_f64 v[59:60], v[61:62], s[16:17], -v[63:64]
	v_add_f64 v[33:34], v[55:56], -v[33:34]
	v_fma_f64 v[55:56], v[61:62], s[28:29], v[59:60]
	v_add_f64 v[31:32], v[31:32], v[33:34]
	v_add_f64 v[33:34], v[63:64], v[55:56]
	;; [unrolled: 1-line block ×3, first 2 shown]
	v_add_f64 v[63:64], v[33:34], -v[63:64]
	v_add_f64 v[61:62], v[33:34], v[59:60]
	v_add_f64 v[57:58], v[59:60], -v[57:58]
	v_add_f64 v[55:56], v[55:56], -v[63:64]
	;; [unrolled: 1-line block ×6, first 2 shown]
	v_add_f64 v[59:60], v[55:56], v[31:32]
	v_add_f64 v[33:34], v[33:34], -v[67:68]
	v_add_f64 v[33:34], v[57:58], v[33:34]
	v_add_f64 v[57:58], v[59:60], -v[55:56]
	;; [unrolled: 2-line block ×3, first 2 shown]
	v_add_f64 v[31:32], v[31:32], -v[57:58]
	v_add_f64 v[63:64], v[61:62], v[33:34]
	v_add_f64 v[55:56], v[55:56], -v[59:60]
	v_add_f64 v[57:58], v[63:64], -v[61:62]
	v_add_f64 v[31:32], v[31:32], v[55:56]
	v_add_f64 v[33:34], v[33:34], -v[57:58]
	v_add_f64 v[31:32], v[31:32], v[33:34]
	v_add_f64 v[31:32], v[63:64], v[31:32]
	v_cndmask_b32_e64 v31, 0, v31, s4
	v_cmp_neq_f64_e64 s4, -1.0, v[27:28]
	v_cndmask_b32_e64 v0, 0x7ff00000, v32, s5
	v_cndmask_b32_e64 v0, 0x7ff80000, v0, s15
	;; [unrolled: 1-line block ×3, first 2 shown]
	v_add_f64 v[27:28], v[29:30], v[31:32]
.LBB83_100:
	s_or_b32 exec_lo, exec_lo, s33
	v_max_f64 v[29:30], v[27:28], v[27:28]
	v_cmp_u_f64_e64 s4, v[27:28], v[27:28]
	v_min_f64 v[31:32], v[29:30], v[35:36]
	v_max_f64 v[29:30], v[29:30], v[35:36]
	v_cndmask_b32_e64 v0, v31, v27, s4
	v_cndmask_b32_e64 v31, v32, v28, s4
	;; [unrolled: 1-line block ×8, first 2 shown]
	v_mov_b32_e32 v21, v27
	v_mov_b32_e32 v22, v28
	v_cmp_class_f64_e64 s5, v[31:32], 0x1f8
	v_cmp_neq_f64_e64 s4, v[31:32], v[29:30]
	s_or_b32 s4, s4, s5
	s_and_saveexec_b32 s18, s4
	s_cbranch_execz .LBB83_102
; %bb.101:
	v_add_f64 v[21:22], v[31:32], -v[29:30]
	s_mov_b32 s4, 0x652b82fe
	s_mov_b32 s5, 0x3ff71547
	;; [unrolled: 1-line block ×10, first 2 shown]
	v_mul_f64 v[31:32], v[21:22], s[4:5]
	s_mov_b32 s4, 0xfca7ab0c
	s_mov_b32 s5, 0x3e928af3
	v_rndne_f64_e32 v[31:32], v[31:32]
	v_fma_f64 v[33:34], v[31:32], s[16:17], v[21:22]
	v_cvt_i32_f64_e32 v0, v[31:32]
	s_mov_b32 s17, 0x3fe62e42
	v_fma_f64 v[33:34], v[31:32], s[28:29], v[33:34]
	s_mov_b32 s29, 0x3c7abc9e
	v_fma_f64 v[35:36], v[33:34], s[34:35], s[4:5]
	s_mov_b32 s4, 0x623fde64
	s_mov_b32 s5, 0x3ec71dee
	;; [unrolled: 1-line block ×4, first 2 shown]
	v_fma_f64 v[35:36], v[33:34], v[35:36], s[4:5]
	s_mov_b32 s4, 0x7c89e6b0
	s_mov_b32 s5, 0x3efa0199
	v_fma_f64 v[35:36], v[33:34], v[35:36], s[4:5]
	s_mov_b32 s4, 0x14761f6e
	s_mov_b32 s5, 0x3f2a01a0
	;; [unrolled: 3-line block ×7, first 2 shown]
	v_fma_f64 v[35:36], v[33:34], v[35:36], s[4:5]
	v_cmp_nlt_f64_e64 s4, 0x40900000, v[21:22]
	v_cmp_ngt_f64_e64 s5, 0xc090cc00, v[21:22]
	v_fma_f64 v[35:36], v[33:34], v[35:36], 1.0
	v_fma_f64 v[31:32], v[33:34], v[35:36], 1.0
	v_ldexp_f64 v[31:32], v[31:32], v0
	v_cndmask_b32_e64 v0, 0x7ff00000, v32, s4
	s_and_b32 s4, s5, s4
	v_cndmask_b32_e64 v21, 0, v31, s4
	s_mov_b32 s4, 0x55555555
	v_cndmask_b32_e64 v22, 0, v0, s5
	s_mov_b32 s5, 0x3fe55555
	v_add_f64 v[31:32], v[21:22], 1.0
	v_cmp_ngt_f64_e64 s15, -1.0, v[21:22]
	v_frexp_mant_f64_e32 v[33:34], v[31:32]
	v_frexp_exp_i32_f64_e32 v0, v[31:32]
	v_add_f64 v[35:36], v[31:32], -1.0
	v_cmp_gt_f64_e64 s4, s[4:5], v[33:34]
	v_add_f64 v[33:34], v[35:36], -v[31:32]
	v_add_f64 v[35:36], v[21:22], -v[35:36]
	v_subrev_co_ci_u32_e64 v0, null, 0, v0, s4
	v_add_f64 v[33:34], v[33:34], 1.0
	s_mov_b32 s4, 0x55555780
	v_sub_nc_u32_e32 v57, 0, v0
	v_ldexp_f64 v[31:32], v[31:32], v57
	v_add_f64 v[33:34], v[35:36], v[33:34]
	v_add_f64 v[55:56], v[31:32], 1.0
	s_waitcnt lgkmcnt(0)
	v_add_f64 v[61:62], v[31:32], -1.0
	v_ldexp_f64 v[33:34], v[33:34], v57
	v_add_f64 v[35:36], v[55:56], -1.0
	v_add_f64 v[63:64], v[61:62], 1.0
	v_add_f64 v[35:36], v[31:32], -v[35:36]
	v_add_f64 v[31:32], v[31:32], -v[63:64]
	v_add_f64 v[35:36], v[33:34], v[35:36]
	v_add_f64 v[31:32], v[33:34], v[31:32]
	;; [unrolled: 1-line block ×4, first 2 shown]
	v_rcp_f64_e32 v[59:60], v[57:58]
	v_add_f64 v[55:56], v[57:58], -v[55:56]
	v_add_f64 v[61:62], v[63:64], -v[61:62]
	;; [unrolled: 1-line block ×3, first 2 shown]
	v_fma_f64 v[65:66], -v[57:58], v[59:60], 1.0
	v_add_f64 v[31:32], v[31:32], -v[61:62]
	v_fma_f64 v[59:60], v[65:66], v[59:60], v[59:60]
	v_fma_f64 v[33:34], -v[57:58], v[59:60], 1.0
	v_fma_f64 v[33:34], v[33:34], v[59:60], v[59:60]
	v_mul_f64 v[59:60], v[63:64], v[33:34]
	v_mul_f64 v[65:66], v[57:58], v[59:60]
	v_fma_f64 v[55:56], v[59:60], v[57:58], -v[65:66]
	v_fma_f64 v[55:56], v[59:60], v[35:36], v[55:56]
	v_add_f64 v[67:68], v[65:66], v[55:56]
	v_add_f64 v[71:72], v[63:64], -v[67:68]
	v_add_f64 v[61:62], v[67:68], -v[65:66]
	v_add_f64 v[63:64], v[63:64], -v[71:72]
	v_add_f64 v[55:56], v[61:62], -v[55:56]
	v_add_f64 v[63:64], v[63:64], -v[67:68]
	v_add_f64 v[31:32], v[31:32], v[63:64]
	v_add_f64 v[31:32], v[55:56], v[31:32]
	;; [unrolled: 1-line block ×3, first 2 shown]
	v_mul_f64 v[61:62], v[33:34], v[55:56]
	v_add_f64 v[67:68], v[71:72], -v[55:56]
	v_mul_f64 v[63:64], v[57:58], v[61:62]
	v_add_f64 v[31:32], v[31:32], v[67:68]
	v_fma_f64 v[57:58], v[61:62], v[57:58], -v[63:64]
	v_fma_f64 v[35:36], v[61:62], v[35:36], v[57:58]
	v_add_f64 v[57:58], v[63:64], v[35:36]
	v_add_f64 v[65:66], v[55:56], -v[57:58]
	v_add_f64 v[63:64], v[57:58], -v[63:64]
	;; [unrolled: 1-line block ×5, first 2 shown]
	v_add_f64 v[31:32], v[31:32], v[55:56]
	v_add_f64 v[55:56], v[59:60], v[61:62]
	;; [unrolled: 1-line block ×3, first 2 shown]
	v_add_f64 v[35:36], v[55:56], -v[59:60]
	v_add_f64 v[31:32], v[65:66], v[31:32]
	v_add_f64 v[35:36], v[61:62], -v[35:36]
	v_mul_f64 v[31:32], v[33:34], v[31:32]
	v_add_f64 v[31:32], v[35:36], v[31:32]
	v_add_f64 v[33:34], v[55:56], v[31:32]
	v_mul_f64 v[35:36], v[33:34], v[33:34]
	v_fma_f64 v[57:58], v[35:36], s[36:37], s[34:35]
	s_mov_b32 s34, 0xd7f4df2e
	s_mov_b32 s35, 0x3fc7474d
	v_mul_f64 v[59:60], v[33:34], v[35:36]
	v_fma_f64 v[57:58], v[35:36], v[57:58], s[34:35]
	s_mov_b32 s34, 0x16291751
	s_mov_b32 s35, 0x3fcc71c0
	v_fma_f64 v[57:58], v[35:36], v[57:58], s[34:35]
	s_mov_b32 s34, 0x9b27acf1
	s_mov_b32 s35, 0x3fd24924
	;; [unrolled: 3-line block ×3, first 2 shown]
	v_fma_f64 v[57:58], v[35:36], v[57:58], s[34:35]
	v_fma_f64 v[35:36], v[35:36], v[57:58], s[4:5]
	v_ldexp_f64 v[57:58], v[33:34], 1
	v_add_f64 v[33:34], v[33:34], -v[55:56]
	v_cmp_nge_f64_e64 s4, -1.0, v[21:22]
	v_cmp_neq_f64_e64 s5, 0x7ff00000, v[21:22]
	v_mul_f64 v[35:36], v[59:60], v[35:36]
	v_cvt_f64_i32_e32 v[59:60], v0
	v_add_f64 v[31:32], v[31:32], -v[33:34]
	s_and_b32 s4, s4, s5
	v_add_f64 v[55:56], v[57:58], v[35:36]
	v_mul_f64 v[61:62], v[59:60], s[16:17]
	v_ldexp_f64 v[31:32], v[31:32], 1
	v_add_f64 v[33:34], v[55:56], -v[57:58]
	v_fma_f64 v[57:58], v[59:60], s[16:17], -v[61:62]
	v_add_f64 v[33:34], v[35:36], -v[33:34]
	v_fma_f64 v[35:36], v[59:60], s[28:29], v[57:58]
	v_add_f64 v[31:32], v[31:32], v[33:34]
	v_add_f64 v[33:34], v[61:62], v[35:36]
	;; [unrolled: 1-line block ×3, first 2 shown]
	v_add_f64 v[61:62], v[33:34], -v[61:62]
	v_add_f64 v[59:60], v[33:34], v[57:58]
	v_add_f64 v[55:56], v[57:58], -v[55:56]
	v_add_f64 v[35:36], v[35:36], -v[61:62]
	;; [unrolled: 1-line block ×6, first 2 shown]
	v_add_f64 v[57:58], v[35:36], v[31:32]
	v_add_f64 v[33:34], v[33:34], -v[65:66]
	v_add_f64 v[33:34], v[55:56], v[33:34]
	v_add_f64 v[55:56], v[57:58], -v[35:36]
	;; [unrolled: 2-line block ×3, first 2 shown]
	v_add_f64 v[31:32], v[31:32], -v[55:56]
	v_add_f64 v[61:62], v[59:60], v[33:34]
	v_add_f64 v[35:36], v[35:36], -v[57:58]
	v_add_f64 v[55:56], v[61:62], -v[59:60]
	v_add_f64 v[31:32], v[31:32], v[35:36]
	v_add_f64 v[33:34], v[33:34], -v[55:56]
	v_add_f64 v[31:32], v[31:32], v[33:34]
	v_add_f64 v[31:32], v[61:62], v[31:32]
	v_cndmask_b32_e64 v31, 0, v31, s4
	v_cmp_neq_f64_e64 s4, -1.0, v[21:22]
	v_cndmask_b32_e64 v0, 0x7ff00000, v32, s5
	v_cndmask_b32_e64 v0, 0x7ff80000, v0, s15
	;; [unrolled: 1-line block ×3, first 2 shown]
	v_add_f64 v[21:22], v[29:30], v[31:32]
.LBB83_102:
	s_or_b32 exec_lo, exec_lo, s18
	v_max_f64 v[29:30], v[21:22], v[21:22]
	v_cmp_u_f64_e64 s4, v[21:22], v[21:22]
	v_min_f64 v[31:32], v[29:30], v[37:38]
	v_max_f64 v[29:30], v[29:30], v[37:38]
	v_cndmask_b32_e64 v0, v31, v21, s4
	v_cndmask_b32_e64 v31, v32, v22, s4
	;; [unrolled: 1-line block ×8, first 2 shown]
	v_mov_b32_e32 v24, v22
	v_mov_b32_e32 v23, v21
	v_cmp_class_f64_e64 s5, v[31:32], 0x1f8
	v_cmp_neq_f64_e64 s4, v[31:32], v[29:30]
	s_or_b32 s4, s4, s5
	s_and_saveexec_b32 s28, s4
	s_cbranch_execz .LBB83_104
; %bb.103:
	v_add_f64 v[23:24], v[31:32], -v[29:30]
	s_mov_b32 s4, 0x652b82fe
	s_mov_b32 s5, 0x3ff71547
	;; [unrolled: 1-line block ×10, first 2 shown]
	v_mul_f64 v[31:32], v[23:24], s[4:5]
	s_mov_b32 s4, 0xfca7ab0c
	s_mov_b32 s5, 0x3e928af3
	v_rndne_f64_e32 v[31:32], v[31:32]
	v_fma_f64 v[33:34], v[31:32], s[16:17], v[23:24]
	v_cvt_i32_f64_e32 v0, v[31:32]
	s_mov_b32 s17, 0x3fe62e42
	v_fma_f64 v[33:34], v[31:32], s[18:19], v[33:34]
	s_mov_b32 s19, 0x3c7abc9e
	v_fma_f64 v[35:36], v[33:34], s[34:35], s[4:5]
	s_mov_b32 s4, 0x623fde64
	s_mov_b32 s5, 0x3ec71dee
	;; [unrolled: 1-line block ×4, first 2 shown]
	v_fma_f64 v[35:36], v[33:34], v[35:36], s[4:5]
	s_mov_b32 s4, 0x7c89e6b0
	s_mov_b32 s5, 0x3efa0199
	v_fma_f64 v[35:36], v[33:34], v[35:36], s[4:5]
	s_mov_b32 s4, 0x14761f6e
	s_mov_b32 s5, 0x3f2a01a0
	;; [unrolled: 3-line block ×7, first 2 shown]
	v_fma_f64 v[35:36], v[33:34], v[35:36], s[4:5]
	v_cmp_nlt_f64_e64 s4, 0x40900000, v[23:24]
	v_cmp_ngt_f64_e64 s5, 0xc090cc00, v[23:24]
	v_fma_f64 v[35:36], v[33:34], v[35:36], 1.0
	v_fma_f64 v[31:32], v[33:34], v[35:36], 1.0
	v_ldexp_f64 v[31:32], v[31:32], v0
	v_cndmask_b32_e64 v0, 0x7ff00000, v32, s4
	s_and_b32 s4, s5, s4
	v_cndmask_b32_e64 v23, 0, v31, s4
	s_mov_b32 s4, 0x55555555
	v_cndmask_b32_e64 v24, 0, v0, s5
	s_mov_b32 s5, 0x3fe55555
	v_add_f64 v[31:32], v[23:24], 1.0
	v_cmp_ngt_f64_e64 s15, -1.0, v[23:24]
	v_frexp_mant_f64_e32 v[33:34], v[31:32]
	v_frexp_exp_i32_f64_e32 v0, v[31:32]
	v_add_f64 v[35:36], v[31:32], -1.0
	v_cmp_gt_f64_e64 s4, s[4:5], v[33:34]
	v_add_f64 v[33:34], v[35:36], -v[31:32]
	v_add_f64 v[35:36], v[23:24], -v[35:36]
	v_subrev_co_ci_u32_e64 v0, null, 0, v0, s4
	v_add_f64 v[33:34], v[33:34], 1.0
	s_mov_b32 s4, 0x55555780
	v_sub_nc_u32_e32 v55, 0, v0
	v_ldexp_f64 v[31:32], v[31:32], v55
	v_add_f64 v[33:34], v[35:36], v[33:34]
	v_add_f64 v[37:38], v[31:32], 1.0
	v_add_f64 v[59:60], v[31:32], -1.0
	v_ldexp_f64 v[33:34], v[33:34], v55
	v_add_f64 v[35:36], v[37:38], -1.0
	s_waitcnt lgkmcnt(0)
	v_add_f64 v[61:62], v[59:60], 1.0
	v_add_f64 v[35:36], v[31:32], -v[35:36]
	v_add_f64 v[31:32], v[31:32], -v[61:62]
	v_add_f64 v[35:36], v[33:34], v[35:36]
	v_add_f64 v[31:32], v[33:34], v[31:32]
	;; [unrolled: 1-line block ×4, first 2 shown]
	v_rcp_f64_e32 v[57:58], v[55:56]
	v_add_f64 v[37:38], v[55:56], -v[37:38]
	v_add_f64 v[59:60], v[61:62], -v[59:60]
	;; [unrolled: 1-line block ×3, first 2 shown]
	v_fma_f64 v[63:64], -v[55:56], v[57:58], 1.0
	v_add_f64 v[31:32], v[31:32], -v[59:60]
	v_fma_f64 v[57:58], v[63:64], v[57:58], v[57:58]
	v_fma_f64 v[33:34], -v[55:56], v[57:58], 1.0
	v_fma_f64 v[33:34], v[33:34], v[57:58], v[57:58]
	v_mul_f64 v[57:58], v[61:62], v[33:34]
	v_mul_f64 v[63:64], v[55:56], v[57:58]
	v_fma_f64 v[37:38], v[57:58], v[55:56], -v[63:64]
	v_fma_f64 v[37:38], v[57:58], v[35:36], v[37:38]
	v_add_f64 v[65:66], v[63:64], v[37:38]
	v_add_f64 v[67:68], v[61:62], -v[65:66]
	v_add_f64 v[59:60], v[65:66], -v[63:64]
	;; [unrolled: 1-line block ×5, first 2 shown]
	v_add_f64 v[31:32], v[31:32], v[61:62]
	v_add_f64 v[31:32], v[37:38], v[31:32]
	;; [unrolled: 1-line block ×3, first 2 shown]
	v_mul_f64 v[59:60], v[33:34], v[37:38]
	v_add_f64 v[65:66], v[67:68], -v[37:38]
	v_mul_f64 v[61:62], v[55:56], v[59:60]
	v_add_f64 v[31:32], v[31:32], v[65:66]
	v_fma_f64 v[55:56], v[59:60], v[55:56], -v[61:62]
	v_fma_f64 v[35:36], v[59:60], v[35:36], v[55:56]
	v_add_f64 v[55:56], v[61:62], v[35:36]
	v_add_f64 v[63:64], v[37:38], -v[55:56]
	v_add_f64 v[61:62], v[55:56], -v[61:62]
	;; [unrolled: 1-line block ×5, first 2 shown]
	v_add_f64 v[31:32], v[31:32], v[37:38]
	v_add_f64 v[37:38], v[57:58], v[59:60]
	;; [unrolled: 1-line block ×3, first 2 shown]
	v_add_f64 v[35:36], v[37:38], -v[57:58]
	v_add_f64 v[31:32], v[63:64], v[31:32]
	v_add_f64 v[35:36], v[59:60], -v[35:36]
	v_mul_f64 v[31:32], v[33:34], v[31:32]
	v_add_f64 v[31:32], v[35:36], v[31:32]
	v_add_f64 v[33:34], v[37:38], v[31:32]
	v_mul_f64 v[35:36], v[33:34], v[33:34]
	v_fma_f64 v[55:56], v[35:36], s[36:37], s[34:35]
	s_mov_b32 s34, 0xd7f4df2e
	s_mov_b32 s35, 0x3fc7474d
	v_mul_f64 v[57:58], v[33:34], v[35:36]
	v_fma_f64 v[55:56], v[35:36], v[55:56], s[34:35]
	s_mov_b32 s34, 0x16291751
	s_mov_b32 s35, 0x3fcc71c0
	v_fma_f64 v[55:56], v[35:36], v[55:56], s[34:35]
	s_mov_b32 s34, 0x9b27acf1
	s_mov_b32 s35, 0x3fd24924
	v_fma_f64 v[55:56], v[35:36], v[55:56], s[34:35]
	s_mov_b32 s34, 0x998ef7b6
	s_mov_b32 s35, 0x3fd99999
	v_fma_f64 v[55:56], v[35:36], v[55:56], s[34:35]
	v_fma_f64 v[35:36], v[35:36], v[55:56], s[4:5]
	v_ldexp_f64 v[55:56], v[33:34], 1
	v_add_f64 v[33:34], v[33:34], -v[37:38]
	v_cmp_nge_f64_e64 s4, -1.0, v[23:24]
	v_cmp_neq_f64_e64 s5, 0x7ff00000, v[23:24]
	v_mul_f64 v[35:36], v[57:58], v[35:36]
	v_cvt_f64_i32_e32 v[57:58], v0
	v_add_f64 v[31:32], v[31:32], -v[33:34]
	s_and_b32 s4, s4, s5
	v_add_f64 v[37:38], v[55:56], v[35:36]
	v_mul_f64 v[59:60], v[57:58], s[16:17]
	v_ldexp_f64 v[31:32], v[31:32], 1
	v_add_f64 v[33:34], v[37:38], -v[55:56]
	v_fma_f64 v[55:56], v[57:58], s[16:17], -v[59:60]
	v_add_f64 v[33:34], v[35:36], -v[33:34]
	v_fma_f64 v[35:36], v[57:58], s[18:19], v[55:56]
	v_add_f64 v[31:32], v[31:32], v[33:34]
	v_add_f64 v[33:34], v[59:60], v[35:36]
	;; [unrolled: 1-line block ×3, first 2 shown]
	v_add_f64 v[59:60], v[33:34], -v[59:60]
	v_add_f64 v[57:58], v[33:34], v[55:56]
	v_add_f64 v[37:38], v[55:56], -v[37:38]
	v_add_f64 v[35:36], v[35:36], -v[59:60]
	;; [unrolled: 1-line block ×6, first 2 shown]
	v_add_f64 v[55:56], v[35:36], v[31:32]
	v_add_f64 v[33:34], v[33:34], -v[63:64]
	v_add_f64 v[33:34], v[37:38], v[33:34]
	v_add_f64 v[37:38], v[55:56], -v[35:36]
	;; [unrolled: 2-line block ×3, first 2 shown]
	v_add_f64 v[31:32], v[31:32], -v[37:38]
	v_add_f64 v[59:60], v[57:58], v[33:34]
	v_add_f64 v[35:36], v[35:36], -v[55:56]
	v_add_f64 v[37:38], v[59:60], -v[57:58]
	v_add_f64 v[31:32], v[31:32], v[35:36]
	v_add_f64 v[33:34], v[33:34], -v[37:38]
	v_add_f64 v[31:32], v[31:32], v[33:34]
	v_add_f64 v[31:32], v[59:60], v[31:32]
	v_cndmask_b32_e64 v31, 0, v31, s4
	v_cmp_neq_f64_e64 s4, -1.0, v[23:24]
	v_cndmask_b32_e64 v0, 0x7ff00000, v32, s5
	v_cndmask_b32_e64 v0, 0x7ff80000, v0, s15
	;; [unrolled: 1-line block ×3, first 2 shown]
	v_add_f64 v[23:24], v[29:30], v[31:32]
.LBB83_104:
	s_or_b32 exec_lo, exec_lo, s28
	v_max_f64 v[29:30], v[23:24], v[23:24]
	v_cmp_u_f64_e64 s4, v[23:24], v[23:24]
	v_min_f64 v[31:32], v[29:30], v[39:40]
	v_max_f64 v[29:30], v[29:30], v[39:40]
	v_cndmask_b32_e64 v0, v31, v23, s4
	v_cndmask_b32_e64 v31, v32, v24, s4
	v_cndmask_b32_e64 v30, v30, v24, s4
	v_cndmask_b32_e64 v29, v29, v23, s4
	v_cndmask_b32_e64 v32, v31, v18, s20
	v_cndmask_b32_e64 v31, v0, v17, s20
	v_cndmask_b32_e64 v30, v30, v18, s20
	v_cndmask_b32_e64 v29, v29, v17, s20
	v_mov_b32_e32 v17, v23
	v_mov_b32_e32 v18, v24
	v_cmp_class_f64_e64 s5, v[31:32], 0x1f8
	v_cmp_neq_f64_e64 s4, v[31:32], v[29:30]
	s_or_b32 s4, s4, s5
	s_and_saveexec_b32 s20, s4
	s_cbranch_execz .LBB83_106
; %bb.105:
	v_add_f64 v[17:18], v[31:32], -v[29:30]
	s_mov_b32 s4, 0x652b82fe
	s_mov_b32 s5, 0x3ff71547
	;; [unrolled: 1-line block ×10, first 2 shown]
	v_mul_f64 v[31:32], v[17:18], s[4:5]
	s_mov_b32 s4, 0xfca7ab0c
	s_mov_b32 s5, 0x3e928af3
	v_rndne_f64_e32 v[31:32], v[31:32]
	v_fma_f64 v[33:34], v[31:32], s[16:17], v[17:18]
	v_cvt_i32_f64_e32 v0, v[31:32]
	s_mov_b32 s17, 0x3fe62e42
	v_fma_f64 v[33:34], v[31:32], s[18:19], v[33:34]
	s_mov_b32 s19, 0x3c7abc9e
	v_fma_f64 v[35:36], v[33:34], s[28:29], s[4:5]
	s_mov_b32 s4, 0x623fde64
	s_mov_b32 s5, 0x3ec71dee
	;; [unrolled: 1-line block ×4, first 2 shown]
	v_fma_f64 v[35:36], v[33:34], v[35:36], s[4:5]
	s_mov_b32 s4, 0x7c89e6b0
	s_mov_b32 s5, 0x3efa0199
	v_fma_f64 v[35:36], v[33:34], v[35:36], s[4:5]
	s_mov_b32 s4, 0x14761f6e
	s_mov_b32 s5, 0x3f2a01a0
	;; [unrolled: 3-line block ×7, first 2 shown]
	v_fma_f64 v[35:36], v[33:34], v[35:36], s[4:5]
	v_cmp_nlt_f64_e64 s4, 0x40900000, v[17:18]
	v_cmp_ngt_f64_e64 s5, 0xc090cc00, v[17:18]
	v_fma_f64 v[35:36], v[33:34], v[35:36], 1.0
	v_fma_f64 v[31:32], v[33:34], v[35:36], 1.0
	v_ldexp_f64 v[31:32], v[31:32], v0
	v_cndmask_b32_e64 v0, 0x7ff00000, v32, s4
	s_and_b32 s4, s5, s4
	v_cndmask_b32_e64 v17, 0, v31, s4
	s_mov_b32 s4, 0x55555555
	v_cndmask_b32_e64 v18, 0, v0, s5
	s_mov_b32 s5, 0x3fe55555
	v_add_f64 v[31:32], v[17:18], 1.0
	v_cmp_ngt_f64_e64 s15, -1.0, v[17:18]
	v_frexp_mant_f64_e32 v[33:34], v[31:32]
	v_frexp_exp_i32_f64_e32 v0, v[31:32]
	v_add_f64 v[35:36], v[31:32], -1.0
	v_cmp_gt_f64_e64 s4, s[4:5], v[33:34]
	v_add_f64 v[33:34], v[35:36], -v[31:32]
	v_add_f64 v[35:36], v[17:18], -v[35:36]
	v_subrev_co_ci_u32_e64 v0, null, 0, v0, s4
	v_add_f64 v[33:34], v[33:34], 1.0
	s_mov_b32 s4, 0x55555780
	v_sub_nc_u32_e32 v39, 0, v0
	v_ldexp_f64 v[31:32], v[31:32], v39
	v_add_f64 v[33:34], v[35:36], v[33:34]
	v_add_f64 v[37:38], v[31:32], 1.0
	v_add_f64 v[57:58], v[31:32], -1.0
	v_ldexp_f64 v[33:34], v[33:34], v39
	v_add_f64 v[35:36], v[37:38], -1.0
	v_add_f64 v[59:60], v[57:58], 1.0
	v_add_f64 v[35:36], v[31:32], -v[35:36]
	v_add_f64 v[31:32], v[31:32], -v[59:60]
	v_add_f64 v[35:36], v[33:34], v[35:36]
	v_add_f64 v[31:32], v[33:34], v[31:32]
	;; [unrolled: 1-line block ×4, first 2 shown]
	v_rcp_f64_e32 v[55:56], v[39:40]
	v_add_f64 v[37:38], v[39:40], -v[37:38]
	v_add_f64 v[57:58], v[59:60], -v[57:58]
	;; [unrolled: 1-line block ×3, first 2 shown]
	s_waitcnt lgkmcnt(0)
	v_fma_f64 v[61:62], -v[39:40], v[55:56], 1.0
	v_add_f64 v[31:32], v[31:32], -v[57:58]
	v_fma_f64 v[55:56], v[61:62], v[55:56], v[55:56]
	v_fma_f64 v[33:34], -v[39:40], v[55:56], 1.0
	v_fma_f64 v[33:34], v[33:34], v[55:56], v[55:56]
	v_mul_f64 v[55:56], v[59:60], v[33:34]
	v_mul_f64 v[61:62], v[39:40], v[55:56]
	v_fma_f64 v[37:38], v[55:56], v[39:40], -v[61:62]
	v_fma_f64 v[37:38], v[55:56], v[35:36], v[37:38]
	v_add_f64 v[63:64], v[61:62], v[37:38]
	v_add_f64 v[65:66], v[59:60], -v[63:64]
	v_add_f64 v[57:58], v[63:64], -v[61:62]
	;; [unrolled: 1-line block ×5, first 2 shown]
	v_add_f64 v[31:32], v[31:32], v[59:60]
	v_add_f64 v[31:32], v[37:38], v[31:32]
	;; [unrolled: 1-line block ×3, first 2 shown]
	v_mul_f64 v[57:58], v[33:34], v[37:38]
	v_add_f64 v[63:64], v[65:66], -v[37:38]
	v_mul_f64 v[59:60], v[39:40], v[57:58]
	v_add_f64 v[31:32], v[31:32], v[63:64]
	v_fma_f64 v[39:40], v[57:58], v[39:40], -v[59:60]
	v_fma_f64 v[35:36], v[57:58], v[35:36], v[39:40]
	v_add_f64 v[39:40], v[59:60], v[35:36]
	v_add_f64 v[61:62], v[37:38], -v[39:40]
	v_add_f64 v[59:60], v[39:40], -v[59:60]
	;; [unrolled: 1-line block ×5, first 2 shown]
	v_add_f64 v[31:32], v[31:32], v[37:38]
	v_add_f64 v[37:38], v[55:56], v[57:58]
	;; [unrolled: 1-line block ×3, first 2 shown]
	v_add_f64 v[35:36], v[37:38], -v[55:56]
	v_add_f64 v[31:32], v[61:62], v[31:32]
	v_add_f64 v[35:36], v[57:58], -v[35:36]
	v_mul_f64 v[31:32], v[33:34], v[31:32]
	v_add_f64 v[31:32], v[35:36], v[31:32]
	v_add_f64 v[33:34], v[37:38], v[31:32]
	v_mul_f64 v[35:36], v[33:34], v[33:34]
	v_fma_f64 v[39:40], v[35:36], s[34:35], s[28:29]
	s_mov_b32 s28, 0xd7f4df2e
	s_mov_b32 s29, 0x3fc7474d
	v_mul_f64 v[55:56], v[33:34], v[35:36]
	v_fma_f64 v[39:40], v[35:36], v[39:40], s[28:29]
	s_mov_b32 s28, 0x16291751
	s_mov_b32 s29, 0x3fcc71c0
	v_fma_f64 v[39:40], v[35:36], v[39:40], s[28:29]
	s_mov_b32 s28, 0x9b27acf1
	s_mov_b32 s29, 0x3fd24924
	;; [unrolled: 3-line block ×3, first 2 shown]
	v_fma_f64 v[39:40], v[35:36], v[39:40], s[28:29]
	v_fma_f64 v[35:36], v[35:36], v[39:40], s[4:5]
	v_ldexp_f64 v[39:40], v[33:34], 1
	v_add_f64 v[33:34], v[33:34], -v[37:38]
	v_cmp_nge_f64_e64 s4, -1.0, v[17:18]
	v_cmp_neq_f64_e64 s5, 0x7ff00000, v[17:18]
	v_mul_f64 v[35:36], v[55:56], v[35:36]
	v_cvt_f64_i32_e32 v[55:56], v0
	v_add_f64 v[31:32], v[31:32], -v[33:34]
	s_and_b32 s4, s4, s5
	v_add_f64 v[37:38], v[39:40], v[35:36]
	v_mul_f64 v[57:58], v[55:56], s[16:17]
	v_ldexp_f64 v[31:32], v[31:32], 1
	v_add_f64 v[33:34], v[37:38], -v[39:40]
	v_fma_f64 v[39:40], v[55:56], s[16:17], -v[57:58]
	v_add_f64 v[33:34], v[35:36], -v[33:34]
	v_fma_f64 v[35:36], v[55:56], s[18:19], v[39:40]
	v_add_f64 v[31:32], v[31:32], v[33:34]
	v_add_f64 v[33:34], v[57:58], v[35:36]
	;; [unrolled: 1-line block ×3, first 2 shown]
	v_add_f64 v[57:58], v[33:34], -v[57:58]
	v_add_f64 v[55:56], v[33:34], v[39:40]
	v_add_f64 v[37:38], v[39:40], -v[37:38]
	v_add_f64 v[35:36], v[35:36], -v[57:58]
	;; [unrolled: 1-line block ×6, first 2 shown]
	v_add_f64 v[39:40], v[35:36], v[31:32]
	v_add_f64 v[33:34], v[33:34], -v[61:62]
	v_add_f64 v[33:34], v[37:38], v[33:34]
	v_add_f64 v[37:38], v[39:40], -v[35:36]
	;; [unrolled: 2-line block ×3, first 2 shown]
	v_add_f64 v[31:32], v[31:32], -v[37:38]
	v_add_f64 v[57:58], v[55:56], v[33:34]
	v_add_f64 v[35:36], v[35:36], -v[39:40]
	v_add_f64 v[37:38], v[57:58], -v[55:56]
	v_add_f64 v[31:32], v[31:32], v[35:36]
	v_add_f64 v[33:34], v[33:34], -v[37:38]
	v_add_f64 v[31:32], v[31:32], v[33:34]
	v_add_f64 v[31:32], v[57:58], v[31:32]
	v_cndmask_b32_e64 v31, 0, v31, s4
	v_cmp_neq_f64_e64 s4, -1.0, v[17:18]
	v_cndmask_b32_e64 v0, 0x7ff00000, v32, s5
	v_cndmask_b32_e64 v0, 0x7ff80000, v0, s15
	;; [unrolled: 1-line block ×3, first 2 shown]
	v_add_f64 v[17:18], v[29:30], v[31:32]
.LBB83_106:
	s_or_b32 exec_lo, exec_lo, s20
	v_max_f64 v[29:30], v[17:18], v[17:18]
	v_cmp_u_f64_e64 s4, v[17:18], v[17:18]
	v_min_f64 v[31:32], v[29:30], v[41:42]
	v_max_f64 v[29:30], v[29:30], v[41:42]
	v_cndmask_b32_e64 v0, v31, v17, s4
	v_cndmask_b32_e64 v31, v32, v18, s4
	;; [unrolled: 1-line block ×8, first 2 shown]
	v_mov_b32_e32 v20, v18
	v_mov_b32_e32 v19, v17
	v_cmp_class_f64_e64 s5, v[31:32], 0x1f8
	v_cmp_neq_f64_e64 s4, v[31:32], v[29:30]
	s_or_b32 s4, s4, s5
	s_and_saveexec_b32 s20, s4
	s_cbranch_execz .LBB83_108
; %bb.107:
	v_add_f64 v[19:20], v[31:32], -v[29:30]
	s_mov_b32 s4, 0x652b82fe
	s_mov_b32 s5, 0x3ff71547
	;; [unrolled: 1-line block ×10, first 2 shown]
	v_mul_f64 v[31:32], v[19:20], s[4:5]
	s_mov_b32 s4, 0xfca7ab0c
	s_mov_b32 s5, 0x3e928af3
	v_rndne_f64_e32 v[31:32], v[31:32]
	v_fma_f64 v[33:34], v[31:32], s[16:17], v[19:20]
	v_cvt_i32_f64_e32 v0, v[31:32]
	s_mov_b32 s17, 0x3fe62e42
	v_fma_f64 v[33:34], v[31:32], s[18:19], v[33:34]
	s_mov_b32 s19, 0x3c7abc9e
	v_fma_f64 v[35:36], v[33:34], s[28:29], s[4:5]
	s_mov_b32 s4, 0x623fde64
	s_mov_b32 s5, 0x3ec71dee
	;; [unrolled: 1-line block ×4, first 2 shown]
	v_fma_f64 v[35:36], v[33:34], v[35:36], s[4:5]
	s_mov_b32 s4, 0x7c89e6b0
	s_mov_b32 s5, 0x3efa0199
	v_fma_f64 v[35:36], v[33:34], v[35:36], s[4:5]
	s_mov_b32 s4, 0x14761f6e
	s_mov_b32 s5, 0x3f2a01a0
	;; [unrolled: 3-line block ×7, first 2 shown]
	v_fma_f64 v[35:36], v[33:34], v[35:36], s[4:5]
	v_cmp_nlt_f64_e64 s4, 0x40900000, v[19:20]
	v_cmp_ngt_f64_e64 s5, 0xc090cc00, v[19:20]
	v_fma_f64 v[35:36], v[33:34], v[35:36], 1.0
	v_fma_f64 v[31:32], v[33:34], v[35:36], 1.0
	v_ldexp_f64 v[31:32], v[31:32], v0
	v_cndmask_b32_e64 v0, 0x7ff00000, v32, s4
	s_and_b32 s4, s5, s4
	v_cndmask_b32_e64 v19, 0, v31, s4
	s_mov_b32 s4, 0x55555555
	v_cndmask_b32_e64 v20, 0, v0, s5
	s_mov_b32 s5, 0x3fe55555
	v_add_f64 v[31:32], v[19:20], 1.0
	v_cmp_ngt_f64_e64 s15, -1.0, v[19:20]
	v_frexp_mant_f64_e32 v[33:34], v[31:32]
	v_frexp_exp_i32_f64_e32 v0, v[31:32]
	v_add_f64 v[35:36], v[31:32], -1.0
	v_cmp_gt_f64_e64 s4, s[4:5], v[33:34]
	v_add_f64 v[33:34], v[35:36], -v[31:32]
	v_add_f64 v[35:36], v[19:20], -v[35:36]
	v_subrev_co_ci_u32_e64 v0, null, 0, v0, s4
	v_add_f64 v[33:34], v[33:34], 1.0
	s_mov_b32 s4, 0x55555780
	v_sub_nc_u32_e32 v39, 0, v0
	v_ldexp_f64 v[31:32], v[31:32], v39
	v_add_f64 v[33:34], v[35:36], v[33:34]
	v_add_f64 v[37:38], v[31:32], 1.0
	v_add_f64 v[55:56], v[31:32], -1.0
	v_ldexp_f64 v[33:34], v[33:34], v39
	v_add_f64 v[35:36], v[37:38], -1.0
	v_add_f64 v[57:58], v[55:56], 1.0
	v_add_f64 v[35:36], v[31:32], -v[35:36]
	v_add_f64 v[31:32], v[31:32], -v[57:58]
	v_add_f64 v[35:36], v[33:34], v[35:36]
	v_add_f64 v[31:32], v[33:34], v[31:32]
	;; [unrolled: 1-line block ×4, first 2 shown]
	v_rcp_f64_e32 v[41:42], v[39:40]
	v_add_f64 v[37:38], v[39:40], -v[37:38]
	v_add_f64 v[55:56], v[57:58], -v[55:56]
	;; [unrolled: 1-line block ×3, first 2 shown]
	v_fma_f64 v[59:60], -v[39:40], v[41:42], 1.0
	v_add_f64 v[31:32], v[31:32], -v[55:56]
	v_fma_f64 v[41:42], v[59:60], v[41:42], v[41:42]
	v_fma_f64 v[33:34], -v[39:40], v[41:42], 1.0
	v_fma_f64 v[33:34], v[33:34], v[41:42], v[41:42]
	v_mul_f64 v[41:42], v[57:58], v[33:34]
	v_mul_f64 v[59:60], v[39:40], v[41:42]
	v_fma_f64 v[37:38], v[41:42], v[39:40], -v[59:60]
	v_fma_f64 v[37:38], v[41:42], v[35:36], v[37:38]
	s_waitcnt lgkmcnt(0)
	v_add_f64 v[61:62], v[59:60], v[37:38]
	v_add_f64 v[63:64], v[57:58], -v[61:62]
	v_add_f64 v[55:56], v[61:62], -v[59:60]
	;; [unrolled: 1-line block ×5, first 2 shown]
	v_add_f64 v[31:32], v[31:32], v[57:58]
	v_add_f64 v[31:32], v[37:38], v[31:32]
	;; [unrolled: 1-line block ×3, first 2 shown]
	v_mul_f64 v[55:56], v[33:34], v[37:38]
	v_add_f64 v[61:62], v[63:64], -v[37:38]
	v_mul_f64 v[57:58], v[39:40], v[55:56]
	v_add_f64 v[31:32], v[31:32], v[61:62]
	v_fma_f64 v[39:40], v[55:56], v[39:40], -v[57:58]
	v_fma_f64 v[35:36], v[55:56], v[35:36], v[39:40]
	v_add_f64 v[39:40], v[57:58], v[35:36]
	v_add_f64 v[59:60], v[37:38], -v[39:40]
	v_add_f64 v[57:58], v[39:40], -v[57:58]
	;; [unrolled: 1-line block ×5, first 2 shown]
	v_add_f64 v[31:32], v[31:32], v[37:38]
	v_add_f64 v[37:38], v[41:42], v[55:56]
	;; [unrolled: 1-line block ×3, first 2 shown]
	v_add_f64 v[35:36], v[37:38], -v[41:42]
	v_add_f64 v[31:32], v[59:60], v[31:32]
	v_add_f64 v[35:36], v[55:56], -v[35:36]
	v_mul_f64 v[31:32], v[33:34], v[31:32]
	v_add_f64 v[31:32], v[35:36], v[31:32]
	v_add_f64 v[33:34], v[37:38], v[31:32]
	v_mul_f64 v[35:36], v[33:34], v[33:34]
	v_fma_f64 v[39:40], v[35:36], s[34:35], s[28:29]
	s_mov_b32 s28, 0xd7f4df2e
	s_mov_b32 s29, 0x3fc7474d
	v_mul_f64 v[41:42], v[33:34], v[35:36]
	v_fma_f64 v[39:40], v[35:36], v[39:40], s[28:29]
	s_mov_b32 s28, 0x16291751
	s_mov_b32 s29, 0x3fcc71c0
	v_fma_f64 v[39:40], v[35:36], v[39:40], s[28:29]
	s_mov_b32 s28, 0x9b27acf1
	s_mov_b32 s29, 0x3fd24924
	;; [unrolled: 3-line block ×3, first 2 shown]
	v_fma_f64 v[39:40], v[35:36], v[39:40], s[28:29]
	v_fma_f64 v[35:36], v[35:36], v[39:40], s[4:5]
	v_ldexp_f64 v[39:40], v[33:34], 1
	v_add_f64 v[33:34], v[33:34], -v[37:38]
	v_cmp_nge_f64_e64 s4, -1.0, v[19:20]
	v_cmp_neq_f64_e64 s5, 0x7ff00000, v[19:20]
	v_mul_f64 v[35:36], v[41:42], v[35:36]
	v_cvt_f64_i32_e32 v[41:42], v0
	v_add_f64 v[31:32], v[31:32], -v[33:34]
	s_and_b32 s4, s4, s5
	v_add_f64 v[37:38], v[39:40], v[35:36]
	v_mul_f64 v[55:56], v[41:42], s[16:17]
	v_ldexp_f64 v[31:32], v[31:32], 1
	v_add_f64 v[33:34], v[37:38], -v[39:40]
	v_fma_f64 v[39:40], v[41:42], s[16:17], -v[55:56]
	v_add_f64 v[33:34], v[35:36], -v[33:34]
	v_fma_f64 v[35:36], v[41:42], s[18:19], v[39:40]
	v_add_f64 v[31:32], v[31:32], v[33:34]
	v_add_f64 v[33:34], v[55:56], v[35:36]
	;; [unrolled: 1-line block ×3, first 2 shown]
	v_add_f64 v[55:56], v[33:34], -v[55:56]
	v_add_f64 v[41:42], v[33:34], v[39:40]
	v_add_f64 v[37:38], v[39:40], -v[37:38]
	v_add_f64 v[35:36], v[35:36], -v[55:56]
	;; [unrolled: 1-line block ×6, first 2 shown]
	v_add_f64 v[39:40], v[35:36], v[31:32]
	v_add_f64 v[33:34], v[33:34], -v[59:60]
	v_add_f64 v[33:34], v[37:38], v[33:34]
	v_add_f64 v[37:38], v[39:40], -v[35:36]
	;; [unrolled: 2-line block ×3, first 2 shown]
	v_add_f64 v[31:32], v[31:32], -v[37:38]
	v_add_f64 v[55:56], v[41:42], v[33:34]
	v_add_f64 v[35:36], v[35:36], -v[39:40]
	v_add_f64 v[37:38], v[55:56], -v[41:42]
	v_add_f64 v[31:32], v[31:32], v[35:36]
	v_add_f64 v[33:34], v[33:34], -v[37:38]
	v_add_f64 v[31:32], v[31:32], v[33:34]
	v_add_f64 v[31:32], v[55:56], v[31:32]
	v_cndmask_b32_e64 v31, 0, v31, s4
	v_cmp_neq_f64_e64 s4, -1.0, v[19:20]
	v_cndmask_b32_e64 v0, 0x7ff00000, v32, s5
	v_cndmask_b32_e64 v0, 0x7ff80000, v0, s15
	;; [unrolled: 1-line block ×3, first 2 shown]
	v_add_f64 v[19:20], v[29:30], v[31:32]
.LBB83_108:
	s_or_b32 exec_lo, exec_lo, s20
	v_max_f64 v[29:30], v[19:20], v[19:20]
	v_cmp_u_f64_e64 s4, v[19:20], v[19:20]
	v_min_f64 v[31:32], v[29:30], v[43:44]
	v_max_f64 v[29:30], v[29:30], v[43:44]
	v_cndmask_b32_e64 v0, v31, v19, s4
	v_cndmask_b32_e64 v31, v32, v20, s4
	;; [unrolled: 1-line block ×8, first 2 shown]
	v_mov_b32_e32 v13, v19
	v_mov_b32_e32 v14, v20
	v_cmp_class_f64_e64 s5, v[31:32], 0x1f8
	v_cmp_neq_f64_e64 s4, v[31:32], v[29:30]
	s_or_b32 s4, s4, s5
	s_and_saveexec_b32 s20, s4
	s_cbranch_execz .LBB83_110
; %bb.109:
	v_add_f64 v[13:14], v[31:32], -v[29:30]
	s_mov_b32 s4, 0x652b82fe
	s_mov_b32 s5, 0x3ff71547
	;; [unrolled: 1-line block ×10, first 2 shown]
	v_mul_f64 v[31:32], v[13:14], s[4:5]
	s_mov_b32 s4, 0xfca7ab0c
	s_mov_b32 s5, 0x3e928af3
	v_rndne_f64_e32 v[31:32], v[31:32]
	v_fma_f64 v[33:34], v[31:32], s[16:17], v[13:14]
	v_cvt_i32_f64_e32 v0, v[31:32]
	s_mov_b32 s17, 0x3fe62e42
	v_fma_f64 v[33:34], v[31:32], s[18:19], v[33:34]
	s_mov_b32 s19, 0x3c7abc9e
	v_fma_f64 v[35:36], v[33:34], s[28:29], s[4:5]
	s_mov_b32 s4, 0x623fde64
	s_mov_b32 s5, 0x3ec71dee
	;; [unrolled: 1-line block ×4, first 2 shown]
	v_fma_f64 v[35:36], v[33:34], v[35:36], s[4:5]
	s_mov_b32 s4, 0x7c89e6b0
	s_mov_b32 s5, 0x3efa0199
	v_fma_f64 v[35:36], v[33:34], v[35:36], s[4:5]
	s_mov_b32 s4, 0x14761f6e
	s_mov_b32 s5, 0x3f2a01a0
	;; [unrolled: 3-line block ×7, first 2 shown]
	v_fma_f64 v[35:36], v[33:34], v[35:36], s[4:5]
	v_cmp_nlt_f64_e64 s4, 0x40900000, v[13:14]
	v_cmp_ngt_f64_e64 s5, 0xc090cc00, v[13:14]
	v_fma_f64 v[35:36], v[33:34], v[35:36], 1.0
	v_fma_f64 v[31:32], v[33:34], v[35:36], 1.0
	v_ldexp_f64 v[31:32], v[31:32], v0
	v_cndmask_b32_e64 v0, 0x7ff00000, v32, s4
	s_and_b32 s4, s5, s4
	v_cndmask_b32_e64 v13, 0, v31, s4
	s_mov_b32 s4, 0x55555555
	v_cndmask_b32_e64 v14, 0, v0, s5
	s_mov_b32 s5, 0x3fe55555
	v_add_f64 v[31:32], v[13:14], 1.0
	v_cmp_ngt_f64_e64 s15, -1.0, v[13:14]
	v_frexp_mant_f64_e32 v[33:34], v[31:32]
	v_frexp_exp_i32_f64_e32 v0, v[31:32]
	v_add_f64 v[35:36], v[31:32], -1.0
	v_cmp_gt_f64_e64 s4, s[4:5], v[33:34]
	v_add_f64 v[33:34], v[35:36], -v[31:32]
	v_add_f64 v[35:36], v[13:14], -v[35:36]
	v_subrev_co_ci_u32_e64 v0, null, 0, v0, s4
	v_add_f64 v[33:34], v[33:34], 1.0
	s_mov_b32 s4, 0x55555780
	v_sub_nc_u32_e32 v39, 0, v0
	v_ldexp_f64 v[31:32], v[31:32], v39
	v_add_f64 v[33:34], v[35:36], v[33:34]
	v_add_f64 v[37:38], v[31:32], 1.0
	v_add_f64 v[43:44], v[31:32], -1.0
	v_ldexp_f64 v[33:34], v[33:34], v39
	v_add_f64 v[35:36], v[37:38], -1.0
	v_add_f64 v[55:56], v[43:44], 1.0
	v_add_f64 v[35:36], v[31:32], -v[35:36]
	v_add_f64 v[31:32], v[31:32], -v[55:56]
	v_add_f64 v[35:36], v[33:34], v[35:36]
	v_add_f64 v[31:32], v[33:34], v[31:32]
	;; [unrolled: 1-line block ×4, first 2 shown]
	v_rcp_f64_e32 v[41:42], v[39:40]
	v_add_f64 v[37:38], v[39:40], -v[37:38]
	v_add_f64 v[43:44], v[55:56], -v[43:44]
	;; [unrolled: 1-line block ×3, first 2 shown]
	v_fma_f64 v[57:58], -v[39:40], v[41:42], 1.0
	v_add_f64 v[31:32], v[31:32], -v[43:44]
	v_fma_f64 v[41:42], v[57:58], v[41:42], v[41:42]
	v_fma_f64 v[33:34], -v[39:40], v[41:42], 1.0
	v_fma_f64 v[33:34], v[33:34], v[41:42], v[41:42]
	v_mul_f64 v[41:42], v[55:56], v[33:34]
	v_mul_f64 v[57:58], v[39:40], v[41:42]
	v_fma_f64 v[37:38], v[41:42], v[39:40], -v[57:58]
	v_fma_f64 v[37:38], v[41:42], v[35:36], v[37:38]
	v_add_f64 v[59:60], v[57:58], v[37:38]
	s_waitcnt lgkmcnt(0)
	v_add_f64 v[61:62], v[55:56], -v[59:60]
	v_add_f64 v[43:44], v[59:60], -v[57:58]
	;; [unrolled: 1-line block ×5, first 2 shown]
	v_add_f64 v[31:32], v[31:32], v[55:56]
	v_add_f64 v[31:32], v[37:38], v[31:32]
	;; [unrolled: 1-line block ×3, first 2 shown]
	v_mul_f64 v[43:44], v[33:34], v[37:38]
	v_add_f64 v[59:60], v[61:62], -v[37:38]
	v_mul_f64 v[55:56], v[39:40], v[43:44]
	v_add_f64 v[31:32], v[31:32], v[59:60]
	v_fma_f64 v[39:40], v[43:44], v[39:40], -v[55:56]
	v_fma_f64 v[35:36], v[43:44], v[35:36], v[39:40]
	v_add_f64 v[39:40], v[55:56], v[35:36]
	v_add_f64 v[57:58], v[37:38], -v[39:40]
	v_add_f64 v[55:56], v[39:40], -v[55:56]
	;; [unrolled: 1-line block ×5, first 2 shown]
	v_add_f64 v[31:32], v[31:32], v[37:38]
	v_add_f64 v[37:38], v[41:42], v[43:44]
	;; [unrolled: 1-line block ×3, first 2 shown]
	v_add_f64 v[35:36], v[37:38], -v[41:42]
	v_add_f64 v[31:32], v[57:58], v[31:32]
	v_add_f64 v[35:36], v[43:44], -v[35:36]
	v_mul_f64 v[31:32], v[33:34], v[31:32]
	v_add_f64 v[31:32], v[35:36], v[31:32]
	v_add_f64 v[33:34], v[37:38], v[31:32]
	v_mul_f64 v[35:36], v[33:34], v[33:34]
	v_fma_f64 v[39:40], v[35:36], s[34:35], s[28:29]
	s_mov_b32 s28, 0xd7f4df2e
	s_mov_b32 s29, 0x3fc7474d
	v_mul_f64 v[41:42], v[33:34], v[35:36]
	v_fma_f64 v[39:40], v[35:36], v[39:40], s[28:29]
	s_mov_b32 s28, 0x16291751
	s_mov_b32 s29, 0x3fcc71c0
	v_fma_f64 v[39:40], v[35:36], v[39:40], s[28:29]
	s_mov_b32 s28, 0x9b27acf1
	s_mov_b32 s29, 0x3fd24924
	;; [unrolled: 3-line block ×3, first 2 shown]
	v_fma_f64 v[39:40], v[35:36], v[39:40], s[28:29]
	v_fma_f64 v[35:36], v[35:36], v[39:40], s[4:5]
	v_ldexp_f64 v[39:40], v[33:34], 1
	v_add_f64 v[33:34], v[33:34], -v[37:38]
	v_cmp_nge_f64_e64 s4, -1.0, v[13:14]
	v_cmp_neq_f64_e64 s5, 0x7ff00000, v[13:14]
	v_mul_f64 v[35:36], v[41:42], v[35:36]
	v_cvt_f64_i32_e32 v[41:42], v0
	v_add_f64 v[31:32], v[31:32], -v[33:34]
	s_and_b32 s4, s4, s5
	v_add_f64 v[37:38], v[39:40], v[35:36]
	v_mul_f64 v[43:44], v[41:42], s[16:17]
	v_ldexp_f64 v[31:32], v[31:32], 1
	v_add_f64 v[33:34], v[37:38], -v[39:40]
	v_fma_f64 v[39:40], v[41:42], s[16:17], -v[43:44]
	v_add_f64 v[33:34], v[35:36], -v[33:34]
	v_fma_f64 v[35:36], v[41:42], s[18:19], v[39:40]
	v_add_f64 v[31:32], v[31:32], v[33:34]
	v_add_f64 v[33:34], v[43:44], v[35:36]
	;; [unrolled: 1-line block ×3, first 2 shown]
	v_add_f64 v[43:44], v[33:34], -v[43:44]
	v_add_f64 v[41:42], v[33:34], v[39:40]
	v_add_f64 v[37:38], v[39:40], -v[37:38]
	v_add_f64 v[35:36], v[35:36], -v[43:44]
	;; [unrolled: 1-line block ×6, first 2 shown]
	v_add_f64 v[39:40], v[35:36], v[31:32]
	v_add_f64 v[33:34], v[33:34], -v[57:58]
	v_add_f64 v[33:34], v[37:38], v[33:34]
	v_add_f64 v[37:38], v[39:40], -v[35:36]
	;; [unrolled: 2-line block ×3, first 2 shown]
	v_add_f64 v[31:32], v[31:32], -v[37:38]
	v_add_f64 v[43:44], v[41:42], v[33:34]
	v_add_f64 v[35:36], v[35:36], -v[39:40]
	v_add_f64 v[37:38], v[43:44], -v[41:42]
	v_add_f64 v[31:32], v[31:32], v[35:36]
	v_add_f64 v[33:34], v[33:34], -v[37:38]
	v_add_f64 v[31:32], v[31:32], v[33:34]
	v_add_f64 v[31:32], v[43:44], v[31:32]
	v_cndmask_b32_e64 v31, 0, v31, s4
	v_cmp_neq_f64_e64 s4, -1.0, v[13:14]
	v_cndmask_b32_e64 v0, 0x7ff00000, v32, s5
	v_cndmask_b32_e64 v0, 0x7ff80000, v0, s15
	;; [unrolled: 1-line block ×3, first 2 shown]
	v_add_f64 v[13:14], v[29:30], v[31:32]
.LBB83_110:
	s_or_b32 exec_lo, exec_lo, s20
	v_max_f64 v[29:30], v[13:14], v[13:14]
	v_cmp_u_f64_e64 s4, v[13:14], v[13:14]
	v_min_f64 v[31:32], v[29:30], v[45:46]
	v_max_f64 v[29:30], v[29:30], v[45:46]
	v_cndmask_b32_e64 v0, v31, v13, s4
	v_cndmask_b32_e64 v31, v32, v14, s4
	;; [unrolled: 1-line block ×8, first 2 shown]
	v_mov_b32_e32 v16, v14
	v_mov_b32_e32 v15, v13
	v_cmp_class_f64_e64 s5, v[31:32], 0x1f8
	v_cmp_neq_f64_e64 s4, v[31:32], v[29:30]
	s_or_b32 s4, s4, s5
	s_and_saveexec_b32 s20, s4
	s_cbranch_execz .LBB83_112
; %bb.111:
	v_add_f64 v[15:16], v[31:32], -v[29:30]
	s_mov_b32 s4, 0x652b82fe
	s_mov_b32 s5, 0x3ff71547
	;; [unrolled: 1-line block ×10, first 2 shown]
	v_mul_f64 v[31:32], v[15:16], s[4:5]
	s_mov_b32 s4, 0xfca7ab0c
	s_mov_b32 s5, 0x3e928af3
	v_rndne_f64_e32 v[31:32], v[31:32]
	v_fma_f64 v[33:34], v[31:32], s[16:17], v[15:16]
	v_cvt_i32_f64_e32 v0, v[31:32]
	s_mov_b32 s17, 0x3fe62e42
	v_fma_f64 v[33:34], v[31:32], s[18:19], v[33:34]
	s_mov_b32 s19, 0x3c7abc9e
	v_fma_f64 v[35:36], v[33:34], s[22:23], s[4:5]
	s_mov_b32 s4, 0x623fde64
	s_mov_b32 s5, 0x3ec71dee
	;; [unrolled: 1-line block ×4, first 2 shown]
	v_fma_f64 v[35:36], v[33:34], v[35:36], s[4:5]
	s_mov_b32 s4, 0x7c89e6b0
	s_mov_b32 s5, 0x3efa0199
	v_fma_f64 v[35:36], v[33:34], v[35:36], s[4:5]
	s_mov_b32 s4, 0x14761f6e
	s_mov_b32 s5, 0x3f2a01a0
	;; [unrolled: 3-line block ×7, first 2 shown]
	v_fma_f64 v[35:36], v[33:34], v[35:36], s[4:5]
	v_cmp_nlt_f64_e64 s4, 0x40900000, v[15:16]
	v_cmp_ngt_f64_e64 s5, 0xc090cc00, v[15:16]
	v_fma_f64 v[35:36], v[33:34], v[35:36], 1.0
	v_fma_f64 v[31:32], v[33:34], v[35:36], 1.0
	v_ldexp_f64 v[31:32], v[31:32], v0
	v_cndmask_b32_e64 v0, 0x7ff00000, v32, s4
	s_and_b32 s4, s5, s4
	v_cndmask_b32_e64 v15, 0, v31, s4
	s_mov_b32 s4, 0x55555555
	v_cndmask_b32_e64 v16, 0, v0, s5
	s_mov_b32 s5, 0x3fe55555
	v_add_f64 v[31:32], v[15:16], 1.0
	v_cmp_ngt_f64_e64 s15, -1.0, v[15:16]
	v_frexp_mant_f64_e32 v[33:34], v[31:32]
	v_frexp_exp_i32_f64_e32 v0, v[31:32]
	v_add_f64 v[35:36], v[31:32], -1.0
	v_cmp_gt_f64_e64 s4, s[4:5], v[33:34]
	v_add_f64 v[33:34], v[35:36], -v[31:32]
	v_add_f64 v[35:36], v[15:16], -v[35:36]
	v_subrev_co_ci_u32_e64 v0, null, 0, v0, s4
	v_add_f64 v[33:34], v[33:34], 1.0
	s_mov_b32 s4, 0x55555780
	v_sub_nc_u32_e32 v39, 0, v0
	v_ldexp_f64 v[31:32], v[31:32], v39
	v_add_f64 v[33:34], v[35:36], v[33:34]
	v_add_f64 v[37:38], v[31:32], 1.0
	v_add_f64 v[43:44], v[31:32], -1.0
	v_ldexp_f64 v[33:34], v[33:34], v39
	v_add_f64 v[35:36], v[37:38], -1.0
	v_add_f64 v[45:46], v[43:44], 1.0
	v_add_f64 v[35:36], v[31:32], -v[35:36]
	v_add_f64 v[31:32], v[31:32], -v[45:46]
	v_add_f64 v[35:36], v[33:34], v[35:36]
	v_add_f64 v[31:32], v[33:34], v[31:32]
	;; [unrolled: 1-line block ×4, first 2 shown]
	v_rcp_f64_e32 v[41:42], v[39:40]
	v_add_f64 v[37:38], v[39:40], -v[37:38]
	v_add_f64 v[43:44], v[45:46], -v[43:44]
	;; [unrolled: 1-line block ×3, first 2 shown]
	v_fma_f64 v[55:56], -v[39:40], v[41:42], 1.0
	v_add_f64 v[31:32], v[31:32], -v[43:44]
	v_fma_f64 v[41:42], v[55:56], v[41:42], v[41:42]
	v_fma_f64 v[33:34], -v[39:40], v[41:42], 1.0
	v_fma_f64 v[33:34], v[33:34], v[41:42], v[41:42]
	v_mul_f64 v[41:42], v[45:46], v[33:34]
	v_mul_f64 v[55:56], v[39:40], v[41:42]
	v_fma_f64 v[37:38], v[41:42], v[39:40], -v[55:56]
	v_fma_f64 v[37:38], v[41:42], v[35:36], v[37:38]
	v_add_f64 v[57:58], v[55:56], v[37:38]
	v_add_f64 v[59:60], v[45:46], -v[57:58]
	v_add_f64 v[43:44], v[57:58], -v[55:56]
	v_add_f64 v[45:46], v[45:46], -v[59:60]
	v_add_f64 v[37:38], v[43:44], -v[37:38]
	v_add_f64 v[45:46], v[45:46], -v[57:58]
	v_add_f64 v[31:32], v[31:32], v[45:46]
	v_add_f64 v[31:32], v[37:38], v[31:32]
	;; [unrolled: 1-line block ×3, first 2 shown]
	v_mul_f64 v[43:44], v[33:34], v[37:38]
	v_add_f64 v[57:58], v[59:60], -v[37:38]
	v_mul_f64 v[45:46], v[39:40], v[43:44]
	v_add_f64 v[31:32], v[31:32], v[57:58]
	v_fma_f64 v[39:40], v[43:44], v[39:40], -v[45:46]
	v_fma_f64 v[35:36], v[43:44], v[35:36], v[39:40]
	v_add_f64 v[39:40], v[45:46], v[35:36]
	v_add_f64 v[55:56], v[37:38], -v[39:40]
	v_add_f64 v[45:46], v[39:40], -v[45:46]
	;; [unrolled: 1-line block ×5, first 2 shown]
	v_add_f64 v[31:32], v[31:32], v[37:38]
	v_add_f64 v[37:38], v[41:42], v[43:44]
	;; [unrolled: 1-line block ×3, first 2 shown]
	v_add_f64 v[35:36], v[37:38], -v[41:42]
	v_add_f64 v[31:32], v[55:56], v[31:32]
	v_add_f64 v[35:36], v[43:44], -v[35:36]
	v_mul_f64 v[31:32], v[33:34], v[31:32]
	v_add_f64 v[31:32], v[35:36], v[31:32]
	v_add_f64 v[33:34], v[37:38], v[31:32]
	v_mul_f64 v[35:36], v[33:34], v[33:34]
	v_fma_f64 v[39:40], v[35:36], s[28:29], s[22:23]
	s_mov_b32 s22, 0xd7f4df2e
	s_mov_b32 s23, 0x3fc7474d
	v_mul_f64 v[41:42], v[33:34], v[35:36]
	v_fma_f64 v[39:40], v[35:36], v[39:40], s[22:23]
	s_mov_b32 s22, 0x16291751
	s_mov_b32 s23, 0x3fcc71c0
	v_fma_f64 v[39:40], v[35:36], v[39:40], s[22:23]
	s_mov_b32 s22, 0x9b27acf1
	s_mov_b32 s23, 0x3fd24924
	;; [unrolled: 3-line block ×3, first 2 shown]
	v_fma_f64 v[39:40], v[35:36], v[39:40], s[22:23]
	v_fma_f64 v[35:36], v[35:36], v[39:40], s[4:5]
	v_ldexp_f64 v[39:40], v[33:34], 1
	v_add_f64 v[33:34], v[33:34], -v[37:38]
	v_cmp_nge_f64_e64 s4, -1.0, v[15:16]
	v_cmp_neq_f64_e64 s5, 0x7ff00000, v[15:16]
	v_mul_f64 v[35:36], v[41:42], v[35:36]
	v_cvt_f64_i32_e32 v[41:42], v0
	v_add_f64 v[31:32], v[31:32], -v[33:34]
	s_and_b32 s4, s4, s5
	v_add_f64 v[37:38], v[39:40], v[35:36]
	v_mul_f64 v[43:44], v[41:42], s[16:17]
	v_ldexp_f64 v[31:32], v[31:32], 1
	v_add_f64 v[33:34], v[37:38], -v[39:40]
	v_fma_f64 v[39:40], v[41:42], s[16:17], -v[43:44]
	v_add_f64 v[33:34], v[35:36], -v[33:34]
	v_fma_f64 v[35:36], v[41:42], s[18:19], v[39:40]
	v_add_f64 v[31:32], v[31:32], v[33:34]
	v_add_f64 v[33:34], v[43:44], v[35:36]
	;; [unrolled: 1-line block ×3, first 2 shown]
	v_add_f64 v[43:44], v[33:34], -v[43:44]
	v_add_f64 v[41:42], v[33:34], v[39:40]
	v_add_f64 v[37:38], v[39:40], -v[37:38]
	v_add_f64 v[35:36], v[35:36], -v[43:44]
	;; [unrolled: 1-line block ×6, first 2 shown]
	v_add_f64 v[39:40], v[35:36], v[31:32]
	v_add_f64 v[33:34], v[33:34], -v[55:56]
	v_add_f64 v[33:34], v[37:38], v[33:34]
	v_add_f64 v[37:38], v[39:40], -v[35:36]
	;; [unrolled: 2-line block ×3, first 2 shown]
	v_add_f64 v[31:32], v[31:32], -v[37:38]
	v_add_f64 v[43:44], v[41:42], v[33:34]
	v_add_f64 v[35:36], v[35:36], -v[39:40]
	v_add_f64 v[37:38], v[43:44], -v[41:42]
	v_add_f64 v[31:32], v[31:32], v[35:36]
	v_add_f64 v[33:34], v[33:34], -v[37:38]
	v_add_f64 v[31:32], v[31:32], v[33:34]
	v_add_f64 v[31:32], v[43:44], v[31:32]
	v_cndmask_b32_e64 v31, 0, v31, s4
	v_cmp_neq_f64_e64 s4, -1.0, v[15:16]
	v_cndmask_b32_e64 v0, 0x7ff00000, v32, s5
	v_cndmask_b32_e64 v0, 0x7ff80000, v0, s15
	;; [unrolled: 1-line block ×3, first 2 shown]
	v_add_f64 v[15:16], v[29:30], v[31:32]
.LBB83_112:
	s_or_b32 exec_lo, exec_lo, s20
	v_max_f64 v[29:30], v[15:16], v[15:16]
	v_cmp_u_f64_e64 s4, v[15:16], v[15:16]
	v_min_f64 v[31:32], v[29:30], v[47:48]
	v_max_f64 v[29:30], v[29:30], v[47:48]
	v_cndmask_b32_e64 v0, v31, v15, s4
	v_cndmask_b32_e64 v31, v32, v16, s4
	;; [unrolled: 1-line block ×8, first 2 shown]
	v_mov_b32_e32 v9, v15
	v_mov_b32_e32 v10, v16
	v_cmp_class_f64_e64 s5, v[31:32], 0x1f8
	v_cmp_neq_f64_e64 s4, v[31:32], v[29:30]
	s_or_b32 s4, s4, s5
	s_and_saveexec_b32 s20, s4
	s_cbranch_execz .LBB83_114
; %bb.113:
	v_add_f64 v[9:10], v[31:32], -v[29:30]
	s_mov_b32 s4, 0x652b82fe
	s_mov_b32 s5, 0x3ff71547
	s_mov_b32 s17, 0xbfe62e42
	s_mov_b32 s16, 0xfefa39ef
	s_mov_b32 s19, 0xbc7abc9e
	s_mov_b32 s18, 0x3b39803f
	s_mov_b32 s22, 0x6a5dcb37
	s_mov_b32 s23, 0x3e5ade15
	s_mov_b32 s28, 0xbf559e2b
	s_mov_b32 s29, 0x3fc3ab76
	v_mul_f64 v[31:32], v[9:10], s[4:5]
	s_mov_b32 s4, 0xfca7ab0c
	s_mov_b32 s5, 0x3e928af3
	v_rndne_f64_e32 v[31:32], v[31:32]
	v_fma_f64 v[33:34], v[31:32], s[16:17], v[9:10]
	v_cvt_i32_f64_e32 v0, v[31:32]
	s_mov_b32 s17, 0x3fe62e42
	v_fma_f64 v[33:34], v[31:32], s[18:19], v[33:34]
	s_mov_b32 s19, 0x3c7abc9e
	v_fma_f64 v[35:36], v[33:34], s[22:23], s[4:5]
	s_mov_b32 s4, 0x623fde64
	s_mov_b32 s5, 0x3ec71dee
	;; [unrolled: 1-line block ×4, first 2 shown]
	v_fma_f64 v[35:36], v[33:34], v[35:36], s[4:5]
	s_mov_b32 s4, 0x7c89e6b0
	s_mov_b32 s5, 0x3efa0199
	v_fma_f64 v[35:36], v[33:34], v[35:36], s[4:5]
	s_mov_b32 s4, 0x14761f6e
	s_mov_b32 s5, 0x3f2a01a0
	;; [unrolled: 3-line block ×7, first 2 shown]
	v_fma_f64 v[35:36], v[33:34], v[35:36], s[4:5]
	v_cmp_nlt_f64_e64 s4, 0x40900000, v[9:10]
	v_cmp_ngt_f64_e64 s5, 0xc090cc00, v[9:10]
	v_fma_f64 v[35:36], v[33:34], v[35:36], 1.0
	v_fma_f64 v[31:32], v[33:34], v[35:36], 1.0
	v_ldexp_f64 v[31:32], v[31:32], v0
	v_cndmask_b32_e64 v0, 0x7ff00000, v32, s4
	s_and_b32 s4, s5, s4
	v_cndmask_b32_e64 v9, 0, v31, s4
	s_mov_b32 s4, 0x55555555
	v_cndmask_b32_e64 v10, 0, v0, s5
	s_mov_b32 s5, 0x3fe55555
	v_add_f64 v[31:32], v[9:10], 1.0
	v_cmp_ngt_f64_e64 s15, -1.0, v[9:10]
	v_frexp_mant_f64_e32 v[33:34], v[31:32]
	v_frexp_exp_i32_f64_e32 v0, v[31:32]
	v_add_f64 v[35:36], v[31:32], -1.0
	v_cmp_gt_f64_e64 s4, s[4:5], v[33:34]
	v_add_f64 v[33:34], v[35:36], -v[31:32]
	v_add_f64 v[35:36], v[9:10], -v[35:36]
	v_subrev_co_ci_u32_e64 v0, null, 0, v0, s4
	v_add_f64 v[33:34], v[33:34], 1.0
	s_mov_b32 s4, 0x55555780
	v_sub_nc_u32_e32 v39, 0, v0
	v_ldexp_f64 v[31:32], v[31:32], v39
	v_add_f64 v[33:34], v[35:36], v[33:34]
	v_add_f64 v[37:38], v[31:32], 1.0
	v_add_f64 v[43:44], v[31:32], -1.0
	v_ldexp_f64 v[33:34], v[33:34], v39
	v_add_f64 v[35:36], v[37:38], -1.0
	v_add_f64 v[45:46], v[43:44], 1.0
	v_add_f64 v[35:36], v[31:32], -v[35:36]
	v_add_f64 v[31:32], v[31:32], -v[45:46]
	v_add_f64 v[35:36], v[33:34], v[35:36]
	v_add_f64 v[31:32], v[33:34], v[31:32]
	;; [unrolled: 1-line block ×4, first 2 shown]
	v_rcp_f64_e32 v[41:42], v[39:40]
	v_add_f64 v[37:38], v[39:40], -v[37:38]
	v_add_f64 v[43:44], v[45:46], -v[43:44]
	v_add_f64 v[35:36], v[35:36], -v[37:38]
	v_fma_f64 v[47:48], -v[39:40], v[41:42], 1.0
	v_add_f64 v[31:32], v[31:32], -v[43:44]
	v_fma_f64 v[41:42], v[47:48], v[41:42], v[41:42]
	v_fma_f64 v[33:34], -v[39:40], v[41:42], 1.0
	v_fma_f64 v[33:34], v[33:34], v[41:42], v[41:42]
	v_mul_f64 v[41:42], v[45:46], v[33:34]
	v_mul_f64 v[47:48], v[39:40], v[41:42]
	v_fma_f64 v[37:38], v[41:42], v[39:40], -v[47:48]
	v_fma_f64 v[37:38], v[41:42], v[35:36], v[37:38]
	v_add_f64 v[55:56], v[47:48], v[37:38]
	v_add_f64 v[57:58], v[45:46], -v[55:56]
	v_add_f64 v[43:44], v[55:56], -v[47:48]
	;; [unrolled: 1-line block ×5, first 2 shown]
	v_add_f64 v[31:32], v[31:32], v[45:46]
	v_add_f64 v[31:32], v[37:38], v[31:32]
	;; [unrolled: 1-line block ×3, first 2 shown]
	v_mul_f64 v[43:44], v[33:34], v[37:38]
	v_add_f64 v[55:56], v[57:58], -v[37:38]
	v_mul_f64 v[45:46], v[39:40], v[43:44]
	v_add_f64 v[31:32], v[31:32], v[55:56]
	v_fma_f64 v[39:40], v[43:44], v[39:40], -v[45:46]
	v_fma_f64 v[35:36], v[43:44], v[35:36], v[39:40]
	v_add_f64 v[39:40], v[45:46], v[35:36]
	v_add_f64 v[47:48], v[37:38], -v[39:40]
	v_add_f64 v[45:46], v[39:40], -v[45:46]
	;; [unrolled: 1-line block ×5, first 2 shown]
	v_add_f64 v[31:32], v[31:32], v[37:38]
	v_add_f64 v[37:38], v[41:42], v[43:44]
	;; [unrolled: 1-line block ×3, first 2 shown]
	v_add_f64 v[35:36], v[37:38], -v[41:42]
	v_add_f64 v[31:32], v[47:48], v[31:32]
	v_add_f64 v[35:36], v[43:44], -v[35:36]
	v_mul_f64 v[31:32], v[33:34], v[31:32]
	v_add_f64 v[31:32], v[35:36], v[31:32]
	v_add_f64 v[33:34], v[37:38], v[31:32]
	v_mul_f64 v[35:36], v[33:34], v[33:34]
	v_fma_f64 v[39:40], v[35:36], s[28:29], s[22:23]
	s_mov_b32 s22, 0xd7f4df2e
	s_mov_b32 s23, 0x3fc7474d
	v_mul_f64 v[41:42], v[33:34], v[35:36]
	v_fma_f64 v[39:40], v[35:36], v[39:40], s[22:23]
	s_mov_b32 s22, 0x16291751
	s_mov_b32 s23, 0x3fcc71c0
	v_fma_f64 v[39:40], v[35:36], v[39:40], s[22:23]
	s_mov_b32 s22, 0x9b27acf1
	s_mov_b32 s23, 0x3fd24924
	;; [unrolled: 3-line block ×3, first 2 shown]
	v_fma_f64 v[39:40], v[35:36], v[39:40], s[22:23]
	v_fma_f64 v[35:36], v[35:36], v[39:40], s[4:5]
	v_ldexp_f64 v[39:40], v[33:34], 1
	v_add_f64 v[33:34], v[33:34], -v[37:38]
	v_cmp_nge_f64_e64 s4, -1.0, v[9:10]
	v_cmp_neq_f64_e64 s5, 0x7ff00000, v[9:10]
	v_mul_f64 v[35:36], v[41:42], v[35:36]
	v_cvt_f64_i32_e32 v[41:42], v0
	v_add_f64 v[31:32], v[31:32], -v[33:34]
	s_and_b32 s4, s4, s5
	v_add_f64 v[37:38], v[39:40], v[35:36]
	v_mul_f64 v[43:44], v[41:42], s[16:17]
	v_ldexp_f64 v[31:32], v[31:32], 1
	v_add_f64 v[33:34], v[37:38], -v[39:40]
	v_fma_f64 v[39:40], v[41:42], s[16:17], -v[43:44]
	v_add_f64 v[33:34], v[35:36], -v[33:34]
	v_fma_f64 v[35:36], v[41:42], s[18:19], v[39:40]
	v_add_f64 v[31:32], v[31:32], v[33:34]
	v_add_f64 v[33:34], v[43:44], v[35:36]
	;; [unrolled: 1-line block ×3, first 2 shown]
	v_add_f64 v[43:44], v[33:34], -v[43:44]
	v_add_f64 v[41:42], v[33:34], v[39:40]
	v_add_f64 v[37:38], v[39:40], -v[37:38]
	v_add_f64 v[35:36], v[35:36], -v[43:44]
	;; [unrolled: 1-line block ×6, first 2 shown]
	v_add_f64 v[39:40], v[35:36], v[31:32]
	v_add_f64 v[33:34], v[33:34], -v[47:48]
	v_add_f64 v[33:34], v[37:38], v[33:34]
	v_add_f64 v[37:38], v[39:40], -v[35:36]
	;; [unrolled: 2-line block ×3, first 2 shown]
	v_add_f64 v[31:32], v[31:32], -v[37:38]
	v_add_f64 v[43:44], v[41:42], v[33:34]
	v_add_f64 v[35:36], v[35:36], -v[39:40]
	v_add_f64 v[37:38], v[43:44], -v[41:42]
	v_add_f64 v[31:32], v[31:32], v[35:36]
	v_add_f64 v[33:34], v[33:34], -v[37:38]
	v_add_f64 v[31:32], v[31:32], v[33:34]
	v_add_f64 v[31:32], v[43:44], v[31:32]
	v_cndmask_b32_e64 v31, 0, v31, s4
	v_cmp_neq_f64_e64 s4, -1.0, v[9:10]
	v_cndmask_b32_e64 v0, 0x7ff00000, v32, s5
	v_cndmask_b32_e64 v0, 0x7ff80000, v0, s15
	;; [unrolled: 1-line block ×3, first 2 shown]
	v_add_f64 v[9:10], v[29:30], v[31:32]
.LBB83_114:
	s_or_b32 exec_lo, exec_lo, s20
	v_max_f64 v[29:30], v[9:10], v[9:10]
	v_cmp_u_f64_e64 s4, v[9:10], v[9:10]
	v_min_f64 v[31:32], v[29:30], v[49:50]
	v_max_f64 v[29:30], v[29:30], v[49:50]
	v_cndmask_b32_e64 v0, v31, v9, s4
	v_cndmask_b32_e64 v31, v32, v10, s4
	;; [unrolled: 1-line block ×8, first 2 shown]
	v_mov_b32_e32 v12, v10
	v_mov_b32_e32 v11, v9
	v_cmp_class_f64_e64 s5, v[31:32], 0x1f8
	v_cmp_neq_f64_e64 s4, v[31:32], v[29:30]
	s_or_b32 s4, s4, s5
	s_and_saveexec_b32 s20, s4
	s_cbranch_execz .LBB83_116
; %bb.115:
	v_add_f64 v[11:12], v[31:32], -v[29:30]
	s_mov_b32 s4, 0x652b82fe
	s_mov_b32 s5, 0x3ff71547
	;; [unrolled: 1-line block ×10, first 2 shown]
	v_mul_f64 v[31:32], v[11:12], s[4:5]
	s_mov_b32 s4, 0xfca7ab0c
	s_mov_b32 s5, 0x3e928af3
	v_rndne_f64_e32 v[31:32], v[31:32]
	v_fma_f64 v[33:34], v[31:32], s[16:17], v[11:12]
	v_cvt_i32_f64_e32 v0, v[31:32]
	s_mov_b32 s17, 0x3fe62e42
	v_fma_f64 v[33:34], v[31:32], s[18:19], v[33:34]
	s_mov_b32 s19, 0x3c7abc9e
	v_fma_f64 v[35:36], v[33:34], s[22:23], s[4:5]
	s_mov_b32 s4, 0x623fde64
	s_mov_b32 s5, 0x3ec71dee
	;; [unrolled: 1-line block ×4, first 2 shown]
	v_fma_f64 v[35:36], v[33:34], v[35:36], s[4:5]
	s_mov_b32 s4, 0x7c89e6b0
	s_mov_b32 s5, 0x3efa0199
	v_fma_f64 v[35:36], v[33:34], v[35:36], s[4:5]
	s_mov_b32 s4, 0x14761f6e
	s_mov_b32 s5, 0x3f2a01a0
	;; [unrolled: 3-line block ×7, first 2 shown]
	v_fma_f64 v[35:36], v[33:34], v[35:36], s[4:5]
	v_cmp_nlt_f64_e64 s4, 0x40900000, v[11:12]
	v_cmp_ngt_f64_e64 s5, 0xc090cc00, v[11:12]
	v_fma_f64 v[35:36], v[33:34], v[35:36], 1.0
	v_fma_f64 v[31:32], v[33:34], v[35:36], 1.0
	v_ldexp_f64 v[31:32], v[31:32], v0
	v_cndmask_b32_e64 v0, 0x7ff00000, v32, s4
	s_and_b32 s4, s5, s4
	v_cndmask_b32_e64 v11, 0, v31, s4
	s_mov_b32 s4, 0x55555555
	v_cndmask_b32_e64 v12, 0, v0, s5
	s_mov_b32 s5, 0x3fe55555
	v_add_f64 v[31:32], v[11:12], 1.0
	v_cmp_ngt_f64_e64 s15, -1.0, v[11:12]
	v_frexp_mant_f64_e32 v[33:34], v[31:32]
	v_frexp_exp_i32_f64_e32 v0, v[31:32]
	v_add_f64 v[35:36], v[31:32], -1.0
	v_cmp_gt_f64_e64 s4, s[4:5], v[33:34]
	v_add_f64 v[33:34], v[35:36], -v[31:32]
	v_add_f64 v[35:36], v[11:12], -v[35:36]
	v_subrev_co_ci_u32_e64 v0, null, 0, v0, s4
	v_add_f64 v[33:34], v[33:34], 1.0
	s_mov_b32 s4, 0x55555780
	v_sub_nc_u32_e32 v39, 0, v0
	v_ldexp_f64 v[31:32], v[31:32], v39
	v_add_f64 v[33:34], v[35:36], v[33:34]
	v_add_f64 v[37:38], v[31:32], 1.0
	v_add_f64 v[43:44], v[31:32], -1.0
	v_ldexp_f64 v[33:34], v[33:34], v39
	v_add_f64 v[35:36], v[37:38], -1.0
	v_add_f64 v[45:46], v[43:44], 1.0
	v_add_f64 v[35:36], v[31:32], -v[35:36]
	v_add_f64 v[31:32], v[31:32], -v[45:46]
	v_add_f64 v[35:36], v[33:34], v[35:36]
	v_add_f64 v[31:32], v[33:34], v[31:32]
	;; [unrolled: 1-line block ×4, first 2 shown]
	v_rcp_f64_e32 v[41:42], v[39:40]
	v_add_f64 v[37:38], v[39:40], -v[37:38]
	v_add_f64 v[43:44], v[45:46], -v[43:44]
	;; [unrolled: 1-line block ×3, first 2 shown]
	v_fma_f64 v[47:48], -v[39:40], v[41:42], 1.0
	v_add_f64 v[31:32], v[31:32], -v[43:44]
	v_fma_f64 v[41:42], v[47:48], v[41:42], v[41:42]
	v_fma_f64 v[33:34], -v[39:40], v[41:42], 1.0
	v_fma_f64 v[33:34], v[33:34], v[41:42], v[41:42]
	v_mul_f64 v[41:42], v[45:46], v[33:34]
	v_mul_f64 v[47:48], v[39:40], v[41:42]
	v_fma_f64 v[37:38], v[41:42], v[39:40], -v[47:48]
	v_fma_f64 v[37:38], v[41:42], v[35:36], v[37:38]
	v_add_f64 v[49:50], v[47:48], v[37:38]
	v_add_f64 v[55:56], v[45:46], -v[49:50]
	v_add_f64 v[43:44], v[49:50], -v[47:48]
	;; [unrolled: 1-line block ×5, first 2 shown]
	v_add_f64 v[31:32], v[31:32], v[45:46]
	v_add_f64 v[31:32], v[37:38], v[31:32]
	v_add_f64 v[37:38], v[55:56], v[31:32]
	v_mul_f64 v[43:44], v[33:34], v[37:38]
	v_add_f64 v[49:50], v[55:56], -v[37:38]
	v_mul_f64 v[45:46], v[39:40], v[43:44]
	v_add_f64 v[31:32], v[31:32], v[49:50]
	v_fma_f64 v[39:40], v[43:44], v[39:40], -v[45:46]
	v_fma_f64 v[35:36], v[43:44], v[35:36], v[39:40]
	v_add_f64 v[39:40], v[45:46], v[35:36]
	v_add_f64 v[47:48], v[37:38], -v[39:40]
	v_add_f64 v[45:46], v[39:40], -v[45:46]
	;; [unrolled: 1-line block ×5, first 2 shown]
	v_add_f64 v[31:32], v[31:32], v[37:38]
	v_add_f64 v[37:38], v[41:42], v[43:44]
	;; [unrolled: 1-line block ×3, first 2 shown]
	v_add_f64 v[35:36], v[37:38], -v[41:42]
	v_add_f64 v[31:32], v[47:48], v[31:32]
	v_add_f64 v[35:36], v[43:44], -v[35:36]
	v_mul_f64 v[31:32], v[33:34], v[31:32]
	v_add_f64 v[31:32], v[35:36], v[31:32]
	v_add_f64 v[33:34], v[37:38], v[31:32]
	v_mul_f64 v[35:36], v[33:34], v[33:34]
	v_fma_f64 v[39:40], v[35:36], s[24:25], s[22:23]
	s_mov_b32 s22, 0xd7f4df2e
	s_mov_b32 s23, 0x3fc7474d
	v_mul_f64 v[41:42], v[33:34], v[35:36]
	v_fma_f64 v[39:40], v[35:36], v[39:40], s[22:23]
	s_mov_b32 s22, 0x16291751
	s_mov_b32 s23, 0x3fcc71c0
	v_fma_f64 v[39:40], v[35:36], v[39:40], s[22:23]
	s_mov_b32 s22, 0x9b27acf1
	s_mov_b32 s23, 0x3fd24924
	v_fma_f64 v[39:40], v[35:36], v[39:40], s[22:23]
	s_mov_b32 s22, 0x998ef7b6
	s_mov_b32 s23, 0x3fd99999
	v_fma_f64 v[39:40], v[35:36], v[39:40], s[22:23]
	v_fma_f64 v[35:36], v[35:36], v[39:40], s[4:5]
	v_ldexp_f64 v[39:40], v[33:34], 1
	v_add_f64 v[33:34], v[33:34], -v[37:38]
	v_cmp_nge_f64_e64 s4, -1.0, v[11:12]
	v_cmp_neq_f64_e64 s5, 0x7ff00000, v[11:12]
	v_mul_f64 v[35:36], v[41:42], v[35:36]
	v_cvt_f64_i32_e32 v[41:42], v0
	v_add_f64 v[31:32], v[31:32], -v[33:34]
	s_and_b32 s4, s4, s5
	v_add_f64 v[37:38], v[39:40], v[35:36]
	v_mul_f64 v[43:44], v[41:42], s[16:17]
	v_ldexp_f64 v[31:32], v[31:32], 1
	v_add_f64 v[33:34], v[37:38], -v[39:40]
	v_fma_f64 v[39:40], v[41:42], s[16:17], -v[43:44]
	v_add_f64 v[33:34], v[35:36], -v[33:34]
	v_fma_f64 v[35:36], v[41:42], s[18:19], v[39:40]
	v_add_f64 v[31:32], v[31:32], v[33:34]
	v_add_f64 v[33:34], v[43:44], v[35:36]
	v_add_f64 v[39:40], v[37:38], v[31:32]
	v_add_f64 v[43:44], v[33:34], -v[43:44]
	v_add_f64 v[41:42], v[33:34], v[39:40]
	v_add_f64 v[37:38], v[39:40], -v[37:38]
	v_add_f64 v[35:36], v[35:36], -v[43:44]
	;; [unrolled: 1-line block ×6, first 2 shown]
	v_add_f64 v[39:40], v[35:36], v[31:32]
	v_add_f64 v[33:34], v[33:34], -v[47:48]
	v_add_f64 v[33:34], v[37:38], v[33:34]
	v_add_f64 v[37:38], v[39:40], -v[35:36]
	;; [unrolled: 2-line block ×3, first 2 shown]
	v_add_f64 v[31:32], v[31:32], -v[37:38]
	v_add_f64 v[43:44], v[41:42], v[33:34]
	v_add_f64 v[35:36], v[35:36], -v[39:40]
	v_add_f64 v[37:38], v[43:44], -v[41:42]
	v_add_f64 v[31:32], v[31:32], v[35:36]
	v_add_f64 v[33:34], v[33:34], -v[37:38]
	v_add_f64 v[31:32], v[31:32], v[33:34]
	v_add_f64 v[31:32], v[43:44], v[31:32]
	v_cndmask_b32_e64 v31, 0, v31, s4
	v_cmp_neq_f64_e64 s4, -1.0, v[11:12]
	v_cndmask_b32_e64 v0, 0x7ff00000, v32, s5
	v_cndmask_b32_e64 v0, 0x7ff80000, v0, s15
	;; [unrolled: 1-line block ×3, first 2 shown]
	v_add_f64 v[11:12], v[29:30], v[31:32]
.LBB83_116:
	s_or_b32 exec_lo, exec_lo, s20
	v_max_f64 v[29:30], v[11:12], v[11:12]
	v_cmp_u_f64_e64 s4, v[11:12], v[11:12]
	v_min_f64 v[31:32], v[29:30], v[51:52]
	v_max_f64 v[29:30], v[29:30], v[51:52]
	v_cndmask_b32_e64 v0, v31, v11, s4
	v_cndmask_b32_e64 v31, v32, v12, s4
	;; [unrolled: 1-line block ×8, first 2 shown]
	v_mov_b32_e32 v5, v11
	v_mov_b32_e32 v6, v12
	v_cmp_class_f64_e64 s5, v[31:32], 0x1f8
	v_cmp_neq_f64_e64 s4, v[31:32], v[29:30]
	s_or_b32 s4, s4, s5
	s_and_saveexec_b32 s20, s4
	s_cbranch_execz .LBB83_118
; %bb.117:
	v_add_f64 v[5:6], v[31:32], -v[29:30]
	s_mov_b32 s4, 0x652b82fe
	s_mov_b32 s5, 0x3ff71547
	;; [unrolled: 1-line block ×10, first 2 shown]
	v_mul_f64 v[31:32], v[5:6], s[4:5]
	s_mov_b32 s4, 0xfca7ab0c
	s_mov_b32 s5, 0x3e928af3
	v_rndne_f64_e32 v[31:32], v[31:32]
	v_fma_f64 v[33:34], v[31:32], s[16:17], v[5:6]
	v_cvt_i32_f64_e32 v0, v[31:32]
	s_mov_b32 s17, 0x3fe62e42
	v_fma_f64 v[33:34], v[31:32], s[18:19], v[33:34]
	s_mov_b32 s19, 0x3c7abc9e
	v_fma_f64 v[35:36], v[33:34], s[22:23], s[4:5]
	s_mov_b32 s4, 0x623fde64
	s_mov_b32 s5, 0x3ec71dee
	;; [unrolled: 1-line block ×4, first 2 shown]
	v_fma_f64 v[35:36], v[33:34], v[35:36], s[4:5]
	s_mov_b32 s4, 0x7c89e6b0
	s_mov_b32 s5, 0x3efa0199
	v_fma_f64 v[35:36], v[33:34], v[35:36], s[4:5]
	s_mov_b32 s4, 0x14761f6e
	s_mov_b32 s5, 0x3f2a01a0
	;; [unrolled: 3-line block ×7, first 2 shown]
	v_fma_f64 v[35:36], v[33:34], v[35:36], s[4:5]
	v_cmp_nlt_f64_e64 s4, 0x40900000, v[5:6]
	v_cmp_ngt_f64_e64 s5, 0xc090cc00, v[5:6]
	v_fma_f64 v[35:36], v[33:34], v[35:36], 1.0
	v_fma_f64 v[31:32], v[33:34], v[35:36], 1.0
	v_ldexp_f64 v[31:32], v[31:32], v0
	v_cndmask_b32_e64 v0, 0x7ff00000, v32, s4
	s_and_b32 s4, s5, s4
	v_cndmask_b32_e64 v5, 0, v31, s4
	s_mov_b32 s4, 0x55555555
	v_cndmask_b32_e64 v6, 0, v0, s5
	s_mov_b32 s5, 0x3fe55555
	v_add_f64 v[31:32], v[5:6], 1.0
	v_cmp_ngt_f64_e64 s15, -1.0, v[5:6]
	v_frexp_mant_f64_e32 v[33:34], v[31:32]
	v_frexp_exp_i32_f64_e32 v0, v[31:32]
	v_add_f64 v[35:36], v[31:32], -1.0
	v_cmp_gt_f64_e64 s4, s[4:5], v[33:34]
	v_add_f64 v[33:34], v[35:36], -v[31:32]
	v_add_f64 v[35:36], v[5:6], -v[35:36]
	v_subrev_co_ci_u32_e64 v0, null, 0, v0, s4
	v_add_f64 v[33:34], v[33:34], 1.0
	s_mov_b32 s4, 0x55555780
	v_sub_nc_u32_e32 v39, 0, v0
	v_ldexp_f64 v[31:32], v[31:32], v39
	v_add_f64 v[33:34], v[35:36], v[33:34]
	v_add_f64 v[37:38], v[31:32], 1.0
	v_add_f64 v[43:44], v[31:32], -1.0
	v_ldexp_f64 v[33:34], v[33:34], v39
	v_add_f64 v[35:36], v[37:38], -1.0
	v_add_f64 v[45:46], v[43:44], 1.0
	v_add_f64 v[35:36], v[31:32], -v[35:36]
	v_add_f64 v[31:32], v[31:32], -v[45:46]
	v_add_f64 v[35:36], v[33:34], v[35:36]
	v_add_f64 v[31:32], v[33:34], v[31:32]
	;; [unrolled: 1-line block ×4, first 2 shown]
	v_rcp_f64_e32 v[41:42], v[39:40]
	v_add_f64 v[37:38], v[39:40], -v[37:38]
	v_add_f64 v[43:44], v[45:46], -v[43:44]
	;; [unrolled: 1-line block ×3, first 2 shown]
	v_fma_f64 v[47:48], -v[39:40], v[41:42], 1.0
	v_add_f64 v[31:32], v[31:32], -v[43:44]
	v_fma_f64 v[41:42], v[47:48], v[41:42], v[41:42]
	v_fma_f64 v[33:34], -v[39:40], v[41:42], 1.0
	v_fma_f64 v[33:34], v[33:34], v[41:42], v[41:42]
	v_mul_f64 v[41:42], v[45:46], v[33:34]
	v_mul_f64 v[47:48], v[39:40], v[41:42]
	v_fma_f64 v[37:38], v[41:42], v[39:40], -v[47:48]
	v_fma_f64 v[37:38], v[41:42], v[35:36], v[37:38]
	v_add_f64 v[49:50], v[47:48], v[37:38]
	v_add_f64 v[51:52], v[45:46], -v[49:50]
	v_add_f64 v[43:44], v[49:50], -v[47:48]
	;; [unrolled: 1-line block ×5, first 2 shown]
	v_add_f64 v[31:32], v[31:32], v[45:46]
	v_add_f64 v[31:32], v[37:38], v[31:32]
	;; [unrolled: 1-line block ×3, first 2 shown]
	v_mul_f64 v[43:44], v[33:34], v[37:38]
	v_add_f64 v[49:50], v[51:52], -v[37:38]
	v_mul_f64 v[45:46], v[39:40], v[43:44]
	v_add_f64 v[31:32], v[31:32], v[49:50]
	v_fma_f64 v[39:40], v[43:44], v[39:40], -v[45:46]
	v_fma_f64 v[35:36], v[43:44], v[35:36], v[39:40]
	v_add_f64 v[39:40], v[45:46], v[35:36]
	v_add_f64 v[47:48], v[37:38], -v[39:40]
	v_add_f64 v[45:46], v[39:40], -v[45:46]
	;; [unrolled: 1-line block ×5, first 2 shown]
	v_add_f64 v[31:32], v[31:32], v[37:38]
	v_add_f64 v[37:38], v[41:42], v[43:44]
	v_add_f64 v[31:32], v[35:36], v[31:32]
	v_add_f64 v[35:36], v[37:38], -v[41:42]
	v_add_f64 v[31:32], v[47:48], v[31:32]
	v_add_f64 v[35:36], v[43:44], -v[35:36]
	v_mul_f64 v[31:32], v[33:34], v[31:32]
	v_add_f64 v[31:32], v[35:36], v[31:32]
	v_add_f64 v[33:34], v[37:38], v[31:32]
	v_mul_f64 v[35:36], v[33:34], v[33:34]
	v_fma_f64 v[39:40], v[35:36], s[24:25], s[22:23]
	s_mov_b32 s22, 0xd7f4df2e
	s_mov_b32 s23, 0x3fc7474d
	v_mul_f64 v[41:42], v[33:34], v[35:36]
	v_fma_f64 v[39:40], v[35:36], v[39:40], s[22:23]
	s_mov_b32 s22, 0x16291751
	s_mov_b32 s23, 0x3fcc71c0
	v_fma_f64 v[39:40], v[35:36], v[39:40], s[22:23]
	s_mov_b32 s22, 0x9b27acf1
	s_mov_b32 s23, 0x3fd24924
	;; [unrolled: 3-line block ×3, first 2 shown]
	v_fma_f64 v[39:40], v[35:36], v[39:40], s[22:23]
	v_fma_f64 v[35:36], v[35:36], v[39:40], s[4:5]
	v_ldexp_f64 v[39:40], v[33:34], 1
	v_add_f64 v[33:34], v[33:34], -v[37:38]
	v_cmp_nge_f64_e64 s4, -1.0, v[5:6]
	v_cmp_neq_f64_e64 s5, 0x7ff00000, v[5:6]
	v_mul_f64 v[35:36], v[41:42], v[35:36]
	v_cvt_f64_i32_e32 v[41:42], v0
	v_add_f64 v[31:32], v[31:32], -v[33:34]
	s_and_b32 s4, s4, s5
	v_add_f64 v[37:38], v[39:40], v[35:36]
	v_mul_f64 v[43:44], v[41:42], s[16:17]
	v_ldexp_f64 v[31:32], v[31:32], 1
	v_add_f64 v[33:34], v[37:38], -v[39:40]
	v_fma_f64 v[39:40], v[41:42], s[16:17], -v[43:44]
	v_add_f64 v[33:34], v[35:36], -v[33:34]
	v_fma_f64 v[35:36], v[41:42], s[18:19], v[39:40]
	v_add_f64 v[31:32], v[31:32], v[33:34]
	v_add_f64 v[33:34], v[43:44], v[35:36]
	;; [unrolled: 1-line block ×3, first 2 shown]
	v_add_f64 v[43:44], v[33:34], -v[43:44]
	v_add_f64 v[41:42], v[33:34], v[39:40]
	v_add_f64 v[37:38], v[39:40], -v[37:38]
	v_add_f64 v[35:36], v[35:36], -v[43:44]
	;; [unrolled: 1-line block ×6, first 2 shown]
	v_add_f64 v[39:40], v[35:36], v[31:32]
	v_add_f64 v[33:34], v[33:34], -v[47:48]
	v_add_f64 v[33:34], v[37:38], v[33:34]
	v_add_f64 v[37:38], v[39:40], -v[35:36]
	;; [unrolled: 2-line block ×3, first 2 shown]
	v_add_f64 v[31:32], v[31:32], -v[37:38]
	v_add_f64 v[43:44], v[41:42], v[33:34]
	v_add_f64 v[35:36], v[35:36], -v[39:40]
	v_add_f64 v[37:38], v[43:44], -v[41:42]
	v_add_f64 v[31:32], v[31:32], v[35:36]
	v_add_f64 v[33:34], v[33:34], -v[37:38]
	v_add_f64 v[31:32], v[31:32], v[33:34]
	v_add_f64 v[31:32], v[43:44], v[31:32]
	v_cndmask_b32_e64 v31, 0, v31, s4
	v_cmp_neq_f64_e64 s4, -1.0, v[5:6]
	v_cndmask_b32_e64 v0, 0x7ff00000, v32, s5
	v_cndmask_b32_e64 v0, 0x7ff80000, v0, s15
	v_cndmask_b32_e64 v32, 0xfff00000, v0, s4
	v_add_f64 v[5:6], v[29:30], v[31:32]
.LBB83_118:
	s_or_b32 exec_lo, exec_lo, s20
	v_max_f64 v[29:30], v[5:6], v[5:6]
	v_cmp_u_f64_e64 s4, v[5:6], v[5:6]
	v_min_f64 v[31:32], v[29:30], v[53:54]
	v_max_f64 v[29:30], v[29:30], v[53:54]
	v_cndmask_b32_e64 v0, v31, v5, s4
	v_cndmask_b32_e64 v31, v32, v6, s4
	v_cndmask_b32_e64 v30, v30, v6, s4
	v_cndmask_b32_e64 v29, v29, v5, s4
	v_cndmask_b32_e64 v32, v31, v8, s27
	v_cndmask_b32_e64 v31, v0, v7, s27
	v_cndmask_b32_e64 v30, v30, v8, s27
	v_cndmask_b32_e64 v29, v29, v7, s27
	v_mov_b32_e32 v8, v6
	v_mov_b32_e32 v7, v5
	v_cmp_class_f64_e64 s5, v[31:32], 0x1f8
	v_cmp_neq_f64_e64 s4, v[31:32], v[29:30]
	s_or_b32 s4, s4, s5
	s_and_saveexec_b32 s20, s4
	s_cbranch_execz .LBB83_120
; %bb.119:
	v_add_f64 v[7:8], v[31:32], -v[29:30]
	s_mov_b32 s4, 0x652b82fe
	s_mov_b32 s5, 0x3ff71547
	;; [unrolled: 1-line block ×10, first 2 shown]
	v_mul_f64 v[31:32], v[7:8], s[4:5]
	s_mov_b32 s4, 0xfca7ab0c
	s_mov_b32 s5, 0x3e928af3
	v_rndne_f64_e32 v[31:32], v[31:32]
	v_fma_f64 v[33:34], v[31:32], s[16:17], v[7:8]
	v_cvt_i32_f64_e32 v0, v[31:32]
	s_mov_b32 s17, 0x3fe62e42
	v_fma_f64 v[33:34], v[31:32], s[18:19], v[33:34]
	s_mov_b32 s19, 0x3c7abc9e
	v_fma_f64 v[35:36], v[33:34], s[22:23], s[4:5]
	s_mov_b32 s4, 0x623fde64
	s_mov_b32 s5, 0x3ec71dee
	s_mov_b32 s22, 0x6b47b09a
	s_mov_b32 s23, 0x3fc38538
	v_fma_f64 v[35:36], v[33:34], v[35:36], s[4:5]
	s_mov_b32 s4, 0x7c89e6b0
	s_mov_b32 s5, 0x3efa0199
	v_fma_f64 v[35:36], v[33:34], v[35:36], s[4:5]
	s_mov_b32 s4, 0x14761f6e
	s_mov_b32 s5, 0x3f2a01a0
	v_fma_f64 v[35:36], v[33:34], v[35:36], s[4:5]
	s_mov_b32 s4, 0x1852b7b0
	s_mov_b32 s5, 0x3f56c16c
	v_fma_f64 v[35:36], v[33:34], v[35:36], s[4:5]
	s_mov_b32 s4, 0x11122322
	s_mov_b32 s5, 0x3f811111
	v_fma_f64 v[35:36], v[33:34], v[35:36], s[4:5]
	s_mov_b32 s4, 0x555502a1
	s_mov_b32 s5, 0x3fa55555
	v_fma_f64 v[35:36], v[33:34], v[35:36], s[4:5]
	s_mov_b32 s4, 0x55555511
	s_mov_b32 s5, 0x3fc55555
	v_fma_f64 v[35:36], v[33:34], v[35:36], s[4:5]
	s_mov_b32 s4, 11
	s_mov_b32 s5, 0x3fe00000
	v_fma_f64 v[35:36], v[33:34], v[35:36], s[4:5]
	v_cmp_nlt_f64_e64 s4, 0x40900000, v[7:8]
	v_cmp_ngt_f64_e64 s5, 0xc090cc00, v[7:8]
	v_fma_f64 v[35:36], v[33:34], v[35:36], 1.0
	v_fma_f64 v[31:32], v[33:34], v[35:36], 1.0
	v_ldexp_f64 v[31:32], v[31:32], v0
	v_cndmask_b32_e64 v0, 0x7ff00000, v32, s4
	s_and_b32 s4, s5, s4
	v_cndmask_b32_e64 v7, 0, v31, s4
	s_mov_b32 s4, 0x55555555
	v_cndmask_b32_e64 v8, 0, v0, s5
	s_mov_b32 s5, 0x3fe55555
	v_add_f64 v[31:32], v[7:8], 1.0
	v_cmp_ngt_f64_e64 s15, -1.0, v[7:8]
	v_frexp_mant_f64_e32 v[33:34], v[31:32]
	v_frexp_exp_i32_f64_e32 v0, v[31:32]
	v_add_f64 v[35:36], v[31:32], -1.0
	v_cmp_gt_f64_e64 s4, s[4:5], v[33:34]
	v_add_f64 v[33:34], v[35:36], -v[31:32]
	v_add_f64 v[35:36], v[7:8], -v[35:36]
	v_subrev_co_ci_u32_e64 v0, null, 0, v0, s4
	v_add_f64 v[33:34], v[33:34], 1.0
	s_mov_b32 s4, 0x55555780
	v_sub_nc_u32_e32 v39, 0, v0
	v_ldexp_f64 v[31:32], v[31:32], v39
	v_add_f64 v[33:34], v[35:36], v[33:34]
	v_add_f64 v[37:38], v[31:32], 1.0
	v_add_f64 v[43:44], v[31:32], -1.0
	v_ldexp_f64 v[33:34], v[33:34], v39
	v_add_f64 v[35:36], v[37:38], -1.0
	v_add_f64 v[45:46], v[43:44], 1.0
	v_add_f64 v[35:36], v[31:32], -v[35:36]
	v_add_f64 v[31:32], v[31:32], -v[45:46]
	v_add_f64 v[35:36], v[33:34], v[35:36]
	v_add_f64 v[31:32], v[33:34], v[31:32]
	;; [unrolled: 1-line block ×4, first 2 shown]
	v_rcp_f64_e32 v[41:42], v[39:40]
	v_add_f64 v[37:38], v[39:40], -v[37:38]
	v_add_f64 v[43:44], v[45:46], -v[43:44]
	v_add_f64 v[35:36], v[35:36], -v[37:38]
	v_fma_f64 v[47:48], -v[39:40], v[41:42], 1.0
	v_add_f64 v[31:32], v[31:32], -v[43:44]
	v_fma_f64 v[41:42], v[47:48], v[41:42], v[41:42]
	v_fma_f64 v[33:34], -v[39:40], v[41:42], 1.0
	v_fma_f64 v[33:34], v[33:34], v[41:42], v[41:42]
	v_mul_f64 v[41:42], v[45:46], v[33:34]
	v_mul_f64 v[47:48], v[39:40], v[41:42]
	v_fma_f64 v[37:38], v[41:42], v[39:40], -v[47:48]
	v_fma_f64 v[37:38], v[41:42], v[35:36], v[37:38]
	v_add_f64 v[49:50], v[47:48], v[37:38]
	v_add_f64 v[51:52], v[45:46], -v[49:50]
	v_add_f64 v[43:44], v[49:50], -v[47:48]
	v_add_f64 v[45:46], v[45:46], -v[51:52]
	v_add_f64 v[37:38], v[43:44], -v[37:38]
	v_add_f64 v[45:46], v[45:46], -v[49:50]
	v_add_f64 v[31:32], v[31:32], v[45:46]
	v_add_f64 v[31:32], v[37:38], v[31:32]
	;; [unrolled: 1-line block ×3, first 2 shown]
	v_mul_f64 v[43:44], v[33:34], v[37:38]
	v_add_f64 v[49:50], v[51:52], -v[37:38]
	v_mul_f64 v[45:46], v[39:40], v[43:44]
	v_add_f64 v[31:32], v[31:32], v[49:50]
	v_fma_f64 v[39:40], v[43:44], v[39:40], -v[45:46]
	v_fma_f64 v[35:36], v[43:44], v[35:36], v[39:40]
	v_add_f64 v[39:40], v[45:46], v[35:36]
	v_add_f64 v[47:48], v[37:38], -v[39:40]
	v_add_f64 v[45:46], v[39:40], -v[45:46]
	;; [unrolled: 1-line block ×5, first 2 shown]
	v_add_f64 v[31:32], v[31:32], v[37:38]
	v_add_f64 v[37:38], v[41:42], v[43:44]
	v_add_f64 v[31:32], v[35:36], v[31:32]
	v_add_f64 v[35:36], v[37:38], -v[41:42]
	v_add_f64 v[31:32], v[47:48], v[31:32]
	v_add_f64 v[35:36], v[43:44], -v[35:36]
	v_mul_f64 v[31:32], v[33:34], v[31:32]
	v_add_f64 v[31:32], v[35:36], v[31:32]
	v_add_f64 v[33:34], v[37:38], v[31:32]
	v_mul_f64 v[35:36], v[33:34], v[33:34]
	v_fma_f64 v[39:40], v[35:36], s[24:25], s[22:23]
	s_mov_b32 s22, 0xd7f4df2e
	s_mov_b32 s23, 0x3fc7474d
	v_mul_f64 v[41:42], v[33:34], v[35:36]
	v_fma_f64 v[39:40], v[35:36], v[39:40], s[22:23]
	s_mov_b32 s22, 0x16291751
	s_mov_b32 s23, 0x3fcc71c0
	v_fma_f64 v[39:40], v[35:36], v[39:40], s[22:23]
	s_mov_b32 s22, 0x9b27acf1
	s_mov_b32 s23, 0x3fd24924
	;; [unrolled: 3-line block ×3, first 2 shown]
	v_fma_f64 v[39:40], v[35:36], v[39:40], s[22:23]
	v_fma_f64 v[35:36], v[35:36], v[39:40], s[4:5]
	v_ldexp_f64 v[39:40], v[33:34], 1
	v_add_f64 v[33:34], v[33:34], -v[37:38]
	v_cmp_nge_f64_e64 s4, -1.0, v[7:8]
	v_cmp_neq_f64_e64 s5, 0x7ff00000, v[7:8]
	v_mul_f64 v[35:36], v[41:42], v[35:36]
	v_cvt_f64_i32_e32 v[41:42], v0
	v_add_f64 v[31:32], v[31:32], -v[33:34]
	s_and_b32 s4, s4, s5
	v_add_f64 v[37:38], v[39:40], v[35:36]
	v_mul_f64 v[43:44], v[41:42], s[16:17]
	v_ldexp_f64 v[31:32], v[31:32], 1
	v_add_f64 v[33:34], v[37:38], -v[39:40]
	v_fma_f64 v[39:40], v[41:42], s[16:17], -v[43:44]
	v_add_f64 v[33:34], v[35:36], -v[33:34]
	v_fma_f64 v[35:36], v[41:42], s[18:19], v[39:40]
	v_add_f64 v[31:32], v[31:32], v[33:34]
	v_add_f64 v[33:34], v[43:44], v[35:36]
	;; [unrolled: 1-line block ×3, first 2 shown]
	v_add_f64 v[43:44], v[33:34], -v[43:44]
	v_add_f64 v[41:42], v[33:34], v[39:40]
	v_add_f64 v[37:38], v[39:40], -v[37:38]
	v_add_f64 v[35:36], v[35:36], -v[43:44]
	;; [unrolled: 1-line block ×6, first 2 shown]
	v_add_f64 v[39:40], v[35:36], v[31:32]
	v_add_f64 v[33:34], v[33:34], -v[47:48]
	v_add_f64 v[33:34], v[37:38], v[33:34]
	v_add_f64 v[37:38], v[39:40], -v[35:36]
	;; [unrolled: 2-line block ×3, first 2 shown]
	v_add_f64 v[31:32], v[31:32], -v[37:38]
	v_add_f64 v[43:44], v[41:42], v[33:34]
	v_add_f64 v[35:36], v[35:36], -v[39:40]
	v_add_f64 v[37:38], v[43:44], -v[41:42]
	v_add_f64 v[31:32], v[31:32], v[35:36]
	v_add_f64 v[33:34], v[33:34], -v[37:38]
	v_add_f64 v[31:32], v[31:32], v[33:34]
	v_add_f64 v[31:32], v[43:44], v[31:32]
	v_cndmask_b32_e64 v31, 0, v31, s4
	v_cmp_neq_f64_e64 s4, -1.0, v[7:8]
	v_cndmask_b32_e64 v0, 0x7ff00000, v32, s5
	v_cndmask_b32_e64 v0, 0x7ff80000, v0, s15
	;; [unrolled: 1-line block ×3, first 2 shown]
	v_add_f64 v[7:8], v[29:30], v[31:32]
.LBB83_120:
	s_or_b32 exec_lo, exec_lo, s20
	v_add_nc_u32_e32 v0, v69, v70
	s_waitcnt lgkmcnt(0)
	s_barrier
	buffer_gl0_inv
	ds_write_b128 v0, v[1:4]
	ds_write_b128 v0, v[25:28] offset:16
	ds_write_b128 v0, v[21:24] offset:32
	ds_write_b128 v0, v[17:20] offset:48
	ds_write_b128 v0, v[13:16] offset:64
	ds_write_b128 v0, v[9:12] offset:80
	ds_write_b128 v0, v[5:8] offset:96
	s_waitcnt lgkmcnt(0)
	s_barrier
	buffer_gl0_inv
	ds_read2st64_b64 v[20:23], v69 offset0:2 offset1:4
	ds_read2st64_b64 v[16:19], v69 offset0:6 offset1:8
	;; [unrolled: 1-line block ×6, first 2 shown]
	ds_read_b64 v[24:25], v69 offset:13312
	v_add_co_u32 v26, s4, s30, v69
	v_add_co_ci_u32_e64 v27, null, s31, 0, s4
	s_and_saveexec_b32 s4, vcc_lo
	s_cbranch_execnz .LBB83_135
; %bb.121:
	s_or_b32 exec_lo, exec_lo, s4
	s_and_saveexec_b32 s4, s0
	s_cbranch_execnz .LBB83_136
.LBB83_122:
	s_or_b32 exec_lo, exec_lo, s4
	s_and_saveexec_b32 s0, s1
	s_cbranch_execnz .LBB83_137
.LBB83_123:
	s_or_b32 exec_lo, exec_lo, s0
	s_and_saveexec_b32 s0, s2
	s_cbranch_execnz .LBB83_138
.LBB83_124:
	s_or_b32 exec_lo, exec_lo, s0
	s_and_saveexec_b32 s0, s3
	s_cbranch_execnz .LBB83_139
.LBB83_125:
	s_or_b32 exec_lo, exec_lo, s0
	s_and_saveexec_b32 s0, s6
	s_cbranch_execnz .LBB83_140
.LBB83_126:
	s_or_b32 exec_lo, exec_lo, s0
	s_and_saveexec_b32 s0, s7
	s_cbranch_execnz .LBB83_141
.LBB83_127:
	s_or_b32 exec_lo, exec_lo, s0
	s_and_saveexec_b32 s0, s8
	s_cbranch_execnz .LBB83_142
.LBB83_128:
	s_or_b32 exec_lo, exec_lo, s0
	s_and_saveexec_b32 s0, s9
	s_cbranch_execnz .LBB83_143
.LBB83_129:
	s_or_b32 exec_lo, exec_lo, s0
	s_and_saveexec_b32 s0, s10
	s_cbranch_execnz .LBB83_144
.LBB83_130:
	s_or_b32 exec_lo, exec_lo, s0
	s_and_saveexec_b32 s0, s11
	s_cbranch_execnz .LBB83_145
.LBB83_131:
	s_or_b32 exec_lo, exec_lo, s0
	s_and_saveexec_b32 s0, s12
	s_cbranch_execnz .LBB83_146
.LBB83_132:
	s_or_b32 exec_lo, exec_lo, s0
	s_and_saveexec_b32 s0, s13
	s_cbranch_execnz .LBB83_147
.LBB83_133:
	s_or_b32 exec_lo, exec_lo, s0
	s_and_saveexec_b32 s0, s14
	s_cbranch_execnz .LBB83_148
.LBB83_134:
	s_endpgm
.LBB83_135:
	ds_read_b64 v[28:29], v69
	s_waitcnt lgkmcnt(0)
	global_store_dwordx2 v[26:27], v[28:29], off
	s_or_b32 exec_lo, exec_lo, s4
	s_and_saveexec_b32 s4, s0
	s_cbranch_execz .LBB83_122
.LBB83_136:
	s_waitcnt lgkmcnt(6)
	global_store_dwordx2 v[26:27], v[20:21], off offset:1024
	s_or_b32 exec_lo, exec_lo, s4
	s_and_saveexec_b32 s0, s1
	s_cbranch_execz .LBB83_123
.LBB83_137:
	s_waitcnt lgkmcnt(6)
	v_add_co_u32 v20, vcc_lo, 0x800, v26
	v_add_co_ci_u32_e64 v21, null, 0, v27, vcc_lo
	global_store_dwordx2 v[20:21], v[22:23], off
	s_or_b32 exec_lo, exec_lo, s0
	s_and_saveexec_b32 s0, s2
	s_cbranch_execz .LBB83_124
.LBB83_138:
	s_waitcnt lgkmcnt(6)
	v_add_co_u32 v20, vcc_lo, 0x800, v26
	v_add_co_ci_u32_e64 v21, null, 0, v27, vcc_lo
	s_waitcnt lgkmcnt(5)
	global_store_dwordx2 v[20:21], v[16:17], off offset:1024
	s_or_b32 exec_lo, exec_lo, s0
	s_and_saveexec_b32 s0, s3
	s_cbranch_execz .LBB83_125
.LBB83_139:
	s_waitcnt lgkmcnt(5)
	v_add_co_u32 v16, vcc_lo, 0x1000, v26
	v_add_co_ci_u32_e64 v17, null, 0, v27, vcc_lo
	global_store_dwordx2 v[16:17], v[18:19], off
	s_or_b32 exec_lo, exec_lo, s0
	s_and_saveexec_b32 s0, s6
	s_cbranch_execz .LBB83_126
.LBB83_140:
	s_waitcnt lgkmcnt(5)
	v_add_co_u32 v16, vcc_lo, 0x1000, v26
	v_add_co_ci_u32_e64 v17, null, 0, v27, vcc_lo
	s_waitcnt lgkmcnt(4)
	global_store_dwordx2 v[16:17], v[12:13], off offset:1024
	s_or_b32 exec_lo, exec_lo, s0
	s_and_saveexec_b32 s0, s7
	s_cbranch_execz .LBB83_127
.LBB83_141:
	s_waitcnt lgkmcnt(4)
	v_add_co_u32 v12, vcc_lo, 0x1800, v26
	v_add_co_ci_u32_e64 v13, null, 0, v27, vcc_lo
	global_store_dwordx2 v[12:13], v[14:15], off
	s_or_b32 exec_lo, exec_lo, s0
	s_and_saveexec_b32 s0, s8
	s_cbranch_execz .LBB83_128
.LBB83_142:
	s_waitcnt lgkmcnt(4)
	v_add_co_u32 v12, vcc_lo, 0x1800, v26
	v_add_co_ci_u32_e64 v13, null, 0, v27, vcc_lo
	s_waitcnt lgkmcnt(3)
	global_store_dwordx2 v[12:13], v[8:9], off offset:1024
	s_or_b32 exec_lo, exec_lo, s0
	s_and_saveexec_b32 s0, s9
	s_cbranch_execz .LBB83_129
.LBB83_143:
	s_waitcnt lgkmcnt(3)
	v_add_co_u32 v8, vcc_lo, 0x2000, v26
	v_add_co_ci_u32_e64 v9, null, 0, v27, vcc_lo
	global_store_dwordx2 v[8:9], v[10:11], off
	s_or_b32 exec_lo, exec_lo, s0
	s_and_saveexec_b32 s0, s10
	s_cbranch_execz .LBB83_130
.LBB83_144:
	s_waitcnt lgkmcnt(3)
	v_add_co_u32 v8, vcc_lo, 0x2000, v26
	v_add_co_ci_u32_e64 v9, null, 0, v27, vcc_lo
	s_waitcnt lgkmcnt(2)
	global_store_dwordx2 v[8:9], v[4:5], off offset:1024
	s_or_b32 exec_lo, exec_lo, s0
	s_and_saveexec_b32 s0, s11
	s_cbranch_execz .LBB83_131
.LBB83_145:
	s_waitcnt lgkmcnt(2)
	v_add_co_u32 v4, vcc_lo, 0x2800, v26
	v_add_co_ci_u32_e64 v5, null, 0, v27, vcc_lo
	global_store_dwordx2 v[4:5], v[6:7], off
	s_or_b32 exec_lo, exec_lo, s0
	s_and_saveexec_b32 s0, s12
	s_cbranch_execz .LBB83_132
.LBB83_146:
	s_waitcnt lgkmcnt(2)
	v_add_co_u32 v4, vcc_lo, 0x2800, v26
	v_add_co_ci_u32_e64 v5, null, 0, v27, vcc_lo
	s_waitcnt lgkmcnt(1)
	global_store_dwordx2 v[4:5], v[0:1], off offset:1024
	s_or_b32 exec_lo, exec_lo, s0
	s_and_saveexec_b32 s0, s13
	s_cbranch_execz .LBB83_133
.LBB83_147:
	s_waitcnt lgkmcnt(1)
	v_add_co_u32 v0, vcc_lo, 0x3000, v26
	v_add_co_ci_u32_e64 v1, null, 0, v27, vcc_lo
	global_store_dwordx2 v[0:1], v[2:3], off
	s_or_b32 exec_lo, exec_lo, s0
	s_and_saveexec_b32 s0, s14
	s_cbranch_execz .LBB83_134
.LBB83_148:
	s_waitcnt lgkmcnt(1)
	v_add_co_u32 v0, vcc_lo, 0x3000, v26
	v_add_co_ci_u32_e64 v1, null, 0, v27, vcc_lo
	s_waitcnt lgkmcnt(0)
	global_store_dwordx2 v[0:1], v[24:25], off offset:1024
	s_endpgm
	.section	.rodata,"a",@progbits
	.p2align	6, 0x0
	.amdhsa_kernel _ZN7rocprim17ROCPRIM_400000_NS6detail17trampoline_kernelINS0_14default_configENS1_20scan_config_selectorIdEEZZNS1_9scan_implILNS1_25lookback_scan_determinismE0ELb0ELb0ES3_PKdPddZZZN2at6native31launch_logcumsumexp_cuda_kernelERKNSB_10TensorBaseESF_lENKUlvE_clEvENKUlvE_clEvEUlddE_dEEDaPvRmT3_T4_T5_mT6_P12ihipStream_tbENKUlT_T0_E_clISt17integral_constantIbLb0EESV_IbLb1EEEEDaSR_SS_EUlSR_E0_NS1_11comp_targetILNS1_3genE8ELNS1_11target_archE1030ELNS1_3gpuE2ELNS1_3repE0EEENS1_30default_config_static_selectorELNS0_4arch9wavefront6targetE0EEEvT1_
		.amdhsa_group_segment_fixed_size 14336
		.amdhsa_private_segment_fixed_size 0
		.amdhsa_kernarg_size 40
		.amdhsa_user_sgpr_count 6
		.amdhsa_user_sgpr_private_segment_buffer 1
		.amdhsa_user_sgpr_dispatch_ptr 0
		.amdhsa_user_sgpr_queue_ptr 0
		.amdhsa_user_sgpr_kernarg_segment_ptr 1
		.amdhsa_user_sgpr_dispatch_id 0
		.amdhsa_user_sgpr_flat_scratch_init 0
		.amdhsa_user_sgpr_private_segment_size 0
		.amdhsa_wavefront_size32 1
		.amdhsa_uses_dynamic_stack 0
		.amdhsa_system_sgpr_private_segment_wavefront_offset 0
		.amdhsa_system_sgpr_workgroup_id_x 1
		.amdhsa_system_sgpr_workgroup_id_y 0
		.amdhsa_system_sgpr_workgroup_id_z 0
		.amdhsa_system_sgpr_workgroup_info 0
		.amdhsa_system_vgpr_workitem_id 0
		.amdhsa_next_free_vgpr 97
		.amdhsa_next_free_sgpr 44
		.amdhsa_reserve_vcc 1
		.amdhsa_reserve_flat_scratch 0
		.amdhsa_float_round_mode_32 0
		.amdhsa_float_round_mode_16_64 0
		.amdhsa_float_denorm_mode_32 3
		.amdhsa_float_denorm_mode_16_64 3
		.amdhsa_dx10_clamp 1
		.amdhsa_ieee_mode 1
		.amdhsa_fp16_overflow 0
		.amdhsa_workgroup_processor_mode 1
		.amdhsa_memory_ordered 1
		.amdhsa_forward_progress 1
		.amdhsa_shared_vgpr_count 0
		.amdhsa_exception_fp_ieee_invalid_op 0
		.amdhsa_exception_fp_denorm_src 0
		.amdhsa_exception_fp_ieee_div_zero 0
		.amdhsa_exception_fp_ieee_overflow 0
		.amdhsa_exception_fp_ieee_underflow 0
		.amdhsa_exception_fp_ieee_inexact 0
		.amdhsa_exception_int_div_zero 0
	.end_amdhsa_kernel
	.section	.text._ZN7rocprim17ROCPRIM_400000_NS6detail17trampoline_kernelINS0_14default_configENS1_20scan_config_selectorIdEEZZNS1_9scan_implILNS1_25lookback_scan_determinismE0ELb0ELb0ES3_PKdPddZZZN2at6native31launch_logcumsumexp_cuda_kernelERKNSB_10TensorBaseESF_lENKUlvE_clEvENKUlvE_clEvEUlddE_dEEDaPvRmT3_T4_T5_mT6_P12ihipStream_tbENKUlT_T0_E_clISt17integral_constantIbLb0EESV_IbLb1EEEEDaSR_SS_EUlSR_E0_NS1_11comp_targetILNS1_3genE8ELNS1_11target_archE1030ELNS1_3gpuE2ELNS1_3repE0EEENS1_30default_config_static_selectorELNS0_4arch9wavefront6targetE0EEEvT1_,"axG",@progbits,_ZN7rocprim17ROCPRIM_400000_NS6detail17trampoline_kernelINS0_14default_configENS1_20scan_config_selectorIdEEZZNS1_9scan_implILNS1_25lookback_scan_determinismE0ELb0ELb0ES3_PKdPddZZZN2at6native31launch_logcumsumexp_cuda_kernelERKNSB_10TensorBaseESF_lENKUlvE_clEvENKUlvE_clEvEUlddE_dEEDaPvRmT3_T4_T5_mT6_P12ihipStream_tbENKUlT_T0_E_clISt17integral_constantIbLb0EESV_IbLb1EEEEDaSR_SS_EUlSR_E0_NS1_11comp_targetILNS1_3genE8ELNS1_11target_archE1030ELNS1_3gpuE2ELNS1_3repE0EEENS1_30default_config_static_selectorELNS0_4arch9wavefront6targetE0EEEvT1_,comdat
.Lfunc_end83:
	.size	_ZN7rocprim17ROCPRIM_400000_NS6detail17trampoline_kernelINS0_14default_configENS1_20scan_config_selectorIdEEZZNS1_9scan_implILNS1_25lookback_scan_determinismE0ELb0ELb0ES3_PKdPddZZZN2at6native31launch_logcumsumexp_cuda_kernelERKNSB_10TensorBaseESF_lENKUlvE_clEvENKUlvE_clEvEUlddE_dEEDaPvRmT3_T4_T5_mT6_P12ihipStream_tbENKUlT_T0_E_clISt17integral_constantIbLb0EESV_IbLb1EEEEDaSR_SS_EUlSR_E0_NS1_11comp_targetILNS1_3genE8ELNS1_11target_archE1030ELNS1_3gpuE2ELNS1_3repE0EEENS1_30default_config_static_selectorELNS0_4arch9wavefront6targetE0EEEvT1_, .Lfunc_end83-_ZN7rocprim17ROCPRIM_400000_NS6detail17trampoline_kernelINS0_14default_configENS1_20scan_config_selectorIdEEZZNS1_9scan_implILNS1_25lookback_scan_determinismE0ELb0ELb0ES3_PKdPddZZZN2at6native31launch_logcumsumexp_cuda_kernelERKNSB_10TensorBaseESF_lENKUlvE_clEvENKUlvE_clEvEUlddE_dEEDaPvRmT3_T4_T5_mT6_P12ihipStream_tbENKUlT_T0_E_clISt17integral_constantIbLb0EESV_IbLb1EEEEDaSR_SS_EUlSR_E0_NS1_11comp_targetILNS1_3genE8ELNS1_11target_archE1030ELNS1_3gpuE2ELNS1_3repE0EEENS1_30default_config_static_selectorELNS0_4arch9wavefront6targetE0EEEvT1_
                                        ; -- End function
	.set _ZN7rocprim17ROCPRIM_400000_NS6detail17trampoline_kernelINS0_14default_configENS1_20scan_config_selectorIdEEZZNS1_9scan_implILNS1_25lookback_scan_determinismE0ELb0ELb0ES3_PKdPddZZZN2at6native31launch_logcumsumexp_cuda_kernelERKNSB_10TensorBaseESF_lENKUlvE_clEvENKUlvE_clEvEUlddE_dEEDaPvRmT3_T4_T5_mT6_P12ihipStream_tbENKUlT_T0_E_clISt17integral_constantIbLb0EESV_IbLb1EEEEDaSR_SS_EUlSR_E0_NS1_11comp_targetILNS1_3genE8ELNS1_11target_archE1030ELNS1_3gpuE2ELNS1_3repE0EEENS1_30default_config_static_selectorELNS0_4arch9wavefront6targetE0EEEvT1_.num_vgpr, 95
	.set _ZN7rocprim17ROCPRIM_400000_NS6detail17trampoline_kernelINS0_14default_configENS1_20scan_config_selectorIdEEZZNS1_9scan_implILNS1_25lookback_scan_determinismE0ELb0ELb0ES3_PKdPddZZZN2at6native31launch_logcumsumexp_cuda_kernelERKNSB_10TensorBaseESF_lENKUlvE_clEvENKUlvE_clEvEUlddE_dEEDaPvRmT3_T4_T5_mT6_P12ihipStream_tbENKUlT_T0_E_clISt17integral_constantIbLb0EESV_IbLb1EEEEDaSR_SS_EUlSR_E0_NS1_11comp_targetILNS1_3genE8ELNS1_11target_archE1030ELNS1_3gpuE2ELNS1_3repE0EEENS1_30default_config_static_selectorELNS0_4arch9wavefront6targetE0EEEvT1_.num_agpr, 0
	.set _ZN7rocprim17ROCPRIM_400000_NS6detail17trampoline_kernelINS0_14default_configENS1_20scan_config_selectorIdEEZZNS1_9scan_implILNS1_25lookback_scan_determinismE0ELb0ELb0ES3_PKdPddZZZN2at6native31launch_logcumsumexp_cuda_kernelERKNSB_10TensorBaseESF_lENKUlvE_clEvENKUlvE_clEvEUlddE_dEEDaPvRmT3_T4_T5_mT6_P12ihipStream_tbENKUlT_T0_E_clISt17integral_constantIbLb0EESV_IbLb1EEEEDaSR_SS_EUlSR_E0_NS1_11comp_targetILNS1_3genE8ELNS1_11target_archE1030ELNS1_3gpuE2ELNS1_3repE0EEENS1_30default_config_static_selectorELNS0_4arch9wavefront6targetE0EEEvT1_.numbered_sgpr, 44
	.set _ZN7rocprim17ROCPRIM_400000_NS6detail17trampoline_kernelINS0_14default_configENS1_20scan_config_selectorIdEEZZNS1_9scan_implILNS1_25lookback_scan_determinismE0ELb0ELb0ES3_PKdPddZZZN2at6native31launch_logcumsumexp_cuda_kernelERKNSB_10TensorBaseESF_lENKUlvE_clEvENKUlvE_clEvEUlddE_dEEDaPvRmT3_T4_T5_mT6_P12ihipStream_tbENKUlT_T0_E_clISt17integral_constantIbLb0EESV_IbLb1EEEEDaSR_SS_EUlSR_E0_NS1_11comp_targetILNS1_3genE8ELNS1_11target_archE1030ELNS1_3gpuE2ELNS1_3repE0EEENS1_30default_config_static_selectorELNS0_4arch9wavefront6targetE0EEEvT1_.num_named_barrier, 0
	.set _ZN7rocprim17ROCPRIM_400000_NS6detail17trampoline_kernelINS0_14default_configENS1_20scan_config_selectorIdEEZZNS1_9scan_implILNS1_25lookback_scan_determinismE0ELb0ELb0ES3_PKdPddZZZN2at6native31launch_logcumsumexp_cuda_kernelERKNSB_10TensorBaseESF_lENKUlvE_clEvENKUlvE_clEvEUlddE_dEEDaPvRmT3_T4_T5_mT6_P12ihipStream_tbENKUlT_T0_E_clISt17integral_constantIbLb0EESV_IbLb1EEEEDaSR_SS_EUlSR_E0_NS1_11comp_targetILNS1_3genE8ELNS1_11target_archE1030ELNS1_3gpuE2ELNS1_3repE0EEENS1_30default_config_static_selectorELNS0_4arch9wavefront6targetE0EEEvT1_.private_seg_size, 0
	.set _ZN7rocprim17ROCPRIM_400000_NS6detail17trampoline_kernelINS0_14default_configENS1_20scan_config_selectorIdEEZZNS1_9scan_implILNS1_25lookback_scan_determinismE0ELb0ELb0ES3_PKdPddZZZN2at6native31launch_logcumsumexp_cuda_kernelERKNSB_10TensorBaseESF_lENKUlvE_clEvENKUlvE_clEvEUlddE_dEEDaPvRmT3_T4_T5_mT6_P12ihipStream_tbENKUlT_T0_E_clISt17integral_constantIbLb0EESV_IbLb1EEEEDaSR_SS_EUlSR_E0_NS1_11comp_targetILNS1_3genE8ELNS1_11target_archE1030ELNS1_3gpuE2ELNS1_3repE0EEENS1_30default_config_static_selectorELNS0_4arch9wavefront6targetE0EEEvT1_.uses_vcc, 1
	.set _ZN7rocprim17ROCPRIM_400000_NS6detail17trampoline_kernelINS0_14default_configENS1_20scan_config_selectorIdEEZZNS1_9scan_implILNS1_25lookback_scan_determinismE0ELb0ELb0ES3_PKdPddZZZN2at6native31launch_logcumsumexp_cuda_kernelERKNSB_10TensorBaseESF_lENKUlvE_clEvENKUlvE_clEvEUlddE_dEEDaPvRmT3_T4_T5_mT6_P12ihipStream_tbENKUlT_T0_E_clISt17integral_constantIbLb0EESV_IbLb1EEEEDaSR_SS_EUlSR_E0_NS1_11comp_targetILNS1_3genE8ELNS1_11target_archE1030ELNS1_3gpuE2ELNS1_3repE0EEENS1_30default_config_static_selectorELNS0_4arch9wavefront6targetE0EEEvT1_.uses_flat_scratch, 0
	.set _ZN7rocprim17ROCPRIM_400000_NS6detail17trampoline_kernelINS0_14default_configENS1_20scan_config_selectorIdEEZZNS1_9scan_implILNS1_25lookback_scan_determinismE0ELb0ELb0ES3_PKdPddZZZN2at6native31launch_logcumsumexp_cuda_kernelERKNSB_10TensorBaseESF_lENKUlvE_clEvENKUlvE_clEvEUlddE_dEEDaPvRmT3_T4_T5_mT6_P12ihipStream_tbENKUlT_T0_E_clISt17integral_constantIbLb0EESV_IbLb1EEEEDaSR_SS_EUlSR_E0_NS1_11comp_targetILNS1_3genE8ELNS1_11target_archE1030ELNS1_3gpuE2ELNS1_3repE0EEENS1_30default_config_static_selectorELNS0_4arch9wavefront6targetE0EEEvT1_.has_dyn_sized_stack, 0
	.set _ZN7rocprim17ROCPRIM_400000_NS6detail17trampoline_kernelINS0_14default_configENS1_20scan_config_selectorIdEEZZNS1_9scan_implILNS1_25lookback_scan_determinismE0ELb0ELb0ES3_PKdPddZZZN2at6native31launch_logcumsumexp_cuda_kernelERKNSB_10TensorBaseESF_lENKUlvE_clEvENKUlvE_clEvEUlddE_dEEDaPvRmT3_T4_T5_mT6_P12ihipStream_tbENKUlT_T0_E_clISt17integral_constantIbLb0EESV_IbLb1EEEEDaSR_SS_EUlSR_E0_NS1_11comp_targetILNS1_3genE8ELNS1_11target_archE1030ELNS1_3gpuE2ELNS1_3repE0EEENS1_30default_config_static_selectorELNS0_4arch9wavefront6targetE0EEEvT1_.has_recursion, 0
	.set _ZN7rocprim17ROCPRIM_400000_NS6detail17trampoline_kernelINS0_14default_configENS1_20scan_config_selectorIdEEZZNS1_9scan_implILNS1_25lookback_scan_determinismE0ELb0ELb0ES3_PKdPddZZZN2at6native31launch_logcumsumexp_cuda_kernelERKNSB_10TensorBaseESF_lENKUlvE_clEvENKUlvE_clEvEUlddE_dEEDaPvRmT3_T4_T5_mT6_P12ihipStream_tbENKUlT_T0_E_clISt17integral_constantIbLb0EESV_IbLb1EEEEDaSR_SS_EUlSR_E0_NS1_11comp_targetILNS1_3genE8ELNS1_11target_archE1030ELNS1_3gpuE2ELNS1_3repE0EEENS1_30default_config_static_selectorELNS0_4arch9wavefront6targetE0EEEvT1_.has_indirect_call, 0
	.section	.AMDGPU.csdata,"",@progbits
; Kernel info:
; codeLenInByte = 59720
; TotalNumSgprs: 46
; NumVgprs: 95
; ScratchSize: 0
; MemoryBound: 0
; FloatMode: 240
; IeeeMode: 1
; LDSByteSize: 14336 bytes/workgroup (compile time only)
; SGPRBlocks: 0
; VGPRBlocks: 12
; NumSGPRsForWavesPerEU: 46
; NumVGPRsForWavesPerEU: 97
; Occupancy: 9
; WaveLimiterHint : 0
; COMPUTE_PGM_RSRC2:SCRATCH_EN: 0
; COMPUTE_PGM_RSRC2:USER_SGPR: 6
; COMPUTE_PGM_RSRC2:TRAP_HANDLER: 0
; COMPUTE_PGM_RSRC2:TGID_X_EN: 1
; COMPUTE_PGM_RSRC2:TGID_Y_EN: 0
; COMPUTE_PGM_RSRC2:TGID_Z_EN: 0
; COMPUTE_PGM_RSRC2:TIDIG_COMP_CNT: 0
	.section	.text._ZN2at6native32tensor_kernel_scan_innermost_dimIdZZZNS0_31launch_logcumsumexp_cuda_kernelERKNS_10TensorBaseES4_lENKUlvE_clEvENKUlvE_clEvEUlddE_EEvPT_PKS8_jjjS8_T0_,"axG",@progbits,_ZN2at6native32tensor_kernel_scan_innermost_dimIdZZZNS0_31launch_logcumsumexp_cuda_kernelERKNS_10TensorBaseES4_lENKUlvE_clEvENKUlvE_clEvEUlddE_EEvPT_PKS8_jjjS8_T0_,comdat
	.globl	_ZN2at6native32tensor_kernel_scan_innermost_dimIdZZZNS0_31launch_logcumsumexp_cuda_kernelERKNS_10TensorBaseES4_lENKUlvE_clEvENKUlvE_clEvEUlddE_EEvPT_PKS8_jjjS8_T0_ ; -- Begin function _ZN2at6native32tensor_kernel_scan_innermost_dimIdZZZNS0_31launch_logcumsumexp_cuda_kernelERKNS_10TensorBaseES4_lENKUlvE_clEvENKUlvE_clEvEUlddE_EEvPT_PKS8_jjjS8_T0_
	.p2align	8
	.type	_ZN2at6native32tensor_kernel_scan_innermost_dimIdZZZNS0_31launch_logcumsumexp_cuda_kernelERKNS_10TensorBaseES4_lENKUlvE_clEvENKUlvE_clEvEUlddE_EEvPT_PKS8_jjjS8_T0_,@function
_ZN2at6native32tensor_kernel_scan_innermost_dimIdZZZNS0_31launch_logcumsumexp_cuda_kernelERKNS_10TensorBaseES4_lENKUlvE_clEvENKUlvE_clEvEUlddE_EEvPT_PKS8_jjjS8_T0_: ; @_ZN2at6native32tensor_kernel_scan_innermost_dimIdZZZNS0_31launch_logcumsumexp_cuda_kernelERKNS_10TensorBaseES4_lENKUlvE_clEvENKUlvE_clEvEUlddE_EEvPT_PKS8_jjjS8_T0_
; %bb.0:
	s_clause 0x1
	s_load_dwordx8 s[8:15], s[4:5], 0x0
	s_load_dwordx2 s[16:17], s[4:5], 0x20
	v_mov_b32_e32 v2, v1
	s_waitcnt lgkmcnt(0)
	s_lshl_b32 s15, 2, s14
	s_mul_hi_u32 s0, s12, s13
	v_mul_lo_u32 v1, s15, v2
	s_cmp_lg_u32 s0, 0
	s_mov_b32 s0, -1
	v_lshl_add_u32 v14, v1, 3, 0
	s_cbranch_scc1 .LBB84_30
; %bb.1:
	s_load_dword s2, s[4:5], 0x3c
	s_add_u32 s0, s4, 48
	s_addc_u32 s1, s5, 0
	s_waitcnt lgkmcnt(0)
	s_lshr_b32 s2, s2, 16
	s_mul_i32 s33, s6, s2
	s_cmp_ge_u32 s33, s12
	s_cbranch_scc1 .LBB84_29
; %bb.2:
	s_load_dword s69, s[0:1], 0x0
	s_lshl_b32 s66, 1, s14
	v_lshl_add_u32 v1, v0, 3, v14
	s_cmp_lg_u32 s13, 0
	v_cmp_eq_u32_e64 s0, 0, v0
	s_cselect_b32 s67, -1, 0
	s_lshl_b32 s1, s15, 3
	v_mov_b32_e32 v4, 0
	v_lshl_add_u32 v15, s66, 3, v1
	v_add3_u32 v16, v14, s1, -8
	s_mov_b32 s18, 0x652b82fe
	s_mov_b32 s20, 0xfefa39ef
	;; [unrolled: 1-line block ×24, first 2 shown]
	s_add_i32 s68, s14, 1
	s_waitcnt lgkmcnt(0)
	s_mul_i32 s69, s69, s2
	s_mov_b32 s27, 0x3e5ade15
	s_mov_b32 s29, 0x3ec71dee
	;; [unrolled: 1-line block ×19, first 2 shown]
	s_branch .LBB84_4
.LBB84_3:                               ;   in Loop: Header=BB84_4 Depth=1
	s_add_i32 s33, s33, s69
	s_cmp_ge_u32 s33, s12
	s_cbranch_scc1 .LBB84_29
.LBB84_4:                               ; =>This Loop Header: Depth=1
                                        ;     Child Loop BB84_7 Depth 2
                                        ;       Child Loop BB84_19 Depth 3
	s_andn2_b32 vcc_lo, exec_lo, s67
	s_cbranch_vccnz .LBB84_3
; %bb.5:                                ;   in Loop: Header=BB84_4 Depth=1
	v_add_nc_u32_e32 v7, s33, v2
	v_mov_b32_e32 v8, s16
	v_mov_b32_e32 v9, s17
	s_mov_b32 s70, 0
	v_mul_lo_u32 v3, v7, s13
	v_cmp_le_u32_e64 s1, s12, v7
	v_cmp_gt_u32_e32 vcc_lo, s12, v7
	v_lshlrev_b64 v[5:6], 3, v[3:4]
	v_add_co_u32 v17, s2, s10, v5
	v_add_co_ci_u32_e64 v18, null, s11, v6, s2
	v_add_co_u32 v19, s2, s8, v5
	v_add_co_ci_u32_e64 v20, null, s9, v6, s2
	s_branch .LBB84_7
.LBB84_6:                               ;   in Loop: Header=BB84_7 Depth=2
	s_or_b32 exec_lo, exec_lo, s3
	ds_read_b64 v[8:9], v16
	s_add_i32 s70, s70, s15
	s_waitcnt lgkmcnt(0)
	s_waitcnt_vscnt null, 0x0
	s_cmp_ge_u32 s70, s13
	s_barrier
	buffer_gl0_inv
	s_cbranch_scc1 .LBB84_3
.LBB84_7:                               ;   Parent Loop BB84_4 Depth=1
                                        ; =>  This Loop Header: Depth=2
                                        ;       Child Loop BB84_19 Depth 3
	v_add_nc_u32_e32 v3, s70, v0
	v_add_nc_u32_e32 v5, s66, v3
	s_and_saveexec_b32 s71, vcc_lo
	s_cbranch_execz .LBB84_16
; %bb.8:                                ;   in Loop: Header=BB84_7 Depth=2
	v_mov_b32_e32 v6, s16
	v_mov_b32_e32 v7, s17
	s_mov_b32 s3, exec_lo
	v_cmpx_gt_u32_e64 s13, v3
	s_cbranch_execz .LBB84_10
; %bb.9:                                ;   in Loop: Header=BB84_7 Depth=2
	v_lshlrev_b64 v[6:7], 3, v[3:4]
	v_add_co_u32 v6, s2, v17, v6
	v_add_co_ci_u32_e64 v7, null, v18, v7, s2
	global_load_dwordx2 v[6:7], v[6:7], off
.LBB84_10:                              ;   in Loop: Header=BB84_7 Depth=2
	s_or_b32 exec_lo, exec_lo, s3
	v_mov_b32_e32 v10, s16
	v_mov_b32_e32 v11, s17
	s_mov_b32 s3, exec_lo
	s_waitcnt vmcnt(0)
	ds_write_b64 v1, v[6:7]
	v_cmpx_gt_u32_e64 s13, v5
	s_cbranch_execz .LBB84_12
; %bb.11:                               ;   in Loop: Header=BB84_7 Depth=2
	v_mov_b32_e32 v6, v4
	v_lshlrev_b64 v[6:7], 3, v[5:6]
	v_add_co_u32 v6, s2, v17, v6
	v_add_co_ci_u32_e64 v7, null, v18, v7, s2
	global_load_dwordx2 v[10:11], v[6:7], off
.LBB84_12:                              ;   in Loop: Header=BB84_7 Depth=2
	s_or_b32 exec_lo, exec_lo, s3
	s_waitcnt vmcnt(0)
	ds_write_b64 v15, v[10:11]
	s_and_b32 exec_lo, exec_lo, s0
	s_cbranch_execz .LBB84_16
; %bb.13:                               ;   in Loop: Header=BB84_7 Depth=2
	ds_read_b64 v[10:11], v14
	v_max_f64 v[6:7], v[8:9], v[8:9]
	v_cmp_u_f64_e64 s3, v[8:9], v[8:9]
	s_waitcnt lgkmcnt(0)
	v_max_f64 v[12:13], v[10:11], v[10:11]
	v_cmp_u_f64_e64 s2, v[10:11], v[10:11]
	v_min_f64 v[21:22], v[12:13], v[6:7]
	v_max_f64 v[6:7], v[12:13], v[6:7]
	v_cndmask_b32_e64 v12, v21, v10, s2
	v_cndmask_b32_e64 v13, v22, v11, s2
	;; [unrolled: 1-line block ×8, first 2 shown]
	v_cmp_class_f64_e64 s3, v[12:13], 0x1f8
	v_cmp_neq_f64_e64 s2, v[12:13], v[6:7]
	s_or_b32 s2, s2, s3
	s_and_saveexec_b32 s72, s2
	s_cbranch_execz .LBB84_15
; %bb.14:                               ;   in Loop: Header=BB84_7 Depth=2
	v_add_f64 v[8:9], v[12:13], -v[6:7]
	s_mov_b32 s61, s47
	s_mov_b32 s62, s20
	;; [unrolled: 1-line block ×3, first 2 shown]
	v_mul_f64 v[10:11], v[8:9], s[18:19]
	v_cmp_nlt_f64_e64 s2, 0x40900000, v[8:9]
	v_cmp_ngt_f64_e64 s3, 0xc090cc00, v[8:9]
	v_rndne_f64_e32 v[10:11], v[10:11]
	v_fma_f64 v[12:13], v[10:11], s[20:21], v[8:9]
	v_cvt_i32_f64_e32 v23, v[10:11]
	v_fma_f64 v[12:13], v[10:11], s[22:23], v[12:13]
	v_fma_f64 v[21:22], v[12:13], s[26:27], s[24:25]
	;; [unrolled: 1-line block ×10, first 2 shown]
	v_fma_f64 v[21:22], v[12:13], v[21:22], 1.0
	v_fma_f64 v[10:11], v[12:13], v[21:22], 1.0
	v_ldexp_f64 v[10:11], v[10:11], v23
	v_cndmask_b32_e64 v11, 0x7ff00000, v11, s2
	s_and_b32 s2, s3, s2
	v_cndmask_b32_e64 v8, 0, v10, s2
	v_cndmask_b32_e64 v9, 0, v11, s3
	v_add_f64 v[10:11], v[8:9], 1.0
	v_cmp_neq_f64_e64 s3, 0x7ff00000, v[8:9]
	v_cmp_ngt_f64_e64 s7, -1.0, v[8:9]
	v_frexp_mant_f64_e32 v[12:13], v[10:11]
	v_frexp_exp_i32_f64_e32 v23, v[10:11]
	v_add_f64 v[21:22], v[10:11], -1.0
	v_cmp_gt_f64_e64 s2, s[46:47], v[12:13]
	v_add_f64 v[12:13], v[21:22], -v[10:11]
	v_add_f64 v[21:22], v[8:9], -v[21:22]
	v_subrev_co_ci_u32_e64 v39, null, 0, v23, s2
	v_add_f64 v[12:13], v[12:13], 1.0
	v_cmp_nge_f64_e64 s2, -1.0, v[8:9]
	v_sub_nc_u32_e32 v25, 0, v39
	v_ldexp_f64 v[10:11], v[10:11], v25
	v_add_f64 v[12:13], v[21:22], v[12:13]
	s_and_b32 s2, s2, s3
	v_add_f64 v[23:24], v[10:11], 1.0
	v_add_f64 v[29:30], v[10:11], -1.0
	v_ldexp_f64 v[12:13], v[12:13], v25
	v_add_f64 v[21:22], v[23:24], -1.0
	v_add_f64 v[31:32], v[29:30], 1.0
	v_add_f64 v[21:22], v[10:11], -v[21:22]
	v_add_f64 v[10:11], v[10:11], -v[31:32]
	v_add_f64 v[21:22], v[12:13], v[21:22]
	v_add_f64 v[10:11], v[12:13], v[10:11]
	v_add_f64 v[25:26], v[23:24], v[21:22]
	v_add_f64 v[31:32], v[29:30], v[10:11]
	v_rcp_f64_e32 v[27:28], v[25:26]
	v_add_f64 v[23:24], v[25:26], -v[23:24]
	v_add_f64 v[29:30], v[31:32], -v[29:30]
	v_add_f64 v[21:22], v[21:22], -v[23:24]
	v_fma_f64 v[33:34], -v[25:26], v[27:28], 1.0
	v_add_f64 v[10:11], v[10:11], -v[29:30]
	v_fma_f64 v[27:28], v[33:34], v[27:28], v[27:28]
	v_fma_f64 v[12:13], -v[25:26], v[27:28], 1.0
	v_fma_f64 v[12:13], v[12:13], v[27:28], v[27:28]
	v_mul_f64 v[27:28], v[31:32], v[12:13]
	v_mul_f64 v[33:34], v[25:26], v[27:28]
	v_fma_f64 v[23:24], v[27:28], v[25:26], -v[33:34]
	v_fma_f64 v[23:24], v[27:28], v[21:22], v[23:24]
	v_add_f64 v[35:36], v[33:34], v[23:24]
	v_add_f64 v[37:38], v[31:32], -v[35:36]
	v_add_f64 v[29:30], v[35:36], -v[33:34]
	;; [unrolled: 1-line block ×5, first 2 shown]
	v_add_f64 v[10:11], v[10:11], v[31:32]
	v_add_f64 v[10:11], v[23:24], v[10:11]
	;; [unrolled: 1-line block ×3, first 2 shown]
	v_mul_f64 v[29:30], v[12:13], v[23:24]
	v_add_f64 v[35:36], v[37:38], -v[23:24]
	v_mul_f64 v[31:32], v[25:26], v[29:30]
	v_add_f64 v[10:11], v[10:11], v[35:36]
	v_fma_f64 v[25:26], v[29:30], v[25:26], -v[31:32]
	v_fma_f64 v[21:22], v[29:30], v[21:22], v[25:26]
	v_add_f64 v[25:26], v[31:32], v[21:22]
	v_add_f64 v[33:34], v[23:24], -v[25:26]
	v_add_f64 v[31:32], v[25:26], -v[31:32]
	;; [unrolled: 1-line block ×5, first 2 shown]
	v_add_f64 v[10:11], v[10:11], v[23:24]
	v_add_f64 v[23:24], v[27:28], v[29:30]
	;; [unrolled: 1-line block ×3, first 2 shown]
	v_add_f64 v[21:22], v[23:24], -v[27:28]
	v_add_f64 v[10:11], v[33:34], v[10:11]
	v_add_f64 v[21:22], v[29:30], -v[21:22]
	v_mul_f64 v[10:11], v[12:13], v[10:11]
	v_add_f64 v[10:11], v[21:22], v[10:11]
	v_add_f64 v[12:13], v[23:24], v[10:11]
	v_mul_f64 v[21:22], v[12:13], v[12:13]
	v_fma_f64 v[25:26], v[21:22], s[50:51], s[48:49]
	v_mul_f64 v[27:28], v[12:13], v[21:22]
	v_fma_f64 v[25:26], v[21:22], v[25:26], s[52:53]
	v_fma_f64 v[25:26], v[21:22], v[25:26], s[54:55]
	;; [unrolled: 1-line block ×5, first 2 shown]
	v_ldexp_f64 v[25:26], v[12:13], 1
	v_add_f64 v[12:13], v[12:13], -v[23:24]
	v_mul_f64 v[21:22], v[27:28], v[21:22]
	v_cvt_f64_i32_e32 v[27:28], v39
	v_add_f64 v[10:11], v[10:11], -v[12:13]
	v_add_f64 v[23:24], v[25:26], v[21:22]
	v_mul_f64 v[29:30], v[27:28], s[62:63]
	v_ldexp_f64 v[10:11], v[10:11], 1
	v_add_f64 v[12:13], v[23:24], -v[25:26]
	v_fma_f64 v[25:26], v[27:28], s[62:63], -v[29:30]
	v_add_f64 v[12:13], v[21:22], -v[12:13]
	v_fma_f64 v[21:22], v[27:28], s[64:65], v[25:26]
	v_add_f64 v[10:11], v[10:11], v[12:13]
	v_add_f64 v[12:13], v[29:30], v[21:22]
	;; [unrolled: 1-line block ×3, first 2 shown]
	v_add_f64 v[29:30], v[12:13], -v[29:30]
	v_add_f64 v[27:28], v[12:13], v[25:26]
	v_add_f64 v[23:24], v[25:26], -v[23:24]
	v_add_f64 v[21:22], v[21:22], -v[29:30]
	;; [unrolled: 1-line block ×6, first 2 shown]
	v_add_f64 v[25:26], v[21:22], v[10:11]
	v_add_f64 v[12:13], v[12:13], -v[33:34]
	v_add_f64 v[12:13], v[23:24], v[12:13]
	v_add_f64 v[23:24], v[25:26], -v[21:22]
	;; [unrolled: 2-line block ×3, first 2 shown]
	v_add_f64 v[10:11], v[10:11], -v[23:24]
	v_add_f64 v[29:30], v[27:28], v[12:13]
	v_add_f64 v[21:22], v[21:22], -v[25:26]
	v_add_f64 v[23:24], v[29:30], -v[27:28]
	v_add_f64 v[10:11], v[10:11], v[21:22]
	v_add_f64 v[12:13], v[12:13], -v[23:24]
	v_add_f64 v[10:11], v[10:11], v[12:13]
	v_add_f64 v[10:11], v[29:30], v[10:11]
	v_cndmask_b32_e64 v10, 0, v10, s2
	v_cmp_neq_f64_e64 s2, -1.0, v[8:9]
	v_cndmask_b32_e64 v11, 0x7ff00000, v11, s3
	v_cndmask_b32_e64 v11, 0x7ff80000, v11, s7
	;; [unrolled: 1-line block ×3, first 2 shown]
	v_add_f64 v[10:11], v[6:7], v[10:11]
.LBB84_15:                              ;   in Loop: Header=BB84_7 Depth=2
	s_or_b32 exec_lo, exec_lo, s72
	ds_write_b64 v14, v[10:11]
.LBB84_16:                              ;   in Loop: Header=BB84_7 Depth=2
	s_or_b32 exec_lo, exec_lo, s71
	v_mov_b32_e32 v6, 0
	s_mov_b32 s71, 0
	s_waitcnt lgkmcnt(0)
	s_barrier
	buffer_gl0_inv
	s_branch .LBB84_19
.LBB84_17:                              ;   in Loop: Header=BB84_19 Depth=3
	s_or_b32 exec_lo, exec_lo, s73
	ds_write_b64 v13, v[8:9]
.LBB84_18:                              ;   in Loop: Header=BB84_19 Depth=3
	s_or_b32 exec_lo, exec_lo, s72
	v_cmp_eq_u32_e64 s2, s68, v12
	v_mov_b32_e32 v6, v12
	s_waitcnt lgkmcnt(0)
	s_barrier
	buffer_gl0_inv
	s_or_b32 s71, s2, s71
	s_andn2_b32 exec_lo, exec_lo, s71
	s_cbranch_execz .LBB84_24
.LBB84_19:                              ;   Parent Loop BB84_4 Depth=1
                                        ;     Parent Loop BB84_7 Depth=2
                                        ; =>    This Inner Loop Header: Depth=3
	v_add_nc_u32_e32 v12, 1, v6
	s_and_saveexec_b32 s2, s1
	s_xor_b32 s2, exec_lo, s2
; %bb.20:                               ;   in Loop: Header=BB84_19 Depth=3
	v_add_nc_u32_e32 v12, 1, v6
                                        ; implicit-def: $vgpr6
; %bb.21:                               ;   in Loop: Header=BB84_19 Depth=3
	s_andn2_saveexec_b32 s72, s2
	s_cbranch_execz .LBB84_18
; %bb.22:                               ;   in Loop: Header=BB84_19 Depth=3
	v_lshlrev_b32_e64 v7, v6, 1
	v_lshrrev_b32_e32 v8, v6, v0
	v_bfm_b32 v6, v6, 0
	v_lshl_or_b32 v7, v8, v12, v7
	v_and_b32_e32 v6, v6, v0
	v_lshl_add_u32 v7, v7, 3, v14
	v_add_nc_u32_e32 v8, -8, v7
	v_lshl_add_u32 v13, v6, 3, v7
	ds_read_b64 v[6:7], v8
	ds_read_b64 v[8:9], v13
	s_waitcnt lgkmcnt(1)
	v_max_f64 v[10:11], v[6:7], v[6:7]
	s_waitcnt lgkmcnt(0)
	v_max_f64 v[21:22], v[8:9], v[8:9]
	v_cmp_u_f64_e64 s2, v[8:9], v[8:9]
	v_cmp_u_f64_e64 s3, v[6:7], v[6:7]
	v_min_f64 v[23:24], v[21:22], v[10:11]
	v_max_f64 v[10:11], v[21:22], v[10:11]
	v_cndmask_b32_e64 v21, v23, v8, s2
	v_cndmask_b32_e64 v22, v24, v9, s2
	;; [unrolled: 1-line block ×8, first 2 shown]
	v_cmp_class_f64_e64 s3, v[10:11], 0x1f8
	v_cmp_neq_f64_e64 s2, v[10:11], v[6:7]
	s_or_b32 s2, s2, s3
	s_and_saveexec_b32 s73, s2
	s_cbranch_execz .LBB84_17
; %bb.23:                               ;   in Loop: Header=BB84_19 Depth=3
	v_add_f64 v[8:9], v[10:11], -v[6:7]
	s_mov_b32 s61, s47
	s_mov_b32 s62, s20
	;; [unrolled: 1-line block ×3, first 2 shown]
	v_mul_f64 v[10:11], v[8:9], s[18:19]
	v_cmp_nlt_f64_e64 s2, 0x40900000, v[8:9]
	v_cmp_ngt_f64_e64 s3, 0xc090cc00, v[8:9]
	v_rndne_f64_e32 v[10:11], v[10:11]
	v_fma_f64 v[21:22], v[10:11], s[20:21], v[8:9]
	v_cvt_i32_f64_e32 v25, v[10:11]
	v_fma_f64 v[21:22], v[10:11], s[22:23], v[21:22]
	v_fma_f64 v[23:24], v[21:22], s[26:27], s[24:25]
	;; [unrolled: 1-line block ×10, first 2 shown]
	v_fma_f64 v[23:24], v[21:22], v[23:24], 1.0
	v_fma_f64 v[10:11], v[21:22], v[23:24], 1.0
	v_ldexp_f64 v[10:11], v[10:11], v25
	v_cndmask_b32_e64 v11, 0x7ff00000, v11, s2
	s_and_b32 s2, s3, s2
	v_cndmask_b32_e64 v8, 0, v10, s2
	v_cndmask_b32_e64 v9, 0, v11, s3
	v_add_f64 v[10:11], v[8:9], 1.0
	v_cmp_neq_f64_e64 s3, 0x7ff00000, v[8:9]
	v_cmp_ngt_f64_e64 s7, -1.0, v[8:9]
	v_frexp_mant_f64_e32 v[21:22], v[10:11]
	v_frexp_exp_i32_f64_e32 v25, v[10:11]
	v_add_f64 v[23:24], v[10:11], -1.0
	v_cmp_gt_f64_e64 s2, s[46:47], v[21:22]
	v_add_f64 v[21:22], v[23:24], -v[10:11]
	v_add_f64 v[23:24], v[8:9], -v[23:24]
	v_subrev_co_ci_u32_e64 v41, null, 0, v25, s2
	v_add_f64 v[21:22], v[21:22], 1.0
	v_cmp_nge_f64_e64 s2, -1.0, v[8:9]
	v_sub_nc_u32_e32 v27, 0, v41
	v_ldexp_f64 v[10:11], v[10:11], v27
	v_add_f64 v[21:22], v[23:24], v[21:22]
	s_and_b32 s2, s2, s3
	v_add_f64 v[25:26], v[10:11], 1.0
	v_add_f64 v[31:32], v[10:11], -1.0
	v_ldexp_f64 v[21:22], v[21:22], v27
	v_add_f64 v[23:24], v[25:26], -1.0
	v_add_f64 v[33:34], v[31:32], 1.0
	v_add_f64 v[23:24], v[10:11], -v[23:24]
	v_add_f64 v[10:11], v[10:11], -v[33:34]
	v_add_f64 v[23:24], v[21:22], v[23:24]
	v_add_f64 v[10:11], v[21:22], v[10:11]
	;; [unrolled: 1-line block ×4, first 2 shown]
	v_rcp_f64_e32 v[29:30], v[27:28]
	v_add_f64 v[25:26], v[27:28], -v[25:26]
	v_add_f64 v[31:32], v[33:34], -v[31:32]
	;; [unrolled: 1-line block ×3, first 2 shown]
	v_fma_f64 v[35:36], -v[27:28], v[29:30], 1.0
	v_add_f64 v[10:11], v[10:11], -v[31:32]
	v_fma_f64 v[29:30], v[35:36], v[29:30], v[29:30]
	v_fma_f64 v[21:22], -v[27:28], v[29:30], 1.0
	v_fma_f64 v[21:22], v[21:22], v[29:30], v[29:30]
	v_mul_f64 v[29:30], v[33:34], v[21:22]
	v_mul_f64 v[35:36], v[27:28], v[29:30]
	v_fma_f64 v[25:26], v[29:30], v[27:28], -v[35:36]
	v_fma_f64 v[25:26], v[29:30], v[23:24], v[25:26]
	v_add_f64 v[37:38], v[35:36], v[25:26]
	v_add_f64 v[39:40], v[33:34], -v[37:38]
	v_add_f64 v[31:32], v[37:38], -v[35:36]
	;; [unrolled: 1-line block ×5, first 2 shown]
	v_add_f64 v[10:11], v[10:11], v[33:34]
	v_add_f64 v[10:11], v[25:26], v[10:11]
	;; [unrolled: 1-line block ×3, first 2 shown]
	v_mul_f64 v[31:32], v[21:22], v[25:26]
	v_add_f64 v[37:38], v[39:40], -v[25:26]
	v_mul_f64 v[33:34], v[27:28], v[31:32]
	v_add_f64 v[10:11], v[10:11], v[37:38]
	v_fma_f64 v[27:28], v[31:32], v[27:28], -v[33:34]
	v_fma_f64 v[23:24], v[31:32], v[23:24], v[27:28]
	v_add_f64 v[27:28], v[33:34], v[23:24]
	v_add_f64 v[35:36], v[25:26], -v[27:28]
	v_add_f64 v[33:34], v[27:28], -v[33:34]
	;; [unrolled: 1-line block ×5, first 2 shown]
	v_add_f64 v[10:11], v[10:11], v[25:26]
	v_add_f64 v[25:26], v[29:30], v[31:32]
	v_add_f64 v[10:11], v[23:24], v[10:11]
	v_add_f64 v[23:24], v[25:26], -v[29:30]
	v_add_f64 v[10:11], v[35:36], v[10:11]
	v_add_f64 v[23:24], v[31:32], -v[23:24]
	v_mul_f64 v[10:11], v[21:22], v[10:11]
	v_add_f64 v[10:11], v[23:24], v[10:11]
	v_add_f64 v[21:22], v[25:26], v[10:11]
	v_mul_f64 v[23:24], v[21:22], v[21:22]
	v_fma_f64 v[27:28], v[23:24], s[50:51], s[48:49]
	v_mul_f64 v[29:30], v[21:22], v[23:24]
	v_fma_f64 v[27:28], v[23:24], v[27:28], s[52:53]
	v_fma_f64 v[27:28], v[23:24], v[27:28], s[54:55]
	;; [unrolled: 1-line block ×5, first 2 shown]
	v_ldexp_f64 v[27:28], v[21:22], 1
	v_add_f64 v[21:22], v[21:22], -v[25:26]
	v_mul_f64 v[23:24], v[29:30], v[23:24]
	v_cvt_f64_i32_e32 v[29:30], v41
	v_add_f64 v[10:11], v[10:11], -v[21:22]
	v_add_f64 v[25:26], v[27:28], v[23:24]
	v_mul_f64 v[31:32], v[29:30], s[62:63]
	v_ldexp_f64 v[10:11], v[10:11], 1
	v_add_f64 v[21:22], v[25:26], -v[27:28]
	v_fma_f64 v[27:28], v[29:30], s[62:63], -v[31:32]
	v_add_f64 v[21:22], v[23:24], -v[21:22]
	v_fma_f64 v[23:24], v[29:30], s[64:65], v[27:28]
	v_add_f64 v[10:11], v[10:11], v[21:22]
	v_add_f64 v[21:22], v[31:32], v[23:24]
	;; [unrolled: 1-line block ×3, first 2 shown]
	v_add_f64 v[31:32], v[21:22], -v[31:32]
	v_add_f64 v[29:30], v[21:22], v[27:28]
	v_add_f64 v[25:26], v[27:28], -v[25:26]
	v_add_f64 v[23:24], v[23:24], -v[31:32]
	;; [unrolled: 1-line block ×6, first 2 shown]
	v_add_f64 v[27:28], v[23:24], v[10:11]
	v_add_f64 v[21:22], v[21:22], -v[35:36]
	v_add_f64 v[21:22], v[25:26], v[21:22]
	v_add_f64 v[25:26], v[27:28], -v[23:24]
	;; [unrolled: 2-line block ×3, first 2 shown]
	v_add_f64 v[10:11], v[10:11], -v[25:26]
	v_add_f64 v[31:32], v[29:30], v[21:22]
	v_add_f64 v[23:24], v[23:24], -v[27:28]
	v_add_f64 v[25:26], v[31:32], -v[29:30]
	v_add_f64 v[10:11], v[10:11], v[23:24]
	v_add_f64 v[21:22], v[21:22], -v[25:26]
	v_add_f64 v[10:11], v[10:11], v[21:22]
	v_add_f64 v[10:11], v[31:32], v[10:11]
	v_cndmask_b32_e64 v10, 0, v10, s2
	v_cmp_neq_f64_e64 s2, -1.0, v[8:9]
	v_cndmask_b32_e64 v11, 0x7ff00000, v11, s3
	v_cndmask_b32_e64 v11, 0x7ff80000, v11, s7
	;; [unrolled: 1-line block ×3, first 2 shown]
	v_add_f64 v[8:9], v[6:7], v[10:11]
	s_branch .LBB84_17
.LBB84_24:                              ;   in Loop: Header=BB84_7 Depth=2
	s_or_b32 exec_lo, exec_lo, s71
	s_and_saveexec_b32 s3, vcc_lo
	s_cbranch_execz .LBB84_6
; %bb.25:                               ;   in Loop: Header=BB84_7 Depth=2
	s_mov_b32 s7, exec_lo
	v_cmpx_gt_u32_e64 s13, v3
	s_cbranch_execz .LBB84_27
; %bb.26:                               ;   in Loop: Header=BB84_7 Depth=2
	ds_read_b64 v[6:7], v1
	v_lshlrev_b64 v[8:9], 3, v[3:4]
	v_add_co_u32 v8, s2, v19, v8
	v_add_co_ci_u32_e64 v9, null, v20, v9, s2
	s_waitcnt lgkmcnt(0)
	global_store_dwordx2 v[8:9], v[6:7], off
.LBB84_27:                              ;   in Loop: Header=BB84_7 Depth=2
	s_or_b32 exec_lo, exec_lo, s7
	v_cmp_gt_u32_e64 s2, s13, v5
	s_and_b32 exec_lo, exec_lo, s2
	s_cbranch_execz .LBB84_6
; %bb.28:                               ;   in Loop: Header=BB84_7 Depth=2
	ds_read_b64 v[7:8], v15
	v_mov_b32_e32 v6, v4
	v_lshlrev_b64 v[5:6], 3, v[5:6]
	v_add_co_u32 v5, s2, v19, v5
	v_add_co_ci_u32_e64 v6, null, v20, v6, s2
	s_waitcnt lgkmcnt(0)
	global_store_dwordx2 v[5:6], v[7:8], off
	s_branch .LBB84_6
.LBB84_29:
	s_mov_b32 s0, 0
.LBB84_30:
	s_andn2_b32 vcc_lo, exec_lo, s0
	s_cbranch_vccnz .LBB84_61
; %bb.31:
	s_load_dword s2, s[4:5], 0x3c
	s_add_u32 s0, s4, 48
	s_addc_u32 s1, s5, 0
	s_mov_b32 s7, 0
	s_waitcnt lgkmcnt(0)
	s_lshr_b32 s2, s2, 16
	s_mul_hi_u32 s19, s2, s6
	s_mul_i32 s18, s2, s6
	s_mov_b32 s6, s12
	v_cmp_ge_u64_e64 s3, s[18:19], s[6:7]
	s_and_b32 vcc_lo, exec_lo, s3
	s_cbranch_vccnz .LBB84_61
; %bb.32:
	s_load_dword s1, s[0:1], 0x0
	s_lshl_b32 s20, 1, s14
	s_and_b32 s2, 0xffff, s2
	s_ashr_i32 s21, s20, 31
	s_cmp_lg_u32 s13, 0
	v_lshl_add_u32 v13, v0, 3, v14
	s_cselect_b32 s33, -1, 0
	s_lshl_b64 s[26:27], s[20:21], 1
	v_mov_b32_e32 v1, 0
	s_lshl_b32 s3, s26, 3
	v_cmp_eq_u32_e64 s0, 0, v0
	v_lshl_add_u32 v15, s20, 3, v13
	v_add3_u32 v16, v14, s3, -8
	s_mov_b32 s22, s13
	s_mov_b32 s24, 0x652b82fe
	;; [unrolled: 1-line block ×3, first 2 shown]
	s_add_i32 s70, s14, 1
	s_mov_b32 s14, 0x3b39803f
	s_mov_b32 s28, 0xfca7ab0c
	;; [unrolled: 1-line block ×21, first 2 shown]
	s_waitcnt lgkmcnt(0)
	s_mul_i32 s71, s1, s2
	s_mov_b32 s15, 0xbc7abc9e
	s_mov_b32 s29, 0x3e928af3
	s_mov_b32 s31, 0x3e5ade15
	s_mov_b32 s35, 0x3ec71dee
	s_mov_b32 s37, 0x3efa0199
	s_mov_b32 s39, 0x3f2a01a0
	s_mov_b32 s41, 0x3f56c16c
	s_mov_b32 s43, 0x3f811111
	s_mov_b32 s45, 0x3fa55555
	s_mov_b32 s47, 0x3fc55555
	s_mov_b32 s49, 0x3fe00000
	s_mov_b32 s51, 0x3fe55555
	s_mov_b32 s53, 0x3fc38538
	s_mov_b32 s55, 0x3fc3ab76
	s_mov_b32 s57, 0x3fc7474d
	s_mov_b32 s59, 0x3fcc71c0
	s_mov_b32 s61, 0x3fd24924
	s_mov_b32 s63, 0x3fd99999
	s_mov_b32 s64, 0x55555780
	s_mov_b32 s5, 0x3fe62e42
	s_mov_b32 s67, 0x3c7abc9e
	s_branch .LBB84_34
.LBB84_33:                              ;   in Loop: Header=BB84_34 Depth=1
	s_add_u32 s18, s18, s71
	s_addc_u32 s19, s19, 0
	v_cmp_ge_u64_e64 s1, s[18:19], s[6:7]
	s_and_b32 vcc_lo, exec_lo, s1
	s_cbranch_vccnz .LBB84_61
.LBB84_34:                              ; =>This Loop Header: Depth=1
                                        ;     Child Loop BB84_37 Depth 2
                                        ;       Child Loop BB84_49 Depth 3
	s_andn2_b32 vcc_lo, exec_lo, s33
	s_cbranch_vccnz .LBB84_33
; %bb.35:                               ;   in Loop: Header=BB84_34 Depth=1
	v_add_co_u32 v3, s1, s18, v2
	v_add_co_ci_u32_e64 v4, null, s19, 0, s1
	s_mov_b64 s[68:69], 0
	v_mad_u64_u32 v[5:6], null, v3, s22, 0
	v_cmp_gt_u64_e64 s1, s[6:7], v[3:4]
	v_cmp_le_u64_e64 s2, s[6:7], v[3:4]
	v_mad_u64_u32 v[6:7], null, v4, s22, v[6:7]
	v_mov_b32_e32 v7, s16
	v_mov_b32_e32 v8, s17
	v_lshlrev_b64 v[5:6], 3, v[5:6]
	v_add_co_u32 v17, vcc_lo, s10, v5
	v_add_co_ci_u32_e64 v18, null, s11, v6, vcc_lo
	v_add_co_u32 v19, vcc_lo, s8, v5
	v_add_co_ci_u32_e64 v20, null, s9, v6, vcc_lo
	s_branch .LBB84_37
.LBB84_36:                              ;   in Loop: Header=BB84_37 Depth=2
	s_or_b32 exec_lo, exec_lo, s3
	ds_read_b64 v[7:8], v16
	s_add_u32 s68, s68, s26
	s_addc_u32 s69, s69, s27
	s_waitcnt lgkmcnt(0)
	s_waitcnt_vscnt null, 0x0
	v_cmp_ge_u64_e64 s3, s[68:69], s[22:23]
	s_barrier
	buffer_gl0_inv
	s_and_b32 vcc_lo, exec_lo, s3
	s_cbranch_vccnz .LBB84_33
.LBB84_37:                              ;   Parent Loop BB84_34 Depth=1
                                        ; =>  This Loop Header: Depth=2
                                        ;       Child Loop BB84_49 Depth 3
	v_add_co_u32 v5, s3, s68, v0
	v_add_co_ci_u32_e64 v6, null, s69, 0, s3
	v_add_co_u32 v3, vcc_lo, v5, s20
	v_add_co_ci_u32_e64 v4, null, s21, v6, vcc_lo
	s_and_saveexec_b32 s72, s1
	s_cbranch_execz .LBB84_46
; %bb.38:                               ;   in Loop: Header=BB84_37 Depth=2
	v_mov_b32_e32 v9, s16
	v_mov_b32_e32 v10, s17
	s_mov_b32 s3, exec_lo
	v_cmpx_gt_u64_e64 s[22:23], v[5:6]
	s_cbranch_execz .LBB84_40
; %bb.39:                               ;   in Loop: Header=BB84_37 Depth=2
	v_lshlrev_b64 v[9:10], 3, v[5:6]
	v_add_co_u32 v9, vcc_lo, v17, v9
	v_add_co_ci_u32_e64 v10, null, v18, v10, vcc_lo
	global_load_dwordx2 v[9:10], v[9:10], off
.LBB84_40:                              ;   in Loop: Header=BB84_37 Depth=2
	s_or_b32 exec_lo, exec_lo, s3
	v_mov_b32_e32 v11, s16
	v_mov_b32_e32 v12, s17
	s_mov_b32 s3, exec_lo
	s_waitcnt vmcnt(0)
	ds_write_b64 v13, v[9:10]
	v_cmpx_gt_u64_e64 s[22:23], v[3:4]
	s_cbranch_execz .LBB84_42
; %bb.41:                               ;   in Loop: Header=BB84_37 Depth=2
	v_lshlrev_b64 v[9:10], 3, v[3:4]
	v_add_co_u32 v9, vcc_lo, v17, v9
	v_add_co_ci_u32_e64 v10, null, v18, v10, vcc_lo
	global_load_dwordx2 v[11:12], v[9:10], off
.LBB84_42:                              ;   in Loop: Header=BB84_37 Depth=2
	s_or_b32 exec_lo, exec_lo, s3
	s_waitcnt vmcnt(0)
	ds_write_b64 v15, v[11:12]
	s_and_b32 exec_lo, exec_lo, s0
	s_cbranch_execz .LBB84_46
; %bb.43:                               ;   in Loop: Header=BB84_37 Depth=2
	ds_read_b64 v[9:10], v14
	v_max_f64 v[11:12], v[7:8], v[7:8]
	v_cmp_u_f64_e64 s3, v[7:8], v[7:8]
	s_waitcnt lgkmcnt(0)
	v_max_f64 v[21:22], v[9:10], v[9:10]
	v_cmp_u_f64_e32 vcc_lo, v[9:10], v[9:10]
	v_min_f64 v[23:24], v[21:22], v[11:12]
	v_max_f64 v[11:12], v[21:22], v[11:12]
	v_cndmask_b32_e32 v21, v23, v9, vcc_lo
	v_cndmask_b32_e32 v22, v24, v10, vcc_lo
	;; [unrolled: 1-line block ×4, first 2 shown]
	v_cndmask_b32_e64 v11, v21, v7, s3
	v_cndmask_b32_e64 v12, v22, v8, s3
	;; [unrolled: 1-line block ×4, first 2 shown]
	v_cmp_class_f64_e64 s3, v[11:12], 0x1f8
	v_cmp_neq_f64_e32 vcc_lo, v[11:12], v[7:8]
	s_or_b32 s3, vcc_lo, s3
	s_and_saveexec_b32 s73, s3
	s_cbranch_execz .LBB84_45
; %bb.44:                               ;   in Loop: Header=BB84_37 Depth=2
	v_add_f64 v[9:10], v[11:12], -v[7:8]
	s_mov_b32 s65, s51
	s_mov_b32 s4, s12
	;; [unrolled: 1-line block ×3, first 2 shown]
	v_mul_f64 v[11:12], v[9:10], s[24:25]
	v_cmp_nlt_f64_e32 vcc_lo, 0x40900000, v[9:10]
	v_cmp_ngt_f64_e64 s3, 0xc090cc00, v[9:10]
	v_rndne_f64_e32 v[11:12], v[11:12]
	v_fma_f64 v[21:22], v[11:12], s[12:13], v[9:10]
	v_cvt_i32_f64_e32 v25, v[11:12]
	v_fma_f64 v[21:22], v[11:12], s[14:15], v[21:22]
	v_fma_f64 v[23:24], v[21:22], s[30:31], s[28:29]
	;; [unrolled: 1-line block ×10, first 2 shown]
	v_fma_f64 v[23:24], v[21:22], v[23:24], 1.0
	v_fma_f64 v[11:12], v[21:22], v[23:24], 1.0
	v_ldexp_f64 v[11:12], v[11:12], v25
	v_cndmask_b32_e32 v12, 0x7ff00000, v12, vcc_lo
	s_and_b32 vcc_lo, s3, vcc_lo
	v_cndmask_b32_e32 v9, 0, v11, vcc_lo
	v_cndmask_b32_e64 v10, 0, v12, s3
	v_add_f64 v[11:12], v[9:10], 1.0
	v_cmp_neq_f64_e64 s3, 0x7ff00000, v[9:10]
	v_frexp_mant_f64_e32 v[21:22], v[11:12]
	v_frexp_exp_i32_f64_e32 v25, v[11:12]
	v_add_f64 v[23:24], v[11:12], -1.0
	v_cmp_gt_f64_e32 vcc_lo, s[50:51], v[21:22]
	v_add_f64 v[21:22], v[23:24], -v[11:12]
	v_add_f64 v[23:24], v[9:10], -v[23:24]
	v_subrev_co_ci_u32_e64 v41, null, 0, v25, vcc_lo
	v_add_f64 v[21:22], v[21:22], 1.0
	v_cmp_nge_f64_e32 vcc_lo, -1.0, v[9:10]
	v_sub_nc_u32_e32 v27, 0, v41
	v_ldexp_f64 v[11:12], v[11:12], v27
	v_add_f64 v[21:22], v[23:24], v[21:22]
	s_and_b32 vcc_lo, vcc_lo, s3
	v_add_f64 v[25:26], v[11:12], 1.0
	v_add_f64 v[31:32], v[11:12], -1.0
	v_ldexp_f64 v[21:22], v[21:22], v27
	v_add_f64 v[23:24], v[25:26], -1.0
	v_add_f64 v[33:34], v[31:32], 1.0
	v_add_f64 v[23:24], v[11:12], -v[23:24]
	v_add_f64 v[11:12], v[11:12], -v[33:34]
	v_add_f64 v[23:24], v[21:22], v[23:24]
	v_add_f64 v[11:12], v[21:22], v[11:12]
	;; [unrolled: 1-line block ×4, first 2 shown]
	v_rcp_f64_e32 v[29:30], v[27:28]
	v_add_f64 v[25:26], v[27:28], -v[25:26]
	v_add_f64 v[31:32], v[33:34], -v[31:32]
	;; [unrolled: 1-line block ×3, first 2 shown]
	v_fma_f64 v[35:36], -v[27:28], v[29:30], 1.0
	v_add_f64 v[11:12], v[11:12], -v[31:32]
	v_fma_f64 v[29:30], v[35:36], v[29:30], v[29:30]
	v_fma_f64 v[21:22], -v[27:28], v[29:30], 1.0
	v_fma_f64 v[21:22], v[21:22], v[29:30], v[29:30]
	v_mul_f64 v[29:30], v[33:34], v[21:22]
	v_mul_f64 v[35:36], v[27:28], v[29:30]
	v_fma_f64 v[25:26], v[29:30], v[27:28], -v[35:36]
	v_fma_f64 v[25:26], v[29:30], v[23:24], v[25:26]
	v_add_f64 v[37:38], v[35:36], v[25:26]
	v_add_f64 v[39:40], v[33:34], -v[37:38]
	v_add_f64 v[31:32], v[37:38], -v[35:36]
	;; [unrolled: 1-line block ×5, first 2 shown]
	v_add_f64 v[11:12], v[11:12], v[33:34]
	v_add_f64 v[11:12], v[25:26], v[11:12]
	v_add_f64 v[25:26], v[39:40], v[11:12]
	v_mul_f64 v[31:32], v[21:22], v[25:26]
	v_add_f64 v[37:38], v[39:40], -v[25:26]
	v_mul_f64 v[33:34], v[27:28], v[31:32]
	v_add_f64 v[11:12], v[11:12], v[37:38]
	v_fma_f64 v[27:28], v[31:32], v[27:28], -v[33:34]
	v_fma_f64 v[23:24], v[31:32], v[23:24], v[27:28]
	v_add_f64 v[27:28], v[33:34], v[23:24]
	v_add_f64 v[35:36], v[25:26], -v[27:28]
	v_add_f64 v[33:34], v[27:28], -v[33:34]
	;; [unrolled: 1-line block ×5, first 2 shown]
	v_add_f64 v[11:12], v[11:12], v[25:26]
	v_add_f64 v[25:26], v[29:30], v[31:32]
	;; [unrolled: 1-line block ×3, first 2 shown]
	v_add_f64 v[23:24], v[25:26], -v[29:30]
	v_add_f64 v[11:12], v[35:36], v[11:12]
	v_add_f64 v[23:24], v[31:32], -v[23:24]
	v_mul_f64 v[11:12], v[21:22], v[11:12]
	v_add_f64 v[11:12], v[23:24], v[11:12]
	v_add_f64 v[21:22], v[25:26], v[11:12]
	v_mul_f64 v[23:24], v[21:22], v[21:22]
	v_fma_f64 v[27:28], v[23:24], s[54:55], s[52:53]
	v_mul_f64 v[29:30], v[21:22], v[23:24]
	v_fma_f64 v[27:28], v[23:24], v[27:28], s[56:57]
	v_fma_f64 v[27:28], v[23:24], v[27:28], s[58:59]
	;; [unrolled: 1-line block ×5, first 2 shown]
	v_ldexp_f64 v[27:28], v[21:22], 1
	v_add_f64 v[21:22], v[21:22], -v[25:26]
	v_mul_f64 v[23:24], v[29:30], v[23:24]
	v_cvt_f64_i32_e32 v[29:30], v41
	v_add_f64 v[11:12], v[11:12], -v[21:22]
	v_add_f64 v[25:26], v[27:28], v[23:24]
	v_mul_f64 v[31:32], v[29:30], s[4:5]
	v_ldexp_f64 v[11:12], v[11:12], 1
	v_add_f64 v[21:22], v[25:26], -v[27:28]
	v_fma_f64 v[27:28], v[29:30], s[4:5], -v[31:32]
	v_cmp_ngt_f64_e64 s4, -1.0, v[9:10]
	v_add_f64 v[21:22], v[23:24], -v[21:22]
	v_fma_f64 v[23:24], v[29:30], s[66:67], v[27:28]
	v_add_f64 v[11:12], v[11:12], v[21:22]
	v_add_f64 v[21:22], v[31:32], v[23:24]
	;; [unrolled: 1-line block ×3, first 2 shown]
	v_add_f64 v[31:32], v[21:22], -v[31:32]
	v_add_f64 v[29:30], v[21:22], v[27:28]
	v_add_f64 v[25:26], v[27:28], -v[25:26]
	v_add_f64 v[23:24], v[23:24], -v[31:32]
	;; [unrolled: 1-line block ×6, first 2 shown]
	v_add_f64 v[27:28], v[23:24], v[11:12]
	v_add_f64 v[21:22], v[21:22], -v[35:36]
	v_add_f64 v[21:22], v[25:26], v[21:22]
	v_add_f64 v[25:26], v[27:28], -v[23:24]
	;; [unrolled: 2-line block ×3, first 2 shown]
	v_add_f64 v[11:12], v[11:12], -v[25:26]
	v_add_f64 v[31:32], v[29:30], v[21:22]
	v_add_f64 v[23:24], v[23:24], -v[27:28]
	v_add_f64 v[25:26], v[31:32], -v[29:30]
	v_add_f64 v[11:12], v[11:12], v[23:24]
	v_add_f64 v[21:22], v[21:22], -v[25:26]
	v_add_f64 v[11:12], v[11:12], v[21:22]
	v_add_f64 v[11:12], v[31:32], v[11:12]
	v_cndmask_b32_e32 v11, 0, v11, vcc_lo
	v_cmp_neq_f64_e32 vcc_lo, -1.0, v[9:10]
	v_cndmask_b32_e64 v12, 0x7ff00000, v12, s3
	v_cndmask_b32_e64 v12, 0x7ff80000, v12, s4
	v_cndmask_b32_e32 v12, 0xfff00000, v12, vcc_lo
	v_add_f64 v[9:10], v[7:8], v[11:12]
.LBB84_45:                              ;   in Loop: Header=BB84_37 Depth=2
	s_or_b32 exec_lo, exec_lo, s73
	ds_write_b64 v14, v[9:10]
.LBB84_46:                              ;   in Loop: Header=BB84_37 Depth=2
	s_or_b32 exec_lo, exec_lo, s72
	v_mov_b32_e32 v10, 0
	s_mov_b32 s72, 0
	s_waitcnt lgkmcnt(0)
	s_barrier
	buffer_gl0_inv
	s_branch .LBB84_49
.LBB84_47:                              ;   in Loop: Header=BB84_49 Depth=3
	s_or_b32 exec_lo, exec_lo, s74
	ds_write_b64 v22, v[9:10]
.LBB84_48:                              ;   in Loop: Header=BB84_49 Depth=3
	s_or_b32 exec_lo, exec_lo, s73
	v_cmp_eq_u32_e32 vcc_lo, s70, v21
	v_mov_b32_e32 v10, v21
	s_waitcnt lgkmcnt(0)
	s_barrier
	buffer_gl0_inv
	s_or_b32 s72, vcc_lo, s72
	s_andn2_b32 exec_lo, exec_lo, s72
	s_cbranch_execz .LBB84_56
.LBB84_49:                              ;   Parent Loop BB84_34 Depth=1
                                        ;     Parent Loop BB84_37 Depth=2
                                        ; =>    This Inner Loop Header: Depth=3
	v_add_nc_u32_e32 v21, 1, v10
	s_and_saveexec_b32 s3, s2
	s_xor_b32 s3, exec_lo, s3
; %bb.50:                               ;   in Loop: Header=BB84_49 Depth=3
	v_add_nc_u32_e32 v21, 1, v10
                                        ; implicit-def: $vgpr10
; %bb.51:                               ;   in Loop: Header=BB84_49 Depth=3
	s_andn2_saveexec_b32 s73, s3
	s_cbranch_execz .LBB84_48
; %bb.52:                               ;   in Loop: Header=BB84_49 Depth=3
	v_lshlrev_b32_e64 v7, v10, 1
	v_ashrrev_i32_e32 v8, 31, v7
	v_cmp_ge_u64_e32 vcc_lo, v[0:1], v[7:8]
	v_mov_b32_e32 v9, v1
	v_mov_b32_e32 v8, v0
	s_and_saveexec_b32 s3, vcc_lo
	s_cbranch_execz .LBB84_54
; %bb.53:                               ;   in Loop: Header=BB84_49 Depth=3
	v_cvt_f32_u32_e32 v8, v7
	v_sub_nc_u32_e32 v9, 0, v7
	v_rcp_iflag_f32_e32 v8, v8
	v_mul_f32_e32 v8, 0x4f7ffffe, v8
	v_cvt_u32_f32_e32 v8, v8
	v_mul_lo_u32 v9, v9, v8
	v_mul_hi_u32 v9, v8, v9
	v_add_nc_u32_e32 v8, v8, v9
	v_mul_hi_u32 v8, v0, v8
	v_mul_lo_u32 v8, v8, v7
	v_sub_nc_u32_e32 v8, v0, v8
	v_sub_nc_u32_e32 v9, v8, v7
	v_cmp_ge_u32_e32 vcc_lo, v8, v7
	v_cndmask_b32_e32 v8, v8, v9, vcc_lo
	v_sub_nc_u32_e32 v9, v8, v7
	v_cmp_ge_u32_e32 vcc_lo, v8, v7
	v_cndmask_b32_e32 v8, v8, v9, vcc_lo
.LBB84_54:                              ;   in Loop: Header=BB84_49 Depth=3
	s_or_b32 exec_lo, exec_lo, s3
	v_lshrrev_b32_e32 v9, v10, v0
	v_lshl_or_b32 v7, v9, v21, v7
	v_lshl_add_u32 v7, v7, 3, v14
	v_add_nc_u32_e32 v9, -8, v7
	v_lshl_add_u32 v22, v8, 3, v7
	ds_read_b64 v[7:8], v9
	ds_read_b64 v[9:10], v22
	s_waitcnt lgkmcnt(1)
	v_max_f64 v[11:12], v[7:8], v[7:8]
	s_waitcnt lgkmcnt(0)
	v_max_f64 v[23:24], v[9:10], v[9:10]
	v_cmp_u_f64_e32 vcc_lo, v[9:10], v[9:10]
	v_cmp_u_f64_e64 s3, v[7:8], v[7:8]
	v_min_f64 v[25:26], v[23:24], v[11:12]
	v_max_f64 v[11:12], v[23:24], v[11:12]
	v_cndmask_b32_e32 v23, v25, v9, vcc_lo
	v_cndmask_b32_e32 v24, v26, v10, vcc_lo
	;; [unrolled: 1-line block ×4, first 2 shown]
	v_cndmask_b32_e64 v11, v23, v7, s3
	v_cndmask_b32_e64 v12, v24, v8, s3
	;; [unrolled: 1-line block ×4, first 2 shown]
	v_cmp_class_f64_e64 s3, v[11:12], 0x1f8
	v_cmp_neq_f64_e32 vcc_lo, v[11:12], v[7:8]
	s_or_b32 s3, vcc_lo, s3
	s_and_saveexec_b32 s74, s3
	s_cbranch_execz .LBB84_47
; %bb.55:                               ;   in Loop: Header=BB84_49 Depth=3
	v_add_f64 v[9:10], v[11:12], -v[7:8]
	s_mov_b32 s65, s51
	s_mov_b32 s4, s12
	;; [unrolled: 1-line block ×3, first 2 shown]
	v_mul_f64 v[11:12], v[9:10], s[24:25]
	v_cmp_nlt_f64_e32 vcc_lo, 0x40900000, v[9:10]
	v_cmp_ngt_f64_e64 s3, 0xc090cc00, v[9:10]
	v_rndne_f64_e32 v[11:12], v[11:12]
	v_fma_f64 v[23:24], v[11:12], s[12:13], v[9:10]
	v_cvt_i32_f64_e32 v27, v[11:12]
	v_fma_f64 v[23:24], v[11:12], s[14:15], v[23:24]
	v_fma_f64 v[25:26], v[23:24], s[30:31], s[28:29]
	;; [unrolled: 1-line block ×10, first 2 shown]
	v_fma_f64 v[25:26], v[23:24], v[25:26], 1.0
	v_fma_f64 v[11:12], v[23:24], v[25:26], 1.0
	v_ldexp_f64 v[11:12], v[11:12], v27
	v_cndmask_b32_e32 v12, 0x7ff00000, v12, vcc_lo
	s_and_b32 vcc_lo, s3, vcc_lo
	v_cndmask_b32_e32 v9, 0, v11, vcc_lo
	v_cndmask_b32_e64 v10, 0, v12, s3
	v_add_f64 v[11:12], v[9:10], 1.0
	v_cmp_neq_f64_e64 s3, 0x7ff00000, v[9:10]
	v_frexp_mant_f64_e32 v[23:24], v[11:12]
	v_frexp_exp_i32_f64_e32 v27, v[11:12]
	v_add_f64 v[25:26], v[11:12], -1.0
	v_cmp_gt_f64_e32 vcc_lo, s[50:51], v[23:24]
	v_add_f64 v[23:24], v[25:26], -v[11:12]
	v_add_f64 v[25:26], v[9:10], -v[25:26]
	v_subrev_co_ci_u32_e64 v43, null, 0, v27, vcc_lo
	v_add_f64 v[23:24], v[23:24], 1.0
	v_cmp_nge_f64_e32 vcc_lo, -1.0, v[9:10]
	v_sub_nc_u32_e32 v29, 0, v43
	v_ldexp_f64 v[11:12], v[11:12], v29
	v_add_f64 v[23:24], v[25:26], v[23:24]
	s_and_b32 vcc_lo, vcc_lo, s3
	v_add_f64 v[27:28], v[11:12], 1.0
	v_add_f64 v[33:34], v[11:12], -1.0
	v_ldexp_f64 v[23:24], v[23:24], v29
	v_add_f64 v[25:26], v[27:28], -1.0
	v_add_f64 v[35:36], v[33:34], 1.0
	v_add_f64 v[25:26], v[11:12], -v[25:26]
	v_add_f64 v[11:12], v[11:12], -v[35:36]
	v_add_f64 v[25:26], v[23:24], v[25:26]
	v_add_f64 v[11:12], v[23:24], v[11:12]
	;; [unrolled: 1-line block ×4, first 2 shown]
	v_rcp_f64_e32 v[31:32], v[29:30]
	v_add_f64 v[27:28], v[29:30], -v[27:28]
	v_add_f64 v[33:34], v[35:36], -v[33:34]
	;; [unrolled: 1-line block ×3, first 2 shown]
	v_fma_f64 v[37:38], -v[29:30], v[31:32], 1.0
	v_add_f64 v[11:12], v[11:12], -v[33:34]
	v_fma_f64 v[31:32], v[37:38], v[31:32], v[31:32]
	v_fma_f64 v[23:24], -v[29:30], v[31:32], 1.0
	v_fma_f64 v[23:24], v[23:24], v[31:32], v[31:32]
	v_mul_f64 v[31:32], v[35:36], v[23:24]
	v_mul_f64 v[37:38], v[29:30], v[31:32]
	v_fma_f64 v[27:28], v[31:32], v[29:30], -v[37:38]
	v_fma_f64 v[27:28], v[31:32], v[25:26], v[27:28]
	v_add_f64 v[39:40], v[37:38], v[27:28]
	v_add_f64 v[41:42], v[35:36], -v[39:40]
	v_add_f64 v[33:34], v[39:40], -v[37:38]
	;; [unrolled: 1-line block ×5, first 2 shown]
	v_add_f64 v[11:12], v[11:12], v[35:36]
	v_add_f64 v[11:12], v[27:28], v[11:12]
	;; [unrolled: 1-line block ×3, first 2 shown]
	v_mul_f64 v[33:34], v[23:24], v[27:28]
	v_add_f64 v[39:40], v[41:42], -v[27:28]
	v_mul_f64 v[35:36], v[29:30], v[33:34]
	v_add_f64 v[11:12], v[11:12], v[39:40]
	v_fma_f64 v[29:30], v[33:34], v[29:30], -v[35:36]
	v_fma_f64 v[25:26], v[33:34], v[25:26], v[29:30]
	v_add_f64 v[29:30], v[35:36], v[25:26]
	v_add_f64 v[37:38], v[27:28], -v[29:30]
	v_add_f64 v[35:36], v[29:30], -v[35:36]
	;; [unrolled: 1-line block ×5, first 2 shown]
	v_add_f64 v[11:12], v[11:12], v[27:28]
	v_add_f64 v[27:28], v[31:32], v[33:34]
	;; [unrolled: 1-line block ×3, first 2 shown]
	v_add_f64 v[25:26], v[27:28], -v[31:32]
	v_add_f64 v[11:12], v[37:38], v[11:12]
	v_add_f64 v[25:26], v[33:34], -v[25:26]
	v_mul_f64 v[11:12], v[23:24], v[11:12]
	v_add_f64 v[11:12], v[25:26], v[11:12]
	v_add_f64 v[23:24], v[27:28], v[11:12]
	v_mul_f64 v[25:26], v[23:24], v[23:24]
	v_fma_f64 v[29:30], v[25:26], s[54:55], s[52:53]
	v_mul_f64 v[31:32], v[23:24], v[25:26]
	v_fma_f64 v[29:30], v[25:26], v[29:30], s[56:57]
	v_fma_f64 v[29:30], v[25:26], v[29:30], s[58:59]
	;; [unrolled: 1-line block ×5, first 2 shown]
	v_ldexp_f64 v[29:30], v[23:24], 1
	v_add_f64 v[23:24], v[23:24], -v[27:28]
	v_mul_f64 v[25:26], v[31:32], v[25:26]
	v_cvt_f64_i32_e32 v[31:32], v43
	v_add_f64 v[11:12], v[11:12], -v[23:24]
	v_add_f64 v[27:28], v[29:30], v[25:26]
	v_mul_f64 v[33:34], v[31:32], s[4:5]
	v_ldexp_f64 v[11:12], v[11:12], 1
	v_add_f64 v[23:24], v[27:28], -v[29:30]
	v_fma_f64 v[29:30], v[31:32], s[4:5], -v[33:34]
	v_cmp_ngt_f64_e64 s4, -1.0, v[9:10]
	v_add_f64 v[23:24], v[25:26], -v[23:24]
	v_fma_f64 v[25:26], v[31:32], s[66:67], v[29:30]
	v_add_f64 v[11:12], v[11:12], v[23:24]
	v_add_f64 v[23:24], v[33:34], v[25:26]
	;; [unrolled: 1-line block ×3, first 2 shown]
	v_add_f64 v[33:34], v[23:24], -v[33:34]
	v_add_f64 v[31:32], v[23:24], v[29:30]
	v_add_f64 v[27:28], v[29:30], -v[27:28]
	v_add_f64 v[25:26], v[25:26], -v[33:34]
	;; [unrolled: 1-line block ×6, first 2 shown]
	v_add_f64 v[29:30], v[25:26], v[11:12]
	v_add_f64 v[23:24], v[23:24], -v[37:38]
	v_add_f64 v[23:24], v[27:28], v[23:24]
	v_add_f64 v[27:28], v[29:30], -v[25:26]
	;; [unrolled: 2-line block ×3, first 2 shown]
	v_add_f64 v[11:12], v[11:12], -v[27:28]
	v_add_f64 v[33:34], v[31:32], v[23:24]
	v_add_f64 v[25:26], v[25:26], -v[29:30]
	v_add_f64 v[27:28], v[33:34], -v[31:32]
	v_add_f64 v[11:12], v[11:12], v[25:26]
	v_add_f64 v[23:24], v[23:24], -v[27:28]
	v_add_f64 v[11:12], v[11:12], v[23:24]
	v_add_f64 v[11:12], v[33:34], v[11:12]
	v_cndmask_b32_e32 v11, 0, v11, vcc_lo
	v_cmp_neq_f64_e32 vcc_lo, -1.0, v[9:10]
	v_cndmask_b32_e64 v12, 0x7ff00000, v12, s3
	v_cndmask_b32_e64 v12, 0x7ff80000, v12, s4
	v_cndmask_b32_e32 v12, 0xfff00000, v12, vcc_lo
	v_add_f64 v[9:10], v[7:8], v[11:12]
	s_branch .LBB84_47
.LBB84_56:                              ;   in Loop: Header=BB84_37 Depth=2
	s_or_b32 exec_lo, exec_lo, s72
	s_and_saveexec_b32 s3, s1
	s_cbranch_execz .LBB84_36
; %bb.57:                               ;   in Loop: Header=BB84_37 Depth=2
	s_mov_b32 s4, exec_lo
	v_cmpx_gt_u64_e64 s[22:23], v[5:6]
	s_cbranch_execz .LBB84_59
; %bb.58:                               ;   in Loop: Header=BB84_37 Depth=2
	ds_read_b64 v[7:8], v13
	v_lshlrev_b64 v[5:6], 3, v[5:6]
	v_add_co_u32 v5, vcc_lo, v19, v5
	v_add_co_ci_u32_e64 v6, null, v20, v6, vcc_lo
	s_waitcnt lgkmcnt(0)
	global_store_dwordx2 v[5:6], v[7:8], off
.LBB84_59:                              ;   in Loop: Header=BB84_37 Depth=2
	s_or_b32 exec_lo, exec_lo, s4
	v_cmp_gt_u64_e32 vcc_lo, s[22:23], v[3:4]
	s_and_b32 exec_lo, exec_lo, vcc_lo
	s_cbranch_execz .LBB84_36
; %bb.60:                               ;   in Loop: Header=BB84_37 Depth=2
	ds_read_b64 v[5:6], v15
	v_lshlrev_b64 v[3:4], 3, v[3:4]
	v_add_co_u32 v3, vcc_lo, v19, v3
	v_add_co_ci_u32_e64 v4, null, v20, v4, vcc_lo
	s_waitcnt lgkmcnt(0)
	global_store_dwordx2 v[3:4], v[5:6], off
	s_branch .LBB84_36
.LBB84_61:
	s_endpgm
	.section	.rodata,"a",@progbits
	.p2align	6, 0x0
	.amdhsa_kernel _ZN2at6native32tensor_kernel_scan_innermost_dimIdZZZNS0_31launch_logcumsumexp_cuda_kernelERKNS_10TensorBaseES4_lENKUlvE_clEvENKUlvE_clEvEUlddE_EEvPT_PKS8_jjjS8_T0_
		.amdhsa_group_segment_fixed_size 0
		.amdhsa_private_segment_fixed_size 0
		.amdhsa_kernarg_size 304
		.amdhsa_user_sgpr_count 6
		.amdhsa_user_sgpr_private_segment_buffer 1
		.amdhsa_user_sgpr_dispatch_ptr 0
		.amdhsa_user_sgpr_queue_ptr 0
		.amdhsa_user_sgpr_kernarg_segment_ptr 1
		.amdhsa_user_sgpr_dispatch_id 0
		.amdhsa_user_sgpr_flat_scratch_init 0
		.amdhsa_user_sgpr_private_segment_size 0
		.amdhsa_wavefront_size32 1
		.amdhsa_uses_dynamic_stack 0
		.amdhsa_system_sgpr_private_segment_wavefront_offset 0
		.amdhsa_system_sgpr_workgroup_id_x 1
		.amdhsa_system_sgpr_workgroup_id_y 0
		.amdhsa_system_sgpr_workgroup_id_z 0
		.amdhsa_system_sgpr_workgroup_info 0
		.amdhsa_system_vgpr_workitem_id 1
		.amdhsa_next_free_vgpr 44
		.amdhsa_next_free_sgpr 75
		.amdhsa_reserve_vcc 1
		.amdhsa_reserve_flat_scratch 0
		.amdhsa_float_round_mode_32 0
		.amdhsa_float_round_mode_16_64 0
		.amdhsa_float_denorm_mode_32 3
		.amdhsa_float_denorm_mode_16_64 3
		.amdhsa_dx10_clamp 1
		.amdhsa_ieee_mode 1
		.amdhsa_fp16_overflow 0
		.amdhsa_workgroup_processor_mode 1
		.amdhsa_memory_ordered 1
		.amdhsa_forward_progress 1
		.amdhsa_shared_vgpr_count 0
		.amdhsa_exception_fp_ieee_invalid_op 0
		.amdhsa_exception_fp_denorm_src 0
		.amdhsa_exception_fp_ieee_div_zero 0
		.amdhsa_exception_fp_ieee_overflow 0
		.amdhsa_exception_fp_ieee_underflow 0
		.amdhsa_exception_fp_ieee_inexact 0
		.amdhsa_exception_int_div_zero 0
	.end_amdhsa_kernel
	.section	.text._ZN2at6native32tensor_kernel_scan_innermost_dimIdZZZNS0_31launch_logcumsumexp_cuda_kernelERKNS_10TensorBaseES4_lENKUlvE_clEvENKUlvE_clEvEUlddE_EEvPT_PKS8_jjjS8_T0_,"axG",@progbits,_ZN2at6native32tensor_kernel_scan_innermost_dimIdZZZNS0_31launch_logcumsumexp_cuda_kernelERKNS_10TensorBaseES4_lENKUlvE_clEvENKUlvE_clEvEUlddE_EEvPT_PKS8_jjjS8_T0_,comdat
.Lfunc_end84:
	.size	_ZN2at6native32tensor_kernel_scan_innermost_dimIdZZZNS0_31launch_logcumsumexp_cuda_kernelERKNS_10TensorBaseES4_lENKUlvE_clEvENKUlvE_clEvEUlddE_EEvPT_PKS8_jjjS8_T0_, .Lfunc_end84-_ZN2at6native32tensor_kernel_scan_innermost_dimIdZZZNS0_31launch_logcumsumexp_cuda_kernelERKNS_10TensorBaseES4_lENKUlvE_clEvENKUlvE_clEvEUlddE_EEvPT_PKS8_jjjS8_T0_
                                        ; -- End function
	.set _ZN2at6native32tensor_kernel_scan_innermost_dimIdZZZNS0_31launch_logcumsumexp_cuda_kernelERKNS_10TensorBaseES4_lENKUlvE_clEvENKUlvE_clEvEUlddE_EEvPT_PKS8_jjjS8_T0_.num_vgpr, 44
	.set _ZN2at6native32tensor_kernel_scan_innermost_dimIdZZZNS0_31launch_logcumsumexp_cuda_kernelERKNS_10TensorBaseES4_lENKUlvE_clEvENKUlvE_clEvEUlddE_EEvPT_PKS8_jjjS8_T0_.num_agpr, 0
	.set _ZN2at6native32tensor_kernel_scan_innermost_dimIdZZZNS0_31launch_logcumsumexp_cuda_kernelERKNS_10TensorBaseES4_lENKUlvE_clEvENKUlvE_clEvEUlddE_EEvPT_PKS8_jjjS8_T0_.numbered_sgpr, 75
	.set _ZN2at6native32tensor_kernel_scan_innermost_dimIdZZZNS0_31launch_logcumsumexp_cuda_kernelERKNS_10TensorBaseES4_lENKUlvE_clEvENKUlvE_clEvEUlddE_EEvPT_PKS8_jjjS8_T0_.num_named_barrier, 0
	.set _ZN2at6native32tensor_kernel_scan_innermost_dimIdZZZNS0_31launch_logcumsumexp_cuda_kernelERKNS_10TensorBaseES4_lENKUlvE_clEvENKUlvE_clEvEUlddE_EEvPT_PKS8_jjjS8_T0_.private_seg_size, 0
	.set _ZN2at6native32tensor_kernel_scan_innermost_dimIdZZZNS0_31launch_logcumsumexp_cuda_kernelERKNS_10TensorBaseES4_lENKUlvE_clEvENKUlvE_clEvEUlddE_EEvPT_PKS8_jjjS8_T0_.uses_vcc, 1
	.set _ZN2at6native32tensor_kernel_scan_innermost_dimIdZZZNS0_31launch_logcumsumexp_cuda_kernelERKNS_10TensorBaseES4_lENKUlvE_clEvENKUlvE_clEvEUlddE_EEvPT_PKS8_jjjS8_T0_.uses_flat_scratch, 0
	.set _ZN2at6native32tensor_kernel_scan_innermost_dimIdZZZNS0_31launch_logcumsumexp_cuda_kernelERKNS_10TensorBaseES4_lENKUlvE_clEvENKUlvE_clEvEUlddE_EEvPT_PKS8_jjjS8_T0_.has_dyn_sized_stack, 0
	.set _ZN2at6native32tensor_kernel_scan_innermost_dimIdZZZNS0_31launch_logcumsumexp_cuda_kernelERKNS_10TensorBaseES4_lENKUlvE_clEvENKUlvE_clEvEUlddE_EEvPT_PKS8_jjjS8_T0_.has_recursion, 0
	.set _ZN2at6native32tensor_kernel_scan_innermost_dimIdZZZNS0_31launch_logcumsumexp_cuda_kernelERKNS_10TensorBaseES4_lENKUlvE_clEvENKUlvE_clEvEUlddE_EEvPT_PKS8_jjjS8_T0_.has_indirect_call, 0
	.section	.AMDGPU.csdata,"",@progbits
; Kernel info:
; codeLenInByte = 7660
; TotalNumSgprs: 77
; NumVgprs: 44
; ScratchSize: 0
; MemoryBound: 0
; FloatMode: 240
; IeeeMode: 1
; LDSByteSize: 0 bytes/workgroup (compile time only)
; SGPRBlocks: 0
; VGPRBlocks: 5
; NumSGPRsForWavesPerEU: 77
; NumVGPRsForWavesPerEU: 44
; Occupancy: 16
; WaveLimiterHint : 0
; COMPUTE_PGM_RSRC2:SCRATCH_EN: 0
; COMPUTE_PGM_RSRC2:USER_SGPR: 6
; COMPUTE_PGM_RSRC2:TRAP_HANDLER: 0
; COMPUTE_PGM_RSRC2:TGID_X_EN: 1
; COMPUTE_PGM_RSRC2:TGID_Y_EN: 0
; COMPUTE_PGM_RSRC2:TGID_Z_EN: 0
; COMPUTE_PGM_RSRC2:TIDIG_COMP_CNT: 1
	.section	.text._ZN2at6native28tensor_kernel_scan_outer_dimIdjZZZNS0_31launch_logcumsumexp_cuda_kernelERKNS_10TensorBaseES4_lENKUlvE_clEvENKUlvE_clEvEUlddE_EEvPT_PKS8_jjjS8_T1_,"axG",@progbits,_ZN2at6native28tensor_kernel_scan_outer_dimIdjZZZNS0_31launch_logcumsumexp_cuda_kernelERKNS_10TensorBaseES4_lENKUlvE_clEvENKUlvE_clEvEUlddE_EEvPT_PKS8_jjjS8_T1_,comdat
	.globl	_ZN2at6native28tensor_kernel_scan_outer_dimIdjZZZNS0_31launch_logcumsumexp_cuda_kernelERKNS_10TensorBaseES4_lENKUlvE_clEvENKUlvE_clEvEUlddE_EEvPT_PKS8_jjjS8_T1_ ; -- Begin function _ZN2at6native28tensor_kernel_scan_outer_dimIdjZZZNS0_31launch_logcumsumexp_cuda_kernelERKNS_10TensorBaseES4_lENKUlvE_clEvENKUlvE_clEvEUlddE_EEvPT_PKS8_jjjS8_T1_
	.p2align	8
	.type	_ZN2at6native28tensor_kernel_scan_outer_dimIdjZZZNS0_31launch_logcumsumexp_cuda_kernelERKNS_10TensorBaseES4_lENKUlvE_clEvENKUlvE_clEvEUlddE_EEvPT_PKS8_jjjS8_T1_,@function
_ZN2at6native28tensor_kernel_scan_outer_dimIdjZZZNS0_31launch_logcumsumexp_cuda_kernelERKNS_10TensorBaseES4_lENKUlvE_clEvENKUlvE_clEvEUlddE_EEvPT_PKS8_jjjS8_T1_: ; @_ZN2at6native28tensor_kernel_scan_outer_dimIdjZZZNS0_31launch_logcumsumexp_cuda_kernelERKNS_10TensorBaseES4_lENKUlvE_clEvENKUlvE_clEvEUlddE_EEvPT_PKS8_jjjS8_T1_
; %bb.0:
	s_load_dwordx4 s[8:11], s[4:5], 0x10
	s_waitcnt lgkmcnt(0)
	s_cmp_ge_u32 s6, s8
	s_cbranch_scc1 .LBB85_11
; %bb.1:
	s_clause 0x3
	s_load_dword s0, s[4:5], 0x3c
	s_load_dword s11, s[4:5], 0x30
	s_load_dwordx4 s[12:15], s[4:5], 0x0
	s_load_dwordx2 s[16:17], s[4:5], 0x20
	v_mov_b32_e32 v1, 0
	s_add_u32 s4, s4, 48
	s_addc_u32 s5, s5, 0
	s_mul_i32 s1, s6, s10
	s_mov_b32 s19, 0
	s_mov_b32 s18, s9
	s_mul_i32 s1, s1, s9
	s_mov_b32 s20, 0x652b82fe
	s_mov_b32 s22, 0xfefa39ef
	s_mov_b32 s24, 0x3b39803f
	s_mov_b32 s26, 0xfca7ab0c
	s_mov_b32 s28, 0x6a5dcb37
	s_mov_b32 s34, 0x623fde64
	s_mov_b32 s36, 0x7c89e6b0
	s_mov_b32 s38, 0x14761f6e
	s_mov_b32 s40, 0x1852b7b0
	s_waitcnt lgkmcnt(0)
	s_and_b32 s33, s0, 0xffff
	s_cmp_lg_u32 s10, 0
	v_mad_u64_u32 v[2:3], null, s7, s33, v[0:1]
	s_mul_i32 s7, s11, s10
	s_mov_b32 s42, 0x11122322
	s_mov_b32 s44, 0x555502a1
	;; [unrolled: 1-line block ×5, first 2 shown]
	v_cmp_gt_u32_e64 s0, s9, v2
	s_mov_b32 s52, 0x6b47b09a
	s_mov_b32 s54, 0xbf559e2b
	;; [unrolled: 1-line block ×11, first 2 shown]
	s_mul_i32 s7, s7, s9
	s_cselect_b32 s70, -1, 0
	s_lshl_b64 s[30:31], s[18:19], 3
	s_mov_b32 s35, 0x3ec71dee
	s_mov_b32 s37, 0x3efa0199
	;; [unrolled: 1-line block ×19, first 2 shown]
	s_branch .LBB85_3
.LBB85_2:                               ;   in Loop: Header=BB85_3 Depth=1
	s_or_b32 exec_lo, exec_lo, s71
	s_add_i32 s6, s11, s6
	s_add_i32 s18, s18, s7
	s_cmp_ge_u32 s6, s8
	s_cbranch_scc1 .LBB85_11
.LBB85_3:                               ; =>This Loop Header: Depth=1
                                        ;     Child Loop BB85_6 Depth 2
                                        ;       Child Loop BB85_9 Depth 3
	s_and_saveexec_b32 s71, s0
	s_cbranch_execz .LBB85_2
; %bb.4:                                ;   in Loop: Header=BB85_3 Depth=1
	s_load_dword s72, s[4:5], 0x4
	v_mov_b32_e32 v0, v2
	s_lshl_b64 s[68:69], s[18:19], 3
	s_mov_b32 s73, 0
	s_waitcnt lgkmcnt(0)
	s_mul_i32 s72, s72, s33
	s_branch .LBB85_6
.LBB85_5:                               ;   in Loop: Header=BB85_6 Depth=2
	v_add_nc_u32_e32 v0, s72, v0
	v_cmp_le_u32_e32 vcc_lo, s9, v0
	s_or_b32 s73, vcc_lo, s73
	s_andn2_b32 exec_lo, exec_lo, s73
	s_cbranch_execz .LBB85_2
.LBB85_6:                               ;   Parent Loop BB85_3 Depth=1
                                        ; =>  This Loop Header: Depth=2
                                        ;       Child Loop BB85_9 Depth 3
	s_andn2_b32 vcc_lo, exec_lo, s70
	s_cbranch_vccnz .LBB85_5
; %bb.7:                                ;   in Loop: Header=BB85_6 Depth=2
	v_lshlrev_b64 v[3:4], 3, v[0:1]
	v_mov_b32_e32 v5, s16
	v_mov_b32_e32 v6, s17
	s_mov_b32 s74, s10
	v_add_co_u32 v9, vcc_lo, s68, v3
	v_add_co_ci_u32_e64 v10, null, s69, v4, vcc_lo
	s_branch .LBB85_9
.LBB85_8:                               ;   in Loop: Header=BB85_9 Depth=3
	s_or_b32 exec_lo, exec_lo, s75
	v_add_co_u32 v3, vcc_lo, s12, v9
	v_add_co_ci_u32_e64 v4, null, s13, v10, vcc_lo
	v_add_co_u32 v9, vcc_lo, v9, s30
	v_add_co_ci_u32_e64 v10, null, s31, v10, vcc_lo
	s_add_i32 s74, s74, -1
	global_store_dwordx2 v[3:4], v[5:6], off
	s_cmp_eq_u32 s74, 0
	s_cbranch_scc1 .LBB85_5
.LBB85_9:                               ;   Parent Loop BB85_3 Depth=1
                                        ;     Parent Loop BB85_6 Depth=2
                                        ; =>    This Inner Loop Header: Depth=3
	v_add_co_u32 v3, vcc_lo, s14, v9
	v_add_co_ci_u32_e64 v4, null, s15, v10, vcc_lo
	v_max_f64 v[7:8], v[5:6], v[5:6]
	v_cmp_u_f64_e32 vcc_lo, v[5:6], v[5:6]
	global_load_dwordx2 v[3:4], v[3:4], off
	s_waitcnt vmcnt(0)
	v_max_f64 v[11:12], v[3:4], v[3:4]
	v_cmp_u_f64_e64 s1, v[3:4], v[3:4]
	v_min_f64 v[13:14], v[7:8], v[11:12]
	v_max_f64 v[7:8], v[7:8], v[11:12]
	v_cndmask_b32_e32 v11, v13, v5, vcc_lo
	v_cndmask_b32_e32 v12, v14, v6, vcc_lo
	;; [unrolled: 1-line block ×4, first 2 shown]
	v_cndmask_b32_e64 v7, v11, v3, s1
	v_cndmask_b32_e64 v8, v12, v4, s1
	;; [unrolled: 1-line block ×4, first 2 shown]
	v_cmp_class_f64_e64 s1, v[7:8], 0x1f8
	v_cmp_neq_f64_e32 vcc_lo, v[7:8], v[3:4]
	s_or_b32 s1, vcc_lo, s1
	s_and_saveexec_b32 s75, s1
	s_cbranch_execz .LBB85_8
; %bb.10:                               ;   in Loop: Header=BB85_9 Depth=3
	v_add_f64 v[5:6], v[7:8], -v[3:4]
	s_mov_b32 s65, s51
	s_mov_b32 s2, s22
	;; [unrolled: 1-line block ×3, first 2 shown]
	v_mul_f64 v[7:8], v[5:6], s[20:21]
	v_cmp_nlt_f64_e32 vcc_lo, 0x40900000, v[5:6]
	v_cmp_ngt_f64_e64 s1, 0xc090cc00, v[5:6]
	v_rndne_f64_e32 v[7:8], v[7:8]
	v_fma_f64 v[11:12], v[7:8], s[22:23], v[5:6]
	v_cvt_i32_f64_e32 v15, v[7:8]
	v_fma_f64 v[11:12], v[7:8], s[24:25], v[11:12]
	v_fma_f64 v[13:14], v[11:12], s[28:29], s[26:27]
	;; [unrolled: 1-line block ×10, first 2 shown]
	v_fma_f64 v[13:14], v[11:12], v[13:14], 1.0
	v_fma_f64 v[7:8], v[11:12], v[13:14], 1.0
	v_ldexp_f64 v[7:8], v[7:8], v15
	v_cndmask_b32_e32 v8, 0x7ff00000, v8, vcc_lo
	s_and_b32 vcc_lo, s1, vcc_lo
	v_cndmask_b32_e32 v5, 0, v7, vcc_lo
	v_cndmask_b32_e64 v6, 0, v8, s1
	v_add_f64 v[7:8], v[5:6], 1.0
	v_cmp_neq_f64_e64 s1, 0x7ff00000, v[5:6]
	v_frexp_mant_f64_e32 v[11:12], v[7:8]
	v_frexp_exp_i32_f64_e32 v15, v[7:8]
	v_add_f64 v[13:14], v[7:8], -1.0
	v_cmp_gt_f64_e32 vcc_lo, s[50:51], v[11:12]
	v_add_f64 v[11:12], v[13:14], -v[7:8]
	v_add_f64 v[13:14], v[5:6], -v[13:14]
	v_subrev_co_ci_u32_e64 v31, null, 0, v15, vcc_lo
	v_add_f64 v[11:12], v[11:12], 1.0
	v_cmp_nge_f64_e32 vcc_lo, -1.0, v[5:6]
	v_sub_nc_u32_e32 v17, 0, v31
	v_ldexp_f64 v[7:8], v[7:8], v17
	v_add_f64 v[11:12], v[13:14], v[11:12]
	s_and_b32 vcc_lo, vcc_lo, s1
	v_add_f64 v[15:16], v[7:8], 1.0
	v_add_f64 v[21:22], v[7:8], -1.0
	v_ldexp_f64 v[11:12], v[11:12], v17
	v_add_f64 v[13:14], v[15:16], -1.0
	v_add_f64 v[23:24], v[21:22], 1.0
	v_add_f64 v[13:14], v[7:8], -v[13:14]
	v_add_f64 v[7:8], v[7:8], -v[23:24]
	v_add_f64 v[13:14], v[11:12], v[13:14]
	v_add_f64 v[7:8], v[11:12], v[7:8]
	;; [unrolled: 1-line block ×4, first 2 shown]
	v_rcp_f64_e32 v[19:20], v[17:18]
	v_add_f64 v[15:16], v[17:18], -v[15:16]
	v_add_f64 v[21:22], v[23:24], -v[21:22]
	;; [unrolled: 1-line block ×3, first 2 shown]
	v_fma_f64 v[25:26], -v[17:18], v[19:20], 1.0
	v_add_f64 v[7:8], v[7:8], -v[21:22]
	v_fma_f64 v[19:20], v[25:26], v[19:20], v[19:20]
	v_fma_f64 v[11:12], -v[17:18], v[19:20], 1.0
	v_fma_f64 v[11:12], v[11:12], v[19:20], v[19:20]
	v_mul_f64 v[19:20], v[23:24], v[11:12]
	v_mul_f64 v[25:26], v[17:18], v[19:20]
	v_fma_f64 v[15:16], v[19:20], v[17:18], -v[25:26]
	v_fma_f64 v[15:16], v[19:20], v[13:14], v[15:16]
	v_add_f64 v[27:28], v[25:26], v[15:16]
	v_add_f64 v[29:30], v[23:24], -v[27:28]
	v_add_f64 v[21:22], v[27:28], -v[25:26]
	;; [unrolled: 1-line block ×5, first 2 shown]
	v_add_f64 v[7:8], v[7:8], v[23:24]
	v_add_f64 v[7:8], v[15:16], v[7:8]
	;; [unrolled: 1-line block ×3, first 2 shown]
	v_mul_f64 v[21:22], v[11:12], v[15:16]
	v_add_f64 v[27:28], v[29:30], -v[15:16]
	v_mul_f64 v[23:24], v[17:18], v[21:22]
	v_add_f64 v[7:8], v[7:8], v[27:28]
	v_fma_f64 v[17:18], v[21:22], v[17:18], -v[23:24]
	v_fma_f64 v[13:14], v[21:22], v[13:14], v[17:18]
	v_add_f64 v[17:18], v[23:24], v[13:14]
	v_add_f64 v[25:26], v[15:16], -v[17:18]
	v_add_f64 v[23:24], v[17:18], -v[23:24]
	;; [unrolled: 1-line block ×5, first 2 shown]
	v_add_f64 v[7:8], v[7:8], v[15:16]
	v_add_f64 v[15:16], v[19:20], v[21:22]
	;; [unrolled: 1-line block ×3, first 2 shown]
	v_add_f64 v[13:14], v[15:16], -v[19:20]
	v_add_f64 v[7:8], v[25:26], v[7:8]
	v_add_f64 v[13:14], v[21:22], -v[13:14]
	v_mul_f64 v[7:8], v[11:12], v[7:8]
	v_add_f64 v[7:8], v[13:14], v[7:8]
	v_add_f64 v[11:12], v[15:16], v[7:8]
	v_mul_f64 v[13:14], v[11:12], v[11:12]
	v_fma_f64 v[17:18], v[13:14], s[54:55], s[52:53]
	v_mul_f64 v[19:20], v[11:12], v[13:14]
	v_fma_f64 v[17:18], v[13:14], v[17:18], s[56:57]
	v_fma_f64 v[17:18], v[13:14], v[17:18], s[58:59]
	;; [unrolled: 1-line block ×5, first 2 shown]
	v_ldexp_f64 v[17:18], v[11:12], 1
	v_add_f64 v[11:12], v[11:12], -v[15:16]
	v_mul_f64 v[13:14], v[19:20], v[13:14]
	v_cvt_f64_i32_e32 v[19:20], v31
	v_add_f64 v[7:8], v[7:8], -v[11:12]
	v_add_f64 v[15:16], v[17:18], v[13:14]
	v_mul_f64 v[21:22], v[19:20], s[2:3]
	v_ldexp_f64 v[7:8], v[7:8], 1
	v_add_f64 v[11:12], v[15:16], -v[17:18]
	v_fma_f64 v[17:18], v[19:20], s[2:3], -v[21:22]
	v_cmp_ngt_f64_e64 s2, -1.0, v[5:6]
	v_add_f64 v[11:12], v[13:14], -v[11:12]
	v_fma_f64 v[13:14], v[19:20], s[66:67], v[17:18]
	v_add_f64 v[7:8], v[7:8], v[11:12]
	v_add_f64 v[11:12], v[21:22], v[13:14]
	;; [unrolled: 1-line block ×3, first 2 shown]
	v_add_f64 v[21:22], v[11:12], -v[21:22]
	v_add_f64 v[19:20], v[11:12], v[17:18]
	v_add_f64 v[15:16], v[17:18], -v[15:16]
	v_add_f64 v[13:14], v[13:14], -v[21:22]
	;; [unrolled: 1-line block ×6, first 2 shown]
	v_add_f64 v[17:18], v[13:14], v[7:8]
	v_add_f64 v[11:12], v[11:12], -v[25:26]
	v_add_f64 v[11:12], v[15:16], v[11:12]
	v_add_f64 v[15:16], v[17:18], -v[13:14]
	;; [unrolled: 2-line block ×3, first 2 shown]
	v_add_f64 v[7:8], v[7:8], -v[15:16]
	v_add_f64 v[21:22], v[19:20], v[11:12]
	v_add_f64 v[13:14], v[13:14], -v[17:18]
	v_add_f64 v[15:16], v[21:22], -v[19:20]
	v_add_f64 v[7:8], v[7:8], v[13:14]
	v_add_f64 v[11:12], v[11:12], -v[15:16]
	v_add_f64 v[7:8], v[7:8], v[11:12]
	v_add_f64 v[7:8], v[21:22], v[7:8]
	v_cndmask_b32_e32 v7, 0, v7, vcc_lo
	v_cmp_neq_f64_e32 vcc_lo, -1.0, v[5:6]
	v_cndmask_b32_e64 v8, 0x7ff00000, v8, s1
	v_cndmask_b32_e64 v8, 0x7ff80000, v8, s2
	v_cndmask_b32_e32 v8, 0xfff00000, v8, vcc_lo
	v_add_f64 v[5:6], v[3:4], v[7:8]
	s_branch .LBB85_8
.LBB85_11:
	s_endpgm
	.section	.rodata,"a",@progbits
	.p2align	6, 0x0
	.amdhsa_kernel _ZN2at6native28tensor_kernel_scan_outer_dimIdjZZZNS0_31launch_logcumsumexp_cuda_kernelERKNS_10TensorBaseES4_lENKUlvE_clEvENKUlvE_clEvEUlddE_EEvPT_PKS8_jjjS8_T1_
		.amdhsa_group_segment_fixed_size 0
		.amdhsa_private_segment_fixed_size 0
		.amdhsa_kernarg_size 304
		.amdhsa_user_sgpr_count 6
		.amdhsa_user_sgpr_private_segment_buffer 1
		.amdhsa_user_sgpr_dispatch_ptr 0
		.amdhsa_user_sgpr_queue_ptr 0
		.amdhsa_user_sgpr_kernarg_segment_ptr 1
		.amdhsa_user_sgpr_dispatch_id 0
		.amdhsa_user_sgpr_flat_scratch_init 0
		.amdhsa_user_sgpr_private_segment_size 0
		.amdhsa_wavefront_size32 1
		.amdhsa_uses_dynamic_stack 0
		.amdhsa_system_sgpr_private_segment_wavefront_offset 0
		.amdhsa_system_sgpr_workgroup_id_x 1
		.amdhsa_system_sgpr_workgroup_id_y 1
		.amdhsa_system_sgpr_workgroup_id_z 0
		.amdhsa_system_sgpr_workgroup_info 0
		.amdhsa_system_vgpr_workitem_id 0
		.amdhsa_next_free_vgpr 32
		.amdhsa_next_free_sgpr 76
		.amdhsa_reserve_vcc 1
		.amdhsa_reserve_flat_scratch 0
		.amdhsa_float_round_mode_32 0
		.amdhsa_float_round_mode_16_64 0
		.amdhsa_float_denorm_mode_32 3
		.amdhsa_float_denorm_mode_16_64 3
		.amdhsa_dx10_clamp 1
		.amdhsa_ieee_mode 1
		.amdhsa_fp16_overflow 0
		.amdhsa_workgroup_processor_mode 1
		.amdhsa_memory_ordered 1
		.amdhsa_forward_progress 1
		.amdhsa_shared_vgpr_count 0
		.amdhsa_exception_fp_ieee_invalid_op 0
		.amdhsa_exception_fp_denorm_src 0
		.amdhsa_exception_fp_ieee_div_zero 0
		.amdhsa_exception_fp_ieee_overflow 0
		.amdhsa_exception_fp_ieee_underflow 0
		.amdhsa_exception_fp_ieee_inexact 0
		.amdhsa_exception_int_div_zero 0
	.end_amdhsa_kernel
	.section	.text._ZN2at6native28tensor_kernel_scan_outer_dimIdjZZZNS0_31launch_logcumsumexp_cuda_kernelERKNS_10TensorBaseES4_lENKUlvE_clEvENKUlvE_clEvEUlddE_EEvPT_PKS8_jjjS8_T1_,"axG",@progbits,_ZN2at6native28tensor_kernel_scan_outer_dimIdjZZZNS0_31launch_logcumsumexp_cuda_kernelERKNS_10TensorBaseES4_lENKUlvE_clEvENKUlvE_clEvEUlddE_EEvPT_PKS8_jjjS8_T1_,comdat
.Lfunc_end85:
	.size	_ZN2at6native28tensor_kernel_scan_outer_dimIdjZZZNS0_31launch_logcumsumexp_cuda_kernelERKNS_10TensorBaseES4_lENKUlvE_clEvENKUlvE_clEvEUlddE_EEvPT_PKS8_jjjS8_T1_, .Lfunc_end85-_ZN2at6native28tensor_kernel_scan_outer_dimIdjZZZNS0_31launch_logcumsumexp_cuda_kernelERKNS_10TensorBaseES4_lENKUlvE_clEvENKUlvE_clEvEUlddE_EEvPT_PKS8_jjjS8_T1_
                                        ; -- End function
	.set _ZN2at6native28tensor_kernel_scan_outer_dimIdjZZZNS0_31launch_logcumsumexp_cuda_kernelERKNS_10TensorBaseES4_lENKUlvE_clEvENKUlvE_clEvEUlddE_EEvPT_PKS8_jjjS8_T1_.num_vgpr, 32
	.set _ZN2at6native28tensor_kernel_scan_outer_dimIdjZZZNS0_31launch_logcumsumexp_cuda_kernelERKNS_10TensorBaseES4_lENKUlvE_clEvENKUlvE_clEvEUlddE_EEvPT_PKS8_jjjS8_T1_.num_agpr, 0
	.set _ZN2at6native28tensor_kernel_scan_outer_dimIdjZZZNS0_31launch_logcumsumexp_cuda_kernelERKNS_10TensorBaseES4_lENKUlvE_clEvENKUlvE_clEvEUlddE_EEvPT_PKS8_jjjS8_T1_.numbered_sgpr, 76
	.set _ZN2at6native28tensor_kernel_scan_outer_dimIdjZZZNS0_31launch_logcumsumexp_cuda_kernelERKNS_10TensorBaseES4_lENKUlvE_clEvENKUlvE_clEvEUlddE_EEvPT_PKS8_jjjS8_T1_.num_named_barrier, 0
	.set _ZN2at6native28tensor_kernel_scan_outer_dimIdjZZZNS0_31launch_logcumsumexp_cuda_kernelERKNS_10TensorBaseES4_lENKUlvE_clEvENKUlvE_clEvEUlddE_EEvPT_PKS8_jjjS8_T1_.private_seg_size, 0
	.set _ZN2at6native28tensor_kernel_scan_outer_dimIdjZZZNS0_31launch_logcumsumexp_cuda_kernelERKNS_10TensorBaseES4_lENKUlvE_clEvENKUlvE_clEvEUlddE_EEvPT_PKS8_jjjS8_T1_.uses_vcc, 1
	.set _ZN2at6native28tensor_kernel_scan_outer_dimIdjZZZNS0_31launch_logcumsumexp_cuda_kernelERKNS_10TensorBaseES4_lENKUlvE_clEvENKUlvE_clEvEUlddE_EEvPT_PKS8_jjjS8_T1_.uses_flat_scratch, 0
	.set _ZN2at6native28tensor_kernel_scan_outer_dimIdjZZZNS0_31launch_logcumsumexp_cuda_kernelERKNS_10TensorBaseES4_lENKUlvE_clEvENKUlvE_clEvEUlddE_EEvPT_PKS8_jjjS8_T1_.has_dyn_sized_stack, 0
	.set _ZN2at6native28tensor_kernel_scan_outer_dimIdjZZZNS0_31launch_logcumsumexp_cuda_kernelERKNS_10TensorBaseES4_lENKUlvE_clEvENKUlvE_clEvEUlddE_EEvPT_PKS8_jjjS8_T1_.has_recursion, 0
	.set _ZN2at6native28tensor_kernel_scan_outer_dimIdjZZZNS0_31launch_logcumsumexp_cuda_kernelERKNS_10TensorBaseES4_lENKUlvE_clEvENKUlvE_clEvEUlddE_EEvPT_PKS8_jjjS8_T1_.has_indirect_call, 0
	.section	.AMDGPU.csdata,"",@progbits
; Kernel info:
; codeLenInByte = 1952
; TotalNumSgprs: 78
; NumVgprs: 32
; ScratchSize: 0
; MemoryBound: 0
; FloatMode: 240
; IeeeMode: 1
; LDSByteSize: 0 bytes/workgroup (compile time only)
; SGPRBlocks: 0
; VGPRBlocks: 3
; NumSGPRsForWavesPerEU: 78
; NumVGPRsForWavesPerEU: 32
; Occupancy: 16
; WaveLimiterHint : 0
; COMPUTE_PGM_RSRC2:SCRATCH_EN: 0
; COMPUTE_PGM_RSRC2:USER_SGPR: 6
; COMPUTE_PGM_RSRC2:TRAP_HANDLER: 0
; COMPUTE_PGM_RSRC2:TGID_X_EN: 1
; COMPUTE_PGM_RSRC2:TGID_Y_EN: 1
; COMPUTE_PGM_RSRC2:TGID_Z_EN: 0
; COMPUTE_PGM_RSRC2:TIDIG_COMP_CNT: 0
	.section	.text._ZN2at6native28tensor_kernel_scan_outer_dimIdmZZZNS0_31launch_logcumsumexp_cuda_kernelERKNS_10TensorBaseES4_lENKUlvE_clEvENKUlvE_clEvEUlddE_EEvPT_PKS8_jjjS8_T1_,"axG",@progbits,_ZN2at6native28tensor_kernel_scan_outer_dimIdmZZZNS0_31launch_logcumsumexp_cuda_kernelERKNS_10TensorBaseES4_lENKUlvE_clEvENKUlvE_clEvEUlddE_EEvPT_PKS8_jjjS8_T1_,comdat
	.globl	_ZN2at6native28tensor_kernel_scan_outer_dimIdmZZZNS0_31launch_logcumsumexp_cuda_kernelERKNS_10TensorBaseES4_lENKUlvE_clEvENKUlvE_clEvEUlddE_EEvPT_PKS8_jjjS8_T1_ ; -- Begin function _ZN2at6native28tensor_kernel_scan_outer_dimIdmZZZNS0_31launch_logcumsumexp_cuda_kernelERKNS_10TensorBaseES4_lENKUlvE_clEvENKUlvE_clEvEUlddE_EEvPT_PKS8_jjjS8_T1_
	.p2align	8
	.type	_ZN2at6native28tensor_kernel_scan_outer_dimIdmZZZNS0_31launch_logcumsumexp_cuda_kernelERKNS_10TensorBaseES4_lENKUlvE_clEvENKUlvE_clEvEUlddE_EEvPT_PKS8_jjjS8_T1_,@function
_ZN2at6native28tensor_kernel_scan_outer_dimIdmZZZNS0_31launch_logcumsumexp_cuda_kernelERKNS_10TensorBaseES4_lENKUlvE_clEvENKUlvE_clEvEUlddE_EEvPT_PKS8_jjjS8_T1_: ; @_ZN2at6native28tensor_kernel_scan_outer_dimIdmZZZNS0_31launch_logcumsumexp_cuda_kernelERKNS_10TensorBaseES4_lENKUlvE_clEvENKUlvE_clEvEUlddE_EEvPT_PKS8_jjjS8_T1_
; %bb.0:
	s_load_dwordx4 s[8:11], s[4:5], 0x10
	s_waitcnt lgkmcnt(0)
	s_cmp_ge_u32 s6, s8
	s_cbranch_scc1 .LBB86_11
; %bb.1:
	s_clause 0x3
	s_load_dword s28, s[4:5], 0x3c
	s_load_dword s11, s[4:5], 0x30
	s_load_dwordx4 s[12:15], s[4:5], 0x0
	s_load_dwordx2 s[16:17], s[4:5], 0x20
	v_mov_b32_e32 v1, 0
	s_add_u32 s4, s4, 48
	s_addc_u32 s5, s5, 0
	s_mov_b32 s1, 0
	s_mov_b32 s0, s9
	s_mul_hi_u32 s3, s10, s9
	s_mul_i32 s2, s10, s9
	s_mov_b32 s18, 0x652b82fe
	s_mov_b32 s20, 0xfefa39ef
	;; [unrolled: 1-line block ×9, first 2 shown]
	s_waitcnt lgkmcnt(0)
	s_and_b32 s33, s28, 0xffff
	s_cmp_lg_u32 s10, 0
	v_mad_u64_u32 v[2:3], null, s7, s33, v[0:1]
	s_cselect_b32 s7, -1, 0
	s_lshl_b64 s[34:35], s[0:1], 3
	s_mov_b32 s28, 0x623fde64
	s_mov_b32 s44, 0x555502a1
	;; [unrolled: 1-line block ×4, first 2 shown]
	v_cmp_gt_u32_e64 s0, s9, v2
	s_mov_b32 s50, 0x55555555
	s_mov_b32 s52, 0x6b47b09a
	;; [unrolled: 1-line block ×13, first 2 shown]
	s_lshl_b64 s[30:31], s[2:3], 3
	s_mov_b32 s37, 0x3efa0199
	s_mov_b32 s39, 0x3f2a01a0
	;; [unrolled: 1-line block ×17, first 2 shown]
	s_branch .LBB86_3
.LBB86_2:                               ;   in Loop: Header=BB86_3 Depth=1
	s_or_b32 exec_lo, exec_lo, s68
	s_add_i32 s6, s6, s11
	s_cmp_ge_u32 s6, s8
	s_cbranch_scc1 .LBB86_11
.LBB86_3:                               ; =>This Loop Header: Depth=1
                                        ;     Child Loop BB86_6 Depth 2
                                        ;       Child Loop BB86_9 Depth 3
	s_and_saveexec_b32 s68, s0
	s_cbranch_execz .LBB86_2
; %bb.4:                                ;   in Loop: Header=BB86_3 Depth=1
	s_load_dword s71, s[4:5], 0x4
	v_mov_b32_e32 v0, v2
	s_mul_i32 s1, s31, s6
	s_mul_hi_u32 s2, s30, s6
	s_mul_i32 s69, s30, s6
	s_add_i32 s70, s2, s1
	s_mov_b32 s72, 0
	s_waitcnt lgkmcnt(0)
	s_mul_i32 s71, s71, s33
	s_branch .LBB86_6
.LBB86_5:                               ;   in Loop: Header=BB86_6 Depth=2
	v_add_nc_u32_e32 v0, s71, v0
	v_cmp_le_u32_e32 vcc_lo, s9, v0
	s_or_b32 s72, vcc_lo, s72
	s_andn2_b32 exec_lo, exec_lo, s72
	s_cbranch_execz .LBB86_2
.LBB86_6:                               ;   Parent Loop BB86_3 Depth=1
                                        ; =>  This Loop Header: Depth=2
                                        ;       Child Loop BB86_9 Depth 3
	s_andn2_b32 vcc_lo, exec_lo, s7
	s_cbranch_vccnz .LBB86_5
; %bb.7:                                ;   in Loop: Header=BB86_6 Depth=2
	v_lshlrev_b64 v[3:4], 3, v[0:1]
	v_mov_b32_e32 v5, s16
	v_mov_b32_e32 v6, s17
	s_mov_b32 s73, s10
	v_add_co_u32 v9, vcc_lo, s69, v3
	v_add_co_ci_u32_e64 v10, null, s70, v4, vcc_lo
	s_branch .LBB86_9
.LBB86_8:                               ;   in Loop: Header=BB86_9 Depth=3
	s_or_b32 exec_lo, exec_lo, s74
	v_add_co_u32 v3, vcc_lo, s12, v9
	v_add_co_ci_u32_e64 v4, null, s13, v10, vcc_lo
	v_add_co_u32 v9, vcc_lo, v9, s34
	v_add_co_ci_u32_e64 v10, null, s35, v10, vcc_lo
	s_add_i32 s73, s73, -1
	global_store_dwordx2 v[3:4], v[5:6], off
	s_cmp_eq_u32 s73, 0
	s_cbranch_scc1 .LBB86_5
.LBB86_9:                               ;   Parent Loop BB86_3 Depth=1
                                        ;     Parent Loop BB86_6 Depth=2
                                        ; =>    This Inner Loop Header: Depth=3
	v_add_co_u32 v3, vcc_lo, s14, v9
	v_add_co_ci_u32_e64 v4, null, s15, v10, vcc_lo
	v_max_f64 v[7:8], v[5:6], v[5:6]
	v_cmp_u_f64_e32 vcc_lo, v[5:6], v[5:6]
	global_load_dwordx2 v[3:4], v[3:4], off
	s_waitcnt vmcnt(0)
	v_max_f64 v[11:12], v[3:4], v[3:4]
	v_cmp_u_f64_e64 s1, v[3:4], v[3:4]
	v_min_f64 v[13:14], v[7:8], v[11:12]
	v_max_f64 v[7:8], v[7:8], v[11:12]
	v_cndmask_b32_e32 v11, v13, v5, vcc_lo
	v_cndmask_b32_e32 v12, v14, v6, vcc_lo
	;; [unrolled: 1-line block ×4, first 2 shown]
	v_cndmask_b32_e64 v7, v11, v3, s1
	v_cndmask_b32_e64 v8, v12, v4, s1
	;; [unrolled: 1-line block ×4, first 2 shown]
	v_cmp_class_f64_e64 s1, v[7:8], 0x1f8
	v_cmp_neq_f64_e32 vcc_lo, v[7:8], v[3:4]
	s_or_b32 s1, vcc_lo, s1
	s_and_saveexec_b32 s74, s1
	s_cbranch_execz .LBB86_8
; %bb.10:                               ;   in Loop: Header=BB86_9 Depth=3
	v_add_f64 v[5:6], v[7:8], -v[3:4]
	s_mov_b32 s65, s51
	s_mov_b32 s2, s20
	;; [unrolled: 1-line block ×3, first 2 shown]
	v_mul_f64 v[7:8], v[5:6], s[18:19]
	v_cmp_nlt_f64_e32 vcc_lo, 0x40900000, v[5:6]
	v_cmp_ngt_f64_e64 s1, 0xc090cc00, v[5:6]
	v_rndne_f64_e32 v[7:8], v[7:8]
	v_fma_f64 v[11:12], v[7:8], s[20:21], v[5:6]
	v_cvt_i32_f64_e32 v15, v[7:8]
	v_fma_f64 v[11:12], v[7:8], s[22:23], v[11:12]
	v_fma_f64 v[13:14], v[11:12], s[26:27], s[24:25]
	v_fma_f64 v[13:14], v[11:12], v[13:14], s[28:29]
	v_fma_f64 v[13:14], v[11:12], v[13:14], s[36:37]
	v_fma_f64 v[13:14], v[11:12], v[13:14], s[38:39]
	v_fma_f64 v[13:14], v[11:12], v[13:14], s[40:41]
	v_fma_f64 v[13:14], v[11:12], v[13:14], s[42:43]
	v_fma_f64 v[13:14], v[11:12], v[13:14], s[44:45]
	v_fma_f64 v[13:14], v[11:12], v[13:14], s[46:47]
	v_fma_f64 v[13:14], v[11:12], v[13:14], s[48:49]
	v_fma_f64 v[13:14], v[11:12], v[13:14], 1.0
	v_fma_f64 v[7:8], v[11:12], v[13:14], 1.0
	v_ldexp_f64 v[7:8], v[7:8], v15
	v_cndmask_b32_e32 v8, 0x7ff00000, v8, vcc_lo
	s_and_b32 vcc_lo, s1, vcc_lo
	v_cndmask_b32_e32 v5, 0, v7, vcc_lo
	v_cndmask_b32_e64 v6, 0, v8, s1
	v_add_f64 v[7:8], v[5:6], 1.0
	v_cmp_neq_f64_e64 s1, 0x7ff00000, v[5:6]
	v_frexp_mant_f64_e32 v[11:12], v[7:8]
	v_frexp_exp_i32_f64_e32 v15, v[7:8]
	v_add_f64 v[13:14], v[7:8], -1.0
	v_cmp_gt_f64_e32 vcc_lo, s[50:51], v[11:12]
	v_add_f64 v[11:12], v[13:14], -v[7:8]
	v_add_f64 v[13:14], v[5:6], -v[13:14]
	v_subrev_co_ci_u32_e64 v31, null, 0, v15, vcc_lo
	v_add_f64 v[11:12], v[11:12], 1.0
	v_cmp_nge_f64_e32 vcc_lo, -1.0, v[5:6]
	v_sub_nc_u32_e32 v17, 0, v31
	v_ldexp_f64 v[7:8], v[7:8], v17
	v_add_f64 v[11:12], v[13:14], v[11:12]
	s_and_b32 vcc_lo, vcc_lo, s1
	v_add_f64 v[15:16], v[7:8], 1.0
	v_add_f64 v[21:22], v[7:8], -1.0
	v_ldexp_f64 v[11:12], v[11:12], v17
	v_add_f64 v[13:14], v[15:16], -1.0
	v_add_f64 v[23:24], v[21:22], 1.0
	v_add_f64 v[13:14], v[7:8], -v[13:14]
	v_add_f64 v[7:8], v[7:8], -v[23:24]
	v_add_f64 v[13:14], v[11:12], v[13:14]
	v_add_f64 v[7:8], v[11:12], v[7:8]
	;; [unrolled: 1-line block ×4, first 2 shown]
	v_rcp_f64_e32 v[19:20], v[17:18]
	v_add_f64 v[15:16], v[17:18], -v[15:16]
	v_add_f64 v[21:22], v[23:24], -v[21:22]
	;; [unrolled: 1-line block ×3, first 2 shown]
	v_fma_f64 v[25:26], -v[17:18], v[19:20], 1.0
	v_add_f64 v[7:8], v[7:8], -v[21:22]
	v_fma_f64 v[19:20], v[25:26], v[19:20], v[19:20]
	v_fma_f64 v[11:12], -v[17:18], v[19:20], 1.0
	v_fma_f64 v[11:12], v[11:12], v[19:20], v[19:20]
	v_mul_f64 v[19:20], v[23:24], v[11:12]
	v_mul_f64 v[25:26], v[17:18], v[19:20]
	v_fma_f64 v[15:16], v[19:20], v[17:18], -v[25:26]
	v_fma_f64 v[15:16], v[19:20], v[13:14], v[15:16]
	v_add_f64 v[27:28], v[25:26], v[15:16]
	v_add_f64 v[29:30], v[23:24], -v[27:28]
	v_add_f64 v[21:22], v[27:28], -v[25:26]
	;; [unrolled: 1-line block ×5, first 2 shown]
	v_add_f64 v[7:8], v[7:8], v[23:24]
	v_add_f64 v[7:8], v[15:16], v[7:8]
	v_add_f64 v[15:16], v[29:30], v[7:8]
	v_mul_f64 v[21:22], v[11:12], v[15:16]
	v_add_f64 v[27:28], v[29:30], -v[15:16]
	v_mul_f64 v[23:24], v[17:18], v[21:22]
	v_add_f64 v[7:8], v[7:8], v[27:28]
	v_fma_f64 v[17:18], v[21:22], v[17:18], -v[23:24]
	v_fma_f64 v[13:14], v[21:22], v[13:14], v[17:18]
	v_add_f64 v[17:18], v[23:24], v[13:14]
	v_add_f64 v[25:26], v[15:16], -v[17:18]
	v_add_f64 v[23:24], v[17:18], -v[23:24]
	v_add_f64 v[15:16], v[15:16], -v[25:26]
	v_add_f64 v[13:14], v[23:24], -v[13:14]
	v_add_f64 v[15:16], v[15:16], -v[17:18]
	v_add_f64 v[7:8], v[7:8], v[15:16]
	v_add_f64 v[15:16], v[19:20], v[21:22]
	;; [unrolled: 1-line block ×3, first 2 shown]
	v_add_f64 v[13:14], v[15:16], -v[19:20]
	v_add_f64 v[7:8], v[25:26], v[7:8]
	v_add_f64 v[13:14], v[21:22], -v[13:14]
	v_mul_f64 v[7:8], v[11:12], v[7:8]
	v_add_f64 v[7:8], v[13:14], v[7:8]
	v_add_f64 v[11:12], v[15:16], v[7:8]
	v_mul_f64 v[13:14], v[11:12], v[11:12]
	v_fma_f64 v[17:18], v[13:14], s[54:55], s[52:53]
	v_mul_f64 v[19:20], v[11:12], v[13:14]
	v_fma_f64 v[17:18], v[13:14], v[17:18], s[56:57]
	v_fma_f64 v[17:18], v[13:14], v[17:18], s[58:59]
	;; [unrolled: 1-line block ×5, first 2 shown]
	v_ldexp_f64 v[17:18], v[11:12], 1
	v_add_f64 v[11:12], v[11:12], -v[15:16]
	v_mul_f64 v[13:14], v[19:20], v[13:14]
	v_cvt_f64_i32_e32 v[19:20], v31
	v_add_f64 v[7:8], v[7:8], -v[11:12]
	v_add_f64 v[15:16], v[17:18], v[13:14]
	v_mul_f64 v[21:22], v[19:20], s[2:3]
	v_ldexp_f64 v[7:8], v[7:8], 1
	v_add_f64 v[11:12], v[15:16], -v[17:18]
	v_fma_f64 v[17:18], v[19:20], s[2:3], -v[21:22]
	v_cmp_ngt_f64_e64 s2, -1.0, v[5:6]
	v_add_f64 v[11:12], v[13:14], -v[11:12]
	v_fma_f64 v[13:14], v[19:20], s[66:67], v[17:18]
	v_add_f64 v[7:8], v[7:8], v[11:12]
	v_add_f64 v[11:12], v[21:22], v[13:14]
	;; [unrolled: 1-line block ×3, first 2 shown]
	v_add_f64 v[21:22], v[11:12], -v[21:22]
	v_add_f64 v[19:20], v[11:12], v[17:18]
	v_add_f64 v[15:16], v[17:18], -v[15:16]
	v_add_f64 v[13:14], v[13:14], -v[21:22]
	;; [unrolled: 1-line block ×6, first 2 shown]
	v_add_f64 v[17:18], v[13:14], v[7:8]
	v_add_f64 v[11:12], v[11:12], -v[25:26]
	v_add_f64 v[11:12], v[15:16], v[11:12]
	v_add_f64 v[15:16], v[17:18], -v[13:14]
	;; [unrolled: 2-line block ×3, first 2 shown]
	v_add_f64 v[7:8], v[7:8], -v[15:16]
	v_add_f64 v[21:22], v[19:20], v[11:12]
	v_add_f64 v[13:14], v[13:14], -v[17:18]
	v_add_f64 v[15:16], v[21:22], -v[19:20]
	v_add_f64 v[7:8], v[7:8], v[13:14]
	v_add_f64 v[11:12], v[11:12], -v[15:16]
	v_add_f64 v[7:8], v[7:8], v[11:12]
	v_add_f64 v[7:8], v[21:22], v[7:8]
	v_cndmask_b32_e32 v7, 0, v7, vcc_lo
	v_cmp_neq_f64_e32 vcc_lo, -1.0, v[5:6]
	v_cndmask_b32_e64 v8, 0x7ff00000, v8, s1
	v_cndmask_b32_e64 v8, 0x7ff80000, v8, s2
	v_cndmask_b32_e32 v8, 0xfff00000, v8, vcc_lo
	v_add_f64 v[5:6], v[3:4], v[7:8]
	s_branch .LBB86_8
.LBB86_11:
	s_endpgm
	.section	.rodata,"a",@progbits
	.p2align	6, 0x0
	.amdhsa_kernel _ZN2at6native28tensor_kernel_scan_outer_dimIdmZZZNS0_31launch_logcumsumexp_cuda_kernelERKNS_10TensorBaseES4_lENKUlvE_clEvENKUlvE_clEvEUlddE_EEvPT_PKS8_jjjS8_T1_
		.amdhsa_group_segment_fixed_size 0
		.amdhsa_private_segment_fixed_size 0
		.amdhsa_kernarg_size 304
		.amdhsa_user_sgpr_count 6
		.amdhsa_user_sgpr_private_segment_buffer 1
		.amdhsa_user_sgpr_dispatch_ptr 0
		.amdhsa_user_sgpr_queue_ptr 0
		.amdhsa_user_sgpr_kernarg_segment_ptr 1
		.amdhsa_user_sgpr_dispatch_id 0
		.amdhsa_user_sgpr_flat_scratch_init 0
		.amdhsa_user_sgpr_private_segment_size 0
		.amdhsa_wavefront_size32 1
		.amdhsa_uses_dynamic_stack 0
		.amdhsa_system_sgpr_private_segment_wavefront_offset 0
		.amdhsa_system_sgpr_workgroup_id_x 1
		.amdhsa_system_sgpr_workgroup_id_y 1
		.amdhsa_system_sgpr_workgroup_id_z 0
		.amdhsa_system_sgpr_workgroup_info 0
		.amdhsa_system_vgpr_workitem_id 0
		.amdhsa_next_free_vgpr 32
		.amdhsa_next_free_sgpr 75
		.amdhsa_reserve_vcc 1
		.amdhsa_reserve_flat_scratch 0
		.amdhsa_float_round_mode_32 0
		.amdhsa_float_round_mode_16_64 0
		.amdhsa_float_denorm_mode_32 3
		.amdhsa_float_denorm_mode_16_64 3
		.amdhsa_dx10_clamp 1
		.amdhsa_ieee_mode 1
		.amdhsa_fp16_overflow 0
		.amdhsa_workgroup_processor_mode 1
		.amdhsa_memory_ordered 1
		.amdhsa_forward_progress 1
		.amdhsa_shared_vgpr_count 0
		.amdhsa_exception_fp_ieee_invalid_op 0
		.amdhsa_exception_fp_denorm_src 0
		.amdhsa_exception_fp_ieee_div_zero 0
		.amdhsa_exception_fp_ieee_overflow 0
		.amdhsa_exception_fp_ieee_underflow 0
		.amdhsa_exception_fp_ieee_inexact 0
		.amdhsa_exception_int_div_zero 0
	.end_amdhsa_kernel
	.section	.text._ZN2at6native28tensor_kernel_scan_outer_dimIdmZZZNS0_31launch_logcumsumexp_cuda_kernelERKNS_10TensorBaseES4_lENKUlvE_clEvENKUlvE_clEvEUlddE_EEvPT_PKS8_jjjS8_T1_,"axG",@progbits,_ZN2at6native28tensor_kernel_scan_outer_dimIdmZZZNS0_31launch_logcumsumexp_cuda_kernelERKNS_10TensorBaseES4_lENKUlvE_clEvENKUlvE_clEvEUlddE_EEvPT_PKS8_jjjS8_T1_,comdat
.Lfunc_end86:
	.size	_ZN2at6native28tensor_kernel_scan_outer_dimIdmZZZNS0_31launch_logcumsumexp_cuda_kernelERKNS_10TensorBaseES4_lENKUlvE_clEvENKUlvE_clEvEUlddE_EEvPT_PKS8_jjjS8_T1_, .Lfunc_end86-_ZN2at6native28tensor_kernel_scan_outer_dimIdmZZZNS0_31launch_logcumsumexp_cuda_kernelERKNS_10TensorBaseES4_lENKUlvE_clEvENKUlvE_clEvEUlddE_EEvPT_PKS8_jjjS8_T1_
                                        ; -- End function
	.set _ZN2at6native28tensor_kernel_scan_outer_dimIdmZZZNS0_31launch_logcumsumexp_cuda_kernelERKNS_10TensorBaseES4_lENKUlvE_clEvENKUlvE_clEvEUlddE_EEvPT_PKS8_jjjS8_T1_.num_vgpr, 32
	.set _ZN2at6native28tensor_kernel_scan_outer_dimIdmZZZNS0_31launch_logcumsumexp_cuda_kernelERKNS_10TensorBaseES4_lENKUlvE_clEvENKUlvE_clEvEUlddE_EEvPT_PKS8_jjjS8_T1_.num_agpr, 0
	.set _ZN2at6native28tensor_kernel_scan_outer_dimIdmZZZNS0_31launch_logcumsumexp_cuda_kernelERKNS_10TensorBaseES4_lENKUlvE_clEvENKUlvE_clEvEUlddE_EEvPT_PKS8_jjjS8_T1_.numbered_sgpr, 75
	.set _ZN2at6native28tensor_kernel_scan_outer_dimIdmZZZNS0_31launch_logcumsumexp_cuda_kernelERKNS_10TensorBaseES4_lENKUlvE_clEvENKUlvE_clEvEUlddE_EEvPT_PKS8_jjjS8_T1_.num_named_barrier, 0
	.set _ZN2at6native28tensor_kernel_scan_outer_dimIdmZZZNS0_31launch_logcumsumexp_cuda_kernelERKNS_10TensorBaseES4_lENKUlvE_clEvENKUlvE_clEvEUlddE_EEvPT_PKS8_jjjS8_T1_.private_seg_size, 0
	.set _ZN2at6native28tensor_kernel_scan_outer_dimIdmZZZNS0_31launch_logcumsumexp_cuda_kernelERKNS_10TensorBaseES4_lENKUlvE_clEvENKUlvE_clEvEUlddE_EEvPT_PKS8_jjjS8_T1_.uses_vcc, 1
	.set _ZN2at6native28tensor_kernel_scan_outer_dimIdmZZZNS0_31launch_logcumsumexp_cuda_kernelERKNS_10TensorBaseES4_lENKUlvE_clEvENKUlvE_clEvEUlddE_EEvPT_PKS8_jjjS8_T1_.uses_flat_scratch, 0
	.set _ZN2at6native28tensor_kernel_scan_outer_dimIdmZZZNS0_31launch_logcumsumexp_cuda_kernelERKNS_10TensorBaseES4_lENKUlvE_clEvENKUlvE_clEvEUlddE_EEvPT_PKS8_jjjS8_T1_.has_dyn_sized_stack, 0
	.set _ZN2at6native28tensor_kernel_scan_outer_dimIdmZZZNS0_31launch_logcumsumexp_cuda_kernelERKNS_10TensorBaseES4_lENKUlvE_clEvENKUlvE_clEvEUlddE_EEvPT_PKS8_jjjS8_T1_.has_recursion, 0
	.set _ZN2at6native28tensor_kernel_scan_outer_dimIdmZZZNS0_31launch_logcumsumexp_cuda_kernelERKNS_10TensorBaseES4_lENKUlvE_clEvENKUlvE_clEvEUlddE_EEvPT_PKS8_jjjS8_T1_.has_indirect_call, 0
	.section	.AMDGPU.csdata,"",@progbits
; Kernel info:
; codeLenInByte = 1952
; TotalNumSgprs: 77
; NumVgprs: 32
; ScratchSize: 0
; MemoryBound: 0
; FloatMode: 240
; IeeeMode: 1
; LDSByteSize: 0 bytes/workgroup (compile time only)
; SGPRBlocks: 0
; VGPRBlocks: 3
; NumSGPRsForWavesPerEU: 77
; NumVGPRsForWavesPerEU: 32
; Occupancy: 16
; WaveLimiterHint : 0
; COMPUTE_PGM_RSRC2:SCRATCH_EN: 0
; COMPUTE_PGM_RSRC2:USER_SGPR: 6
; COMPUTE_PGM_RSRC2:TRAP_HANDLER: 0
; COMPUTE_PGM_RSRC2:TGID_X_EN: 1
; COMPUTE_PGM_RSRC2:TGID_Y_EN: 1
; COMPUTE_PGM_RSRC2:TGID_Z_EN: 0
; COMPUTE_PGM_RSRC2:TIDIG_COMP_CNT: 0
	.section	.text._ZN7rocprim17ROCPRIM_400000_NS6detail31init_lookback_scan_state_kernelINS1_19lookback_scan_stateIfLb0ELb1EEENS1_16block_id_wrapperIjLb0EEEEEvT_jT0_jPNS7_10value_typeE,"axG",@progbits,_ZN7rocprim17ROCPRIM_400000_NS6detail31init_lookback_scan_state_kernelINS1_19lookback_scan_stateIfLb0ELb1EEENS1_16block_id_wrapperIjLb0EEEEEvT_jT0_jPNS7_10value_typeE,comdat
	.protected	_ZN7rocprim17ROCPRIM_400000_NS6detail31init_lookback_scan_state_kernelINS1_19lookback_scan_stateIfLb0ELb1EEENS1_16block_id_wrapperIjLb0EEEEEvT_jT0_jPNS7_10value_typeE ; -- Begin function _ZN7rocprim17ROCPRIM_400000_NS6detail31init_lookback_scan_state_kernelINS1_19lookback_scan_stateIfLb0ELb1EEENS1_16block_id_wrapperIjLb0EEEEEvT_jT0_jPNS7_10value_typeE
	.globl	_ZN7rocprim17ROCPRIM_400000_NS6detail31init_lookback_scan_state_kernelINS1_19lookback_scan_stateIfLb0ELb1EEENS1_16block_id_wrapperIjLb0EEEEEvT_jT0_jPNS7_10value_typeE
	.p2align	8
	.type	_ZN7rocprim17ROCPRIM_400000_NS6detail31init_lookback_scan_state_kernelINS1_19lookback_scan_stateIfLb0ELb1EEENS1_16block_id_wrapperIjLb0EEEEEvT_jT0_jPNS7_10value_typeE,@function
_ZN7rocprim17ROCPRIM_400000_NS6detail31init_lookback_scan_state_kernelINS1_19lookback_scan_stateIfLb0ELb1EEENS1_16block_id_wrapperIjLb0EEEEEvT_jT0_jPNS7_10value_typeE: ; @_ZN7rocprim17ROCPRIM_400000_NS6detail31init_lookback_scan_state_kernelINS1_19lookback_scan_stateIfLb0ELb1EEENS1_16block_id_wrapperIjLb0EEEEEvT_jT0_jPNS7_10value_typeE
; %bb.0:
	s_clause 0x3
	s_load_dword s8, s[4:5], 0x2c
	s_load_dwordx2 s[2:3], s[4:5], 0x18
	s_load_dwordx2 s[0:1], s[4:5], 0x0
	s_load_dword s7, s[4:5], 0x8
	s_waitcnt lgkmcnt(0)
	s_and_b32 s8, s8, 0xffff
	s_cmp_eq_u64 s[2:3], 0
	v_mad_u64_u32 v[0:1], null, s6, s8, v[0:1]
	s_cbranch_scc1 .LBB87_6
; %bb.1:
	s_load_dword s4, s[4:5], 0x10
	s_waitcnt lgkmcnt(0)
	s_cmp_lt_u32 s4, s7
	s_cselect_b32 s5, s4, 0
	v_cmp_eq_u32_e32 vcc_lo, s5, v0
	s_mov_b32 s5, 0
	s_and_saveexec_b32 s6, vcc_lo
	s_cbranch_execz .LBB87_5
; %bb.2:
	s_add_i32 s4, s4, 32
	v_mov_b32_e32 v3, 0
	s_lshl_b64 s[4:5], s[4:5], 3
	s_add_u32 s4, s0, s4
	s_addc_u32 s5, s1, s5
	global_load_dwordx2 v[1:2], v3, s[4:5] glc dlc
	s_waitcnt vmcnt(0)
	v_and_b32_e32 v4, 0xff, v2
	v_cmp_ne_u64_e32 vcc_lo, 0, v[3:4]
	s_cbranch_vccnz .LBB87_4
.LBB87_3:                               ; =>This Inner Loop Header: Depth=1
	global_load_dwordx2 v[1:2], v3, s[4:5] glc dlc
	s_waitcnt vmcnt(0)
	v_and_b32_e32 v4, 0xff, v2
	v_cmp_eq_u64_e32 vcc_lo, 0, v[3:4]
	s_cbranch_vccnz .LBB87_3
.LBB87_4:
	v_mov_b32_e32 v2, 0
	global_store_dword v2, v1, s[2:3]
.LBB87_5:
	s_or_b32 exec_lo, exec_lo, s6
.LBB87_6:
	s_mov_b32 s2, exec_lo
	v_cmpx_gt_u32_e64 s7, v0
	s_cbranch_execz .LBB87_8
; %bb.7:
	v_add_nc_u32_e32 v1, 32, v0
	v_mov_b32_e32 v2, 0
	v_lshlrev_b64 v[3:4], 3, v[1:2]
	v_mov_b32_e32 v1, v2
	v_add_co_u32 v3, vcc_lo, s0, v3
	v_add_co_ci_u32_e64 v4, null, s1, v4, vcc_lo
	global_store_dwordx2 v[3:4], v[1:2], off
.LBB87_8:
	s_or_b32 exec_lo, exec_lo, s2
	s_mov_b32 s2, exec_lo
	v_cmpx_gt_u32_e32 32, v0
	s_cbranch_execz .LBB87_10
; %bb.9:
	v_mov_b32_e32 v1, 0
	v_mov_b32_e32 v4, 0xff
	v_lshlrev_b64 v[2:3], 3, v[0:1]
	v_add_co_u32 v5, vcc_lo, s0, v2
	v_add_co_ci_u32_e64 v6, null, s1, v3, vcc_lo
	v_mov_b32_e32 v3, v1
	global_store_dwordx2 v[5:6], v[3:4], off
.LBB87_10:
	s_endpgm
	.section	.rodata,"a",@progbits
	.p2align	6, 0x0
	.amdhsa_kernel _ZN7rocprim17ROCPRIM_400000_NS6detail31init_lookback_scan_state_kernelINS1_19lookback_scan_stateIfLb0ELb1EEENS1_16block_id_wrapperIjLb0EEEEEvT_jT0_jPNS7_10value_typeE
		.amdhsa_group_segment_fixed_size 0
		.amdhsa_private_segment_fixed_size 0
		.amdhsa_kernarg_size 288
		.amdhsa_user_sgpr_count 6
		.amdhsa_user_sgpr_private_segment_buffer 1
		.amdhsa_user_sgpr_dispatch_ptr 0
		.amdhsa_user_sgpr_queue_ptr 0
		.amdhsa_user_sgpr_kernarg_segment_ptr 1
		.amdhsa_user_sgpr_dispatch_id 0
		.amdhsa_user_sgpr_flat_scratch_init 0
		.amdhsa_user_sgpr_private_segment_size 0
		.amdhsa_wavefront_size32 1
		.amdhsa_uses_dynamic_stack 0
		.amdhsa_system_sgpr_private_segment_wavefront_offset 0
		.amdhsa_system_sgpr_workgroup_id_x 1
		.amdhsa_system_sgpr_workgroup_id_y 0
		.amdhsa_system_sgpr_workgroup_id_z 0
		.amdhsa_system_sgpr_workgroup_info 0
		.amdhsa_system_vgpr_workitem_id 0
		.amdhsa_next_free_vgpr 7
		.amdhsa_next_free_sgpr 9
		.amdhsa_reserve_vcc 1
		.amdhsa_reserve_flat_scratch 0
		.amdhsa_float_round_mode_32 0
		.amdhsa_float_round_mode_16_64 0
		.amdhsa_float_denorm_mode_32 3
		.amdhsa_float_denorm_mode_16_64 3
		.amdhsa_dx10_clamp 1
		.amdhsa_ieee_mode 1
		.amdhsa_fp16_overflow 0
		.amdhsa_workgroup_processor_mode 1
		.amdhsa_memory_ordered 1
		.amdhsa_forward_progress 1
		.amdhsa_shared_vgpr_count 0
		.amdhsa_exception_fp_ieee_invalid_op 0
		.amdhsa_exception_fp_denorm_src 0
		.amdhsa_exception_fp_ieee_div_zero 0
		.amdhsa_exception_fp_ieee_overflow 0
		.amdhsa_exception_fp_ieee_underflow 0
		.amdhsa_exception_fp_ieee_inexact 0
		.amdhsa_exception_int_div_zero 0
	.end_amdhsa_kernel
	.section	.text._ZN7rocprim17ROCPRIM_400000_NS6detail31init_lookback_scan_state_kernelINS1_19lookback_scan_stateIfLb0ELb1EEENS1_16block_id_wrapperIjLb0EEEEEvT_jT0_jPNS7_10value_typeE,"axG",@progbits,_ZN7rocprim17ROCPRIM_400000_NS6detail31init_lookback_scan_state_kernelINS1_19lookback_scan_stateIfLb0ELb1EEENS1_16block_id_wrapperIjLb0EEEEEvT_jT0_jPNS7_10value_typeE,comdat
.Lfunc_end87:
	.size	_ZN7rocprim17ROCPRIM_400000_NS6detail31init_lookback_scan_state_kernelINS1_19lookback_scan_stateIfLb0ELb1EEENS1_16block_id_wrapperIjLb0EEEEEvT_jT0_jPNS7_10value_typeE, .Lfunc_end87-_ZN7rocprim17ROCPRIM_400000_NS6detail31init_lookback_scan_state_kernelINS1_19lookback_scan_stateIfLb0ELb1EEENS1_16block_id_wrapperIjLb0EEEEEvT_jT0_jPNS7_10value_typeE
                                        ; -- End function
	.set _ZN7rocprim17ROCPRIM_400000_NS6detail31init_lookback_scan_state_kernelINS1_19lookback_scan_stateIfLb0ELb1EEENS1_16block_id_wrapperIjLb0EEEEEvT_jT0_jPNS7_10value_typeE.num_vgpr, 7
	.set _ZN7rocprim17ROCPRIM_400000_NS6detail31init_lookback_scan_state_kernelINS1_19lookback_scan_stateIfLb0ELb1EEENS1_16block_id_wrapperIjLb0EEEEEvT_jT0_jPNS7_10value_typeE.num_agpr, 0
	.set _ZN7rocprim17ROCPRIM_400000_NS6detail31init_lookback_scan_state_kernelINS1_19lookback_scan_stateIfLb0ELb1EEENS1_16block_id_wrapperIjLb0EEEEEvT_jT0_jPNS7_10value_typeE.numbered_sgpr, 9
	.set _ZN7rocprim17ROCPRIM_400000_NS6detail31init_lookback_scan_state_kernelINS1_19lookback_scan_stateIfLb0ELb1EEENS1_16block_id_wrapperIjLb0EEEEEvT_jT0_jPNS7_10value_typeE.num_named_barrier, 0
	.set _ZN7rocprim17ROCPRIM_400000_NS6detail31init_lookback_scan_state_kernelINS1_19lookback_scan_stateIfLb0ELb1EEENS1_16block_id_wrapperIjLb0EEEEEvT_jT0_jPNS7_10value_typeE.private_seg_size, 0
	.set _ZN7rocprim17ROCPRIM_400000_NS6detail31init_lookback_scan_state_kernelINS1_19lookback_scan_stateIfLb0ELb1EEENS1_16block_id_wrapperIjLb0EEEEEvT_jT0_jPNS7_10value_typeE.uses_vcc, 1
	.set _ZN7rocprim17ROCPRIM_400000_NS6detail31init_lookback_scan_state_kernelINS1_19lookback_scan_stateIfLb0ELb1EEENS1_16block_id_wrapperIjLb0EEEEEvT_jT0_jPNS7_10value_typeE.uses_flat_scratch, 0
	.set _ZN7rocprim17ROCPRIM_400000_NS6detail31init_lookback_scan_state_kernelINS1_19lookback_scan_stateIfLb0ELb1EEENS1_16block_id_wrapperIjLb0EEEEEvT_jT0_jPNS7_10value_typeE.has_dyn_sized_stack, 0
	.set _ZN7rocprim17ROCPRIM_400000_NS6detail31init_lookback_scan_state_kernelINS1_19lookback_scan_stateIfLb0ELb1EEENS1_16block_id_wrapperIjLb0EEEEEvT_jT0_jPNS7_10value_typeE.has_recursion, 0
	.set _ZN7rocprim17ROCPRIM_400000_NS6detail31init_lookback_scan_state_kernelINS1_19lookback_scan_stateIfLb0ELb1EEENS1_16block_id_wrapperIjLb0EEEEEvT_jT0_jPNS7_10value_typeE.has_indirect_call, 0
	.section	.AMDGPU.csdata,"",@progbits
; Kernel info:
; codeLenInByte = 320
; TotalNumSgprs: 11
; NumVgprs: 7
; ScratchSize: 0
; MemoryBound: 0
; FloatMode: 240
; IeeeMode: 1
; LDSByteSize: 0 bytes/workgroup (compile time only)
; SGPRBlocks: 0
; VGPRBlocks: 0
; NumSGPRsForWavesPerEU: 11
; NumVGPRsForWavesPerEU: 7
; Occupancy: 16
; WaveLimiterHint : 0
; COMPUTE_PGM_RSRC2:SCRATCH_EN: 0
; COMPUTE_PGM_RSRC2:USER_SGPR: 6
; COMPUTE_PGM_RSRC2:TRAP_HANDLER: 0
; COMPUTE_PGM_RSRC2:TGID_X_EN: 1
; COMPUTE_PGM_RSRC2:TGID_Y_EN: 0
; COMPUTE_PGM_RSRC2:TGID_Z_EN: 0
; COMPUTE_PGM_RSRC2:TIDIG_COMP_CNT: 0
	.section	.text._ZN7rocprim17ROCPRIM_400000_NS6detail17trampoline_kernelINS0_14default_configENS1_20scan_config_selectorIfEEZZNS1_9scan_implILNS1_25lookback_scan_determinismE0ELb0ELb0ES3_PKfPffZZZN2at6native31launch_logcumsumexp_cuda_kernelERKNSB_10TensorBaseESF_lENKUlvE_clEvENKUlvE0_clEvEUlffE_fEEDaPvRmT3_T4_T5_mT6_P12ihipStream_tbENKUlT_T0_E_clISt17integral_constantIbLb0EESW_EEDaSR_SS_EUlSR_E_NS1_11comp_targetILNS1_3genE0ELNS1_11target_archE4294967295ELNS1_3gpuE0ELNS1_3repE0EEENS1_30default_config_static_selectorELNS0_4arch9wavefront6targetE0EEEvT1_,"axG",@progbits,_ZN7rocprim17ROCPRIM_400000_NS6detail17trampoline_kernelINS0_14default_configENS1_20scan_config_selectorIfEEZZNS1_9scan_implILNS1_25lookback_scan_determinismE0ELb0ELb0ES3_PKfPffZZZN2at6native31launch_logcumsumexp_cuda_kernelERKNSB_10TensorBaseESF_lENKUlvE_clEvENKUlvE0_clEvEUlffE_fEEDaPvRmT3_T4_T5_mT6_P12ihipStream_tbENKUlT_T0_E_clISt17integral_constantIbLb0EESW_EEDaSR_SS_EUlSR_E_NS1_11comp_targetILNS1_3genE0ELNS1_11target_archE4294967295ELNS1_3gpuE0ELNS1_3repE0EEENS1_30default_config_static_selectorELNS0_4arch9wavefront6targetE0EEEvT1_,comdat
	.globl	_ZN7rocprim17ROCPRIM_400000_NS6detail17trampoline_kernelINS0_14default_configENS1_20scan_config_selectorIfEEZZNS1_9scan_implILNS1_25lookback_scan_determinismE0ELb0ELb0ES3_PKfPffZZZN2at6native31launch_logcumsumexp_cuda_kernelERKNSB_10TensorBaseESF_lENKUlvE_clEvENKUlvE0_clEvEUlffE_fEEDaPvRmT3_T4_T5_mT6_P12ihipStream_tbENKUlT_T0_E_clISt17integral_constantIbLb0EESW_EEDaSR_SS_EUlSR_E_NS1_11comp_targetILNS1_3genE0ELNS1_11target_archE4294967295ELNS1_3gpuE0ELNS1_3repE0EEENS1_30default_config_static_selectorELNS0_4arch9wavefront6targetE0EEEvT1_ ; -- Begin function _ZN7rocprim17ROCPRIM_400000_NS6detail17trampoline_kernelINS0_14default_configENS1_20scan_config_selectorIfEEZZNS1_9scan_implILNS1_25lookback_scan_determinismE0ELb0ELb0ES3_PKfPffZZZN2at6native31launch_logcumsumexp_cuda_kernelERKNSB_10TensorBaseESF_lENKUlvE_clEvENKUlvE0_clEvEUlffE_fEEDaPvRmT3_T4_T5_mT6_P12ihipStream_tbENKUlT_T0_E_clISt17integral_constantIbLb0EESW_EEDaSR_SS_EUlSR_E_NS1_11comp_targetILNS1_3genE0ELNS1_11target_archE4294967295ELNS1_3gpuE0ELNS1_3repE0EEENS1_30default_config_static_selectorELNS0_4arch9wavefront6targetE0EEEvT1_
	.p2align	8
	.type	_ZN7rocprim17ROCPRIM_400000_NS6detail17trampoline_kernelINS0_14default_configENS1_20scan_config_selectorIfEEZZNS1_9scan_implILNS1_25lookback_scan_determinismE0ELb0ELb0ES3_PKfPffZZZN2at6native31launch_logcumsumexp_cuda_kernelERKNSB_10TensorBaseESF_lENKUlvE_clEvENKUlvE0_clEvEUlffE_fEEDaPvRmT3_T4_T5_mT6_P12ihipStream_tbENKUlT_T0_E_clISt17integral_constantIbLb0EESW_EEDaSR_SS_EUlSR_E_NS1_11comp_targetILNS1_3genE0ELNS1_11target_archE4294967295ELNS1_3gpuE0ELNS1_3repE0EEENS1_30default_config_static_selectorELNS0_4arch9wavefront6targetE0EEEvT1_,@function
_ZN7rocprim17ROCPRIM_400000_NS6detail17trampoline_kernelINS0_14default_configENS1_20scan_config_selectorIfEEZZNS1_9scan_implILNS1_25lookback_scan_determinismE0ELb0ELb0ES3_PKfPffZZZN2at6native31launch_logcumsumexp_cuda_kernelERKNSB_10TensorBaseESF_lENKUlvE_clEvENKUlvE0_clEvEUlffE_fEEDaPvRmT3_T4_T5_mT6_P12ihipStream_tbENKUlT_T0_E_clISt17integral_constantIbLb0EESW_EEDaSR_SS_EUlSR_E_NS1_11comp_targetILNS1_3genE0ELNS1_11target_archE4294967295ELNS1_3gpuE0ELNS1_3repE0EEENS1_30default_config_static_selectorELNS0_4arch9wavefront6targetE0EEEvT1_: ; @_ZN7rocprim17ROCPRIM_400000_NS6detail17trampoline_kernelINS0_14default_configENS1_20scan_config_selectorIfEEZZNS1_9scan_implILNS1_25lookback_scan_determinismE0ELb0ELb0ES3_PKfPffZZZN2at6native31launch_logcumsumexp_cuda_kernelERKNSB_10TensorBaseESF_lENKUlvE_clEvENKUlvE0_clEvEUlffE_fEEDaPvRmT3_T4_T5_mT6_P12ihipStream_tbENKUlT_T0_E_clISt17integral_constantIbLb0EESW_EEDaSR_SS_EUlSR_E_NS1_11comp_targetILNS1_3genE0ELNS1_11target_archE4294967295ELNS1_3gpuE0ELNS1_3repE0EEENS1_30default_config_static_selectorELNS0_4arch9wavefront6targetE0EEEvT1_
; %bb.0:
	.section	.rodata,"a",@progbits
	.p2align	6, 0x0
	.amdhsa_kernel _ZN7rocprim17ROCPRIM_400000_NS6detail17trampoline_kernelINS0_14default_configENS1_20scan_config_selectorIfEEZZNS1_9scan_implILNS1_25lookback_scan_determinismE0ELb0ELb0ES3_PKfPffZZZN2at6native31launch_logcumsumexp_cuda_kernelERKNSB_10TensorBaseESF_lENKUlvE_clEvENKUlvE0_clEvEUlffE_fEEDaPvRmT3_T4_T5_mT6_P12ihipStream_tbENKUlT_T0_E_clISt17integral_constantIbLb0EESW_EEDaSR_SS_EUlSR_E_NS1_11comp_targetILNS1_3genE0ELNS1_11target_archE4294967295ELNS1_3gpuE0ELNS1_3repE0EEENS1_30default_config_static_selectorELNS0_4arch9wavefront6targetE0EEEvT1_
		.amdhsa_group_segment_fixed_size 0
		.amdhsa_private_segment_fixed_size 0
		.amdhsa_kernarg_size 96
		.amdhsa_user_sgpr_count 6
		.amdhsa_user_sgpr_private_segment_buffer 1
		.amdhsa_user_sgpr_dispatch_ptr 0
		.amdhsa_user_sgpr_queue_ptr 0
		.amdhsa_user_sgpr_kernarg_segment_ptr 1
		.amdhsa_user_sgpr_dispatch_id 0
		.amdhsa_user_sgpr_flat_scratch_init 0
		.amdhsa_user_sgpr_private_segment_size 0
		.amdhsa_wavefront_size32 1
		.amdhsa_uses_dynamic_stack 0
		.amdhsa_system_sgpr_private_segment_wavefront_offset 0
		.amdhsa_system_sgpr_workgroup_id_x 1
		.amdhsa_system_sgpr_workgroup_id_y 0
		.amdhsa_system_sgpr_workgroup_id_z 0
		.amdhsa_system_sgpr_workgroup_info 0
		.amdhsa_system_vgpr_workitem_id 0
		.amdhsa_next_free_vgpr 1
		.amdhsa_next_free_sgpr 1
		.amdhsa_reserve_vcc 0
		.amdhsa_reserve_flat_scratch 0
		.amdhsa_float_round_mode_32 0
		.amdhsa_float_round_mode_16_64 0
		.amdhsa_float_denorm_mode_32 3
		.amdhsa_float_denorm_mode_16_64 3
		.amdhsa_dx10_clamp 1
		.amdhsa_ieee_mode 1
		.amdhsa_fp16_overflow 0
		.amdhsa_workgroup_processor_mode 1
		.amdhsa_memory_ordered 1
		.amdhsa_forward_progress 1
		.amdhsa_shared_vgpr_count 0
		.amdhsa_exception_fp_ieee_invalid_op 0
		.amdhsa_exception_fp_denorm_src 0
		.amdhsa_exception_fp_ieee_div_zero 0
		.amdhsa_exception_fp_ieee_overflow 0
		.amdhsa_exception_fp_ieee_underflow 0
		.amdhsa_exception_fp_ieee_inexact 0
		.amdhsa_exception_int_div_zero 0
	.end_amdhsa_kernel
	.section	.text._ZN7rocprim17ROCPRIM_400000_NS6detail17trampoline_kernelINS0_14default_configENS1_20scan_config_selectorIfEEZZNS1_9scan_implILNS1_25lookback_scan_determinismE0ELb0ELb0ES3_PKfPffZZZN2at6native31launch_logcumsumexp_cuda_kernelERKNSB_10TensorBaseESF_lENKUlvE_clEvENKUlvE0_clEvEUlffE_fEEDaPvRmT3_T4_T5_mT6_P12ihipStream_tbENKUlT_T0_E_clISt17integral_constantIbLb0EESW_EEDaSR_SS_EUlSR_E_NS1_11comp_targetILNS1_3genE0ELNS1_11target_archE4294967295ELNS1_3gpuE0ELNS1_3repE0EEENS1_30default_config_static_selectorELNS0_4arch9wavefront6targetE0EEEvT1_,"axG",@progbits,_ZN7rocprim17ROCPRIM_400000_NS6detail17trampoline_kernelINS0_14default_configENS1_20scan_config_selectorIfEEZZNS1_9scan_implILNS1_25lookback_scan_determinismE0ELb0ELb0ES3_PKfPffZZZN2at6native31launch_logcumsumexp_cuda_kernelERKNSB_10TensorBaseESF_lENKUlvE_clEvENKUlvE0_clEvEUlffE_fEEDaPvRmT3_T4_T5_mT6_P12ihipStream_tbENKUlT_T0_E_clISt17integral_constantIbLb0EESW_EEDaSR_SS_EUlSR_E_NS1_11comp_targetILNS1_3genE0ELNS1_11target_archE4294967295ELNS1_3gpuE0ELNS1_3repE0EEENS1_30default_config_static_selectorELNS0_4arch9wavefront6targetE0EEEvT1_,comdat
.Lfunc_end88:
	.size	_ZN7rocprim17ROCPRIM_400000_NS6detail17trampoline_kernelINS0_14default_configENS1_20scan_config_selectorIfEEZZNS1_9scan_implILNS1_25lookback_scan_determinismE0ELb0ELb0ES3_PKfPffZZZN2at6native31launch_logcumsumexp_cuda_kernelERKNSB_10TensorBaseESF_lENKUlvE_clEvENKUlvE0_clEvEUlffE_fEEDaPvRmT3_T4_T5_mT6_P12ihipStream_tbENKUlT_T0_E_clISt17integral_constantIbLb0EESW_EEDaSR_SS_EUlSR_E_NS1_11comp_targetILNS1_3genE0ELNS1_11target_archE4294967295ELNS1_3gpuE0ELNS1_3repE0EEENS1_30default_config_static_selectorELNS0_4arch9wavefront6targetE0EEEvT1_, .Lfunc_end88-_ZN7rocprim17ROCPRIM_400000_NS6detail17trampoline_kernelINS0_14default_configENS1_20scan_config_selectorIfEEZZNS1_9scan_implILNS1_25lookback_scan_determinismE0ELb0ELb0ES3_PKfPffZZZN2at6native31launch_logcumsumexp_cuda_kernelERKNSB_10TensorBaseESF_lENKUlvE_clEvENKUlvE0_clEvEUlffE_fEEDaPvRmT3_T4_T5_mT6_P12ihipStream_tbENKUlT_T0_E_clISt17integral_constantIbLb0EESW_EEDaSR_SS_EUlSR_E_NS1_11comp_targetILNS1_3genE0ELNS1_11target_archE4294967295ELNS1_3gpuE0ELNS1_3repE0EEENS1_30default_config_static_selectorELNS0_4arch9wavefront6targetE0EEEvT1_
                                        ; -- End function
	.set _ZN7rocprim17ROCPRIM_400000_NS6detail17trampoline_kernelINS0_14default_configENS1_20scan_config_selectorIfEEZZNS1_9scan_implILNS1_25lookback_scan_determinismE0ELb0ELb0ES3_PKfPffZZZN2at6native31launch_logcumsumexp_cuda_kernelERKNSB_10TensorBaseESF_lENKUlvE_clEvENKUlvE0_clEvEUlffE_fEEDaPvRmT3_T4_T5_mT6_P12ihipStream_tbENKUlT_T0_E_clISt17integral_constantIbLb0EESW_EEDaSR_SS_EUlSR_E_NS1_11comp_targetILNS1_3genE0ELNS1_11target_archE4294967295ELNS1_3gpuE0ELNS1_3repE0EEENS1_30default_config_static_selectorELNS0_4arch9wavefront6targetE0EEEvT1_.num_vgpr, 0
	.set _ZN7rocprim17ROCPRIM_400000_NS6detail17trampoline_kernelINS0_14default_configENS1_20scan_config_selectorIfEEZZNS1_9scan_implILNS1_25lookback_scan_determinismE0ELb0ELb0ES3_PKfPffZZZN2at6native31launch_logcumsumexp_cuda_kernelERKNSB_10TensorBaseESF_lENKUlvE_clEvENKUlvE0_clEvEUlffE_fEEDaPvRmT3_T4_T5_mT6_P12ihipStream_tbENKUlT_T0_E_clISt17integral_constantIbLb0EESW_EEDaSR_SS_EUlSR_E_NS1_11comp_targetILNS1_3genE0ELNS1_11target_archE4294967295ELNS1_3gpuE0ELNS1_3repE0EEENS1_30default_config_static_selectorELNS0_4arch9wavefront6targetE0EEEvT1_.num_agpr, 0
	.set _ZN7rocprim17ROCPRIM_400000_NS6detail17trampoline_kernelINS0_14default_configENS1_20scan_config_selectorIfEEZZNS1_9scan_implILNS1_25lookback_scan_determinismE0ELb0ELb0ES3_PKfPffZZZN2at6native31launch_logcumsumexp_cuda_kernelERKNSB_10TensorBaseESF_lENKUlvE_clEvENKUlvE0_clEvEUlffE_fEEDaPvRmT3_T4_T5_mT6_P12ihipStream_tbENKUlT_T0_E_clISt17integral_constantIbLb0EESW_EEDaSR_SS_EUlSR_E_NS1_11comp_targetILNS1_3genE0ELNS1_11target_archE4294967295ELNS1_3gpuE0ELNS1_3repE0EEENS1_30default_config_static_selectorELNS0_4arch9wavefront6targetE0EEEvT1_.numbered_sgpr, 0
	.set _ZN7rocprim17ROCPRIM_400000_NS6detail17trampoline_kernelINS0_14default_configENS1_20scan_config_selectorIfEEZZNS1_9scan_implILNS1_25lookback_scan_determinismE0ELb0ELb0ES3_PKfPffZZZN2at6native31launch_logcumsumexp_cuda_kernelERKNSB_10TensorBaseESF_lENKUlvE_clEvENKUlvE0_clEvEUlffE_fEEDaPvRmT3_T4_T5_mT6_P12ihipStream_tbENKUlT_T0_E_clISt17integral_constantIbLb0EESW_EEDaSR_SS_EUlSR_E_NS1_11comp_targetILNS1_3genE0ELNS1_11target_archE4294967295ELNS1_3gpuE0ELNS1_3repE0EEENS1_30default_config_static_selectorELNS0_4arch9wavefront6targetE0EEEvT1_.num_named_barrier, 0
	.set _ZN7rocprim17ROCPRIM_400000_NS6detail17trampoline_kernelINS0_14default_configENS1_20scan_config_selectorIfEEZZNS1_9scan_implILNS1_25lookback_scan_determinismE0ELb0ELb0ES3_PKfPffZZZN2at6native31launch_logcumsumexp_cuda_kernelERKNSB_10TensorBaseESF_lENKUlvE_clEvENKUlvE0_clEvEUlffE_fEEDaPvRmT3_T4_T5_mT6_P12ihipStream_tbENKUlT_T0_E_clISt17integral_constantIbLb0EESW_EEDaSR_SS_EUlSR_E_NS1_11comp_targetILNS1_3genE0ELNS1_11target_archE4294967295ELNS1_3gpuE0ELNS1_3repE0EEENS1_30default_config_static_selectorELNS0_4arch9wavefront6targetE0EEEvT1_.private_seg_size, 0
	.set _ZN7rocprim17ROCPRIM_400000_NS6detail17trampoline_kernelINS0_14default_configENS1_20scan_config_selectorIfEEZZNS1_9scan_implILNS1_25lookback_scan_determinismE0ELb0ELb0ES3_PKfPffZZZN2at6native31launch_logcumsumexp_cuda_kernelERKNSB_10TensorBaseESF_lENKUlvE_clEvENKUlvE0_clEvEUlffE_fEEDaPvRmT3_T4_T5_mT6_P12ihipStream_tbENKUlT_T0_E_clISt17integral_constantIbLb0EESW_EEDaSR_SS_EUlSR_E_NS1_11comp_targetILNS1_3genE0ELNS1_11target_archE4294967295ELNS1_3gpuE0ELNS1_3repE0EEENS1_30default_config_static_selectorELNS0_4arch9wavefront6targetE0EEEvT1_.uses_vcc, 0
	.set _ZN7rocprim17ROCPRIM_400000_NS6detail17trampoline_kernelINS0_14default_configENS1_20scan_config_selectorIfEEZZNS1_9scan_implILNS1_25lookback_scan_determinismE0ELb0ELb0ES3_PKfPffZZZN2at6native31launch_logcumsumexp_cuda_kernelERKNSB_10TensorBaseESF_lENKUlvE_clEvENKUlvE0_clEvEUlffE_fEEDaPvRmT3_T4_T5_mT6_P12ihipStream_tbENKUlT_T0_E_clISt17integral_constantIbLb0EESW_EEDaSR_SS_EUlSR_E_NS1_11comp_targetILNS1_3genE0ELNS1_11target_archE4294967295ELNS1_3gpuE0ELNS1_3repE0EEENS1_30default_config_static_selectorELNS0_4arch9wavefront6targetE0EEEvT1_.uses_flat_scratch, 0
	.set _ZN7rocprim17ROCPRIM_400000_NS6detail17trampoline_kernelINS0_14default_configENS1_20scan_config_selectorIfEEZZNS1_9scan_implILNS1_25lookback_scan_determinismE0ELb0ELb0ES3_PKfPffZZZN2at6native31launch_logcumsumexp_cuda_kernelERKNSB_10TensorBaseESF_lENKUlvE_clEvENKUlvE0_clEvEUlffE_fEEDaPvRmT3_T4_T5_mT6_P12ihipStream_tbENKUlT_T0_E_clISt17integral_constantIbLb0EESW_EEDaSR_SS_EUlSR_E_NS1_11comp_targetILNS1_3genE0ELNS1_11target_archE4294967295ELNS1_3gpuE0ELNS1_3repE0EEENS1_30default_config_static_selectorELNS0_4arch9wavefront6targetE0EEEvT1_.has_dyn_sized_stack, 0
	.set _ZN7rocprim17ROCPRIM_400000_NS6detail17trampoline_kernelINS0_14default_configENS1_20scan_config_selectorIfEEZZNS1_9scan_implILNS1_25lookback_scan_determinismE0ELb0ELb0ES3_PKfPffZZZN2at6native31launch_logcumsumexp_cuda_kernelERKNSB_10TensorBaseESF_lENKUlvE_clEvENKUlvE0_clEvEUlffE_fEEDaPvRmT3_T4_T5_mT6_P12ihipStream_tbENKUlT_T0_E_clISt17integral_constantIbLb0EESW_EEDaSR_SS_EUlSR_E_NS1_11comp_targetILNS1_3genE0ELNS1_11target_archE4294967295ELNS1_3gpuE0ELNS1_3repE0EEENS1_30default_config_static_selectorELNS0_4arch9wavefront6targetE0EEEvT1_.has_recursion, 0
	.set _ZN7rocprim17ROCPRIM_400000_NS6detail17trampoline_kernelINS0_14default_configENS1_20scan_config_selectorIfEEZZNS1_9scan_implILNS1_25lookback_scan_determinismE0ELb0ELb0ES3_PKfPffZZZN2at6native31launch_logcumsumexp_cuda_kernelERKNSB_10TensorBaseESF_lENKUlvE_clEvENKUlvE0_clEvEUlffE_fEEDaPvRmT3_T4_T5_mT6_P12ihipStream_tbENKUlT_T0_E_clISt17integral_constantIbLb0EESW_EEDaSR_SS_EUlSR_E_NS1_11comp_targetILNS1_3genE0ELNS1_11target_archE4294967295ELNS1_3gpuE0ELNS1_3repE0EEENS1_30default_config_static_selectorELNS0_4arch9wavefront6targetE0EEEvT1_.has_indirect_call, 0
	.section	.AMDGPU.csdata,"",@progbits
; Kernel info:
; codeLenInByte = 0
; TotalNumSgprs: 0
; NumVgprs: 0
; ScratchSize: 0
; MemoryBound: 0
; FloatMode: 240
; IeeeMode: 1
; LDSByteSize: 0 bytes/workgroup (compile time only)
; SGPRBlocks: 0
; VGPRBlocks: 0
; NumSGPRsForWavesPerEU: 1
; NumVGPRsForWavesPerEU: 1
; Occupancy: 16
; WaveLimiterHint : 0
; COMPUTE_PGM_RSRC2:SCRATCH_EN: 0
; COMPUTE_PGM_RSRC2:USER_SGPR: 6
; COMPUTE_PGM_RSRC2:TRAP_HANDLER: 0
; COMPUTE_PGM_RSRC2:TGID_X_EN: 1
; COMPUTE_PGM_RSRC2:TGID_Y_EN: 0
; COMPUTE_PGM_RSRC2:TGID_Z_EN: 0
; COMPUTE_PGM_RSRC2:TIDIG_COMP_CNT: 0
	.section	.text._ZN7rocprim17ROCPRIM_400000_NS6detail17trampoline_kernelINS0_14default_configENS1_20scan_config_selectorIfEEZZNS1_9scan_implILNS1_25lookback_scan_determinismE0ELb0ELb0ES3_PKfPffZZZN2at6native31launch_logcumsumexp_cuda_kernelERKNSB_10TensorBaseESF_lENKUlvE_clEvENKUlvE0_clEvEUlffE_fEEDaPvRmT3_T4_T5_mT6_P12ihipStream_tbENKUlT_T0_E_clISt17integral_constantIbLb0EESW_EEDaSR_SS_EUlSR_E_NS1_11comp_targetILNS1_3genE5ELNS1_11target_archE942ELNS1_3gpuE9ELNS1_3repE0EEENS1_30default_config_static_selectorELNS0_4arch9wavefront6targetE0EEEvT1_,"axG",@progbits,_ZN7rocprim17ROCPRIM_400000_NS6detail17trampoline_kernelINS0_14default_configENS1_20scan_config_selectorIfEEZZNS1_9scan_implILNS1_25lookback_scan_determinismE0ELb0ELb0ES3_PKfPffZZZN2at6native31launch_logcumsumexp_cuda_kernelERKNSB_10TensorBaseESF_lENKUlvE_clEvENKUlvE0_clEvEUlffE_fEEDaPvRmT3_T4_T5_mT6_P12ihipStream_tbENKUlT_T0_E_clISt17integral_constantIbLb0EESW_EEDaSR_SS_EUlSR_E_NS1_11comp_targetILNS1_3genE5ELNS1_11target_archE942ELNS1_3gpuE9ELNS1_3repE0EEENS1_30default_config_static_selectorELNS0_4arch9wavefront6targetE0EEEvT1_,comdat
	.globl	_ZN7rocprim17ROCPRIM_400000_NS6detail17trampoline_kernelINS0_14default_configENS1_20scan_config_selectorIfEEZZNS1_9scan_implILNS1_25lookback_scan_determinismE0ELb0ELb0ES3_PKfPffZZZN2at6native31launch_logcumsumexp_cuda_kernelERKNSB_10TensorBaseESF_lENKUlvE_clEvENKUlvE0_clEvEUlffE_fEEDaPvRmT3_T4_T5_mT6_P12ihipStream_tbENKUlT_T0_E_clISt17integral_constantIbLb0EESW_EEDaSR_SS_EUlSR_E_NS1_11comp_targetILNS1_3genE5ELNS1_11target_archE942ELNS1_3gpuE9ELNS1_3repE0EEENS1_30default_config_static_selectorELNS0_4arch9wavefront6targetE0EEEvT1_ ; -- Begin function _ZN7rocprim17ROCPRIM_400000_NS6detail17trampoline_kernelINS0_14default_configENS1_20scan_config_selectorIfEEZZNS1_9scan_implILNS1_25lookback_scan_determinismE0ELb0ELb0ES3_PKfPffZZZN2at6native31launch_logcumsumexp_cuda_kernelERKNSB_10TensorBaseESF_lENKUlvE_clEvENKUlvE0_clEvEUlffE_fEEDaPvRmT3_T4_T5_mT6_P12ihipStream_tbENKUlT_T0_E_clISt17integral_constantIbLb0EESW_EEDaSR_SS_EUlSR_E_NS1_11comp_targetILNS1_3genE5ELNS1_11target_archE942ELNS1_3gpuE9ELNS1_3repE0EEENS1_30default_config_static_selectorELNS0_4arch9wavefront6targetE0EEEvT1_
	.p2align	8
	.type	_ZN7rocprim17ROCPRIM_400000_NS6detail17trampoline_kernelINS0_14default_configENS1_20scan_config_selectorIfEEZZNS1_9scan_implILNS1_25lookback_scan_determinismE0ELb0ELb0ES3_PKfPffZZZN2at6native31launch_logcumsumexp_cuda_kernelERKNSB_10TensorBaseESF_lENKUlvE_clEvENKUlvE0_clEvEUlffE_fEEDaPvRmT3_T4_T5_mT6_P12ihipStream_tbENKUlT_T0_E_clISt17integral_constantIbLb0EESW_EEDaSR_SS_EUlSR_E_NS1_11comp_targetILNS1_3genE5ELNS1_11target_archE942ELNS1_3gpuE9ELNS1_3repE0EEENS1_30default_config_static_selectorELNS0_4arch9wavefront6targetE0EEEvT1_,@function
_ZN7rocprim17ROCPRIM_400000_NS6detail17trampoline_kernelINS0_14default_configENS1_20scan_config_selectorIfEEZZNS1_9scan_implILNS1_25lookback_scan_determinismE0ELb0ELb0ES3_PKfPffZZZN2at6native31launch_logcumsumexp_cuda_kernelERKNSB_10TensorBaseESF_lENKUlvE_clEvENKUlvE0_clEvEUlffE_fEEDaPvRmT3_T4_T5_mT6_P12ihipStream_tbENKUlT_T0_E_clISt17integral_constantIbLb0EESW_EEDaSR_SS_EUlSR_E_NS1_11comp_targetILNS1_3genE5ELNS1_11target_archE942ELNS1_3gpuE9ELNS1_3repE0EEENS1_30default_config_static_selectorELNS0_4arch9wavefront6targetE0EEEvT1_: ; @_ZN7rocprim17ROCPRIM_400000_NS6detail17trampoline_kernelINS0_14default_configENS1_20scan_config_selectorIfEEZZNS1_9scan_implILNS1_25lookback_scan_determinismE0ELb0ELb0ES3_PKfPffZZZN2at6native31launch_logcumsumexp_cuda_kernelERKNSB_10TensorBaseESF_lENKUlvE_clEvENKUlvE0_clEvEUlffE_fEEDaPvRmT3_T4_T5_mT6_P12ihipStream_tbENKUlT_T0_E_clISt17integral_constantIbLb0EESW_EEDaSR_SS_EUlSR_E_NS1_11comp_targetILNS1_3genE5ELNS1_11target_archE942ELNS1_3gpuE9ELNS1_3repE0EEENS1_30default_config_static_selectorELNS0_4arch9wavefront6targetE0EEEvT1_
; %bb.0:
	.section	.rodata,"a",@progbits
	.p2align	6, 0x0
	.amdhsa_kernel _ZN7rocprim17ROCPRIM_400000_NS6detail17trampoline_kernelINS0_14default_configENS1_20scan_config_selectorIfEEZZNS1_9scan_implILNS1_25lookback_scan_determinismE0ELb0ELb0ES3_PKfPffZZZN2at6native31launch_logcumsumexp_cuda_kernelERKNSB_10TensorBaseESF_lENKUlvE_clEvENKUlvE0_clEvEUlffE_fEEDaPvRmT3_T4_T5_mT6_P12ihipStream_tbENKUlT_T0_E_clISt17integral_constantIbLb0EESW_EEDaSR_SS_EUlSR_E_NS1_11comp_targetILNS1_3genE5ELNS1_11target_archE942ELNS1_3gpuE9ELNS1_3repE0EEENS1_30default_config_static_selectorELNS0_4arch9wavefront6targetE0EEEvT1_
		.amdhsa_group_segment_fixed_size 0
		.amdhsa_private_segment_fixed_size 0
		.amdhsa_kernarg_size 96
		.amdhsa_user_sgpr_count 6
		.amdhsa_user_sgpr_private_segment_buffer 1
		.amdhsa_user_sgpr_dispatch_ptr 0
		.amdhsa_user_sgpr_queue_ptr 0
		.amdhsa_user_sgpr_kernarg_segment_ptr 1
		.amdhsa_user_sgpr_dispatch_id 0
		.amdhsa_user_sgpr_flat_scratch_init 0
		.amdhsa_user_sgpr_private_segment_size 0
		.amdhsa_wavefront_size32 1
		.amdhsa_uses_dynamic_stack 0
		.amdhsa_system_sgpr_private_segment_wavefront_offset 0
		.amdhsa_system_sgpr_workgroup_id_x 1
		.amdhsa_system_sgpr_workgroup_id_y 0
		.amdhsa_system_sgpr_workgroup_id_z 0
		.amdhsa_system_sgpr_workgroup_info 0
		.amdhsa_system_vgpr_workitem_id 0
		.amdhsa_next_free_vgpr 1
		.amdhsa_next_free_sgpr 1
		.amdhsa_reserve_vcc 0
		.amdhsa_reserve_flat_scratch 0
		.amdhsa_float_round_mode_32 0
		.amdhsa_float_round_mode_16_64 0
		.amdhsa_float_denorm_mode_32 3
		.amdhsa_float_denorm_mode_16_64 3
		.amdhsa_dx10_clamp 1
		.amdhsa_ieee_mode 1
		.amdhsa_fp16_overflow 0
		.amdhsa_workgroup_processor_mode 1
		.amdhsa_memory_ordered 1
		.amdhsa_forward_progress 1
		.amdhsa_shared_vgpr_count 0
		.amdhsa_exception_fp_ieee_invalid_op 0
		.amdhsa_exception_fp_denorm_src 0
		.amdhsa_exception_fp_ieee_div_zero 0
		.amdhsa_exception_fp_ieee_overflow 0
		.amdhsa_exception_fp_ieee_underflow 0
		.amdhsa_exception_fp_ieee_inexact 0
		.amdhsa_exception_int_div_zero 0
	.end_amdhsa_kernel
	.section	.text._ZN7rocprim17ROCPRIM_400000_NS6detail17trampoline_kernelINS0_14default_configENS1_20scan_config_selectorIfEEZZNS1_9scan_implILNS1_25lookback_scan_determinismE0ELb0ELb0ES3_PKfPffZZZN2at6native31launch_logcumsumexp_cuda_kernelERKNSB_10TensorBaseESF_lENKUlvE_clEvENKUlvE0_clEvEUlffE_fEEDaPvRmT3_T4_T5_mT6_P12ihipStream_tbENKUlT_T0_E_clISt17integral_constantIbLb0EESW_EEDaSR_SS_EUlSR_E_NS1_11comp_targetILNS1_3genE5ELNS1_11target_archE942ELNS1_3gpuE9ELNS1_3repE0EEENS1_30default_config_static_selectorELNS0_4arch9wavefront6targetE0EEEvT1_,"axG",@progbits,_ZN7rocprim17ROCPRIM_400000_NS6detail17trampoline_kernelINS0_14default_configENS1_20scan_config_selectorIfEEZZNS1_9scan_implILNS1_25lookback_scan_determinismE0ELb0ELb0ES3_PKfPffZZZN2at6native31launch_logcumsumexp_cuda_kernelERKNSB_10TensorBaseESF_lENKUlvE_clEvENKUlvE0_clEvEUlffE_fEEDaPvRmT3_T4_T5_mT6_P12ihipStream_tbENKUlT_T0_E_clISt17integral_constantIbLb0EESW_EEDaSR_SS_EUlSR_E_NS1_11comp_targetILNS1_3genE5ELNS1_11target_archE942ELNS1_3gpuE9ELNS1_3repE0EEENS1_30default_config_static_selectorELNS0_4arch9wavefront6targetE0EEEvT1_,comdat
.Lfunc_end89:
	.size	_ZN7rocprim17ROCPRIM_400000_NS6detail17trampoline_kernelINS0_14default_configENS1_20scan_config_selectorIfEEZZNS1_9scan_implILNS1_25lookback_scan_determinismE0ELb0ELb0ES3_PKfPffZZZN2at6native31launch_logcumsumexp_cuda_kernelERKNSB_10TensorBaseESF_lENKUlvE_clEvENKUlvE0_clEvEUlffE_fEEDaPvRmT3_T4_T5_mT6_P12ihipStream_tbENKUlT_T0_E_clISt17integral_constantIbLb0EESW_EEDaSR_SS_EUlSR_E_NS1_11comp_targetILNS1_3genE5ELNS1_11target_archE942ELNS1_3gpuE9ELNS1_3repE0EEENS1_30default_config_static_selectorELNS0_4arch9wavefront6targetE0EEEvT1_, .Lfunc_end89-_ZN7rocprim17ROCPRIM_400000_NS6detail17trampoline_kernelINS0_14default_configENS1_20scan_config_selectorIfEEZZNS1_9scan_implILNS1_25lookback_scan_determinismE0ELb0ELb0ES3_PKfPffZZZN2at6native31launch_logcumsumexp_cuda_kernelERKNSB_10TensorBaseESF_lENKUlvE_clEvENKUlvE0_clEvEUlffE_fEEDaPvRmT3_T4_T5_mT6_P12ihipStream_tbENKUlT_T0_E_clISt17integral_constantIbLb0EESW_EEDaSR_SS_EUlSR_E_NS1_11comp_targetILNS1_3genE5ELNS1_11target_archE942ELNS1_3gpuE9ELNS1_3repE0EEENS1_30default_config_static_selectorELNS0_4arch9wavefront6targetE0EEEvT1_
                                        ; -- End function
	.set _ZN7rocprim17ROCPRIM_400000_NS6detail17trampoline_kernelINS0_14default_configENS1_20scan_config_selectorIfEEZZNS1_9scan_implILNS1_25lookback_scan_determinismE0ELb0ELb0ES3_PKfPffZZZN2at6native31launch_logcumsumexp_cuda_kernelERKNSB_10TensorBaseESF_lENKUlvE_clEvENKUlvE0_clEvEUlffE_fEEDaPvRmT3_T4_T5_mT6_P12ihipStream_tbENKUlT_T0_E_clISt17integral_constantIbLb0EESW_EEDaSR_SS_EUlSR_E_NS1_11comp_targetILNS1_3genE5ELNS1_11target_archE942ELNS1_3gpuE9ELNS1_3repE0EEENS1_30default_config_static_selectorELNS0_4arch9wavefront6targetE0EEEvT1_.num_vgpr, 0
	.set _ZN7rocprim17ROCPRIM_400000_NS6detail17trampoline_kernelINS0_14default_configENS1_20scan_config_selectorIfEEZZNS1_9scan_implILNS1_25lookback_scan_determinismE0ELb0ELb0ES3_PKfPffZZZN2at6native31launch_logcumsumexp_cuda_kernelERKNSB_10TensorBaseESF_lENKUlvE_clEvENKUlvE0_clEvEUlffE_fEEDaPvRmT3_T4_T5_mT6_P12ihipStream_tbENKUlT_T0_E_clISt17integral_constantIbLb0EESW_EEDaSR_SS_EUlSR_E_NS1_11comp_targetILNS1_3genE5ELNS1_11target_archE942ELNS1_3gpuE9ELNS1_3repE0EEENS1_30default_config_static_selectorELNS0_4arch9wavefront6targetE0EEEvT1_.num_agpr, 0
	.set _ZN7rocprim17ROCPRIM_400000_NS6detail17trampoline_kernelINS0_14default_configENS1_20scan_config_selectorIfEEZZNS1_9scan_implILNS1_25lookback_scan_determinismE0ELb0ELb0ES3_PKfPffZZZN2at6native31launch_logcumsumexp_cuda_kernelERKNSB_10TensorBaseESF_lENKUlvE_clEvENKUlvE0_clEvEUlffE_fEEDaPvRmT3_T4_T5_mT6_P12ihipStream_tbENKUlT_T0_E_clISt17integral_constantIbLb0EESW_EEDaSR_SS_EUlSR_E_NS1_11comp_targetILNS1_3genE5ELNS1_11target_archE942ELNS1_3gpuE9ELNS1_3repE0EEENS1_30default_config_static_selectorELNS0_4arch9wavefront6targetE0EEEvT1_.numbered_sgpr, 0
	.set _ZN7rocprim17ROCPRIM_400000_NS6detail17trampoline_kernelINS0_14default_configENS1_20scan_config_selectorIfEEZZNS1_9scan_implILNS1_25lookback_scan_determinismE0ELb0ELb0ES3_PKfPffZZZN2at6native31launch_logcumsumexp_cuda_kernelERKNSB_10TensorBaseESF_lENKUlvE_clEvENKUlvE0_clEvEUlffE_fEEDaPvRmT3_T4_T5_mT6_P12ihipStream_tbENKUlT_T0_E_clISt17integral_constantIbLb0EESW_EEDaSR_SS_EUlSR_E_NS1_11comp_targetILNS1_3genE5ELNS1_11target_archE942ELNS1_3gpuE9ELNS1_3repE0EEENS1_30default_config_static_selectorELNS0_4arch9wavefront6targetE0EEEvT1_.num_named_barrier, 0
	.set _ZN7rocprim17ROCPRIM_400000_NS6detail17trampoline_kernelINS0_14default_configENS1_20scan_config_selectorIfEEZZNS1_9scan_implILNS1_25lookback_scan_determinismE0ELb0ELb0ES3_PKfPffZZZN2at6native31launch_logcumsumexp_cuda_kernelERKNSB_10TensorBaseESF_lENKUlvE_clEvENKUlvE0_clEvEUlffE_fEEDaPvRmT3_T4_T5_mT6_P12ihipStream_tbENKUlT_T0_E_clISt17integral_constantIbLb0EESW_EEDaSR_SS_EUlSR_E_NS1_11comp_targetILNS1_3genE5ELNS1_11target_archE942ELNS1_3gpuE9ELNS1_3repE0EEENS1_30default_config_static_selectorELNS0_4arch9wavefront6targetE0EEEvT1_.private_seg_size, 0
	.set _ZN7rocprim17ROCPRIM_400000_NS6detail17trampoline_kernelINS0_14default_configENS1_20scan_config_selectorIfEEZZNS1_9scan_implILNS1_25lookback_scan_determinismE0ELb0ELb0ES3_PKfPffZZZN2at6native31launch_logcumsumexp_cuda_kernelERKNSB_10TensorBaseESF_lENKUlvE_clEvENKUlvE0_clEvEUlffE_fEEDaPvRmT3_T4_T5_mT6_P12ihipStream_tbENKUlT_T0_E_clISt17integral_constantIbLb0EESW_EEDaSR_SS_EUlSR_E_NS1_11comp_targetILNS1_3genE5ELNS1_11target_archE942ELNS1_3gpuE9ELNS1_3repE0EEENS1_30default_config_static_selectorELNS0_4arch9wavefront6targetE0EEEvT1_.uses_vcc, 0
	.set _ZN7rocprim17ROCPRIM_400000_NS6detail17trampoline_kernelINS0_14default_configENS1_20scan_config_selectorIfEEZZNS1_9scan_implILNS1_25lookback_scan_determinismE0ELb0ELb0ES3_PKfPffZZZN2at6native31launch_logcumsumexp_cuda_kernelERKNSB_10TensorBaseESF_lENKUlvE_clEvENKUlvE0_clEvEUlffE_fEEDaPvRmT3_T4_T5_mT6_P12ihipStream_tbENKUlT_T0_E_clISt17integral_constantIbLb0EESW_EEDaSR_SS_EUlSR_E_NS1_11comp_targetILNS1_3genE5ELNS1_11target_archE942ELNS1_3gpuE9ELNS1_3repE0EEENS1_30default_config_static_selectorELNS0_4arch9wavefront6targetE0EEEvT1_.uses_flat_scratch, 0
	.set _ZN7rocprim17ROCPRIM_400000_NS6detail17trampoline_kernelINS0_14default_configENS1_20scan_config_selectorIfEEZZNS1_9scan_implILNS1_25lookback_scan_determinismE0ELb0ELb0ES3_PKfPffZZZN2at6native31launch_logcumsumexp_cuda_kernelERKNSB_10TensorBaseESF_lENKUlvE_clEvENKUlvE0_clEvEUlffE_fEEDaPvRmT3_T4_T5_mT6_P12ihipStream_tbENKUlT_T0_E_clISt17integral_constantIbLb0EESW_EEDaSR_SS_EUlSR_E_NS1_11comp_targetILNS1_3genE5ELNS1_11target_archE942ELNS1_3gpuE9ELNS1_3repE0EEENS1_30default_config_static_selectorELNS0_4arch9wavefront6targetE0EEEvT1_.has_dyn_sized_stack, 0
	.set _ZN7rocprim17ROCPRIM_400000_NS6detail17trampoline_kernelINS0_14default_configENS1_20scan_config_selectorIfEEZZNS1_9scan_implILNS1_25lookback_scan_determinismE0ELb0ELb0ES3_PKfPffZZZN2at6native31launch_logcumsumexp_cuda_kernelERKNSB_10TensorBaseESF_lENKUlvE_clEvENKUlvE0_clEvEUlffE_fEEDaPvRmT3_T4_T5_mT6_P12ihipStream_tbENKUlT_T0_E_clISt17integral_constantIbLb0EESW_EEDaSR_SS_EUlSR_E_NS1_11comp_targetILNS1_3genE5ELNS1_11target_archE942ELNS1_3gpuE9ELNS1_3repE0EEENS1_30default_config_static_selectorELNS0_4arch9wavefront6targetE0EEEvT1_.has_recursion, 0
	.set _ZN7rocprim17ROCPRIM_400000_NS6detail17trampoline_kernelINS0_14default_configENS1_20scan_config_selectorIfEEZZNS1_9scan_implILNS1_25lookback_scan_determinismE0ELb0ELb0ES3_PKfPffZZZN2at6native31launch_logcumsumexp_cuda_kernelERKNSB_10TensorBaseESF_lENKUlvE_clEvENKUlvE0_clEvEUlffE_fEEDaPvRmT3_T4_T5_mT6_P12ihipStream_tbENKUlT_T0_E_clISt17integral_constantIbLb0EESW_EEDaSR_SS_EUlSR_E_NS1_11comp_targetILNS1_3genE5ELNS1_11target_archE942ELNS1_3gpuE9ELNS1_3repE0EEENS1_30default_config_static_selectorELNS0_4arch9wavefront6targetE0EEEvT1_.has_indirect_call, 0
	.section	.AMDGPU.csdata,"",@progbits
; Kernel info:
; codeLenInByte = 0
; TotalNumSgprs: 0
; NumVgprs: 0
; ScratchSize: 0
; MemoryBound: 0
; FloatMode: 240
; IeeeMode: 1
; LDSByteSize: 0 bytes/workgroup (compile time only)
; SGPRBlocks: 0
; VGPRBlocks: 0
; NumSGPRsForWavesPerEU: 1
; NumVGPRsForWavesPerEU: 1
; Occupancy: 16
; WaveLimiterHint : 0
; COMPUTE_PGM_RSRC2:SCRATCH_EN: 0
; COMPUTE_PGM_RSRC2:USER_SGPR: 6
; COMPUTE_PGM_RSRC2:TRAP_HANDLER: 0
; COMPUTE_PGM_RSRC2:TGID_X_EN: 1
; COMPUTE_PGM_RSRC2:TGID_Y_EN: 0
; COMPUTE_PGM_RSRC2:TGID_Z_EN: 0
; COMPUTE_PGM_RSRC2:TIDIG_COMP_CNT: 0
	.section	.text._ZN7rocprim17ROCPRIM_400000_NS6detail17trampoline_kernelINS0_14default_configENS1_20scan_config_selectorIfEEZZNS1_9scan_implILNS1_25lookback_scan_determinismE0ELb0ELb0ES3_PKfPffZZZN2at6native31launch_logcumsumexp_cuda_kernelERKNSB_10TensorBaseESF_lENKUlvE_clEvENKUlvE0_clEvEUlffE_fEEDaPvRmT3_T4_T5_mT6_P12ihipStream_tbENKUlT_T0_E_clISt17integral_constantIbLb0EESW_EEDaSR_SS_EUlSR_E_NS1_11comp_targetILNS1_3genE4ELNS1_11target_archE910ELNS1_3gpuE8ELNS1_3repE0EEENS1_30default_config_static_selectorELNS0_4arch9wavefront6targetE0EEEvT1_,"axG",@progbits,_ZN7rocprim17ROCPRIM_400000_NS6detail17trampoline_kernelINS0_14default_configENS1_20scan_config_selectorIfEEZZNS1_9scan_implILNS1_25lookback_scan_determinismE0ELb0ELb0ES3_PKfPffZZZN2at6native31launch_logcumsumexp_cuda_kernelERKNSB_10TensorBaseESF_lENKUlvE_clEvENKUlvE0_clEvEUlffE_fEEDaPvRmT3_T4_T5_mT6_P12ihipStream_tbENKUlT_T0_E_clISt17integral_constantIbLb0EESW_EEDaSR_SS_EUlSR_E_NS1_11comp_targetILNS1_3genE4ELNS1_11target_archE910ELNS1_3gpuE8ELNS1_3repE0EEENS1_30default_config_static_selectorELNS0_4arch9wavefront6targetE0EEEvT1_,comdat
	.globl	_ZN7rocprim17ROCPRIM_400000_NS6detail17trampoline_kernelINS0_14default_configENS1_20scan_config_selectorIfEEZZNS1_9scan_implILNS1_25lookback_scan_determinismE0ELb0ELb0ES3_PKfPffZZZN2at6native31launch_logcumsumexp_cuda_kernelERKNSB_10TensorBaseESF_lENKUlvE_clEvENKUlvE0_clEvEUlffE_fEEDaPvRmT3_T4_T5_mT6_P12ihipStream_tbENKUlT_T0_E_clISt17integral_constantIbLb0EESW_EEDaSR_SS_EUlSR_E_NS1_11comp_targetILNS1_3genE4ELNS1_11target_archE910ELNS1_3gpuE8ELNS1_3repE0EEENS1_30default_config_static_selectorELNS0_4arch9wavefront6targetE0EEEvT1_ ; -- Begin function _ZN7rocprim17ROCPRIM_400000_NS6detail17trampoline_kernelINS0_14default_configENS1_20scan_config_selectorIfEEZZNS1_9scan_implILNS1_25lookback_scan_determinismE0ELb0ELb0ES3_PKfPffZZZN2at6native31launch_logcumsumexp_cuda_kernelERKNSB_10TensorBaseESF_lENKUlvE_clEvENKUlvE0_clEvEUlffE_fEEDaPvRmT3_T4_T5_mT6_P12ihipStream_tbENKUlT_T0_E_clISt17integral_constantIbLb0EESW_EEDaSR_SS_EUlSR_E_NS1_11comp_targetILNS1_3genE4ELNS1_11target_archE910ELNS1_3gpuE8ELNS1_3repE0EEENS1_30default_config_static_selectorELNS0_4arch9wavefront6targetE0EEEvT1_
	.p2align	8
	.type	_ZN7rocprim17ROCPRIM_400000_NS6detail17trampoline_kernelINS0_14default_configENS1_20scan_config_selectorIfEEZZNS1_9scan_implILNS1_25lookback_scan_determinismE0ELb0ELb0ES3_PKfPffZZZN2at6native31launch_logcumsumexp_cuda_kernelERKNSB_10TensorBaseESF_lENKUlvE_clEvENKUlvE0_clEvEUlffE_fEEDaPvRmT3_T4_T5_mT6_P12ihipStream_tbENKUlT_T0_E_clISt17integral_constantIbLb0EESW_EEDaSR_SS_EUlSR_E_NS1_11comp_targetILNS1_3genE4ELNS1_11target_archE910ELNS1_3gpuE8ELNS1_3repE0EEENS1_30default_config_static_selectorELNS0_4arch9wavefront6targetE0EEEvT1_,@function
_ZN7rocprim17ROCPRIM_400000_NS6detail17trampoline_kernelINS0_14default_configENS1_20scan_config_selectorIfEEZZNS1_9scan_implILNS1_25lookback_scan_determinismE0ELb0ELb0ES3_PKfPffZZZN2at6native31launch_logcumsumexp_cuda_kernelERKNSB_10TensorBaseESF_lENKUlvE_clEvENKUlvE0_clEvEUlffE_fEEDaPvRmT3_T4_T5_mT6_P12ihipStream_tbENKUlT_T0_E_clISt17integral_constantIbLb0EESW_EEDaSR_SS_EUlSR_E_NS1_11comp_targetILNS1_3genE4ELNS1_11target_archE910ELNS1_3gpuE8ELNS1_3repE0EEENS1_30default_config_static_selectorELNS0_4arch9wavefront6targetE0EEEvT1_: ; @_ZN7rocprim17ROCPRIM_400000_NS6detail17trampoline_kernelINS0_14default_configENS1_20scan_config_selectorIfEEZZNS1_9scan_implILNS1_25lookback_scan_determinismE0ELb0ELb0ES3_PKfPffZZZN2at6native31launch_logcumsumexp_cuda_kernelERKNSB_10TensorBaseESF_lENKUlvE_clEvENKUlvE0_clEvEUlffE_fEEDaPvRmT3_T4_T5_mT6_P12ihipStream_tbENKUlT_T0_E_clISt17integral_constantIbLb0EESW_EEDaSR_SS_EUlSR_E_NS1_11comp_targetILNS1_3genE4ELNS1_11target_archE910ELNS1_3gpuE8ELNS1_3repE0EEENS1_30default_config_static_selectorELNS0_4arch9wavefront6targetE0EEEvT1_
; %bb.0:
	.section	.rodata,"a",@progbits
	.p2align	6, 0x0
	.amdhsa_kernel _ZN7rocprim17ROCPRIM_400000_NS6detail17trampoline_kernelINS0_14default_configENS1_20scan_config_selectorIfEEZZNS1_9scan_implILNS1_25lookback_scan_determinismE0ELb0ELb0ES3_PKfPffZZZN2at6native31launch_logcumsumexp_cuda_kernelERKNSB_10TensorBaseESF_lENKUlvE_clEvENKUlvE0_clEvEUlffE_fEEDaPvRmT3_T4_T5_mT6_P12ihipStream_tbENKUlT_T0_E_clISt17integral_constantIbLb0EESW_EEDaSR_SS_EUlSR_E_NS1_11comp_targetILNS1_3genE4ELNS1_11target_archE910ELNS1_3gpuE8ELNS1_3repE0EEENS1_30default_config_static_selectorELNS0_4arch9wavefront6targetE0EEEvT1_
		.amdhsa_group_segment_fixed_size 0
		.amdhsa_private_segment_fixed_size 0
		.amdhsa_kernarg_size 96
		.amdhsa_user_sgpr_count 6
		.amdhsa_user_sgpr_private_segment_buffer 1
		.amdhsa_user_sgpr_dispatch_ptr 0
		.amdhsa_user_sgpr_queue_ptr 0
		.amdhsa_user_sgpr_kernarg_segment_ptr 1
		.amdhsa_user_sgpr_dispatch_id 0
		.amdhsa_user_sgpr_flat_scratch_init 0
		.amdhsa_user_sgpr_private_segment_size 0
		.amdhsa_wavefront_size32 1
		.amdhsa_uses_dynamic_stack 0
		.amdhsa_system_sgpr_private_segment_wavefront_offset 0
		.amdhsa_system_sgpr_workgroup_id_x 1
		.amdhsa_system_sgpr_workgroup_id_y 0
		.amdhsa_system_sgpr_workgroup_id_z 0
		.amdhsa_system_sgpr_workgroup_info 0
		.amdhsa_system_vgpr_workitem_id 0
		.amdhsa_next_free_vgpr 1
		.amdhsa_next_free_sgpr 1
		.amdhsa_reserve_vcc 0
		.amdhsa_reserve_flat_scratch 0
		.amdhsa_float_round_mode_32 0
		.amdhsa_float_round_mode_16_64 0
		.amdhsa_float_denorm_mode_32 3
		.amdhsa_float_denorm_mode_16_64 3
		.amdhsa_dx10_clamp 1
		.amdhsa_ieee_mode 1
		.amdhsa_fp16_overflow 0
		.amdhsa_workgroup_processor_mode 1
		.amdhsa_memory_ordered 1
		.amdhsa_forward_progress 1
		.amdhsa_shared_vgpr_count 0
		.amdhsa_exception_fp_ieee_invalid_op 0
		.amdhsa_exception_fp_denorm_src 0
		.amdhsa_exception_fp_ieee_div_zero 0
		.amdhsa_exception_fp_ieee_overflow 0
		.amdhsa_exception_fp_ieee_underflow 0
		.amdhsa_exception_fp_ieee_inexact 0
		.amdhsa_exception_int_div_zero 0
	.end_amdhsa_kernel
	.section	.text._ZN7rocprim17ROCPRIM_400000_NS6detail17trampoline_kernelINS0_14default_configENS1_20scan_config_selectorIfEEZZNS1_9scan_implILNS1_25lookback_scan_determinismE0ELb0ELb0ES3_PKfPffZZZN2at6native31launch_logcumsumexp_cuda_kernelERKNSB_10TensorBaseESF_lENKUlvE_clEvENKUlvE0_clEvEUlffE_fEEDaPvRmT3_T4_T5_mT6_P12ihipStream_tbENKUlT_T0_E_clISt17integral_constantIbLb0EESW_EEDaSR_SS_EUlSR_E_NS1_11comp_targetILNS1_3genE4ELNS1_11target_archE910ELNS1_3gpuE8ELNS1_3repE0EEENS1_30default_config_static_selectorELNS0_4arch9wavefront6targetE0EEEvT1_,"axG",@progbits,_ZN7rocprim17ROCPRIM_400000_NS6detail17trampoline_kernelINS0_14default_configENS1_20scan_config_selectorIfEEZZNS1_9scan_implILNS1_25lookback_scan_determinismE0ELb0ELb0ES3_PKfPffZZZN2at6native31launch_logcumsumexp_cuda_kernelERKNSB_10TensorBaseESF_lENKUlvE_clEvENKUlvE0_clEvEUlffE_fEEDaPvRmT3_T4_T5_mT6_P12ihipStream_tbENKUlT_T0_E_clISt17integral_constantIbLb0EESW_EEDaSR_SS_EUlSR_E_NS1_11comp_targetILNS1_3genE4ELNS1_11target_archE910ELNS1_3gpuE8ELNS1_3repE0EEENS1_30default_config_static_selectorELNS0_4arch9wavefront6targetE0EEEvT1_,comdat
.Lfunc_end90:
	.size	_ZN7rocprim17ROCPRIM_400000_NS6detail17trampoline_kernelINS0_14default_configENS1_20scan_config_selectorIfEEZZNS1_9scan_implILNS1_25lookback_scan_determinismE0ELb0ELb0ES3_PKfPffZZZN2at6native31launch_logcumsumexp_cuda_kernelERKNSB_10TensorBaseESF_lENKUlvE_clEvENKUlvE0_clEvEUlffE_fEEDaPvRmT3_T4_T5_mT6_P12ihipStream_tbENKUlT_T0_E_clISt17integral_constantIbLb0EESW_EEDaSR_SS_EUlSR_E_NS1_11comp_targetILNS1_3genE4ELNS1_11target_archE910ELNS1_3gpuE8ELNS1_3repE0EEENS1_30default_config_static_selectorELNS0_4arch9wavefront6targetE0EEEvT1_, .Lfunc_end90-_ZN7rocprim17ROCPRIM_400000_NS6detail17trampoline_kernelINS0_14default_configENS1_20scan_config_selectorIfEEZZNS1_9scan_implILNS1_25lookback_scan_determinismE0ELb0ELb0ES3_PKfPffZZZN2at6native31launch_logcumsumexp_cuda_kernelERKNSB_10TensorBaseESF_lENKUlvE_clEvENKUlvE0_clEvEUlffE_fEEDaPvRmT3_T4_T5_mT6_P12ihipStream_tbENKUlT_T0_E_clISt17integral_constantIbLb0EESW_EEDaSR_SS_EUlSR_E_NS1_11comp_targetILNS1_3genE4ELNS1_11target_archE910ELNS1_3gpuE8ELNS1_3repE0EEENS1_30default_config_static_selectorELNS0_4arch9wavefront6targetE0EEEvT1_
                                        ; -- End function
	.set _ZN7rocprim17ROCPRIM_400000_NS6detail17trampoline_kernelINS0_14default_configENS1_20scan_config_selectorIfEEZZNS1_9scan_implILNS1_25lookback_scan_determinismE0ELb0ELb0ES3_PKfPffZZZN2at6native31launch_logcumsumexp_cuda_kernelERKNSB_10TensorBaseESF_lENKUlvE_clEvENKUlvE0_clEvEUlffE_fEEDaPvRmT3_T4_T5_mT6_P12ihipStream_tbENKUlT_T0_E_clISt17integral_constantIbLb0EESW_EEDaSR_SS_EUlSR_E_NS1_11comp_targetILNS1_3genE4ELNS1_11target_archE910ELNS1_3gpuE8ELNS1_3repE0EEENS1_30default_config_static_selectorELNS0_4arch9wavefront6targetE0EEEvT1_.num_vgpr, 0
	.set _ZN7rocprim17ROCPRIM_400000_NS6detail17trampoline_kernelINS0_14default_configENS1_20scan_config_selectorIfEEZZNS1_9scan_implILNS1_25lookback_scan_determinismE0ELb0ELb0ES3_PKfPffZZZN2at6native31launch_logcumsumexp_cuda_kernelERKNSB_10TensorBaseESF_lENKUlvE_clEvENKUlvE0_clEvEUlffE_fEEDaPvRmT3_T4_T5_mT6_P12ihipStream_tbENKUlT_T0_E_clISt17integral_constantIbLb0EESW_EEDaSR_SS_EUlSR_E_NS1_11comp_targetILNS1_3genE4ELNS1_11target_archE910ELNS1_3gpuE8ELNS1_3repE0EEENS1_30default_config_static_selectorELNS0_4arch9wavefront6targetE0EEEvT1_.num_agpr, 0
	.set _ZN7rocprim17ROCPRIM_400000_NS6detail17trampoline_kernelINS0_14default_configENS1_20scan_config_selectorIfEEZZNS1_9scan_implILNS1_25lookback_scan_determinismE0ELb0ELb0ES3_PKfPffZZZN2at6native31launch_logcumsumexp_cuda_kernelERKNSB_10TensorBaseESF_lENKUlvE_clEvENKUlvE0_clEvEUlffE_fEEDaPvRmT3_T4_T5_mT6_P12ihipStream_tbENKUlT_T0_E_clISt17integral_constantIbLb0EESW_EEDaSR_SS_EUlSR_E_NS1_11comp_targetILNS1_3genE4ELNS1_11target_archE910ELNS1_3gpuE8ELNS1_3repE0EEENS1_30default_config_static_selectorELNS0_4arch9wavefront6targetE0EEEvT1_.numbered_sgpr, 0
	.set _ZN7rocprim17ROCPRIM_400000_NS6detail17trampoline_kernelINS0_14default_configENS1_20scan_config_selectorIfEEZZNS1_9scan_implILNS1_25lookback_scan_determinismE0ELb0ELb0ES3_PKfPffZZZN2at6native31launch_logcumsumexp_cuda_kernelERKNSB_10TensorBaseESF_lENKUlvE_clEvENKUlvE0_clEvEUlffE_fEEDaPvRmT3_T4_T5_mT6_P12ihipStream_tbENKUlT_T0_E_clISt17integral_constantIbLb0EESW_EEDaSR_SS_EUlSR_E_NS1_11comp_targetILNS1_3genE4ELNS1_11target_archE910ELNS1_3gpuE8ELNS1_3repE0EEENS1_30default_config_static_selectorELNS0_4arch9wavefront6targetE0EEEvT1_.num_named_barrier, 0
	.set _ZN7rocprim17ROCPRIM_400000_NS6detail17trampoline_kernelINS0_14default_configENS1_20scan_config_selectorIfEEZZNS1_9scan_implILNS1_25lookback_scan_determinismE0ELb0ELb0ES3_PKfPffZZZN2at6native31launch_logcumsumexp_cuda_kernelERKNSB_10TensorBaseESF_lENKUlvE_clEvENKUlvE0_clEvEUlffE_fEEDaPvRmT3_T4_T5_mT6_P12ihipStream_tbENKUlT_T0_E_clISt17integral_constantIbLb0EESW_EEDaSR_SS_EUlSR_E_NS1_11comp_targetILNS1_3genE4ELNS1_11target_archE910ELNS1_3gpuE8ELNS1_3repE0EEENS1_30default_config_static_selectorELNS0_4arch9wavefront6targetE0EEEvT1_.private_seg_size, 0
	.set _ZN7rocprim17ROCPRIM_400000_NS6detail17trampoline_kernelINS0_14default_configENS1_20scan_config_selectorIfEEZZNS1_9scan_implILNS1_25lookback_scan_determinismE0ELb0ELb0ES3_PKfPffZZZN2at6native31launch_logcumsumexp_cuda_kernelERKNSB_10TensorBaseESF_lENKUlvE_clEvENKUlvE0_clEvEUlffE_fEEDaPvRmT3_T4_T5_mT6_P12ihipStream_tbENKUlT_T0_E_clISt17integral_constantIbLb0EESW_EEDaSR_SS_EUlSR_E_NS1_11comp_targetILNS1_3genE4ELNS1_11target_archE910ELNS1_3gpuE8ELNS1_3repE0EEENS1_30default_config_static_selectorELNS0_4arch9wavefront6targetE0EEEvT1_.uses_vcc, 0
	.set _ZN7rocprim17ROCPRIM_400000_NS6detail17trampoline_kernelINS0_14default_configENS1_20scan_config_selectorIfEEZZNS1_9scan_implILNS1_25lookback_scan_determinismE0ELb0ELb0ES3_PKfPffZZZN2at6native31launch_logcumsumexp_cuda_kernelERKNSB_10TensorBaseESF_lENKUlvE_clEvENKUlvE0_clEvEUlffE_fEEDaPvRmT3_T4_T5_mT6_P12ihipStream_tbENKUlT_T0_E_clISt17integral_constantIbLb0EESW_EEDaSR_SS_EUlSR_E_NS1_11comp_targetILNS1_3genE4ELNS1_11target_archE910ELNS1_3gpuE8ELNS1_3repE0EEENS1_30default_config_static_selectorELNS0_4arch9wavefront6targetE0EEEvT1_.uses_flat_scratch, 0
	.set _ZN7rocprim17ROCPRIM_400000_NS6detail17trampoline_kernelINS0_14default_configENS1_20scan_config_selectorIfEEZZNS1_9scan_implILNS1_25lookback_scan_determinismE0ELb0ELb0ES3_PKfPffZZZN2at6native31launch_logcumsumexp_cuda_kernelERKNSB_10TensorBaseESF_lENKUlvE_clEvENKUlvE0_clEvEUlffE_fEEDaPvRmT3_T4_T5_mT6_P12ihipStream_tbENKUlT_T0_E_clISt17integral_constantIbLb0EESW_EEDaSR_SS_EUlSR_E_NS1_11comp_targetILNS1_3genE4ELNS1_11target_archE910ELNS1_3gpuE8ELNS1_3repE0EEENS1_30default_config_static_selectorELNS0_4arch9wavefront6targetE0EEEvT1_.has_dyn_sized_stack, 0
	.set _ZN7rocprim17ROCPRIM_400000_NS6detail17trampoline_kernelINS0_14default_configENS1_20scan_config_selectorIfEEZZNS1_9scan_implILNS1_25lookback_scan_determinismE0ELb0ELb0ES3_PKfPffZZZN2at6native31launch_logcumsumexp_cuda_kernelERKNSB_10TensorBaseESF_lENKUlvE_clEvENKUlvE0_clEvEUlffE_fEEDaPvRmT3_T4_T5_mT6_P12ihipStream_tbENKUlT_T0_E_clISt17integral_constantIbLb0EESW_EEDaSR_SS_EUlSR_E_NS1_11comp_targetILNS1_3genE4ELNS1_11target_archE910ELNS1_3gpuE8ELNS1_3repE0EEENS1_30default_config_static_selectorELNS0_4arch9wavefront6targetE0EEEvT1_.has_recursion, 0
	.set _ZN7rocprim17ROCPRIM_400000_NS6detail17trampoline_kernelINS0_14default_configENS1_20scan_config_selectorIfEEZZNS1_9scan_implILNS1_25lookback_scan_determinismE0ELb0ELb0ES3_PKfPffZZZN2at6native31launch_logcumsumexp_cuda_kernelERKNSB_10TensorBaseESF_lENKUlvE_clEvENKUlvE0_clEvEUlffE_fEEDaPvRmT3_T4_T5_mT6_P12ihipStream_tbENKUlT_T0_E_clISt17integral_constantIbLb0EESW_EEDaSR_SS_EUlSR_E_NS1_11comp_targetILNS1_3genE4ELNS1_11target_archE910ELNS1_3gpuE8ELNS1_3repE0EEENS1_30default_config_static_selectorELNS0_4arch9wavefront6targetE0EEEvT1_.has_indirect_call, 0
	.section	.AMDGPU.csdata,"",@progbits
; Kernel info:
; codeLenInByte = 0
; TotalNumSgprs: 0
; NumVgprs: 0
; ScratchSize: 0
; MemoryBound: 0
; FloatMode: 240
; IeeeMode: 1
; LDSByteSize: 0 bytes/workgroup (compile time only)
; SGPRBlocks: 0
; VGPRBlocks: 0
; NumSGPRsForWavesPerEU: 1
; NumVGPRsForWavesPerEU: 1
; Occupancy: 16
; WaveLimiterHint : 0
; COMPUTE_PGM_RSRC2:SCRATCH_EN: 0
; COMPUTE_PGM_RSRC2:USER_SGPR: 6
; COMPUTE_PGM_RSRC2:TRAP_HANDLER: 0
; COMPUTE_PGM_RSRC2:TGID_X_EN: 1
; COMPUTE_PGM_RSRC2:TGID_Y_EN: 0
; COMPUTE_PGM_RSRC2:TGID_Z_EN: 0
; COMPUTE_PGM_RSRC2:TIDIG_COMP_CNT: 0
	.section	.text._ZN7rocprim17ROCPRIM_400000_NS6detail17trampoline_kernelINS0_14default_configENS1_20scan_config_selectorIfEEZZNS1_9scan_implILNS1_25lookback_scan_determinismE0ELb0ELb0ES3_PKfPffZZZN2at6native31launch_logcumsumexp_cuda_kernelERKNSB_10TensorBaseESF_lENKUlvE_clEvENKUlvE0_clEvEUlffE_fEEDaPvRmT3_T4_T5_mT6_P12ihipStream_tbENKUlT_T0_E_clISt17integral_constantIbLb0EESW_EEDaSR_SS_EUlSR_E_NS1_11comp_targetILNS1_3genE3ELNS1_11target_archE908ELNS1_3gpuE7ELNS1_3repE0EEENS1_30default_config_static_selectorELNS0_4arch9wavefront6targetE0EEEvT1_,"axG",@progbits,_ZN7rocprim17ROCPRIM_400000_NS6detail17trampoline_kernelINS0_14default_configENS1_20scan_config_selectorIfEEZZNS1_9scan_implILNS1_25lookback_scan_determinismE0ELb0ELb0ES3_PKfPffZZZN2at6native31launch_logcumsumexp_cuda_kernelERKNSB_10TensorBaseESF_lENKUlvE_clEvENKUlvE0_clEvEUlffE_fEEDaPvRmT3_T4_T5_mT6_P12ihipStream_tbENKUlT_T0_E_clISt17integral_constantIbLb0EESW_EEDaSR_SS_EUlSR_E_NS1_11comp_targetILNS1_3genE3ELNS1_11target_archE908ELNS1_3gpuE7ELNS1_3repE0EEENS1_30default_config_static_selectorELNS0_4arch9wavefront6targetE0EEEvT1_,comdat
	.globl	_ZN7rocprim17ROCPRIM_400000_NS6detail17trampoline_kernelINS0_14default_configENS1_20scan_config_selectorIfEEZZNS1_9scan_implILNS1_25lookback_scan_determinismE0ELb0ELb0ES3_PKfPffZZZN2at6native31launch_logcumsumexp_cuda_kernelERKNSB_10TensorBaseESF_lENKUlvE_clEvENKUlvE0_clEvEUlffE_fEEDaPvRmT3_T4_T5_mT6_P12ihipStream_tbENKUlT_T0_E_clISt17integral_constantIbLb0EESW_EEDaSR_SS_EUlSR_E_NS1_11comp_targetILNS1_3genE3ELNS1_11target_archE908ELNS1_3gpuE7ELNS1_3repE0EEENS1_30default_config_static_selectorELNS0_4arch9wavefront6targetE0EEEvT1_ ; -- Begin function _ZN7rocprim17ROCPRIM_400000_NS6detail17trampoline_kernelINS0_14default_configENS1_20scan_config_selectorIfEEZZNS1_9scan_implILNS1_25lookback_scan_determinismE0ELb0ELb0ES3_PKfPffZZZN2at6native31launch_logcumsumexp_cuda_kernelERKNSB_10TensorBaseESF_lENKUlvE_clEvENKUlvE0_clEvEUlffE_fEEDaPvRmT3_T4_T5_mT6_P12ihipStream_tbENKUlT_T0_E_clISt17integral_constantIbLb0EESW_EEDaSR_SS_EUlSR_E_NS1_11comp_targetILNS1_3genE3ELNS1_11target_archE908ELNS1_3gpuE7ELNS1_3repE0EEENS1_30default_config_static_selectorELNS0_4arch9wavefront6targetE0EEEvT1_
	.p2align	8
	.type	_ZN7rocprim17ROCPRIM_400000_NS6detail17trampoline_kernelINS0_14default_configENS1_20scan_config_selectorIfEEZZNS1_9scan_implILNS1_25lookback_scan_determinismE0ELb0ELb0ES3_PKfPffZZZN2at6native31launch_logcumsumexp_cuda_kernelERKNSB_10TensorBaseESF_lENKUlvE_clEvENKUlvE0_clEvEUlffE_fEEDaPvRmT3_T4_T5_mT6_P12ihipStream_tbENKUlT_T0_E_clISt17integral_constantIbLb0EESW_EEDaSR_SS_EUlSR_E_NS1_11comp_targetILNS1_3genE3ELNS1_11target_archE908ELNS1_3gpuE7ELNS1_3repE0EEENS1_30default_config_static_selectorELNS0_4arch9wavefront6targetE0EEEvT1_,@function
_ZN7rocprim17ROCPRIM_400000_NS6detail17trampoline_kernelINS0_14default_configENS1_20scan_config_selectorIfEEZZNS1_9scan_implILNS1_25lookback_scan_determinismE0ELb0ELb0ES3_PKfPffZZZN2at6native31launch_logcumsumexp_cuda_kernelERKNSB_10TensorBaseESF_lENKUlvE_clEvENKUlvE0_clEvEUlffE_fEEDaPvRmT3_T4_T5_mT6_P12ihipStream_tbENKUlT_T0_E_clISt17integral_constantIbLb0EESW_EEDaSR_SS_EUlSR_E_NS1_11comp_targetILNS1_3genE3ELNS1_11target_archE908ELNS1_3gpuE7ELNS1_3repE0EEENS1_30default_config_static_selectorELNS0_4arch9wavefront6targetE0EEEvT1_: ; @_ZN7rocprim17ROCPRIM_400000_NS6detail17trampoline_kernelINS0_14default_configENS1_20scan_config_selectorIfEEZZNS1_9scan_implILNS1_25lookback_scan_determinismE0ELb0ELb0ES3_PKfPffZZZN2at6native31launch_logcumsumexp_cuda_kernelERKNSB_10TensorBaseESF_lENKUlvE_clEvENKUlvE0_clEvEUlffE_fEEDaPvRmT3_T4_T5_mT6_P12ihipStream_tbENKUlT_T0_E_clISt17integral_constantIbLb0EESW_EEDaSR_SS_EUlSR_E_NS1_11comp_targetILNS1_3genE3ELNS1_11target_archE908ELNS1_3gpuE7ELNS1_3repE0EEENS1_30default_config_static_selectorELNS0_4arch9wavefront6targetE0EEEvT1_
; %bb.0:
	.section	.rodata,"a",@progbits
	.p2align	6, 0x0
	.amdhsa_kernel _ZN7rocprim17ROCPRIM_400000_NS6detail17trampoline_kernelINS0_14default_configENS1_20scan_config_selectorIfEEZZNS1_9scan_implILNS1_25lookback_scan_determinismE0ELb0ELb0ES3_PKfPffZZZN2at6native31launch_logcumsumexp_cuda_kernelERKNSB_10TensorBaseESF_lENKUlvE_clEvENKUlvE0_clEvEUlffE_fEEDaPvRmT3_T4_T5_mT6_P12ihipStream_tbENKUlT_T0_E_clISt17integral_constantIbLb0EESW_EEDaSR_SS_EUlSR_E_NS1_11comp_targetILNS1_3genE3ELNS1_11target_archE908ELNS1_3gpuE7ELNS1_3repE0EEENS1_30default_config_static_selectorELNS0_4arch9wavefront6targetE0EEEvT1_
		.amdhsa_group_segment_fixed_size 0
		.amdhsa_private_segment_fixed_size 0
		.amdhsa_kernarg_size 96
		.amdhsa_user_sgpr_count 6
		.amdhsa_user_sgpr_private_segment_buffer 1
		.amdhsa_user_sgpr_dispatch_ptr 0
		.amdhsa_user_sgpr_queue_ptr 0
		.amdhsa_user_sgpr_kernarg_segment_ptr 1
		.amdhsa_user_sgpr_dispatch_id 0
		.amdhsa_user_sgpr_flat_scratch_init 0
		.amdhsa_user_sgpr_private_segment_size 0
		.amdhsa_wavefront_size32 1
		.amdhsa_uses_dynamic_stack 0
		.amdhsa_system_sgpr_private_segment_wavefront_offset 0
		.amdhsa_system_sgpr_workgroup_id_x 1
		.amdhsa_system_sgpr_workgroup_id_y 0
		.amdhsa_system_sgpr_workgroup_id_z 0
		.amdhsa_system_sgpr_workgroup_info 0
		.amdhsa_system_vgpr_workitem_id 0
		.amdhsa_next_free_vgpr 1
		.amdhsa_next_free_sgpr 1
		.amdhsa_reserve_vcc 0
		.amdhsa_reserve_flat_scratch 0
		.amdhsa_float_round_mode_32 0
		.amdhsa_float_round_mode_16_64 0
		.amdhsa_float_denorm_mode_32 3
		.amdhsa_float_denorm_mode_16_64 3
		.amdhsa_dx10_clamp 1
		.amdhsa_ieee_mode 1
		.amdhsa_fp16_overflow 0
		.amdhsa_workgroup_processor_mode 1
		.amdhsa_memory_ordered 1
		.amdhsa_forward_progress 1
		.amdhsa_shared_vgpr_count 0
		.amdhsa_exception_fp_ieee_invalid_op 0
		.amdhsa_exception_fp_denorm_src 0
		.amdhsa_exception_fp_ieee_div_zero 0
		.amdhsa_exception_fp_ieee_overflow 0
		.amdhsa_exception_fp_ieee_underflow 0
		.amdhsa_exception_fp_ieee_inexact 0
		.amdhsa_exception_int_div_zero 0
	.end_amdhsa_kernel
	.section	.text._ZN7rocprim17ROCPRIM_400000_NS6detail17trampoline_kernelINS0_14default_configENS1_20scan_config_selectorIfEEZZNS1_9scan_implILNS1_25lookback_scan_determinismE0ELb0ELb0ES3_PKfPffZZZN2at6native31launch_logcumsumexp_cuda_kernelERKNSB_10TensorBaseESF_lENKUlvE_clEvENKUlvE0_clEvEUlffE_fEEDaPvRmT3_T4_T5_mT6_P12ihipStream_tbENKUlT_T0_E_clISt17integral_constantIbLb0EESW_EEDaSR_SS_EUlSR_E_NS1_11comp_targetILNS1_3genE3ELNS1_11target_archE908ELNS1_3gpuE7ELNS1_3repE0EEENS1_30default_config_static_selectorELNS0_4arch9wavefront6targetE0EEEvT1_,"axG",@progbits,_ZN7rocprim17ROCPRIM_400000_NS6detail17trampoline_kernelINS0_14default_configENS1_20scan_config_selectorIfEEZZNS1_9scan_implILNS1_25lookback_scan_determinismE0ELb0ELb0ES3_PKfPffZZZN2at6native31launch_logcumsumexp_cuda_kernelERKNSB_10TensorBaseESF_lENKUlvE_clEvENKUlvE0_clEvEUlffE_fEEDaPvRmT3_T4_T5_mT6_P12ihipStream_tbENKUlT_T0_E_clISt17integral_constantIbLb0EESW_EEDaSR_SS_EUlSR_E_NS1_11comp_targetILNS1_3genE3ELNS1_11target_archE908ELNS1_3gpuE7ELNS1_3repE0EEENS1_30default_config_static_selectorELNS0_4arch9wavefront6targetE0EEEvT1_,comdat
.Lfunc_end91:
	.size	_ZN7rocprim17ROCPRIM_400000_NS6detail17trampoline_kernelINS0_14default_configENS1_20scan_config_selectorIfEEZZNS1_9scan_implILNS1_25lookback_scan_determinismE0ELb0ELb0ES3_PKfPffZZZN2at6native31launch_logcumsumexp_cuda_kernelERKNSB_10TensorBaseESF_lENKUlvE_clEvENKUlvE0_clEvEUlffE_fEEDaPvRmT3_T4_T5_mT6_P12ihipStream_tbENKUlT_T0_E_clISt17integral_constantIbLb0EESW_EEDaSR_SS_EUlSR_E_NS1_11comp_targetILNS1_3genE3ELNS1_11target_archE908ELNS1_3gpuE7ELNS1_3repE0EEENS1_30default_config_static_selectorELNS0_4arch9wavefront6targetE0EEEvT1_, .Lfunc_end91-_ZN7rocprim17ROCPRIM_400000_NS6detail17trampoline_kernelINS0_14default_configENS1_20scan_config_selectorIfEEZZNS1_9scan_implILNS1_25lookback_scan_determinismE0ELb0ELb0ES3_PKfPffZZZN2at6native31launch_logcumsumexp_cuda_kernelERKNSB_10TensorBaseESF_lENKUlvE_clEvENKUlvE0_clEvEUlffE_fEEDaPvRmT3_T4_T5_mT6_P12ihipStream_tbENKUlT_T0_E_clISt17integral_constantIbLb0EESW_EEDaSR_SS_EUlSR_E_NS1_11comp_targetILNS1_3genE3ELNS1_11target_archE908ELNS1_3gpuE7ELNS1_3repE0EEENS1_30default_config_static_selectorELNS0_4arch9wavefront6targetE0EEEvT1_
                                        ; -- End function
	.set _ZN7rocprim17ROCPRIM_400000_NS6detail17trampoline_kernelINS0_14default_configENS1_20scan_config_selectorIfEEZZNS1_9scan_implILNS1_25lookback_scan_determinismE0ELb0ELb0ES3_PKfPffZZZN2at6native31launch_logcumsumexp_cuda_kernelERKNSB_10TensorBaseESF_lENKUlvE_clEvENKUlvE0_clEvEUlffE_fEEDaPvRmT3_T4_T5_mT6_P12ihipStream_tbENKUlT_T0_E_clISt17integral_constantIbLb0EESW_EEDaSR_SS_EUlSR_E_NS1_11comp_targetILNS1_3genE3ELNS1_11target_archE908ELNS1_3gpuE7ELNS1_3repE0EEENS1_30default_config_static_selectorELNS0_4arch9wavefront6targetE0EEEvT1_.num_vgpr, 0
	.set _ZN7rocprim17ROCPRIM_400000_NS6detail17trampoline_kernelINS0_14default_configENS1_20scan_config_selectorIfEEZZNS1_9scan_implILNS1_25lookback_scan_determinismE0ELb0ELb0ES3_PKfPffZZZN2at6native31launch_logcumsumexp_cuda_kernelERKNSB_10TensorBaseESF_lENKUlvE_clEvENKUlvE0_clEvEUlffE_fEEDaPvRmT3_T4_T5_mT6_P12ihipStream_tbENKUlT_T0_E_clISt17integral_constantIbLb0EESW_EEDaSR_SS_EUlSR_E_NS1_11comp_targetILNS1_3genE3ELNS1_11target_archE908ELNS1_3gpuE7ELNS1_3repE0EEENS1_30default_config_static_selectorELNS0_4arch9wavefront6targetE0EEEvT1_.num_agpr, 0
	.set _ZN7rocprim17ROCPRIM_400000_NS6detail17trampoline_kernelINS0_14default_configENS1_20scan_config_selectorIfEEZZNS1_9scan_implILNS1_25lookback_scan_determinismE0ELb0ELb0ES3_PKfPffZZZN2at6native31launch_logcumsumexp_cuda_kernelERKNSB_10TensorBaseESF_lENKUlvE_clEvENKUlvE0_clEvEUlffE_fEEDaPvRmT3_T4_T5_mT6_P12ihipStream_tbENKUlT_T0_E_clISt17integral_constantIbLb0EESW_EEDaSR_SS_EUlSR_E_NS1_11comp_targetILNS1_3genE3ELNS1_11target_archE908ELNS1_3gpuE7ELNS1_3repE0EEENS1_30default_config_static_selectorELNS0_4arch9wavefront6targetE0EEEvT1_.numbered_sgpr, 0
	.set _ZN7rocprim17ROCPRIM_400000_NS6detail17trampoline_kernelINS0_14default_configENS1_20scan_config_selectorIfEEZZNS1_9scan_implILNS1_25lookback_scan_determinismE0ELb0ELb0ES3_PKfPffZZZN2at6native31launch_logcumsumexp_cuda_kernelERKNSB_10TensorBaseESF_lENKUlvE_clEvENKUlvE0_clEvEUlffE_fEEDaPvRmT3_T4_T5_mT6_P12ihipStream_tbENKUlT_T0_E_clISt17integral_constantIbLb0EESW_EEDaSR_SS_EUlSR_E_NS1_11comp_targetILNS1_3genE3ELNS1_11target_archE908ELNS1_3gpuE7ELNS1_3repE0EEENS1_30default_config_static_selectorELNS0_4arch9wavefront6targetE0EEEvT1_.num_named_barrier, 0
	.set _ZN7rocprim17ROCPRIM_400000_NS6detail17trampoline_kernelINS0_14default_configENS1_20scan_config_selectorIfEEZZNS1_9scan_implILNS1_25lookback_scan_determinismE0ELb0ELb0ES3_PKfPffZZZN2at6native31launch_logcumsumexp_cuda_kernelERKNSB_10TensorBaseESF_lENKUlvE_clEvENKUlvE0_clEvEUlffE_fEEDaPvRmT3_T4_T5_mT6_P12ihipStream_tbENKUlT_T0_E_clISt17integral_constantIbLb0EESW_EEDaSR_SS_EUlSR_E_NS1_11comp_targetILNS1_3genE3ELNS1_11target_archE908ELNS1_3gpuE7ELNS1_3repE0EEENS1_30default_config_static_selectorELNS0_4arch9wavefront6targetE0EEEvT1_.private_seg_size, 0
	.set _ZN7rocprim17ROCPRIM_400000_NS6detail17trampoline_kernelINS0_14default_configENS1_20scan_config_selectorIfEEZZNS1_9scan_implILNS1_25lookback_scan_determinismE0ELb0ELb0ES3_PKfPffZZZN2at6native31launch_logcumsumexp_cuda_kernelERKNSB_10TensorBaseESF_lENKUlvE_clEvENKUlvE0_clEvEUlffE_fEEDaPvRmT3_T4_T5_mT6_P12ihipStream_tbENKUlT_T0_E_clISt17integral_constantIbLb0EESW_EEDaSR_SS_EUlSR_E_NS1_11comp_targetILNS1_3genE3ELNS1_11target_archE908ELNS1_3gpuE7ELNS1_3repE0EEENS1_30default_config_static_selectorELNS0_4arch9wavefront6targetE0EEEvT1_.uses_vcc, 0
	.set _ZN7rocprim17ROCPRIM_400000_NS6detail17trampoline_kernelINS0_14default_configENS1_20scan_config_selectorIfEEZZNS1_9scan_implILNS1_25lookback_scan_determinismE0ELb0ELb0ES3_PKfPffZZZN2at6native31launch_logcumsumexp_cuda_kernelERKNSB_10TensorBaseESF_lENKUlvE_clEvENKUlvE0_clEvEUlffE_fEEDaPvRmT3_T4_T5_mT6_P12ihipStream_tbENKUlT_T0_E_clISt17integral_constantIbLb0EESW_EEDaSR_SS_EUlSR_E_NS1_11comp_targetILNS1_3genE3ELNS1_11target_archE908ELNS1_3gpuE7ELNS1_3repE0EEENS1_30default_config_static_selectorELNS0_4arch9wavefront6targetE0EEEvT1_.uses_flat_scratch, 0
	.set _ZN7rocprim17ROCPRIM_400000_NS6detail17trampoline_kernelINS0_14default_configENS1_20scan_config_selectorIfEEZZNS1_9scan_implILNS1_25lookback_scan_determinismE0ELb0ELb0ES3_PKfPffZZZN2at6native31launch_logcumsumexp_cuda_kernelERKNSB_10TensorBaseESF_lENKUlvE_clEvENKUlvE0_clEvEUlffE_fEEDaPvRmT3_T4_T5_mT6_P12ihipStream_tbENKUlT_T0_E_clISt17integral_constantIbLb0EESW_EEDaSR_SS_EUlSR_E_NS1_11comp_targetILNS1_3genE3ELNS1_11target_archE908ELNS1_3gpuE7ELNS1_3repE0EEENS1_30default_config_static_selectorELNS0_4arch9wavefront6targetE0EEEvT1_.has_dyn_sized_stack, 0
	.set _ZN7rocprim17ROCPRIM_400000_NS6detail17trampoline_kernelINS0_14default_configENS1_20scan_config_selectorIfEEZZNS1_9scan_implILNS1_25lookback_scan_determinismE0ELb0ELb0ES3_PKfPffZZZN2at6native31launch_logcumsumexp_cuda_kernelERKNSB_10TensorBaseESF_lENKUlvE_clEvENKUlvE0_clEvEUlffE_fEEDaPvRmT3_T4_T5_mT6_P12ihipStream_tbENKUlT_T0_E_clISt17integral_constantIbLb0EESW_EEDaSR_SS_EUlSR_E_NS1_11comp_targetILNS1_3genE3ELNS1_11target_archE908ELNS1_3gpuE7ELNS1_3repE0EEENS1_30default_config_static_selectorELNS0_4arch9wavefront6targetE0EEEvT1_.has_recursion, 0
	.set _ZN7rocprim17ROCPRIM_400000_NS6detail17trampoline_kernelINS0_14default_configENS1_20scan_config_selectorIfEEZZNS1_9scan_implILNS1_25lookback_scan_determinismE0ELb0ELb0ES3_PKfPffZZZN2at6native31launch_logcumsumexp_cuda_kernelERKNSB_10TensorBaseESF_lENKUlvE_clEvENKUlvE0_clEvEUlffE_fEEDaPvRmT3_T4_T5_mT6_P12ihipStream_tbENKUlT_T0_E_clISt17integral_constantIbLb0EESW_EEDaSR_SS_EUlSR_E_NS1_11comp_targetILNS1_3genE3ELNS1_11target_archE908ELNS1_3gpuE7ELNS1_3repE0EEENS1_30default_config_static_selectorELNS0_4arch9wavefront6targetE0EEEvT1_.has_indirect_call, 0
	.section	.AMDGPU.csdata,"",@progbits
; Kernel info:
; codeLenInByte = 0
; TotalNumSgprs: 0
; NumVgprs: 0
; ScratchSize: 0
; MemoryBound: 0
; FloatMode: 240
; IeeeMode: 1
; LDSByteSize: 0 bytes/workgroup (compile time only)
; SGPRBlocks: 0
; VGPRBlocks: 0
; NumSGPRsForWavesPerEU: 1
; NumVGPRsForWavesPerEU: 1
; Occupancy: 16
; WaveLimiterHint : 0
; COMPUTE_PGM_RSRC2:SCRATCH_EN: 0
; COMPUTE_PGM_RSRC2:USER_SGPR: 6
; COMPUTE_PGM_RSRC2:TRAP_HANDLER: 0
; COMPUTE_PGM_RSRC2:TGID_X_EN: 1
; COMPUTE_PGM_RSRC2:TGID_Y_EN: 0
; COMPUTE_PGM_RSRC2:TGID_Z_EN: 0
; COMPUTE_PGM_RSRC2:TIDIG_COMP_CNT: 0
	.section	.text._ZN7rocprim17ROCPRIM_400000_NS6detail17trampoline_kernelINS0_14default_configENS1_20scan_config_selectorIfEEZZNS1_9scan_implILNS1_25lookback_scan_determinismE0ELb0ELb0ES3_PKfPffZZZN2at6native31launch_logcumsumexp_cuda_kernelERKNSB_10TensorBaseESF_lENKUlvE_clEvENKUlvE0_clEvEUlffE_fEEDaPvRmT3_T4_T5_mT6_P12ihipStream_tbENKUlT_T0_E_clISt17integral_constantIbLb0EESW_EEDaSR_SS_EUlSR_E_NS1_11comp_targetILNS1_3genE2ELNS1_11target_archE906ELNS1_3gpuE6ELNS1_3repE0EEENS1_30default_config_static_selectorELNS0_4arch9wavefront6targetE0EEEvT1_,"axG",@progbits,_ZN7rocprim17ROCPRIM_400000_NS6detail17trampoline_kernelINS0_14default_configENS1_20scan_config_selectorIfEEZZNS1_9scan_implILNS1_25lookback_scan_determinismE0ELb0ELb0ES3_PKfPffZZZN2at6native31launch_logcumsumexp_cuda_kernelERKNSB_10TensorBaseESF_lENKUlvE_clEvENKUlvE0_clEvEUlffE_fEEDaPvRmT3_T4_T5_mT6_P12ihipStream_tbENKUlT_T0_E_clISt17integral_constantIbLb0EESW_EEDaSR_SS_EUlSR_E_NS1_11comp_targetILNS1_3genE2ELNS1_11target_archE906ELNS1_3gpuE6ELNS1_3repE0EEENS1_30default_config_static_selectorELNS0_4arch9wavefront6targetE0EEEvT1_,comdat
	.globl	_ZN7rocprim17ROCPRIM_400000_NS6detail17trampoline_kernelINS0_14default_configENS1_20scan_config_selectorIfEEZZNS1_9scan_implILNS1_25lookback_scan_determinismE0ELb0ELb0ES3_PKfPffZZZN2at6native31launch_logcumsumexp_cuda_kernelERKNSB_10TensorBaseESF_lENKUlvE_clEvENKUlvE0_clEvEUlffE_fEEDaPvRmT3_T4_T5_mT6_P12ihipStream_tbENKUlT_T0_E_clISt17integral_constantIbLb0EESW_EEDaSR_SS_EUlSR_E_NS1_11comp_targetILNS1_3genE2ELNS1_11target_archE906ELNS1_3gpuE6ELNS1_3repE0EEENS1_30default_config_static_selectorELNS0_4arch9wavefront6targetE0EEEvT1_ ; -- Begin function _ZN7rocprim17ROCPRIM_400000_NS6detail17trampoline_kernelINS0_14default_configENS1_20scan_config_selectorIfEEZZNS1_9scan_implILNS1_25lookback_scan_determinismE0ELb0ELb0ES3_PKfPffZZZN2at6native31launch_logcumsumexp_cuda_kernelERKNSB_10TensorBaseESF_lENKUlvE_clEvENKUlvE0_clEvEUlffE_fEEDaPvRmT3_T4_T5_mT6_P12ihipStream_tbENKUlT_T0_E_clISt17integral_constantIbLb0EESW_EEDaSR_SS_EUlSR_E_NS1_11comp_targetILNS1_3genE2ELNS1_11target_archE906ELNS1_3gpuE6ELNS1_3repE0EEENS1_30default_config_static_selectorELNS0_4arch9wavefront6targetE0EEEvT1_
	.p2align	8
	.type	_ZN7rocprim17ROCPRIM_400000_NS6detail17trampoline_kernelINS0_14default_configENS1_20scan_config_selectorIfEEZZNS1_9scan_implILNS1_25lookback_scan_determinismE0ELb0ELb0ES3_PKfPffZZZN2at6native31launch_logcumsumexp_cuda_kernelERKNSB_10TensorBaseESF_lENKUlvE_clEvENKUlvE0_clEvEUlffE_fEEDaPvRmT3_T4_T5_mT6_P12ihipStream_tbENKUlT_T0_E_clISt17integral_constantIbLb0EESW_EEDaSR_SS_EUlSR_E_NS1_11comp_targetILNS1_3genE2ELNS1_11target_archE906ELNS1_3gpuE6ELNS1_3repE0EEENS1_30default_config_static_selectorELNS0_4arch9wavefront6targetE0EEEvT1_,@function
_ZN7rocprim17ROCPRIM_400000_NS6detail17trampoline_kernelINS0_14default_configENS1_20scan_config_selectorIfEEZZNS1_9scan_implILNS1_25lookback_scan_determinismE0ELb0ELb0ES3_PKfPffZZZN2at6native31launch_logcumsumexp_cuda_kernelERKNSB_10TensorBaseESF_lENKUlvE_clEvENKUlvE0_clEvEUlffE_fEEDaPvRmT3_T4_T5_mT6_P12ihipStream_tbENKUlT_T0_E_clISt17integral_constantIbLb0EESW_EEDaSR_SS_EUlSR_E_NS1_11comp_targetILNS1_3genE2ELNS1_11target_archE906ELNS1_3gpuE6ELNS1_3repE0EEENS1_30default_config_static_selectorELNS0_4arch9wavefront6targetE0EEEvT1_: ; @_ZN7rocprim17ROCPRIM_400000_NS6detail17trampoline_kernelINS0_14default_configENS1_20scan_config_selectorIfEEZZNS1_9scan_implILNS1_25lookback_scan_determinismE0ELb0ELb0ES3_PKfPffZZZN2at6native31launch_logcumsumexp_cuda_kernelERKNSB_10TensorBaseESF_lENKUlvE_clEvENKUlvE0_clEvEUlffE_fEEDaPvRmT3_T4_T5_mT6_P12ihipStream_tbENKUlT_T0_E_clISt17integral_constantIbLb0EESW_EEDaSR_SS_EUlSR_E_NS1_11comp_targetILNS1_3genE2ELNS1_11target_archE906ELNS1_3gpuE6ELNS1_3repE0EEENS1_30default_config_static_selectorELNS0_4arch9wavefront6targetE0EEEvT1_
; %bb.0:
	.section	.rodata,"a",@progbits
	.p2align	6, 0x0
	.amdhsa_kernel _ZN7rocprim17ROCPRIM_400000_NS6detail17trampoline_kernelINS0_14default_configENS1_20scan_config_selectorIfEEZZNS1_9scan_implILNS1_25lookback_scan_determinismE0ELb0ELb0ES3_PKfPffZZZN2at6native31launch_logcumsumexp_cuda_kernelERKNSB_10TensorBaseESF_lENKUlvE_clEvENKUlvE0_clEvEUlffE_fEEDaPvRmT3_T4_T5_mT6_P12ihipStream_tbENKUlT_T0_E_clISt17integral_constantIbLb0EESW_EEDaSR_SS_EUlSR_E_NS1_11comp_targetILNS1_3genE2ELNS1_11target_archE906ELNS1_3gpuE6ELNS1_3repE0EEENS1_30default_config_static_selectorELNS0_4arch9wavefront6targetE0EEEvT1_
		.amdhsa_group_segment_fixed_size 0
		.amdhsa_private_segment_fixed_size 0
		.amdhsa_kernarg_size 96
		.amdhsa_user_sgpr_count 6
		.amdhsa_user_sgpr_private_segment_buffer 1
		.amdhsa_user_sgpr_dispatch_ptr 0
		.amdhsa_user_sgpr_queue_ptr 0
		.amdhsa_user_sgpr_kernarg_segment_ptr 1
		.amdhsa_user_sgpr_dispatch_id 0
		.amdhsa_user_sgpr_flat_scratch_init 0
		.amdhsa_user_sgpr_private_segment_size 0
		.amdhsa_wavefront_size32 1
		.amdhsa_uses_dynamic_stack 0
		.amdhsa_system_sgpr_private_segment_wavefront_offset 0
		.amdhsa_system_sgpr_workgroup_id_x 1
		.amdhsa_system_sgpr_workgroup_id_y 0
		.amdhsa_system_sgpr_workgroup_id_z 0
		.amdhsa_system_sgpr_workgroup_info 0
		.amdhsa_system_vgpr_workitem_id 0
		.amdhsa_next_free_vgpr 1
		.amdhsa_next_free_sgpr 1
		.amdhsa_reserve_vcc 0
		.amdhsa_reserve_flat_scratch 0
		.amdhsa_float_round_mode_32 0
		.amdhsa_float_round_mode_16_64 0
		.amdhsa_float_denorm_mode_32 3
		.amdhsa_float_denorm_mode_16_64 3
		.amdhsa_dx10_clamp 1
		.amdhsa_ieee_mode 1
		.amdhsa_fp16_overflow 0
		.amdhsa_workgroup_processor_mode 1
		.amdhsa_memory_ordered 1
		.amdhsa_forward_progress 1
		.amdhsa_shared_vgpr_count 0
		.amdhsa_exception_fp_ieee_invalid_op 0
		.amdhsa_exception_fp_denorm_src 0
		.amdhsa_exception_fp_ieee_div_zero 0
		.amdhsa_exception_fp_ieee_overflow 0
		.amdhsa_exception_fp_ieee_underflow 0
		.amdhsa_exception_fp_ieee_inexact 0
		.amdhsa_exception_int_div_zero 0
	.end_amdhsa_kernel
	.section	.text._ZN7rocprim17ROCPRIM_400000_NS6detail17trampoline_kernelINS0_14default_configENS1_20scan_config_selectorIfEEZZNS1_9scan_implILNS1_25lookback_scan_determinismE0ELb0ELb0ES3_PKfPffZZZN2at6native31launch_logcumsumexp_cuda_kernelERKNSB_10TensorBaseESF_lENKUlvE_clEvENKUlvE0_clEvEUlffE_fEEDaPvRmT3_T4_T5_mT6_P12ihipStream_tbENKUlT_T0_E_clISt17integral_constantIbLb0EESW_EEDaSR_SS_EUlSR_E_NS1_11comp_targetILNS1_3genE2ELNS1_11target_archE906ELNS1_3gpuE6ELNS1_3repE0EEENS1_30default_config_static_selectorELNS0_4arch9wavefront6targetE0EEEvT1_,"axG",@progbits,_ZN7rocprim17ROCPRIM_400000_NS6detail17trampoline_kernelINS0_14default_configENS1_20scan_config_selectorIfEEZZNS1_9scan_implILNS1_25lookback_scan_determinismE0ELb0ELb0ES3_PKfPffZZZN2at6native31launch_logcumsumexp_cuda_kernelERKNSB_10TensorBaseESF_lENKUlvE_clEvENKUlvE0_clEvEUlffE_fEEDaPvRmT3_T4_T5_mT6_P12ihipStream_tbENKUlT_T0_E_clISt17integral_constantIbLb0EESW_EEDaSR_SS_EUlSR_E_NS1_11comp_targetILNS1_3genE2ELNS1_11target_archE906ELNS1_3gpuE6ELNS1_3repE0EEENS1_30default_config_static_selectorELNS0_4arch9wavefront6targetE0EEEvT1_,comdat
.Lfunc_end92:
	.size	_ZN7rocprim17ROCPRIM_400000_NS6detail17trampoline_kernelINS0_14default_configENS1_20scan_config_selectorIfEEZZNS1_9scan_implILNS1_25lookback_scan_determinismE0ELb0ELb0ES3_PKfPffZZZN2at6native31launch_logcumsumexp_cuda_kernelERKNSB_10TensorBaseESF_lENKUlvE_clEvENKUlvE0_clEvEUlffE_fEEDaPvRmT3_T4_T5_mT6_P12ihipStream_tbENKUlT_T0_E_clISt17integral_constantIbLb0EESW_EEDaSR_SS_EUlSR_E_NS1_11comp_targetILNS1_3genE2ELNS1_11target_archE906ELNS1_3gpuE6ELNS1_3repE0EEENS1_30default_config_static_selectorELNS0_4arch9wavefront6targetE0EEEvT1_, .Lfunc_end92-_ZN7rocprim17ROCPRIM_400000_NS6detail17trampoline_kernelINS0_14default_configENS1_20scan_config_selectorIfEEZZNS1_9scan_implILNS1_25lookback_scan_determinismE0ELb0ELb0ES3_PKfPffZZZN2at6native31launch_logcumsumexp_cuda_kernelERKNSB_10TensorBaseESF_lENKUlvE_clEvENKUlvE0_clEvEUlffE_fEEDaPvRmT3_T4_T5_mT6_P12ihipStream_tbENKUlT_T0_E_clISt17integral_constantIbLb0EESW_EEDaSR_SS_EUlSR_E_NS1_11comp_targetILNS1_3genE2ELNS1_11target_archE906ELNS1_3gpuE6ELNS1_3repE0EEENS1_30default_config_static_selectorELNS0_4arch9wavefront6targetE0EEEvT1_
                                        ; -- End function
	.set _ZN7rocprim17ROCPRIM_400000_NS6detail17trampoline_kernelINS0_14default_configENS1_20scan_config_selectorIfEEZZNS1_9scan_implILNS1_25lookback_scan_determinismE0ELb0ELb0ES3_PKfPffZZZN2at6native31launch_logcumsumexp_cuda_kernelERKNSB_10TensorBaseESF_lENKUlvE_clEvENKUlvE0_clEvEUlffE_fEEDaPvRmT3_T4_T5_mT6_P12ihipStream_tbENKUlT_T0_E_clISt17integral_constantIbLb0EESW_EEDaSR_SS_EUlSR_E_NS1_11comp_targetILNS1_3genE2ELNS1_11target_archE906ELNS1_3gpuE6ELNS1_3repE0EEENS1_30default_config_static_selectorELNS0_4arch9wavefront6targetE0EEEvT1_.num_vgpr, 0
	.set _ZN7rocprim17ROCPRIM_400000_NS6detail17trampoline_kernelINS0_14default_configENS1_20scan_config_selectorIfEEZZNS1_9scan_implILNS1_25lookback_scan_determinismE0ELb0ELb0ES3_PKfPffZZZN2at6native31launch_logcumsumexp_cuda_kernelERKNSB_10TensorBaseESF_lENKUlvE_clEvENKUlvE0_clEvEUlffE_fEEDaPvRmT3_T4_T5_mT6_P12ihipStream_tbENKUlT_T0_E_clISt17integral_constantIbLb0EESW_EEDaSR_SS_EUlSR_E_NS1_11comp_targetILNS1_3genE2ELNS1_11target_archE906ELNS1_3gpuE6ELNS1_3repE0EEENS1_30default_config_static_selectorELNS0_4arch9wavefront6targetE0EEEvT1_.num_agpr, 0
	.set _ZN7rocprim17ROCPRIM_400000_NS6detail17trampoline_kernelINS0_14default_configENS1_20scan_config_selectorIfEEZZNS1_9scan_implILNS1_25lookback_scan_determinismE0ELb0ELb0ES3_PKfPffZZZN2at6native31launch_logcumsumexp_cuda_kernelERKNSB_10TensorBaseESF_lENKUlvE_clEvENKUlvE0_clEvEUlffE_fEEDaPvRmT3_T4_T5_mT6_P12ihipStream_tbENKUlT_T0_E_clISt17integral_constantIbLb0EESW_EEDaSR_SS_EUlSR_E_NS1_11comp_targetILNS1_3genE2ELNS1_11target_archE906ELNS1_3gpuE6ELNS1_3repE0EEENS1_30default_config_static_selectorELNS0_4arch9wavefront6targetE0EEEvT1_.numbered_sgpr, 0
	.set _ZN7rocprim17ROCPRIM_400000_NS6detail17trampoline_kernelINS0_14default_configENS1_20scan_config_selectorIfEEZZNS1_9scan_implILNS1_25lookback_scan_determinismE0ELb0ELb0ES3_PKfPffZZZN2at6native31launch_logcumsumexp_cuda_kernelERKNSB_10TensorBaseESF_lENKUlvE_clEvENKUlvE0_clEvEUlffE_fEEDaPvRmT3_T4_T5_mT6_P12ihipStream_tbENKUlT_T0_E_clISt17integral_constantIbLb0EESW_EEDaSR_SS_EUlSR_E_NS1_11comp_targetILNS1_3genE2ELNS1_11target_archE906ELNS1_3gpuE6ELNS1_3repE0EEENS1_30default_config_static_selectorELNS0_4arch9wavefront6targetE0EEEvT1_.num_named_barrier, 0
	.set _ZN7rocprim17ROCPRIM_400000_NS6detail17trampoline_kernelINS0_14default_configENS1_20scan_config_selectorIfEEZZNS1_9scan_implILNS1_25lookback_scan_determinismE0ELb0ELb0ES3_PKfPffZZZN2at6native31launch_logcumsumexp_cuda_kernelERKNSB_10TensorBaseESF_lENKUlvE_clEvENKUlvE0_clEvEUlffE_fEEDaPvRmT3_T4_T5_mT6_P12ihipStream_tbENKUlT_T0_E_clISt17integral_constantIbLb0EESW_EEDaSR_SS_EUlSR_E_NS1_11comp_targetILNS1_3genE2ELNS1_11target_archE906ELNS1_3gpuE6ELNS1_3repE0EEENS1_30default_config_static_selectorELNS0_4arch9wavefront6targetE0EEEvT1_.private_seg_size, 0
	.set _ZN7rocprim17ROCPRIM_400000_NS6detail17trampoline_kernelINS0_14default_configENS1_20scan_config_selectorIfEEZZNS1_9scan_implILNS1_25lookback_scan_determinismE0ELb0ELb0ES3_PKfPffZZZN2at6native31launch_logcumsumexp_cuda_kernelERKNSB_10TensorBaseESF_lENKUlvE_clEvENKUlvE0_clEvEUlffE_fEEDaPvRmT3_T4_T5_mT6_P12ihipStream_tbENKUlT_T0_E_clISt17integral_constantIbLb0EESW_EEDaSR_SS_EUlSR_E_NS1_11comp_targetILNS1_3genE2ELNS1_11target_archE906ELNS1_3gpuE6ELNS1_3repE0EEENS1_30default_config_static_selectorELNS0_4arch9wavefront6targetE0EEEvT1_.uses_vcc, 0
	.set _ZN7rocprim17ROCPRIM_400000_NS6detail17trampoline_kernelINS0_14default_configENS1_20scan_config_selectorIfEEZZNS1_9scan_implILNS1_25lookback_scan_determinismE0ELb0ELb0ES3_PKfPffZZZN2at6native31launch_logcumsumexp_cuda_kernelERKNSB_10TensorBaseESF_lENKUlvE_clEvENKUlvE0_clEvEUlffE_fEEDaPvRmT3_T4_T5_mT6_P12ihipStream_tbENKUlT_T0_E_clISt17integral_constantIbLb0EESW_EEDaSR_SS_EUlSR_E_NS1_11comp_targetILNS1_3genE2ELNS1_11target_archE906ELNS1_3gpuE6ELNS1_3repE0EEENS1_30default_config_static_selectorELNS0_4arch9wavefront6targetE0EEEvT1_.uses_flat_scratch, 0
	.set _ZN7rocprim17ROCPRIM_400000_NS6detail17trampoline_kernelINS0_14default_configENS1_20scan_config_selectorIfEEZZNS1_9scan_implILNS1_25lookback_scan_determinismE0ELb0ELb0ES3_PKfPffZZZN2at6native31launch_logcumsumexp_cuda_kernelERKNSB_10TensorBaseESF_lENKUlvE_clEvENKUlvE0_clEvEUlffE_fEEDaPvRmT3_T4_T5_mT6_P12ihipStream_tbENKUlT_T0_E_clISt17integral_constantIbLb0EESW_EEDaSR_SS_EUlSR_E_NS1_11comp_targetILNS1_3genE2ELNS1_11target_archE906ELNS1_3gpuE6ELNS1_3repE0EEENS1_30default_config_static_selectorELNS0_4arch9wavefront6targetE0EEEvT1_.has_dyn_sized_stack, 0
	.set _ZN7rocprim17ROCPRIM_400000_NS6detail17trampoline_kernelINS0_14default_configENS1_20scan_config_selectorIfEEZZNS1_9scan_implILNS1_25lookback_scan_determinismE0ELb0ELb0ES3_PKfPffZZZN2at6native31launch_logcumsumexp_cuda_kernelERKNSB_10TensorBaseESF_lENKUlvE_clEvENKUlvE0_clEvEUlffE_fEEDaPvRmT3_T4_T5_mT6_P12ihipStream_tbENKUlT_T0_E_clISt17integral_constantIbLb0EESW_EEDaSR_SS_EUlSR_E_NS1_11comp_targetILNS1_3genE2ELNS1_11target_archE906ELNS1_3gpuE6ELNS1_3repE0EEENS1_30default_config_static_selectorELNS0_4arch9wavefront6targetE0EEEvT1_.has_recursion, 0
	.set _ZN7rocprim17ROCPRIM_400000_NS6detail17trampoline_kernelINS0_14default_configENS1_20scan_config_selectorIfEEZZNS1_9scan_implILNS1_25lookback_scan_determinismE0ELb0ELb0ES3_PKfPffZZZN2at6native31launch_logcumsumexp_cuda_kernelERKNSB_10TensorBaseESF_lENKUlvE_clEvENKUlvE0_clEvEUlffE_fEEDaPvRmT3_T4_T5_mT6_P12ihipStream_tbENKUlT_T0_E_clISt17integral_constantIbLb0EESW_EEDaSR_SS_EUlSR_E_NS1_11comp_targetILNS1_3genE2ELNS1_11target_archE906ELNS1_3gpuE6ELNS1_3repE0EEENS1_30default_config_static_selectorELNS0_4arch9wavefront6targetE0EEEvT1_.has_indirect_call, 0
	.section	.AMDGPU.csdata,"",@progbits
; Kernel info:
; codeLenInByte = 0
; TotalNumSgprs: 0
; NumVgprs: 0
; ScratchSize: 0
; MemoryBound: 0
; FloatMode: 240
; IeeeMode: 1
; LDSByteSize: 0 bytes/workgroup (compile time only)
; SGPRBlocks: 0
; VGPRBlocks: 0
; NumSGPRsForWavesPerEU: 1
; NumVGPRsForWavesPerEU: 1
; Occupancy: 16
; WaveLimiterHint : 0
; COMPUTE_PGM_RSRC2:SCRATCH_EN: 0
; COMPUTE_PGM_RSRC2:USER_SGPR: 6
; COMPUTE_PGM_RSRC2:TRAP_HANDLER: 0
; COMPUTE_PGM_RSRC2:TGID_X_EN: 1
; COMPUTE_PGM_RSRC2:TGID_Y_EN: 0
; COMPUTE_PGM_RSRC2:TGID_Z_EN: 0
; COMPUTE_PGM_RSRC2:TIDIG_COMP_CNT: 0
	.section	.text._ZN7rocprim17ROCPRIM_400000_NS6detail17trampoline_kernelINS0_14default_configENS1_20scan_config_selectorIfEEZZNS1_9scan_implILNS1_25lookback_scan_determinismE0ELb0ELb0ES3_PKfPffZZZN2at6native31launch_logcumsumexp_cuda_kernelERKNSB_10TensorBaseESF_lENKUlvE_clEvENKUlvE0_clEvEUlffE_fEEDaPvRmT3_T4_T5_mT6_P12ihipStream_tbENKUlT_T0_E_clISt17integral_constantIbLb0EESW_EEDaSR_SS_EUlSR_E_NS1_11comp_targetILNS1_3genE10ELNS1_11target_archE1201ELNS1_3gpuE5ELNS1_3repE0EEENS1_30default_config_static_selectorELNS0_4arch9wavefront6targetE0EEEvT1_,"axG",@progbits,_ZN7rocprim17ROCPRIM_400000_NS6detail17trampoline_kernelINS0_14default_configENS1_20scan_config_selectorIfEEZZNS1_9scan_implILNS1_25lookback_scan_determinismE0ELb0ELb0ES3_PKfPffZZZN2at6native31launch_logcumsumexp_cuda_kernelERKNSB_10TensorBaseESF_lENKUlvE_clEvENKUlvE0_clEvEUlffE_fEEDaPvRmT3_T4_T5_mT6_P12ihipStream_tbENKUlT_T0_E_clISt17integral_constantIbLb0EESW_EEDaSR_SS_EUlSR_E_NS1_11comp_targetILNS1_3genE10ELNS1_11target_archE1201ELNS1_3gpuE5ELNS1_3repE0EEENS1_30default_config_static_selectorELNS0_4arch9wavefront6targetE0EEEvT1_,comdat
	.globl	_ZN7rocprim17ROCPRIM_400000_NS6detail17trampoline_kernelINS0_14default_configENS1_20scan_config_selectorIfEEZZNS1_9scan_implILNS1_25lookback_scan_determinismE0ELb0ELb0ES3_PKfPffZZZN2at6native31launch_logcumsumexp_cuda_kernelERKNSB_10TensorBaseESF_lENKUlvE_clEvENKUlvE0_clEvEUlffE_fEEDaPvRmT3_T4_T5_mT6_P12ihipStream_tbENKUlT_T0_E_clISt17integral_constantIbLb0EESW_EEDaSR_SS_EUlSR_E_NS1_11comp_targetILNS1_3genE10ELNS1_11target_archE1201ELNS1_3gpuE5ELNS1_3repE0EEENS1_30default_config_static_selectorELNS0_4arch9wavefront6targetE0EEEvT1_ ; -- Begin function _ZN7rocprim17ROCPRIM_400000_NS6detail17trampoline_kernelINS0_14default_configENS1_20scan_config_selectorIfEEZZNS1_9scan_implILNS1_25lookback_scan_determinismE0ELb0ELb0ES3_PKfPffZZZN2at6native31launch_logcumsumexp_cuda_kernelERKNSB_10TensorBaseESF_lENKUlvE_clEvENKUlvE0_clEvEUlffE_fEEDaPvRmT3_T4_T5_mT6_P12ihipStream_tbENKUlT_T0_E_clISt17integral_constantIbLb0EESW_EEDaSR_SS_EUlSR_E_NS1_11comp_targetILNS1_3genE10ELNS1_11target_archE1201ELNS1_3gpuE5ELNS1_3repE0EEENS1_30default_config_static_selectorELNS0_4arch9wavefront6targetE0EEEvT1_
	.p2align	8
	.type	_ZN7rocprim17ROCPRIM_400000_NS6detail17trampoline_kernelINS0_14default_configENS1_20scan_config_selectorIfEEZZNS1_9scan_implILNS1_25lookback_scan_determinismE0ELb0ELb0ES3_PKfPffZZZN2at6native31launch_logcumsumexp_cuda_kernelERKNSB_10TensorBaseESF_lENKUlvE_clEvENKUlvE0_clEvEUlffE_fEEDaPvRmT3_T4_T5_mT6_P12ihipStream_tbENKUlT_T0_E_clISt17integral_constantIbLb0EESW_EEDaSR_SS_EUlSR_E_NS1_11comp_targetILNS1_3genE10ELNS1_11target_archE1201ELNS1_3gpuE5ELNS1_3repE0EEENS1_30default_config_static_selectorELNS0_4arch9wavefront6targetE0EEEvT1_,@function
_ZN7rocprim17ROCPRIM_400000_NS6detail17trampoline_kernelINS0_14default_configENS1_20scan_config_selectorIfEEZZNS1_9scan_implILNS1_25lookback_scan_determinismE0ELb0ELb0ES3_PKfPffZZZN2at6native31launch_logcumsumexp_cuda_kernelERKNSB_10TensorBaseESF_lENKUlvE_clEvENKUlvE0_clEvEUlffE_fEEDaPvRmT3_T4_T5_mT6_P12ihipStream_tbENKUlT_T0_E_clISt17integral_constantIbLb0EESW_EEDaSR_SS_EUlSR_E_NS1_11comp_targetILNS1_3genE10ELNS1_11target_archE1201ELNS1_3gpuE5ELNS1_3repE0EEENS1_30default_config_static_selectorELNS0_4arch9wavefront6targetE0EEEvT1_: ; @_ZN7rocprim17ROCPRIM_400000_NS6detail17trampoline_kernelINS0_14default_configENS1_20scan_config_selectorIfEEZZNS1_9scan_implILNS1_25lookback_scan_determinismE0ELb0ELb0ES3_PKfPffZZZN2at6native31launch_logcumsumexp_cuda_kernelERKNSB_10TensorBaseESF_lENKUlvE_clEvENKUlvE0_clEvEUlffE_fEEDaPvRmT3_T4_T5_mT6_P12ihipStream_tbENKUlT_T0_E_clISt17integral_constantIbLb0EESW_EEDaSR_SS_EUlSR_E_NS1_11comp_targetILNS1_3genE10ELNS1_11target_archE1201ELNS1_3gpuE5ELNS1_3repE0EEENS1_30default_config_static_selectorELNS0_4arch9wavefront6targetE0EEEvT1_
; %bb.0:
	.section	.rodata,"a",@progbits
	.p2align	6, 0x0
	.amdhsa_kernel _ZN7rocprim17ROCPRIM_400000_NS6detail17trampoline_kernelINS0_14default_configENS1_20scan_config_selectorIfEEZZNS1_9scan_implILNS1_25lookback_scan_determinismE0ELb0ELb0ES3_PKfPffZZZN2at6native31launch_logcumsumexp_cuda_kernelERKNSB_10TensorBaseESF_lENKUlvE_clEvENKUlvE0_clEvEUlffE_fEEDaPvRmT3_T4_T5_mT6_P12ihipStream_tbENKUlT_T0_E_clISt17integral_constantIbLb0EESW_EEDaSR_SS_EUlSR_E_NS1_11comp_targetILNS1_3genE10ELNS1_11target_archE1201ELNS1_3gpuE5ELNS1_3repE0EEENS1_30default_config_static_selectorELNS0_4arch9wavefront6targetE0EEEvT1_
		.amdhsa_group_segment_fixed_size 0
		.amdhsa_private_segment_fixed_size 0
		.amdhsa_kernarg_size 96
		.amdhsa_user_sgpr_count 6
		.amdhsa_user_sgpr_private_segment_buffer 1
		.amdhsa_user_sgpr_dispatch_ptr 0
		.amdhsa_user_sgpr_queue_ptr 0
		.amdhsa_user_sgpr_kernarg_segment_ptr 1
		.amdhsa_user_sgpr_dispatch_id 0
		.amdhsa_user_sgpr_flat_scratch_init 0
		.amdhsa_user_sgpr_private_segment_size 0
		.amdhsa_wavefront_size32 1
		.amdhsa_uses_dynamic_stack 0
		.amdhsa_system_sgpr_private_segment_wavefront_offset 0
		.amdhsa_system_sgpr_workgroup_id_x 1
		.amdhsa_system_sgpr_workgroup_id_y 0
		.amdhsa_system_sgpr_workgroup_id_z 0
		.amdhsa_system_sgpr_workgroup_info 0
		.amdhsa_system_vgpr_workitem_id 0
		.amdhsa_next_free_vgpr 1
		.amdhsa_next_free_sgpr 1
		.amdhsa_reserve_vcc 0
		.amdhsa_reserve_flat_scratch 0
		.amdhsa_float_round_mode_32 0
		.amdhsa_float_round_mode_16_64 0
		.amdhsa_float_denorm_mode_32 3
		.amdhsa_float_denorm_mode_16_64 3
		.amdhsa_dx10_clamp 1
		.amdhsa_ieee_mode 1
		.amdhsa_fp16_overflow 0
		.amdhsa_workgroup_processor_mode 1
		.amdhsa_memory_ordered 1
		.amdhsa_forward_progress 1
		.amdhsa_shared_vgpr_count 0
		.amdhsa_exception_fp_ieee_invalid_op 0
		.amdhsa_exception_fp_denorm_src 0
		.amdhsa_exception_fp_ieee_div_zero 0
		.amdhsa_exception_fp_ieee_overflow 0
		.amdhsa_exception_fp_ieee_underflow 0
		.amdhsa_exception_fp_ieee_inexact 0
		.amdhsa_exception_int_div_zero 0
	.end_amdhsa_kernel
	.section	.text._ZN7rocprim17ROCPRIM_400000_NS6detail17trampoline_kernelINS0_14default_configENS1_20scan_config_selectorIfEEZZNS1_9scan_implILNS1_25lookback_scan_determinismE0ELb0ELb0ES3_PKfPffZZZN2at6native31launch_logcumsumexp_cuda_kernelERKNSB_10TensorBaseESF_lENKUlvE_clEvENKUlvE0_clEvEUlffE_fEEDaPvRmT3_T4_T5_mT6_P12ihipStream_tbENKUlT_T0_E_clISt17integral_constantIbLb0EESW_EEDaSR_SS_EUlSR_E_NS1_11comp_targetILNS1_3genE10ELNS1_11target_archE1201ELNS1_3gpuE5ELNS1_3repE0EEENS1_30default_config_static_selectorELNS0_4arch9wavefront6targetE0EEEvT1_,"axG",@progbits,_ZN7rocprim17ROCPRIM_400000_NS6detail17trampoline_kernelINS0_14default_configENS1_20scan_config_selectorIfEEZZNS1_9scan_implILNS1_25lookback_scan_determinismE0ELb0ELb0ES3_PKfPffZZZN2at6native31launch_logcumsumexp_cuda_kernelERKNSB_10TensorBaseESF_lENKUlvE_clEvENKUlvE0_clEvEUlffE_fEEDaPvRmT3_T4_T5_mT6_P12ihipStream_tbENKUlT_T0_E_clISt17integral_constantIbLb0EESW_EEDaSR_SS_EUlSR_E_NS1_11comp_targetILNS1_3genE10ELNS1_11target_archE1201ELNS1_3gpuE5ELNS1_3repE0EEENS1_30default_config_static_selectorELNS0_4arch9wavefront6targetE0EEEvT1_,comdat
.Lfunc_end93:
	.size	_ZN7rocprim17ROCPRIM_400000_NS6detail17trampoline_kernelINS0_14default_configENS1_20scan_config_selectorIfEEZZNS1_9scan_implILNS1_25lookback_scan_determinismE0ELb0ELb0ES3_PKfPffZZZN2at6native31launch_logcumsumexp_cuda_kernelERKNSB_10TensorBaseESF_lENKUlvE_clEvENKUlvE0_clEvEUlffE_fEEDaPvRmT3_T4_T5_mT6_P12ihipStream_tbENKUlT_T0_E_clISt17integral_constantIbLb0EESW_EEDaSR_SS_EUlSR_E_NS1_11comp_targetILNS1_3genE10ELNS1_11target_archE1201ELNS1_3gpuE5ELNS1_3repE0EEENS1_30default_config_static_selectorELNS0_4arch9wavefront6targetE0EEEvT1_, .Lfunc_end93-_ZN7rocprim17ROCPRIM_400000_NS6detail17trampoline_kernelINS0_14default_configENS1_20scan_config_selectorIfEEZZNS1_9scan_implILNS1_25lookback_scan_determinismE0ELb0ELb0ES3_PKfPffZZZN2at6native31launch_logcumsumexp_cuda_kernelERKNSB_10TensorBaseESF_lENKUlvE_clEvENKUlvE0_clEvEUlffE_fEEDaPvRmT3_T4_T5_mT6_P12ihipStream_tbENKUlT_T0_E_clISt17integral_constantIbLb0EESW_EEDaSR_SS_EUlSR_E_NS1_11comp_targetILNS1_3genE10ELNS1_11target_archE1201ELNS1_3gpuE5ELNS1_3repE0EEENS1_30default_config_static_selectorELNS0_4arch9wavefront6targetE0EEEvT1_
                                        ; -- End function
	.set _ZN7rocprim17ROCPRIM_400000_NS6detail17trampoline_kernelINS0_14default_configENS1_20scan_config_selectorIfEEZZNS1_9scan_implILNS1_25lookback_scan_determinismE0ELb0ELb0ES3_PKfPffZZZN2at6native31launch_logcumsumexp_cuda_kernelERKNSB_10TensorBaseESF_lENKUlvE_clEvENKUlvE0_clEvEUlffE_fEEDaPvRmT3_T4_T5_mT6_P12ihipStream_tbENKUlT_T0_E_clISt17integral_constantIbLb0EESW_EEDaSR_SS_EUlSR_E_NS1_11comp_targetILNS1_3genE10ELNS1_11target_archE1201ELNS1_3gpuE5ELNS1_3repE0EEENS1_30default_config_static_selectorELNS0_4arch9wavefront6targetE0EEEvT1_.num_vgpr, 0
	.set _ZN7rocprim17ROCPRIM_400000_NS6detail17trampoline_kernelINS0_14default_configENS1_20scan_config_selectorIfEEZZNS1_9scan_implILNS1_25lookback_scan_determinismE0ELb0ELb0ES3_PKfPffZZZN2at6native31launch_logcumsumexp_cuda_kernelERKNSB_10TensorBaseESF_lENKUlvE_clEvENKUlvE0_clEvEUlffE_fEEDaPvRmT3_T4_T5_mT6_P12ihipStream_tbENKUlT_T0_E_clISt17integral_constantIbLb0EESW_EEDaSR_SS_EUlSR_E_NS1_11comp_targetILNS1_3genE10ELNS1_11target_archE1201ELNS1_3gpuE5ELNS1_3repE0EEENS1_30default_config_static_selectorELNS0_4arch9wavefront6targetE0EEEvT1_.num_agpr, 0
	.set _ZN7rocprim17ROCPRIM_400000_NS6detail17trampoline_kernelINS0_14default_configENS1_20scan_config_selectorIfEEZZNS1_9scan_implILNS1_25lookback_scan_determinismE0ELb0ELb0ES3_PKfPffZZZN2at6native31launch_logcumsumexp_cuda_kernelERKNSB_10TensorBaseESF_lENKUlvE_clEvENKUlvE0_clEvEUlffE_fEEDaPvRmT3_T4_T5_mT6_P12ihipStream_tbENKUlT_T0_E_clISt17integral_constantIbLb0EESW_EEDaSR_SS_EUlSR_E_NS1_11comp_targetILNS1_3genE10ELNS1_11target_archE1201ELNS1_3gpuE5ELNS1_3repE0EEENS1_30default_config_static_selectorELNS0_4arch9wavefront6targetE0EEEvT1_.numbered_sgpr, 0
	.set _ZN7rocprim17ROCPRIM_400000_NS6detail17trampoline_kernelINS0_14default_configENS1_20scan_config_selectorIfEEZZNS1_9scan_implILNS1_25lookback_scan_determinismE0ELb0ELb0ES3_PKfPffZZZN2at6native31launch_logcumsumexp_cuda_kernelERKNSB_10TensorBaseESF_lENKUlvE_clEvENKUlvE0_clEvEUlffE_fEEDaPvRmT3_T4_T5_mT6_P12ihipStream_tbENKUlT_T0_E_clISt17integral_constantIbLb0EESW_EEDaSR_SS_EUlSR_E_NS1_11comp_targetILNS1_3genE10ELNS1_11target_archE1201ELNS1_3gpuE5ELNS1_3repE0EEENS1_30default_config_static_selectorELNS0_4arch9wavefront6targetE0EEEvT1_.num_named_barrier, 0
	.set _ZN7rocprim17ROCPRIM_400000_NS6detail17trampoline_kernelINS0_14default_configENS1_20scan_config_selectorIfEEZZNS1_9scan_implILNS1_25lookback_scan_determinismE0ELb0ELb0ES3_PKfPffZZZN2at6native31launch_logcumsumexp_cuda_kernelERKNSB_10TensorBaseESF_lENKUlvE_clEvENKUlvE0_clEvEUlffE_fEEDaPvRmT3_T4_T5_mT6_P12ihipStream_tbENKUlT_T0_E_clISt17integral_constantIbLb0EESW_EEDaSR_SS_EUlSR_E_NS1_11comp_targetILNS1_3genE10ELNS1_11target_archE1201ELNS1_3gpuE5ELNS1_3repE0EEENS1_30default_config_static_selectorELNS0_4arch9wavefront6targetE0EEEvT1_.private_seg_size, 0
	.set _ZN7rocprim17ROCPRIM_400000_NS6detail17trampoline_kernelINS0_14default_configENS1_20scan_config_selectorIfEEZZNS1_9scan_implILNS1_25lookback_scan_determinismE0ELb0ELb0ES3_PKfPffZZZN2at6native31launch_logcumsumexp_cuda_kernelERKNSB_10TensorBaseESF_lENKUlvE_clEvENKUlvE0_clEvEUlffE_fEEDaPvRmT3_T4_T5_mT6_P12ihipStream_tbENKUlT_T0_E_clISt17integral_constantIbLb0EESW_EEDaSR_SS_EUlSR_E_NS1_11comp_targetILNS1_3genE10ELNS1_11target_archE1201ELNS1_3gpuE5ELNS1_3repE0EEENS1_30default_config_static_selectorELNS0_4arch9wavefront6targetE0EEEvT1_.uses_vcc, 0
	.set _ZN7rocprim17ROCPRIM_400000_NS6detail17trampoline_kernelINS0_14default_configENS1_20scan_config_selectorIfEEZZNS1_9scan_implILNS1_25lookback_scan_determinismE0ELb0ELb0ES3_PKfPffZZZN2at6native31launch_logcumsumexp_cuda_kernelERKNSB_10TensorBaseESF_lENKUlvE_clEvENKUlvE0_clEvEUlffE_fEEDaPvRmT3_T4_T5_mT6_P12ihipStream_tbENKUlT_T0_E_clISt17integral_constantIbLb0EESW_EEDaSR_SS_EUlSR_E_NS1_11comp_targetILNS1_3genE10ELNS1_11target_archE1201ELNS1_3gpuE5ELNS1_3repE0EEENS1_30default_config_static_selectorELNS0_4arch9wavefront6targetE0EEEvT1_.uses_flat_scratch, 0
	.set _ZN7rocprim17ROCPRIM_400000_NS6detail17trampoline_kernelINS0_14default_configENS1_20scan_config_selectorIfEEZZNS1_9scan_implILNS1_25lookback_scan_determinismE0ELb0ELb0ES3_PKfPffZZZN2at6native31launch_logcumsumexp_cuda_kernelERKNSB_10TensorBaseESF_lENKUlvE_clEvENKUlvE0_clEvEUlffE_fEEDaPvRmT3_T4_T5_mT6_P12ihipStream_tbENKUlT_T0_E_clISt17integral_constantIbLb0EESW_EEDaSR_SS_EUlSR_E_NS1_11comp_targetILNS1_3genE10ELNS1_11target_archE1201ELNS1_3gpuE5ELNS1_3repE0EEENS1_30default_config_static_selectorELNS0_4arch9wavefront6targetE0EEEvT1_.has_dyn_sized_stack, 0
	.set _ZN7rocprim17ROCPRIM_400000_NS6detail17trampoline_kernelINS0_14default_configENS1_20scan_config_selectorIfEEZZNS1_9scan_implILNS1_25lookback_scan_determinismE0ELb0ELb0ES3_PKfPffZZZN2at6native31launch_logcumsumexp_cuda_kernelERKNSB_10TensorBaseESF_lENKUlvE_clEvENKUlvE0_clEvEUlffE_fEEDaPvRmT3_T4_T5_mT6_P12ihipStream_tbENKUlT_T0_E_clISt17integral_constantIbLb0EESW_EEDaSR_SS_EUlSR_E_NS1_11comp_targetILNS1_3genE10ELNS1_11target_archE1201ELNS1_3gpuE5ELNS1_3repE0EEENS1_30default_config_static_selectorELNS0_4arch9wavefront6targetE0EEEvT1_.has_recursion, 0
	.set _ZN7rocprim17ROCPRIM_400000_NS6detail17trampoline_kernelINS0_14default_configENS1_20scan_config_selectorIfEEZZNS1_9scan_implILNS1_25lookback_scan_determinismE0ELb0ELb0ES3_PKfPffZZZN2at6native31launch_logcumsumexp_cuda_kernelERKNSB_10TensorBaseESF_lENKUlvE_clEvENKUlvE0_clEvEUlffE_fEEDaPvRmT3_T4_T5_mT6_P12ihipStream_tbENKUlT_T0_E_clISt17integral_constantIbLb0EESW_EEDaSR_SS_EUlSR_E_NS1_11comp_targetILNS1_3genE10ELNS1_11target_archE1201ELNS1_3gpuE5ELNS1_3repE0EEENS1_30default_config_static_selectorELNS0_4arch9wavefront6targetE0EEEvT1_.has_indirect_call, 0
	.section	.AMDGPU.csdata,"",@progbits
; Kernel info:
; codeLenInByte = 0
; TotalNumSgprs: 0
; NumVgprs: 0
; ScratchSize: 0
; MemoryBound: 0
; FloatMode: 240
; IeeeMode: 1
; LDSByteSize: 0 bytes/workgroup (compile time only)
; SGPRBlocks: 0
; VGPRBlocks: 0
; NumSGPRsForWavesPerEU: 1
; NumVGPRsForWavesPerEU: 1
; Occupancy: 16
; WaveLimiterHint : 0
; COMPUTE_PGM_RSRC2:SCRATCH_EN: 0
; COMPUTE_PGM_RSRC2:USER_SGPR: 6
; COMPUTE_PGM_RSRC2:TRAP_HANDLER: 0
; COMPUTE_PGM_RSRC2:TGID_X_EN: 1
; COMPUTE_PGM_RSRC2:TGID_Y_EN: 0
; COMPUTE_PGM_RSRC2:TGID_Z_EN: 0
; COMPUTE_PGM_RSRC2:TIDIG_COMP_CNT: 0
	.section	.text._ZN7rocprim17ROCPRIM_400000_NS6detail17trampoline_kernelINS0_14default_configENS1_20scan_config_selectorIfEEZZNS1_9scan_implILNS1_25lookback_scan_determinismE0ELb0ELb0ES3_PKfPffZZZN2at6native31launch_logcumsumexp_cuda_kernelERKNSB_10TensorBaseESF_lENKUlvE_clEvENKUlvE0_clEvEUlffE_fEEDaPvRmT3_T4_T5_mT6_P12ihipStream_tbENKUlT_T0_E_clISt17integral_constantIbLb0EESW_EEDaSR_SS_EUlSR_E_NS1_11comp_targetILNS1_3genE10ELNS1_11target_archE1200ELNS1_3gpuE4ELNS1_3repE0EEENS1_30default_config_static_selectorELNS0_4arch9wavefront6targetE0EEEvT1_,"axG",@progbits,_ZN7rocprim17ROCPRIM_400000_NS6detail17trampoline_kernelINS0_14default_configENS1_20scan_config_selectorIfEEZZNS1_9scan_implILNS1_25lookback_scan_determinismE0ELb0ELb0ES3_PKfPffZZZN2at6native31launch_logcumsumexp_cuda_kernelERKNSB_10TensorBaseESF_lENKUlvE_clEvENKUlvE0_clEvEUlffE_fEEDaPvRmT3_T4_T5_mT6_P12ihipStream_tbENKUlT_T0_E_clISt17integral_constantIbLb0EESW_EEDaSR_SS_EUlSR_E_NS1_11comp_targetILNS1_3genE10ELNS1_11target_archE1200ELNS1_3gpuE4ELNS1_3repE0EEENS1_30default_config_static_selectorELNS0_4arch9wavefront6targetE0EEEvT1_,comdat
	.globl	_ZN7rocprim17ROCPRIM_400000_NS6detail17trampoline_kernelINS0_14default_configENS1_20scan_config_selectorIfEEZZNS1_9scan_implILNS1_25lookback_scan_determinismE0ELb0ELb0ES3_PKfPffZZZN2at6native31launch_logcumsumexp_cuda_kernelERKNSB_10TensorBaseESF_lENKUlvE_clEvENKUlvE0_clEvEUlffE_fEEDaPvRmT3_T4_T5_mT6_P12ihipStream_tbENKUlT_T0_E_clISt17integral_constantIbLb0EESW_EEDaSR_SS_EUlSR_E_NS1_11comp_targetILNS1_3genE10ELNS1_11target_archE1200ELNS1_3gpuE4ELNS1_3repE0EEENS1_30default_config_static_selectorELNS0_4arch9wavefront6targetE0EEEvT1_ ; -- Begin function _ZN7rocprim17ROCPRIM_400000_NS6detail17trampoline_kernelINS0_14default_configENS1_20scan_config_selectorIfEEZZNS1_9scan_implILNS1_25lookback_scan_determinismE0ELb0ELb0ES3_PKfPffZZZN2at6native31launch_logcumsumexp_cuda_kernelERKNSB_10TensorBaseESF_lENKUlvE_clEvENKUlvE0_clEvEUlffE_fEEDaPvRmT3_T4_T5_mT6_P12ihipStream_tbENKUlT_T0_E_clISt17integral_constantIbLb0EESW_EEDaSR_SS_EUlSR_E_NS1_11comp_targetILNS1_3genE10ELNS1_11target_archE1200ELNS1_3gpuE4ELNS1_3repE0EEENS1_30default_config_static_selectorELNS0_4arch9wavefront6targetE0EEEvT1_
	.p2align	8
	.type	_ZN7rocprim17ROCPRIM_400000_NS6detail17trampoline_kernelINS0_14default_configENS1_20scan_config_selectorIfEEZZNS1_9scan_implILNS1_25lookback_scan_determinismE0ELb0ELb0ES3_PKfPffZZZN2at6native31launch_logcumsumexp_cuda_kernelERKNSB_10TensorBaseESF_lENKUlvE_clEvENKUlvE0_clEvEUlffE_fEEDaPvRmT3_T4_T5_mT6_P12ihipStream_tbENKUlT_T0_E_clISt17integral_constantIbLb0EESW_EEDaSR_SS_EUlSR_E_NS1_11comp_targetILNS1_3genE10ELNS1_11target_archE1200ELNS1_3gpuE4ELNS1_3repE0EEENS1_30default_config_static_selectorELNS0_4arch9wavefront6targetE0EEEvT1_,@function
_ZN7rocprim17ROCPRIM_400000_NS6detail17trampoline_kernelINS0_14default_configENS1_20scan_config_selectorIfEEZZNS1_9scan_implILNS1_25lookback_scan_determinismE0ELb0ELb0ES3_PKfPffZZZN2at6native31launch_logcumsumexp_cuda_kernelERKNSB_10TensorBaseESF_lENKUlvE_clEvENKUlvE0_clEvEUlffE_fEEDaPvRmT3_T4_T5_mT6_P12ihipStream_tbENKUlT_T0_E_clISt17integral_constantIbLb0EESW_EEDaSR_SS_EUlSR_E_NS1_11comp_targetILNS1_3genE10ELNS1_11target_archE1200ELNS1_3gpuE4ELNS1_3repE0EEENS1_30default_config_static_selectorELNS0_4arch9wavefront6targetE0EEEvT1_: ; @_ZN7rocprim17ROCPRIM_400000_NS6detail17trampoline_kernelINS0_14default_configENS1_20scan_config_selectorIfEEZZNS1_9scan_implILNS1_25lookback_scan_determinismE0ELb0ELb0ES3_PKfPffZZZN2at6native31launch_logcumsumexp_cuda_kernelERKNSB_10TensorBaseESF_lENKUlvE_clEvENKUlvE0_clEvEUlffE_fEEDaPvRmT3_T4_T5_mT6_P12ihipStream_tbENKUlT_T0_E_clISt17integral_constantIbLb0EESW_EEDaSR_SS_EUlSR_E_NS1_11comp_targetILNS1_3genE10ELNS1_11target_archE1200ELNS1_3gpuE4ELNS1_3repE0EEENS1_30default_config_static_selectorELNS0_4arch9wavefront6targetE0EEEvT1_
; %bb.0:
	.section	.rodata,"a",@progbits
	.p2align	6, 0x0
	.amdhsa_kernel _ZN7rocprim17ROCPRIM_400000_NS6detail17trampoline_kernelINS0_14default_configENS1_20scan_config_selectorIfEEZZNS1_9scan_implILNS1_25lookback_scan_determinismE0ELb0ELb0ES3_PKfPffZZZN2at6native31launch_logcumsumexp_cuda_kernelERKNSB_10TensorBaseESF_lENKUlvE_clEvENKUlvE0_clEvEUlffE_fEEDaPvRmT3_T4_T5_mT6_P12ihipStream_tbENKUlT_T0_E_clISt17integral_constantIbLb0EESW_EEDaSR_SS_EUlSR_E_NS1_11comp_targetILNS1_3genE10ELNS1_11target_archE1200ELNS1_3gpuE4ELNS1_3repE0EEENS1_30default_config_static_selectorELNS0_4arch9wavefront6targetE0EEEvT1_
		.amdhsa_group_segment_fixed_size 0
		.amdhsa_private_segment_fixed_size 0
		.amdhsa_kernarg_size 96
		.amdhsa_user_sgpr_count 6
		.amdhsa_user_sgpr_private_segment_buffer 1
		.amdhsa_user_sgpr_dispatch_ptr 0
		.amdhsa_user_sgpr_queue_ptr 0
		.amdhsa_user_sgpr_kernarg_segment_ptr 1
		.amdhsa_user_sgpr_dispatch_id 0
		.amdhsa_user_sgpr_flat_scratch_init 0
		.amdhsa_user_sgpr_private_segment_size 0
		.amdhsa_wavefront_size32 1
		.amdhsa_uses_dynamic_stack 0
		.amdhsa_system_sgpr_private_segment_wavefront_offset 0
		.amdhsa_system_sgpr_workgroup_id_x 1
		.amdhsa_system_sgpr_workgroup_id_y 0
		.amdhsa_system_sgpr_workgroup_id_z 0
		.amdhsa_system_sgpr_workgroup_info 0
		.amdhsa_system_vgpr_workitem_id 0
		.amdhsa_next_free_vgpr 1
		.amdhsa_next_free_sgpr 1
		.amdhsa_reserve_vcc 0
		.amdhsa_reserve_flat_scratch 0
		.amdhsa_float_round_mode_32 0
		.amdhsa_float_round_mode_16_64 0
		.amdhsa_float_denorm_mode_32 3
		.amdhsa_float_denorm_mode_16_64 3
		.amdhsa_dx10_clamp 1
		.amdhsa_ieee_mode 1
		.amdhsa_fp16_overflow 0
		.amdhsa_workgroup_processor_mode 1
		.amdhsa_memory_ordered 1
		.amdhsa_forward_progress 1
		.amdhsa_shared_vgpr_count 0
		.amdhsa_exception_fp_ieee_invalid_op 0
		.amdhsa_exception_fp_denorm_src 0
		.amdhsa_exception_fp_ieee_div_zero 0
		.amdhsa_exception_fp_ieee_overflow 0
		.amdhsa_exception_fp_ieee_underflow 0
		.amdhsa_exception_fp_ieee_inexact 0
		.amdhsa_exception_int_div_zero 0
	.end_amdhsa_kernel
	.section	.text._ZN7rocprim17ROCPRIM_400000_NS6detail17trampoline_kernelINS0_14default_configENS1_20scan_config_selectorIfEEZZNS1_9scan_implILNS1_25lookback_scan_determinismE0ELb0ELb0ES3_PKfPffZZZN2at6native31launch_logcumsumexp_cuda_kernelERKNSB_10TensorBaseESF_lENKUlvE_clEvENKUlvE0_clEvEUlffE_fEEDaPvRmT3_T4_T5_mT6_P12ihipStream_tbENKUlT_T0_E_clISt17integral_constantIbLb0EESW_EEDaSR_SS_EUlSR_E_NS1_11comp_targetILNS1_3genE10ELNS1_11target_archE1200ELNS1_3gpuE4ELNS1_3repE0EEENS1_30default_config_static_selectorELNS0_4arch9wavefront6targetE0EEEvT1_,"axG",@progbits,_ZN7rocprim17ROCPRIM_400000_NS6detail17trampoline_kernelINS0_14default_configENS1_20scan_config_selectorIfEEZZNS1_9scan_implILNS1_25lookback_scan_determinismE0ELb0ELb0ES3_PKfPffZZZN2at6native31launch_logcumsumexp_cuda_kernelERKNSB_10TensorBaseESF_lENKUlvE_clEvENKUlvE0_clEvEUlffE_fEEDaPvRmT3_T4_T5_mT6_P12ihipStream_tbENKUlT_T0_E_clISt17integral_constantIbLb0EESW_EEDaSR_SS_EUlSR_E_NS1_11comp_targetILNS1_3genE10ELNS1_11target_archE1200ELNS1_3gpuE4ELNS1_3repE0EEENS1_30default_config_static_selectorELNS0_4arch9wavefront6targetE0EEEvT1_,comdat
.Lfunc_end94:
	.size	_ZN7rocprim17ROCPRIM_400000_NS6detail17trampoline_kernelINS0_14default_configENS1_20scan_config_selectorIfEEZZNS1_9scan_implILNS1_25lookback_scan_determinismE0ELb0ELb0ES3_PKfPffZZZN2at6native31launch_logcumsumexp_cuda_kernelERKNSB_10TensorBaseESF_lENKUlvE_clEvENKUlvE0_clEvEUlffE_fEEDaPvRmT3_T4_T5_mT6_P12ihipStream_tbENKUlT_T0_E_clISt17integral_constantIbLb0EESW_EEDaSR_SS_EUlSR_E_NS1_11comp_targetILNS1_3genE10ELNS1_11target_archE1200ELNS1_3gpuE4ELNS1_3repE0EEENS1_30default_config_static_selectorELNS0_4arch9wavefront6targetE0EEEvT1_, .Lfunc_end94-_ZN7rocprim17ROCPRIM_400000_NS6detail17trampoline_kernelINS0_14default_configENS1_20scan_config_selectorIfEEZZNS1_9scan_implILNS1_25lookback_scan_determinismE0ELb0ELb0ES3_PKfPffZZZN2at6native31launch_logcumsumexp_cuda_kernelERKNSB_10TensorBaseESF_lENKUlvE_clEvENKUlvE0_clEvEUlffE_fEEDaPvRmT3_T4_T5_mT6_P12ihipStream_tbENKUlT_T0_E_clISt17integral_constantIbLb0EESW_EEDaSR_SS_EUlSR_E_NS1_11comp_targetILNS1_3genE10ELNS1_11target_archE1200ELNS1_3gpuE4ELNS1_3repE0EEENS1_30default_config_static_selectorELNS0_4arch9wavefront6targetE0EEEvT1_
                                        ; -- End function
	.set _ZN7rocprim17ROCPRIM_400000_NS6detail17trampoline_kernelINS0_14default_configENS1_20scan_config_selectorIfEEZZNS1_9scan_implILNS1_25lookback_scan_determinismE0ELb0ELb0ES3_PKfPffZZZN2at6native31launch_logcumsumexp_cuda_kernelERKNSB_10TensorBaseESF_lENKUlvE_clEvENKUlvE0_clEvEUlffE_fEEDaPvRmT3_T4_T5_mT6_P12ihipStream_tbENKUlT_T0_E_clISt17integral_constantIbLb0EESW_EEDaSR_SS_EUlSR_E_NS1_11comp_targetILNS1_3genE10ELNS1_11target_archE1200ELNS1_3gpuE4ELNS1_3repE0EEENS1_30default_config_static_selectorELNS0_4arch9wavefront6targetE0EEEvT1_.num_vgpr, 0
	.set _ZN7rocprim17ROCPRIM_400000_NS6detail17trampoline_kernelINS0_14default_configENS1_20scan_config_selectorIfEEZZNS1_9scan_implILNS1_25lookback_scan_determinismE0ELb0ELb0ES3_PKfPffZZZN2at6native31launch_logcumsumexp_cuda_kernelERKNSB_10TensorBaseESF_lENKUlvE_clEvENKUlvE0_clEvEUlffE_fEEDaPvRmT3_T4_T5_mT6_P12ihipStream_tbENKUlT_T0_E_clISt17integral_constantIbLb0EESW_EEDaSR_SS_EUlSR_E_NS1_11comp_targetILNS1_3genE10ELNS1_11target_archE1200ELNS1_3gpuE4ELNS1_3repE0EEENS1_30default_config_static_selectorELNS0_4arch9wavefront6targetE0EEEvT1_.num_agpr, 0
	.set _ZN7rocprim17ROCPRIM_400000_NS6detail17trampoline_kernelINS0_14default_configENS1_20scan_config_selectorIfEEZZNS1_9scan_implILNS1_25lookback_scan_determinismE0ELb0ELb0ES3_PKfPffZZZN2at6native31launch_logcumsumexp_cuda_kernelERKNSB_10TensorBaseESF_lENKUlvE_clEvENKUlvE0_clEvEUlffE_fEEDaPvRmT3_T4_T5_mT6_P12ihipStream_tbENKUlT_T0_E_clISt17integral_constantIbLb0EESW_EEDaSR_SS_EUlSR_E_NS1_11comp_targetILNS1_3genE10ELNS1_11target_archE1200ELNS1_3gpuE4ELNS1_3repE0EEENS1_30default_config_static_selectorELNS0_4arch9wavefront6targetE0EEEvT1_.numbered_sgpr, 0
	.set _ZN7rocprim17ROCPRIM_400000_NS6detail17trampoline_kernelINS0_14default_configENS1_20scan_config_selectorIfEEZZNS1_9scan_implILNS1_25lookback_scan_determinismE0ELb0ELb0ES3_PKfPffZZZN2at6native31launch_logcumsumexp_cuda_kernelERKNSB_10TensorBaseESF_lENKUlvE_clEvENKUlvE0_clEvEUlffE_fEEDaPvRmT3_T4_T5_mT6_P12ihipStream_tbENKUlT_T0_E_clISt17integral_constantIbLb0EESW_EEDaSR_SS_EUlSR_E_NS1_11comp_targetILNS1_3genE10ELNS1_11target_archE1200ELNS1_3gpuE4ELNS1_3repE0EEENS1_30default_config_static_selectorELNS0_4arch9wavefront6targetE0EEEvT1_.num_named_barrier, 0
	.set _ZN7rocprim17ROCPRIM_400000_NS6detail17trampoline_kernelINS0_14default_configENS1_20scan_config_selectorIfEEZZNS1_9scan_implILNS1_25lookback_scan_determinismE0ELb0ELb0ES3_PKfPffZZZN2at6native31launch_logcumsumexp_cuda_kernelERKNSB_10TensorBaseESF_lENKUlvE_clEvENKUlvE0_clEvEUlffE_fEEDaPvRmT3_T4_T5_mT6_P12ihipStream_tbENKUlT_T0_E_clISt17integral_constantIbLb0EESW_EEDaSR_SS_EUlSR_E_NS1_11comp_targetILNS1_3genE10ELNS1_11target_archE1200ELNS1_3gpuE4ELNS1_3repE0EEENS1_30default_config_static_selectorELNS0_4arch9wavefront6targetE0EEEvT1_.private_seg_size, 0
	.set _ZN7rocprim17ROCPRIM_400000_NS6detail17trampoline_kernelINS0_14default_configENS1_20scan_config_selectorIfEEZZNS1_9scan_implILNS1_25lookback_scan_determinismE0ELb0ELb0ES3_PKfPffZZZN2at6native31launch_logcumsumexp_cuda_kernelERKNSB_10TensorBaseESF_lENKUlvE_clEvENKUlvE0_clEvEUlffE_fEEDaPvRmT3_T4_T5_mT6_P12ihipStream_tbENKUlT_T0_E_clISt17integral_constantIbLb0EESW_EEDaSR_SS_EUlSR_E_NS1_11comp_targetILNS1_3genE10ELNS1_11target_archE1200ELNS1_3gpuE4ELNS1_3repE0EEENS1_30default_config_static_selectorELNS0_4arch9wavefront6targetE0EEEvT1_.uses_vcc, 0
	.set _ZN7rocprim17ROCPRIM_400000_NS6detail17trampoline_kernelINS0_14default_configENS1_20scan_config_selectorIfEEZZNS1_9scan_implILNS1_25lookback_scan_determinismE0ELb0ELb0ES3_PKfPffZZZN2at6native31launch_logcumsumexp_cuda_kernelERKNSB_10TensorBaseESF_lENKUlvE_clEvENKUlvE0_clEvEUlffE_fEEDaPvRmT3_T4_T5_mT6_P12ihipStream_tbENKUlT_T0_E_clISt17integral_constantIbLb0EESW_EEDaSR_SS_EUlSR_E_NS1_11comp_targetILNS1_3genE10ELNS1_11target_archE1200ELNS1_3gpuE4ELNS1_3repE0EEENS1_30default_config_static_selectorELNS0_4arch9wavefront6targetE0EEEvT1_.uses_flat_scratch, 0
	.set _ZN7rocprim17ROCPRIM_400000_NS6detail17trampoline_kernelINS0_14default_configENS1_20scan_config_selectorIfEEZZNS1_9scan_implILNS1_25lookback_scan_determinismE0ELb0ELb0ES3_PKfPffZZZN2at6native31launch_logcumsumexp_cuda_kernelERKNSB_10TensorBaseESF_lENKUlvE_clEvENKUlvE0_clEvEUlffE_fEEDaPvRmT3_T4_T5_mT6_P12ihipStream_tbENKUlT_T0_E_clISt17integral_constantIbLb0EESW_EEDaSR_SS_EUlSR_E_NS1_11comp_targetILNS1_3genE10ELNS1_11target_archE1200ELNS1_3gpuE4ELNS1_3repE0EEENS1_30default_config_static_selectorELNS0_4arch9wavefront6targetE0EEEvT1_.has_dyn_sized_stack, 0
	.set _ZN7rocprim17ROCPRIM_400000_NS6detail17trampoline_kernelINS0_14default_configENS1_20scan_config_selectorIfEEZZNS1_9scan_implILNS1_25lookback_scan_determinismE0ELb0ELb0ES3_PKfPffZZZN2at6native31launch_logcumsumexp_cuda_kernelERKNSB_10TensorBaseESF_lENKUlvE_clEvENKUlvE0_clEvEUlffE_fEEDaPvRmT3_T4_T5_mT6_P12ihipStream_tbENKUlT_T0_E_clISt17integral_constantIbLb0EESW_EEDaSR_SS_EUlSR_E_NS1_11comp_targetILNS1_3genE10ELNS1_11target_archE1200ELNS1_3gpuE4ELNS1_3repE0EEENS1_30default_config_static_selectorELNS0_4arch9wavefront6targetE0EEEvT1_.has_recursion, 0
	.set _ZN7rocprim17ROCPRIM_400000_NS6detail17trampoline_kernelINS0_14default_configENS1_20scan_config_selectorIfEEZZNS1_9scan_implILNS1_25lookback_scan_determinismE0ELb0ELb0ES3_PKfPffZZZN2at6native31launch_logcumsumexp_cuda_kernelERKNSB_10TensorBaseESF_lENKUlvE_clEvENKUlvE0_clEvEUlffE_fEEDaPvRmT3_T4_T5_mT6_P12ihipStream_tbENKUlT_T0_E_clISt17integral_constantIbLb0EESW_EEDaSR_SS_EUlSR_E_NS1_11comp_targetILNS1_3genE10ELNS1_11target_archE1200ELNS1_3gpuE4ELNS1_3repE0EEENS1_30default_config_static_selectorELNS0_4arch9wavefront6targetE0EEEvT1_.has_indirect_call, 0
	.section	.AMDGPU.csdata,"",@progbits
; Kernel info:
; codeLenInByte = 0
; TotalNumSgprs: 0
; NumVgprs: 0
; ScratchSize: 0
; MemoryBound: 0
; FloatMode: 240
; IeeeMode: 1
; LDSByteSize: 0 bytes/workgroup (compile time only)
; SGPRBlocks: 0
; VGPRBlocks: 0
; NumSGPRsForWavesPerEU: 1
; NumVGPRsForWavesPerEU: 1
; Occupancy: 16
; WaveLimiterHint : 0
; COMPUTE_PGM_RSRC2:SCRATCH_EN: 0
; COMPUTE_PGM_RSRC2:USER_SGPR: 6
; COMPUTE_PGM_RSRC2:TRAP_HANDLER: 0
; COMPUTE_PGM_RSRC2:TGID_X_EN: 1
; COMPUTE_PGM_RSRC2:TGID_Y_EN: 0
; COMPUTE_PGM_RSRC2:TGID_Z_EN: 0
; COMPUTE_PGM_RSRC2:TIDIG_COMP_CNT: 0
	.section	.text._ZN7rocprim17ROCPRIM_400000_NS6detail17trampoline_kernelINS0_14default_configENS1_20scan_config_selectorIfEEZZNS1_9scan_implILNS1_25lookback_scan_determinismE0ELb0ELb0ES3_PKfPffZZZN2at6native31launch_logcumsumexp_cuda_kernelERKNSB_10TensorBaseESF_lENKUlvE_clEvENKUlvE0_clEvEUlffE_fEEDaPvRmT3_T4_T5_mT6_P12ihipStream_tbENKUlT_T0_E_clISt17integral_constantIbLb0EESW_EEDaSR_SS_EUlSR_E_NS1_11comp_targetILNS1_3genE9ELNS1_11target_archE1100ELNS1_3gpuE3ELNS1_3repE0EEENS1_30default_config_static_selectorELNS0_4arch9wavefront6targetE0EEEvT1_,"axG",@progbits,_ZN7rocprim17ROCPRIM_400000_NS6detail17trampoline_kernelINS0_14default_configENS1_20scan_config_selectorIfEEZZNS1_9scan_implILNS1_25lookback_scan_determinismE0ELb0ELb0ES3_PKfPffZZZN2at6native31launch_logcumsumexp_cuda_kernelERKNSB_10TensorBaseESF_lENKUlvE_clEvENKUlvE0_clEvEUlffE_fEEDaPvRmT3_T4_T5_mT6_P12ihipStream_tbENKUlT_T0_E_clISt17integral_constantIbLb0EESW_EEDaSR_SS_EUlSR_E_NS1_11comp_targetILNS1_3genE9ELNS1_11target_archE1100ELNS1_3gpuE3ELNS1_3repE0EEENS1_30default_config_static_selectorELNS0_4arch9wavefront6targetE0EEEvT1_,comdat
	.globl	_ZN7rocprim17ROCPRIM_400000_NS6detail17trampoline_kernelINS0_14default_configENS1_20scan_config_selectorIfEEZZNS1_9scan_implILNS1_25lookback_scan_determinismE0ELb0ELb0ES3_PKfPffZZZN2at6native31launch_logcumsumexp_cuda_kernelERKNSB_10TensorBaseESF_lENKUlvE_clEvENKUlvE0_clEvEUlffE_fEEDaPvRmT3_T4_T5_mT6_P12ihipStream_tbENKUlT_T0_E_clISt17integral_constantIbLb0EESW_EEDaSR_SS_EUlSR_E_NS1_11comp_targetILNS1_3genE9ELNS1_11target_archE1100ELNS1_3gpuE3ELNS1_3repE0EEENS1_30default_config_static_selectorELNS0_4arch9wavefront6targetE0EEEvT1_ ; -- Begin function _ZN7rocprim17ROCPRIM_400000_NS6detail17trampoline_kernelINS0_14default_configENS1_20scan_config_selectorIfEEZZNS1_9scan_implILNS1_25lookback_scan_determinismE0ELb0ELb0ES3_PKfPffZZZN2at6native31launch_logcumsumexp_cuda_kernelERKNSB_10TensorBaseESF_lENKUlvE_clEvENKUlvE0_clEvEUlffE_fEEDaPvRmT3_T4_T5_mT6_P12ihipStream_tbENKUlT_T0_E_clISt17integral_constantIbLb0EESW_EEDaSR_SS_EUlSR_E_NS1_11comp_targetILNS1_3genE9ELNS1_11target_archE1100ELNS1_3gpuE3ELNS1_3repE0EEENS1_30default_config_static_selectorELNS0_4arch9wavefront6targetE0EEEvT1_
	.p2align	8
	.type	_ZN7rocprim17ROCPRIM_400000_NS6detail17trampoline_kernelINS0_14default_configENS1_20scan_config_selectorIfEEZZNS1_9scan_implILNS1_25lookback_scan_determinismE0ELb0ELb0ES3_PKfPffZZZN2at6native31launch_logcumsumexp_cuda_kernelERKNSB_10TensorBaseESF_lENKUlvE_clEvENKUlvE0_clEvEUlffE_fEEDaPvRmT3_T4_T5_mT6_P12ihipStream_tbENKUlT_T0_E_clISt17integral_constantIbLb0EESW_EEDaSR_SS_EUlSR_E_NS1_11comp_targetILNS1_3genE9ELNS1_11target_archE1100ELNS1_3gpuE3ELNS1_3repE0EEENS1_30default_config_static_selectorELNS0_4arch9wavefront6targetE0EEEvT1_,@function
_ZN7rocprim17ROCPRIM_400000_NS6detail17trampoline_kernelINS0_14default_configENS1_20scan_config_selectorIfEEZZNS1_9scan_implILNS1_25lookback_scan_determinismE0ELb0ELb0ES3_PKfPffZZZN2at6native31launch_logcumsumexp_cuda_kernelERKNSB_10TensorBaseESF_lENKUlvE_clEvENKUlvE0_clEvEUlffE_fEEDaPvRmT3_T4_T5_mT6_P12ihipStream_tbENKUlT_T0_E_clISt17integral_constantIbLb0EESW_EEDaSR_SS_EUlSR_E_NS1_11comp_targetILNS1_3genE9ELNS1_11target_archE1100ELNS1_3gpuE3ELNS1_3repE0EEENS1_30default_config_static_selectorELNS0_4arch9wavefront6targetE0EEEvT1_: ; @_ZN7rocprim17ROCPRIM_400000_NS6detail17trampoline_kernelINS0_14default_configENS1_20scan_config_selectorIfEEZZNS1_9scan_implILNS1_25lookback_scan_determinismE0ELb0ELb0ES3_PKfPffZZZN2at6native31launch_logcumsumexp_cuda_kernelERKNSB_10TensorBaseESF_lENKUlvE_clEvENKUlvE0_clEvEUlffE_fEEDaPvRmT3_T4_T5_mT6_P12ihipStream_tbENKUlT_T0_E_clISt17integral_constantIbLb0EESW_EEDaSR_SS_EUlSR_E_NS1_11comp_targetILNS1_3genE9ELNS1_11target_archE1100ELNS1_3gpuE3ELNS1_3repE0EEENS1_30default_config_static_selectorELNS0_4arch9wavefront6targetE0EEEvT1_
; %bb.0:
	.section	.rodata,"a",@progbits
	.p2align	6, 0x0
	.amdhsa_kernel _ZN7rocprim17ROCPRIM_400000_NS6detail17trampoline_kernelINS0_14default_configENS1_20scan_config_selectorIfEEZZNS1_9scan_implILNS1_25lookback_scan_determinismE0ELb0ELb0ES3_PKfPffZZZN2at6native31launch_logcumsumexp_cuda_kernelERKNSB_10TensorBaseESF_lENKUlvE_clEvENKUlvE0_clEvEUlffE_fEEDaPvRmT3_T4_T5_mT6_P12ihipStream_tbENKUlT_T0_E_clISt17integral_constantIbLb0EESW_EEDaSR_SS_EUlSR_E_NS1_11comp_targetILNS1_3genE9ELNS1_11target_archE1100ELNS1_3gpuE3ELNS1_3repE0EEENS1_30default_config_static_selectorELNS0_4arch9wavefront6targetE0EEEvT1_
		.amdhsa_group_segment_fixed_size 0
		.amdhsa_private_segment_fixed_size 0
		.amdhsa_kernarg_size 96
		.amdhsa_user_sgpr_count 6
		.amdhsa_user_sgpr_private_segment_buffer 1
		.amdhsa_user_sgpr_dispatch_ptr 0
		.amdhsa_user_sgpr_queue_ptr 0
		.amdhsa_user_sgpr_kernarg_segment_ptr 1
		.amdhsa_user_sgpr_dispatch_id 0
		.amdhsa_user_sgpr_flat_scratch_init 0
		.amdhsa_user_sgpr_private_segment_size 0
		.amdhsa_wavefront_size32 1
		.amdhsa_uses_dynamic_stack 0
		.amdhsa_system_sgpr_private_segment_wavefront_offset 0
		.amdhsa_system_sgpr_workgroup_id_x 1
		.amdhsa_system_sgpr_workgroup_id_y 0
		.amdhsa_system_sgpr_workgroup_id_z 0
		.amdhsa_system_sgpr_workgroup_info 0
		.amdhsa_system_vgpr_workitem_id 0
		.amdhsa_next_free_vgpr 1
		.amdhsa_next_free_sgpr 1
		.amdhsa_reserve_vcc 0
		.amdhsa_reserve_flat_scratch 0
		.amdhsa_float_round_mode_32 0
		.amdhsa_float_round_mode_16_64 0
		.amdhsa_float_denorm_mode_32 3
		.amdhsa_float_denorm_mode_16_64 3
		.amdhsa_dx10_clamp 1
		.amdhsa_ieee_mode 1
		.amdhsa_fp16_overflow 0
		.amdhsa_workgroup_processor_mode 1
		.amdhsa_memory_ordered 1
		.amdhsa_forward_progress 1
		.amdhsa_shared_vgpr_count 0
		.amdhsa_exception_fp_ieee_invalid_op 0
		.amdhsa_exception_fp_denorm_src 0
		.amdhsa_exception_fp_ieee_div_zero 0
		.amdhsa_exception_fp_ieee_overflow 0
		.amdhsa_exception_fp_ieee_underflow 0
		.amdhsa_exception_fp_ieee_inexact 0
		.amdhsa_exception_int_div_zero 0
	.end_amdhsa_kernel
	.section	.text._ZN7rocprim17ROCPRIM_400000_NS6detail17trampoline_kernelINS0_14default_configENS1_20scan_config_selectorIfEEZZNS1_9scan_implILNS1_25lookback_scan_determinismE0ELb0ELb0ES3_PKfPffZZZN2at6native31launch_logcumsumexp_cuda_kernelERKNSB_10TensorBaseESF_lENKUlvE_clEvENKUlvE0_clEvEUlffE_fEEDaPvRmT3_T4_T5_mT6_P12ihipStream_tbENKUlT_T0_E_clISt17integral_constantIbLb0EESW_EEDaSR_SS_EUlSR_E_NS1_11comp_targetILNS1_3genE9ELNS1_11target_archE1100ELNS1_3gpuE3ELNS1_3repE0EEENS1_30default_config_static_selectorELNS0_4arch9wavefront6targetE0EEEvT1_,"axG",@progbits,_ZN7rocprim17ROCPRIM_400000_NS6detail17trampoline_kernelINS0_14default_configENS1_20scan_config_selectorIfEEZZNS1_9scan_implILNS1_25lookback_scan_determinismE0ELb0ELb0ES3_PKfPffZZZN2at6native31launch_logcumsumexp_cuda_kernelERKNSB_10TensorBaseESF_lENKUlvE_clEvENKUlvE0_clEvEUlffE_fEEDaPvRmT3_T4_T5_mT6_P12ihipStream_tbENKUlT_T0_E_clISt17integral_constantIbLb0EESW_EEDaSR_SS_EUlSR_E_NS1_11comp_targetILNS1_3genE9ELNS1_11target_archE1100ELNS1_3gpuE3ELNS1_3repE0EEENS1_30default_config_static_selectorELNS0_4arch9wavefront6targetE0EEEvT1_,comdat
.Lfunc_end95:
	.size	_ZN7rocprim17ROCPRIM_400000_NS6detail17trampoline_kernelINS0_14default_configENS1_20scan_config_selectorIfEEZZNS1_9scan_implILNS1_25lookback_scan_determinismE0ELb0ELb0ES3_PKfPffZZZN2at6native31launch_logcumsumexp_cuda_kernelERKNSB_10TensorBaseESF_lENKUlvE_clEvENKUlvE0_clEvEUlffE_fEEDaPvRmT3_T4_T5_mT6_P12ihipStream_tbENKUlT_T0_E_clISt17integral_constantIbLb0EESW_EEDaSR_SS_EUlSR_E_NS1_11comp_targetILNS1_3genE9ELNS1_11target_archE1100ELNS1_3gpuE3ELNS1_3repE0EEENS1_30default_config_static_selectorELNS0_4arch9wavefront6targetE0EEEvT1_, .Lfunc_end95-_ZN7rocprim17ROCPRIM_400000_NS6detail17trampoline_kernelINS0_14default_configENS1_20scan_config_selectorIfEEZZNS1_9scan_implILNS1_25lookback_scan_determinismE0ELb0ELb0ES3_PKfPffZZZN2at6native31launch_logcumsumexp_cuda_kernelERKNSB_10TensorBaseESF_lENKUlvE_clEvENKUlvE0_clEvEUlffE_fEEDaPvRmT3_T4_T5_mT6_P12ihipStream_tbENKUlT_T0_E_clISt17integral_constantIbLb0EESW_EEDaSR_SS_EUlSR_E_NS1_11comp_targetILNS1_3genE9ELNS1_11target_archE1100ELNS1_3gpuE3ELNS1_3repE0EEENS1_30default_config_static_selectorELNS0_4arch9wavefront6targetE0EEEvT1_
                                        ; -- End function
	.set _ZN7rocprim17ROCPRIM_400000_NS6detail17trampoline_kernelINS0_14default_configENS1_20scan_config_selectorIfEEZZNS1_9scan_implILNS1_25lookback_scan_determinismE0ELb0ELb0ES3_PKfPffZZZN2at6native31launch_logcumsumexp_cuda_kernelERKNSB_10TensorBaseESF_lENKUlvE_clEvENKUlvE0_clEvEUlffE_fEEDaPvRmT3_T4_T5_mT6_P12ihipStream_tbENKUlT_T0_E_clISt17integral_constantIbLb0EESW_EEDaSR_SS_EUlSR_E_NS1_11comp_targetILNS1_3genE9ELNS1_11target_archE1100ELNS1_3gpuE3ELNS1_3repE0EEENS1_30default_config_static_selectorELNS0_4arch9wavefront6targetE0EEEvT1_.num_vgpr, 0
	.set _ZN7rocprim17ROCPRIM_400000_NS6detail17trampoline_kernelINS0_14default_configENS1_20scan_config_selectorIfEEZZNS1_9scan_implILNS1_25lookback_scan_determinismE0ELb0ELb0ES3_PKfPffZZZN2at6native31launch_logcumsumexp_cuda_kernelERKNSB_10TensorBaseESF_lENKUlvE_clEvENKUlvE0_clEvEUlffE_fEEDaPvRmT3_T4_T5_mT6_P12ihipStream_tbENKUlT_T0_E_clISt17integral_constantIbLb0EESW_EEDaSR_SS_EUlSR_E_NS1_11comp_targetILNS1_3genE9ELNS1_11target_archE1100ELNS1_3gpuE3ELNS1_3repE0EEENS1_30default_config_static_selectorELNS0_4arch9wavefront6targetE0EEEvT1_.num_agpr, 0
	.set _ZN7rocprim17ROCPRIM_400000_NS6detail17trampoline_kernelINS0_14default_configENS1_20scan_config_selectorIfEEZZNS1_9scan_implILNS1_25lookback_scan_determinismE0ELb0ELb0ES3_PKfPffZZZN2at6native31launch_logcumsumexp_cuda_kernelERKNSB_10TensorBaseESF_lENKUlvE_clEvENKUlvE0_clEvEUlffE_fEEDaPvRmT3_T4_T5_mT6_P12ihipStream_tbENKUlT_T0_E_clISt17integral_constantIbLb0EESW_EEDaSR_SS_EUlSR_E_NS1_11comp_targetILNS1_3genE9ELNS1_11target_archE1100ELNS1_3gpuE3ELNS1_3repE0EEENS1_30default_config_static_selectorELNS0_4arch9wavefront6targetE0EEEvT1_.numbered_sgpr, 0
	.set _ZN7rocprim17ROCPRIM_400000_NS6detail17trampoline_kernelINS0_14default_configENS1_20scan_config_selectorIfEEZZNS1_9scan_implILNS1_25lookback_scan_determinismE0ELb0ELb0ES3_PKfPffZZZN2at6native31launch_logcumsumexp_cuda_kernelERKNSB_10TensorBaseESF_lENKUlvE_clEvENKUlvE0_clEvEUlffE_fEEDaPvRmT3_T4_T5_mT6_P12ihipStream_tbENKUlT_T0_E_clISt17integral_constantIbLb0EESW_EEDaSR_SS_EUlSR_E_NS1_11comp_targetILNS1_3genE9ELNS1_11target_archE1100ELNS1_3gpuE3ELNS1_3repE0EEENS1_30default_config_static_selectorELNS0_4arch9wavefront6targetE0EEEvT1_.num_named_barrier, 0
	.set _ZN7rocprim17ROCPRIM_400000_NS6detail17trampoline_kernelINS0_14default_configENS1_20scan_config_selectorIfEEZZNS1_9scan_implILNS1_25lookback_scan_determinismE0ELb0ELb0ES3_PKfPffZZZN2at6native31launch_logcumsumexp_cuda_kernelERKNSB_10TensorBaseESF_lENKUlvE_clEvENKUlvE0_clEvEUlffE_fEEDaPvRmT3_T4_T5_mT6_P12ihipStream_tbENKUlT_T0_E_clISt17integral_constantIbLb0EESW_EEDaSR_SS_EUlSR_E_NS1_11comp_targetILNS1_3genE9ELNS1_11target_archE1100ELNS1_3gpuE3ELNS1_3repE0EEENS1_30default_config_static_selectorELNS0_4arch9wavefront6targetE0EEEvT1_.private_seg_size, 0
	.set _ZN7rocprim17ROCPRIM_400000_NS6detail17trampoline_kernelINS0_14default_configENS1_20scan_config_selectorIfEEZZNS1_9scan_implILNS1_25lookback_scan_determinismE0ELb0ELb0ES3_PKfPffZZZN2at6native31launch_logcumsumexp_cuda_kernelERKNSB_10TensorBaseESF_lENKUlvE_clEvENKUlvE0_clEvEUlffE_fEEDaPvRmT3_T4_T5_mT6_P12ihipStream_tbENKUlT_T0_E_clISt17integral_constantIbLb0EESW_EEDaSR_SS_EUlSR_E_NS1_11comp_targetILNS1_3genE9ELNS1_11target_archE1100ELNS1_3gpuE3ELNS1_3repE0EEENS1_30default_config_static_selectorELNS0_4arch9wavefront6targetE0EEEvT1_.uses_vcc, 0
	.set _ZN7rocprim17ROCPRIM_400000_NS6detail17trampoline_kernelINS0_14default_configENS1_20scan_config_selectorIfEEZZNS1_9scan_implILNS1_25lookback_scan_determinismE0ELb0ELb0ES3_PKfPffZZZN2at6native31launch_logcumsumexp_cuda_kernelERKNSB_10TensorBaseESF_lENKUlvE_clEvENKUlvE0_clEvEUlffE_fEEDaPvRmT3_T4_T5_mT6_P12ihipStream_tbENKUlT_T0_E_clISt17integral_constantIbLb0EESW_EEDaSR_SS_EUlSR_E_NS1_11comp_targetILNS1_3genE9ELNS1_11target_archE1100ELNS1_3gpuE3ELNS1_3repE0EEENS1_30default_config_static_selectorELNS0_4arch9wavefront6targetE0EEEvT1_.uses_flat_scratch, 0
	.set _ZN7rocprim17ROCPRIM_400000_NS6detail17trampoline_kernelINS0_14default_configENS1_20scan_config_selectorIfEEZZNS1_9scan_implILNS1_25lookback_scan_determinismE0ELb0ELb0ES3_PKfPffZZZN2at6native31launch_logcumsumexp_cuda_kernelERKNSB_10TensorBaseESF_lENKUlvE_clEvENKUlvE0_clEvEUlffE_fEEDaPvRmT3_T4_T5_mT6_P12ihipStream_tbENKUlT_T0_E_clISt17integral_constantIbLb0EESW_EEDaSR_SS_EUlSR_E_NS1_11comp_targetILNS1_3genE9ELNS1_11target_archE1100ELNS1_3gpuE3ELNS1_3repE0EEENS1_30default_config_static_selectorELNS0_4arch9wavefront6targetE0EEEvT1_.has_dyn_sized_stack, 0
	.set _ZN7rocprim17ROCPRIM_400000_NS6detail17trampoline_kernelINS0_14default_configENS1_20scan_config_selectorIfEEZZNS1_9scan_implILNS1_25lookback_scan_determinismE0ELb0ELb0ES3_PKfPffZZZN2at6native31launch_logcumsumexp_cuda_kernelERKNSB_10TensorBaseESF_lENKUlvE_clEvENKUlvE0_clEvEUlffE_fEEDaPvRmT3_T4_T5_mT6_P12ihipStream_tbENKUlT_T0_E_clISt17integral_constantIbLb0EESW_EEDaSR_SS_EUlSR_E_NS1_11comp_targetILNS1_3genE9ELNS1_11target_archE1100ELNS1_3gpuE3ELNS1_3repE0EEENS1_30default_config_static_selectorELNS0_4arch9wavefront6targetE0EEEvT1_.has_recursion, 0
	.set _ZN7rocprim17ROCPRIM_400000_NS6detail17trampoline_kernelINS0_14default_configENS1_20scan_config_selectorIfEEZZNS1_9scan_implILNS1_25lookback_scan_determinismE0ELb0ELb0ES3_PKfPffZZZN2at6native31launch_logcumsumexp_cuda_kernelERKNSB_10TensorBaseESF_lENKUlvE_clEvENKUlvE0_clEvEUlffE_fEEDaPvRmT3_T4_T5_mT6_P12ihipStream_tbENKUlT_T0_E_clISt17integral_constantIbLb0EESW_EEDaSR_SS_EUlSR_E_NS1_11comp_targetILNS1_3genE9ELNS1_11target_archE1100ELNS1_3gpuE3ELNS1_3repE0EEENS1_30default_config_static_selectorELNS0_4arch9wavefront6targetE0EEEvT1_.has_indirect_call, 0
	.section	.AMDGPU.csdata,"",@progbits
; Kernel info:
; codeLenInByte = 0
; TotalNumSgprs: 0
; NumVgprs: 0
; ScratchSize: 0
; MemoryBound: 0
; FloatMode: 240
; IeeeMode: 1
; LDSByteSize: 0 bytes/workgroup (compile time only)
; SGPRBlocks: 0
; VGPRBlocks: 0
; NumSGPRsForWavesPerEU: 1
; NumVGPRsForWavesPerEU: 1
; Occupancy: 16
; WaveLimiterHint : 0
; COMPUTE_PGM_RSRC2:SCRATCH_EN: 0
; COMPUTE_PGM_RSRC2:USER_SGPR: 6
; COMPUTE_PGM_RSRC2:TRAP_HANDLER: 0
; COMPUTE_PGM_RSRC2:TGID_X_EN: 1
; COMPUTE_PGM_RSRC2:TGID_Y_EN: 0
; COMPUTE_PGM_RSRC2:TGID_Z_EN: 0
; COMPUTE_PGM_RSRC2:TIDIG_COMP_CNT: 0
	.section	.text._ZN7rocprim17ROCPRIM_400000_NS6detail17trampoline_kernelINS0_14default_configENS1_20scan_config_selectorIfEEZZNS1_9scan_implILNS1_25lookback_scan_determinismE0ELb0ELb0ES3_PKfPffZZZN2at6native31launch_logcumsumexp_cuda_kernelERKNSB_10TensorBaseESF_lENKUlvE_clEvENKUlvE0_clEvEUlffE_fEEDaPvRmT3_T4_T5_mT6_P12ihipStream_tbENKUlT_T0_E_clISt17integral_constantIbLb0EESW_EEDaSR_SS_EUlSR_E_NS1_11comp_targetILNS1_3genE8ELNS1_11target_archE1030ELNS1_3gpuE2ELNS1_3repE0EEENS1_30default_config_static_selectorELNS0_4arch9wavefront6targetE0EEEvT1_,"axG",@progbits,_ZN7rocprim17ROCPRIM_400000_NS6detail17trampoline_kernelINS0_14default_configENS1_20scan_config_selectorIfEEZZNS1_9scan_implILNS1_25lookback_scan_determinismE0ELb0ELb0ES3_PKfPffZZZN2at6native31launch_logcumsumexp_cuda_kernelERKNSB_10TensorBaseESF_lENKUlvE_clEvENKUlvE0_clEvEUlffE_fEEDaPvRmT3_T4_T5_mT6_P12ihipStream_tbENKUlT_T0_E_clISt17integral_constantIbLb0EESW_EEDaSR_SS_EUlSR_E_NS1_11comp_targetILNS1_3genE8ELNS1_11target_archE1030ELNS1_3gpuE2ELNS1_3repE0EEENS1_30default_config_static_selectorELNS0_4arch9wavefront6targetE0EEEvT1_,comdat
	.globl	_ZN7rocprim17ROCPRIM_400000_NS6detail17trampoline_kernelINS0_14default_configENS1_20scan_config_selectorIfEEZZNS1_9scan_implILNS1_25lookback_scan_determinismE0ELb0ELb0ES3_PKfPffZZZN2at6native31launch_logcumsumexp_cuda_kernelERKNSB_10TensorBaseESF_lENKUlvE_clEvENKUlvE0_clEvEUlffE_fEEDaPvRmT3_T4_T5_mT6_P12ihipStream_tbENKUlT_T0_E_clISt17integral_constantIbLb0EESW_EEDaSR_SS_EUlSR_E_NS1_11comp_targetILNS1_3genE8ELNS1_11target_archE1030ELNS1_3gpuE2ELNS1_3repE0EEENS1_30default_config_static_selectorELNS0_4arch9wavefront6targetE0EEEvT1_ ; -- Begin function _ZN7rocprim17ROCPRIM_400000_NS6detail17trampoline_kernelINS0_14default_configENS1_20scan_config_selectorIfEEZZNS1_9scan_implILNS1_25lookback_scan_determinismE0ELb0ELb0ES3_PKfPffZZZN2at6native31launch_logcumsumexp_cuda_kernelERKNSB_10TensorBaseESF_lENKUlvE_clEvENKUlvE0_clEvEUlffE_fEEDaPvRmT3_T4_T5_mT6_P12ihipStream_tbENKUlT_T0_E_clISt17integral_constantIbLb0EESW_EEDaSR_SS_EUlSR_E_NS1_11comp_targetILNS1_3genE8ELNS1_11target_archE1030ELNS1_3gpuE2ELNS1_3repE0EEENS1_30default_config_static_selectorELNS0_4arch9wavefront6targetE0EEEvT1_
	.p2align	8
	.type	_ZN7rocprim17ROCPRIM_400000_NS6detail17trampoline_kernelINS0_14default_configENS1_20scan_config_selectorIfEEZZNS1_9scan_implILNS1_25lookback_scan_determinismE0ELb0ELb0ES3_PKfPffZZZN2at6native31launch_logcumsumexp_cuda_kernelERKNSB_10TensorBaseESF_lENKUlvE_clEvENKUlvE0_clEvEUlffE_fEEDaPvRmT3_T4_T5_mT6_P12ihipStream_tbENKUlT_T0_E_clISt17integral_constantIbLb0EESW_EEDaSR_SS_EUlSR_E_NS1_11comp_targetILNS1_3genE8ELNS1_11target_archE1030ELNS1_3gpuE2ELNS1_3repE0EEENS1_30default_config_static_selectorELNS0_4arch9wavefront6targetE0EEEvT1_,@function
_ZN7rocprim17ROCPRIM_400000_NS6detail17trampoline_kernelINS0_14default_configENS1_20scan_config_selectorIfEEZZNS1_9scan_implILNS1_25lookback_scan_determinismE0ELb0ELb0ES3_PKfPffZZZN2at6native31launch_logcumsumexp_cuda_kernelERKNSB_10TensorBaseESF_lENKUlvE_clEvENKUlvE0_clEvEUlffE_fEEDaPvRmT3_T4_T5_mT6_P12ihipStream_tbENKUlT_T0_E_clISt17integral_constantIbLb0EESW_EEDaSR_SS_EUlSR_E_NS1_11comp_targetILNS1_3genE8ELNS1_11target_archE1030ELNS1_3gpuE2ELNS1_3repE0EEENS1_30default_config_static_selectorELNS0_4arch9wavefront6targetE0EEEvT1_: ; @_ZN7rocprim17ROCPRIM_400000_NS6detail17trampoline_kernelINS0_14default_configENS1_20scan_config_selectorIfEEZZNS1_9scan_implILNS1_25lookback_scan_determinismE0ELb0ELb0ES3_PKfPffZZZN2at6native31launch_logcumsumexp_cuda_kernelERKNSB_10TensorBaseESF_lENKUlvE_clEvENKUlvE0_clEvEUlffE_fEEDaPvRmT3_T4_T5_mT6_P12ihipStream_tbENKUlT_T0_E_clISt17integral_constantIbLb0EESW_EEDaSR_SS_EUlSR_E_NS1_11comp_targetILNS1_3genE8ELNS1_11target_archE1030ELNS1_3gpuE2ELNS1_3repE0EEENS1_30default_config_static_selectorELNS0_4arch9wavefront6targetE0EEEvT1_
; %bb.0:
	s_clause 0x1
	s_load_dwordx8 s[8:15], s[4:5], 0x0
	s_load_dword s0, s[4:5], 0x30
	s_mov_b32 s1, 0
	v_lshlrev_b32_e32 v14, 2, v0
	s_waitcnt lgkmcnt(0)
	s_lshl_b64 s[24:25], s[10:11], 2
	s_add_u32 s2, s8, s24
	s_addc_u32 s3, s9, s25
	s_add_i32 s0, s0, -1
	s_mul_i32 s7, s0, 0x140
	s_sub_u32 s11, s14, s7
	s_subb_u32 s28, s15, 0
	s_cmp_lg_u32 s6, s0
	s_mul_i32 s0, s6, 0x140
	s_cselect_b32 s29, -1, 0
	s_lshl_b64 s[14:15], s[0:1], 2
	s_mov_b32 s1, -1
	s_add_u32 s2, s2, s14
	s_addc_u32 s3, s3, s15
	s_and_b32 vcc_lo, exec_lo, s29
	s_cbranch_vccz .LBB96_2
; %bb.1:
	s_clause 0x4
	global_load_dword v1, v14, s[2:3]
	global_load_dword v2, v14, s[2:3] offset:256
	global_load_dword v3, v14, s[2:3] offset:512
	;; [unrolled: 1-line block ×4, first 2 shown]
	s_mov_b32 s1, 0
	s_waitcnt vmcnt(3)
	ds_write2st64_b32 v14, v1, v2 offset1:1
	s_waitcnt vmcnt(1)
	ds_write2st64_b32 v14, v3, v4 offset0:2 offset1:3
	s_waitcnt vmcnt(0)
	ds_write_b32 v14, v5 offset:1024
	s_waitcnt lgkmcnt(0)
	s_barrier
.LBB96_2:
	s_load_dwordx2 s[26:27], s[4:5], 0x28
	v_cmp_gt_u32_e64 s0, s11, v0
	s_andn2_b32 vcc_lo, exec_lo, s1
	s_cbranch_vccnz .LBB96_14
; %bb.3:
	s_load_dword s16, s[2:3], 0x0
	s_waitcnt lgkmcnt(0)
	s_mov_b32 s17, s16
	s_mov_b32 s18, s16
	s_mov_b32 s19, s16
	s_mov_b32 s20, s16
	v_mov_b32_e32 v1, s16
	v_mov_b32_e32 v2, s17
	v_mov_b32_e32 v3, s18
	v_mov_b32_e32 v4, s19
	v_mov_b32_e32 v5, s20
	v_mov_b32_e32 v6, s16
	s_and_saveexec_b32 s1, s0
	s_cbranch_execz .LBB96_5
; %bb.4:
	global_load_dword v6, v14, s[2:3]
	v_mov_b32_e32 v1, s16
	v_mov_b32_e32 v2, s17
	;; [unrolled: 1-line block ×5, first 2 shown]
.LBB96_5:
	s_or_b32 exec_lo, exec_lo, s1
	v_or_b32_e32 v1, 64, v0
	s_mov_b32 s0, exec_lo
	v_cmpx_gt_u32_e64 s11, v1
	s_cbranch_execz .LBB96_7
; %bb.6:
	global_load_dword v2, v14, s[2:3] offset:256
.LBB96_7:
	s_or_b32 exec_lo, exec_lo, s0
	v_or_b32_e32 v1, 0x80, v0
	s_mov_b32 s0, exec_lo
	v_cmpx_gt_u32_e64 s11, v1
	s_cbranch_execz .LBB96_9
; %bb.8:
	global_load_dword v3, v14, s[2:3] offset:512
.LBB96_9:
	s_or_b32 exec_lo, exec_lo, s0
	v_or_b32_e32 v1, 0xc0, v0
	s_mov_b32 s0, exec_lo
	v_cmpx_gt_u32_e64 s11, v1
	s_cbranch_execz .LBB96_11
; %bb.10:
	global_load_dword v4, v14, s[2:3] offset:768
.LBB96_11:
	s_or_b32 exec_lo, exec_lo, s0
	v_or_b32_e32 v1, 0x100, v0
	s_mov_b32 s0, exec_lo
	v_cmpx_gt_u32_e64 s11, v1
	s_cbranch_execz .LBB96_13
; %bb.12:
	global_load_dword v5, v14, s[2:3] offset:1024
.LBB96_13:
	s_or_b32 exec_lo, exec_lo, s0
	s_waitcnt vmcnt(0)
	ds_write2st64_b32 v14, v6, v2 offset1:1
	ds_write2st64_b32 v14, v3, v4 offset0:2 offset1:3
	ds_write_b32 v14, v5 offset:1024
	s_waitcnt lgkmcnt(0)
	s_barrier
.LBB96_14:
	v_mul_u32_u24_e32 v15, 20, v0
	s_waitcnt lgkmcnt(0)
	buffer_gl0_inv
	s_cmp_lg_u32 s6, 0
	ds_read2_b32 v[1:2], v15 offset1:1
	ds_read2_b32 v[8:9], v15 offset0:2 offset1:3
	ds_read_b32 v16, v15 offset:16
	s_waitcnt lgkmcnt(0)
	s_barrier
	buffer_gl0_inv
	v_cmp_u_f32_e64 s0, v2, v2
	v_max_f32_e32 v17, v2, v2
	s_cbranch_scc0 .LBB96_110
; %bb.15:
	v_max_f32_e32 v21, v1, v1
	v_cmp_u_f32_e64 s7, v1, v1
	v_mov_b32_e32 v22, v1
	v_min_f32_e32 v3, v21, v17
	v_max_f32_e32 v4, v21, v17
	v_cndmask_b32_e64 v3, v3, v1, s7
	v_cndmask_b32_e64 v5, v4, v1, s7
	;; [unrolled: 1-line block ×4, first 2 shown]
	v_cmp_class_f32_e64 s1, v4, 0x1f8
	v_cmp_neq_f32_e32 vcc_lo, v4, v3
	s_or_b32 s2, vcc_lo, s1
	s_and_saveexec_b32 s1, s2
	s_cbranch_execz .LBB96_17
; %bb.16:
	v_sub_f32_e32 v4, v4, v3
	s_mov_b32 s2, 0x3e9b6dac
	v_mul_f32_e32 v5, 0x3fb8aa3b, v4
	v_cmp_ngt_f32_e32 vcc_lo, 0xc2ce8ed0, v4
	v_fma_f32 v6, 0x3fb8aa3b, v4, -v5
	v_rndne_f32_e32 v7, v5
	v_fmamk_f32 v6, v4, 0x32a5705f, v6
	v_sub_f32_e32 v5, v5, v7
	v_add_f32_e32 v5, v5, v6
	v_cvt_i32_f32_e32 v6, v7
	v_exp_f32_e32 v5, v5
	v_ldexp_f32 v5, v5, v6
	v_cndmask_b32_e32 v5, 0, v5, vcc_lo
	v_cmp_nlt_f32_e32 vcc_lo, 0x42b17218, v4
	v_cndmask_b32_e32 v6, 0x7f800000, v5, vcc_lo
	v_add_f32_e32 v7, 1.0, v6
	v_cvt_f64_f32_e32 v[4:5], v7
	v_frexp_exp_i32_f64_e32 v4, v[4:5]
	v_frexp_mant_f32_e32 v5, v7
	v_cmp_gt_f32_e32 vcc_lo, 0x3f2aaaab, v5
	v_add_f32_e32 v5, -1.0, v7
	v_sub_f32_e32 v11, v5, v7
	v_sub_f32_e32 v5, v6, v5
	v_add_f32_e32 v11, 1.0, v11
	v_add_f32_e32 v5, v5, v11
	v_subrev_co_ci_u32_e64 v4, null, 0, v4, vcc_lo
	v_cmp_neq_f32_e32 vcc_lo, 0x7f800000, v6
	v_sub_nc_u32_e32 v10, 0, v4
	v_cvt_f32_i32_e32 v4, v4
	v_ldexp_f32 v7, v7, v10
	v_ldexp_f32 v5, v5, v10
	v_add_f32_e32 v12, 1.0, v7
	v_add_f32_e32 v10, -1.0, v7
	v_add_f32_e32 v11, -1.0, v12
	v_add_f32_e32 v13, 1.0, v10
	v_sub_f32_e32 v11, v7, v11
	v_sub_f32_e32 v7, v7, v13
	v_add_f32_e32 v11, v5, v11
	v_add_f32_e32 v5, v5, v7
	;; [unrolled: 1-line block ×4, first 2 shown]
	v_rcp_f32_e32 v7, v13
	v_sub_f32_e32 v12, v12, v13
	v_sub_f32_e32 v10, v10, v18
	v_add_f32_e32 v11, v11, v12
	v_add_f32_e32 v5, v5, v10
	v_mul_f32_e32 v19, v18, v7
	v_mul_f32_e32 v20, v13, v19
	v_fma_f32 v12, v19, v13, -v20
	v_fmac_f32_e32 v12, v19, v11
	v_add_f32_e32 v22, v20, v12
	v_sub_f32_e32 v23, v18, v22
	v_sub_f32_e32 v10, v22, v20
	;; [unrolled: 1-line block ×5, first 2 shown]
	v_add_f32_e32 v5, v5, v18
	v_add_f32_e32 v5, v10, v5
	;; [unrolled: 1-line block ×3, first 2 shown]
	v_mul_f32_e32 v12, v7, v10
	v_sub_f32_e32 v22, v23, v10
	v_mul_f32_e32 v18, v13, v12
	v_add_f32_e32 v5, v5, v22
	v_fma_f32 v13, v12, v13, -v18
	v_fmac_f32_e32 v13, v12, v11
	v_add_f32_e32 v11, v18, v13
	v_sub_f32_e32 v20, v10, v11
	v_sub_f32_e32 v18, v11, v18
	;; [unrolled: 1-line block ×5, first 2 shown]
	v_add_f32_e32 v5, v5, v10
	v_add_f32_e32 v10, v19, v12
	;; [unrolled: 1-line block ×3, first 2 shown]
	v_sub_f32_e32 v11, v10, v19
	v_add_f32_e32 v5, v20, v5
	v_sub_f32_e32 v11, v12, v11
	v_mul_f32_e32 v5, v7, v5
	v_add_f32_e32 v5, v11, v5
	v_add_f32_e32 v7, v10, v5
	v_mul_f32_e32 v11, v7, v7
	v_fmaak_f32 v12, s2, v11, 0x3ecc95a3
	v_mul_f32_e32 v13, v7, v11
	v_fmaak_f32 v11, v11, v12, 0x3f2aaada
	v_ldexp_f32 v12, v7, 1
	v_sub_f32_e32 v7, v7, v10
	v_mul_f32_e32 v11, v13, v11
	v_mul_f32_e32 v13, 0x3f317218, v4
	v_sub_f32_e32 v5, v5, v7
	v_add_f32_e32 v10, v12, v11
	v_ldexp_f32 v5, v5, 1
	v_sub_f32_e32 v7, v10, v12
	v_fma_f32 v12, 0x3f317218, v4, -v13
	v_sub_f32_e32 v7, v11, v7
	v_fmamk_f32 v4, v4, 0xb102e308, v12
	v_add_f32_e32 v5, v5, v7
	v_add_f32_e32 v7, v13, v4
	;; [unrolled: 1-line block ×3, first 2 shown]
	v_sub_f32_e32 v13, v7, v13
	v_add_f32_e32 v12, v7, v11
	v_sub_f32_e32 v10, v11, v10
	v_sub_f32_e32 v4, v4, v13
	;; [unrolled: 1-line block ×6, first 2 shown]
	v_add_f32_e32 v11, v4, v5
	v_sub_f32_e32 v7, v7, v19
	v_add_f32_e32 v7, v10, v7
	v_sub_f32_e32 v10, v11, v4
	;; [unrolled: 2-line block ×3, first 2 shown]
	v_sub_f32_e32 v5, v5, v10
	v_add_f32_e32 v13, v12, v7
	v_sub_f32_e32 v4, v4, v11
	v_sub_f32_e32 v10, v13, v12
	v_add_f32_e32 v4, v5, v4
	v_sub_f32_e32 v5, v7, v10
	v_add_f32_e32 v4, v4, v5
	v_add_f32_e32 v4, v13, v4
	v_cndmask_b32_e32 v4, 0x7f800000, v4, vcc_lo
	v_cmp_gt_f32_e64 vcc_lo, 0x33800000, |v6|
	v_cndmask_b32_e32 v4, v4, v6, vcc_lo
	v_add_f32_e32 v22, v3, v4
.LBB96_17:
	s_or_b32 exec_lo, exec_lo, s1
	v_max_f32_e32 v18, v8, v8
	v_max_f32_e32 v3, v22, v22
	v_cmp_u_f32_e32 vcc_lo, v22, v22
	v_cmp_u_f32_e64 s1, v8, v8
	v_min_f32_e32 v4, v3, v18
	v_max_f32_e32 v3, v3, v18
	v_cndmask_b32_e32 v4, v4, v22, vcc_lo
	v_cndmask_b32_e32 v3, v3, v22, vcc_lo
	v_cndmask_b32_e64 v4, v4, v8, s1
	v_cndmask_b32_e64 v3, v3, v8, s1
	v_cmp_class_f32_e64 s2, v4, 0x1f8
	v_cmp_neq_f32_e32 vcc_lo, v4, v3
	s_or_b32 s3, vcc_lo, s2
	s_and_saveexec_b32 s2, s3
	s_cbranch_execz .LBB96_19
; %bb.18:
	v_sub_f32_e32 v4, v4, v3
	s_mov_b32 s3, 0x3e9b6dac
	v_mul_f32_e32 v5, 0x3fb8aa3b, v4
	v_cmp_ngt_f32_e32 vcc_lo, 0xc2ce8ed0, v4
	v_fma_f32 v6, 0x3fb8aa3b, v4, -v5
	v_rndne_f32_e32 v7, v5
	v_fmamk_f32 v6, v4, 0x32a5705f, v6
	v_sub_f32_e32 v5, v5, v7
	v_add_f32_e32 v5, v5, v6
	v_cvt_i32_f32_e32 v6, v7
	v_exp_f32_e32 v5, v5
	v_ldexp_f32 v5, v5, v6
	v_cndmask_b32_e32 v5, 0, v5, vcc_lo
	v_cmp_nlt_f32_e32 vcc_lo, 0x42b17218, v4
	v_cndmask_b32_e32 v6, 0x7f800000, v5, vcc_lo
	v_add_f32_e32 v7, 1.0, v6
	v_cvt_f64_f32_e32 v[4:5], v7
	v_frexp_exp_i32_f64_e32 v4, v[4:5]
	v_frexp_mant_f32_e32 v5, v7
	v_cmp_gt_f32_e32 vcc_lo, 0x3f2aaaab, v5
	v_add_f32_e32 v5, -1.0, v7
	v_sub_f32_e32 v11, v5, v7
	v_sub_f32_e32 v5, v6, v5
	v_add_f32_e32 v11, 1.0, v11
	v_add_f32_e32 v5, v5, v11
	v_subrev_co_ci_u32_e64 v4, null, 0, v4, vcc_lo
	v_cmp_neq_f32_e32 vcc_lo, 0x7f800000, v6
	v_sub_nc_u32_e32 v10, 0, v4
	v_cvt_f32_i32_e32 v4, v4
	v_ldexp_f32 v7, v7, v10
	v_ldexp_f32 v5, v5, v10
	v_add_f32_e32 v12, 1.0, v7
	v_add_f32_e32 v10, -1.0, v7
	v_add_f32_e32 v11, -1.0, v12
	v_add_f32_e32 v13, 1.0, v10
	v_sub_f32_e32 v11, v7, v11
	v_sub_f32_e32 v7, v7, v13
	v_add_f32_e32 v11, v5, v11
	v_add_f32_e32 v5, v5, v7
	;; [unrolled: 1-line block ×4, first 2 shown]
	v_rcp_f32_e32 v7, v13
	v_sub_f32_e32 v12, v12, v13
	v_sub_f32_e32 v10, v10, v19
	v_add_f32_e32 v11, v11, v12
	v_add_f32_e32 v5, v5, v10
	v_mul_f32_e32 v20, v19, v7
	v_mul_f32_e32 v22, v13, v20
	v_fma_f32 v12, v20, v13, -v22
	v_fmac_f32_e32 v12, v20, v11
	v_add_f32_e32 v23, v22, v12
	v_sub_f32_e32 v24, v19, v23
	v_sub_f32_e32 v10, v23, v22
	;; [unrolled: 1-line block ×5, first 2 shown]
	v_add_f32_e32 v5, v5, v19
	v_add_f32_e32 v5, v10, v5
	;; [unrolled: 1-line block ×3, first 2 shown]
	v_mul_f32_e32 v12, v7, v10
	v_sub_f32_e32 v23, v24, v10
	v_mul_f32_e32 v19, v13, v12
	v_add_f32_e32 v5, v5, v23
	v_fma_f32 v13, v12, v13, -v19
	v_fmac_f32_e32 v13, v12, v11
	v_add_f32_e32 v11, v19, v13
	v_sub_f32_e32 v22, v10, v11
	v_sub_f32_e32 v19, v11, v19
	;; [unrolled: 1-line block ×5, first 2 shown]
	v_add_f32_e32 v5, v5, v10
	v_add_f32_e32 v10, v20, v12
	v_add_f32_e32 v5, v11, v5
	v_sub_f32_e32 v11, v10, v20
	v_add_f32_e32 v5, v22, v5
	v_sub_f32_e32 v11, v12, v11
	v_mul_f32_e32 v5, v7, v5
	v_add_f32_e32 v5, v11, v5
	v_add_f32_e32 v7, v10, v5
	v_mul_f32_e32 v11, v7, v7
	v_fmaak_f32 v12, s3, v11, 0x3ecc95a3
	v_mul_f32_e32 v13, v7, v11
	v_fmaak_f32 v11, v11, v12, 0x3f2aaada
	v_ldexp_f32 v12, v7, 1
	v_sub_f32_e32 v7, v7, v10
	v_mul_f32_e32 v11, v13, v11
	v_mul_f32_e32 v13, 0x3f317218, v4
	v_sub_f32_e32 v5, v5, v7
	v_add_f32_e32 v10, v12, v11
	v_ldexp_f32 v5, v5, 1
	v_sub_f32_e32 v7, v10, v12
	v_fma_f32 v12, 0x3f317218, v4, -v13
	v_sub_f32_e32 v7, v11, v7
	v_fmamk_f32 v4, v4, 0xb102e308, v12
	v_add_f32_e32 v5, v5, v7
	v_add_f32_e32 v7, v13, v4
	;; [unrolled: 1-line block ×3, first 2 shown]
	v_sub_f32_e32 v13, v7, v13
	v_add_f32_e32 v12, v7, v11
	v_sub_f32_e32 v10, v11, v10
	v_sub_f32_e32 v4, v4, v13
	;; [unrolled: 1-line block ×6, first 2 shown]
	v_add_f32_e32 v11, v4, v5
	v_sub_f32_e32 v7, v7, v20
	v_add_f32_e32 v7, v10, v7
	v_sub_f32_e32 v10, v11, v4
	;; [unrolled: 2-line block ×3, first 2 shown]
	v_sub_f32_e32 v5, v5, v10
	v_add_f32_e32 v13, v12, v7
	v_sub_f32_e32 v4, v4, v11
	v_sub_f32_e32 v10, v13, v12
	v_add_f32_e32 v4, v5, v4
	v_sub_f32_e32 v5, v7, v10
	v_add_f32_e32 v4, v4, v5
	v_add_f32_e32 v4, v13, v4
	v_cndmask_b32_e32 v4, 0x7f800000, v4, vcc_lo
	v_cmp_gt_f32_e64 vcc_lo, 0x33800000, |v6|
	v_cndmask_b32_e32 v4, v4, v6, vcc_lo
	v_add_f32_e32 v22, v3, v4
.LBB96_19:
	s_or_b32 exec_lo, exec_lo, s2
	v_max_f32_e32 v19, v9, v9
	v_max_f32_e32 v3, v22, v22
	v_cmp_u_f32_e32 vcc_lo, v22, v22
	v_cmp_u_f32_e64 s2, v9, v9
	v_min_f32_e32 v4, v3, v19
	v_max_f32_e32 v3, v3, v19
	v_cndmask_b32_e32 v4, v4, v22, vcc_lo
	v_cndmask_b32_e32 v3, v3, v22, vcc_lo
	v_cndmask_b32_e64 v4, v4, v9, s2
	v_cndmask_b32_e64 v3, v3, v9, s2
	v_cmp_class_f32_e64 s3, v4, 0x1f8
	v_cmp_neq_f32_e32 vcc_lo, v4, v3
	s_or_b32 s8, vcc_lo, s3
	s_and_saveexec_b32 s3, s8
	s_cbranch_execz .LBB96_21
; %bb.20:
	v_sub_f32_e32 v4, v4, v3
	s_mov_b32 s8, 0x3e9b6dac
	v_mul_f32_e32 v5, 0x3fb8aa3b, v4
	v_cmp_ngt_f32_e32 vcc_lo, 0xc2ce8ed0, v4
	v_fma_f32 v6, 0x3fb8aa3b, v4, -v5
	v_rndne_f32_e32 v7, v5
	v_fmamk_f32 v6, v4, 0x32a5705f, v6
	v_sub_f32_e32 v5, v5, v7
	v_add_f32_e32 v5, v5, v6
	v_cvt_i32_f32_e32 v6, v7
	v_exp_f32_e32 v5, v5
	v_ldexp_f32 v5, v5, v6
	v_cndmask_b32_e32 v5, 0, v5, vcc_lo
	v_cmp_nlt_f32_e32 vcc_lo, 0x42b17218, v4
	v_cndmask_b32_e32 v6, 0x7f800000, v5, vcc_lo
	v_add_f32_e32 v7, 1.0, v6
	v_cvt_f64_f32_e32 v[4:5], v7
	v_frexp_exp_i32_f64_e32 v4, v[4:5]
	v_frexp_mant_f32_e32 v5, v7
	v_cmp_gt_f32_e32 vcc_lo, 0x3f2aaaab, v5
	v_add_f32_e32 v5, -1.0, v7
	v_sub_f32_e32 v11, v5, v7
	v_sub_f32_e32 v5, v6, v5
	v_add_f32_e32 v11, 1.0, v11
	v_add_f32_e32 v5, v5, v11
	v_subrev_co_ci_u32_e64 v4, null, 0, v4, vcc_lo
	v_cmp_neq_f32_e32 vcc_lo, 0x7f800000, v6
	v_sub_nc_u32_e32 v10, 0, v4
	v_cvt_f32_i32_e32 v4, v4
	v_ldexp_f32 v7, v7, v10
	v_ldexp_f32 v5, v5, v10
	v_add_f32_e32 v12, 1.0, v7
	v_add_f32_e32 v10, -1.0, v7
	v_add_f32_e32 v11, -1.0, v12
	v_add_f32_e32 v13, 1.0, v10
	v_sub_f32_e32 v11, v7, v11
	v_sub_f32_e32 v7, v7, v13
	v_add_f32_e32 v11, v5, v11
	v_add_f32_e32 v5, v5, v7
	;; [unrolled: 1-line block ×4, first 2 shown]
	v_rcp_f32_e32 v7, v13
	v_sub_f32_e32 v12, v12, v13
	v_sub_f32_e32 v10, v10, v20
	v_add_f32_e32 v11, v11, v12
	v_add_f32_e32 v5, v5, v10
	v_mul_f32_e32 v22, v20, v7
	v_mul_f32_e32 v23, v13, v22
	v_fma_f32 v12, v22, v13, -v23
	v_fmac_f32_e32 v12, v22, v11
	v_add_f32_e32 v24, v23, v12
	v_sub_f32_e32 v25, v20, v24
	v_sub_f32_e32 v10, v24, v23
	;; [unrolled: 1-line block ×5, first 2 shown]
	v_add_f32_e32 v5, v5, v20
	v_add_f32_e32 v5, v10, v5
	;; [unrolled: 1-line block ×3, first 2 shown]
	v_mul_f32_e32 v12, v7, v10
	v_sub_f32_e32 v24, v25, v10
	v_mul_f32_e32 v20, v13, v12
	v_add_f32_e32 v5, v5, v24
	v_fma_f32 v13, v12, v13, -v20
	v_fmac_f32_e32 v13, v12, v11
	v_add_f32_e32 v11, v20, v13
	v_sub_f32_e32 v23, v10, v11
	v_sub_f32_e32 v20, v11, v20
	;; [unrolled: 1-line block ×5, first 2 shown]
	v_add_f32_e32 v5, v5, v10
	v_add_f32_e32 v10, v22, v12
	;; [unrolled: 1-line block ×3, first 2 shown]
	v_sub_f32_e32 v11, v10, v22
	v_add_f32_e32 v5, v23, v5
	v_sub_f32_e32 v11, v12, v11
	v_mul_f32_e32 v5, v7, v5
	v_add_f32_e32 v5, v11, v5
	v_add_f32_e32 v7, v10, v5
	v_mul_f32_e32 v11, v7, v7
	v_fmaak_f32 v12, s8, v11, 0x3ecc95a3
	v_mul_f32_e32 v13, v7, v11
	v_fmaak_f32 v11, v11, v12, 0x3f2aaada
	v_ldexp_f32 v12, v7, 1
	v_sub_f32_e32 v7, v7, v10
	v_mul_f32_e32 v11, v13, v11
	v_mul_f32_e32 v13, 0x3f317218, v4
	v_sub_f32_e32 v5, v5, v7
	v_add_f32_e32 v10, v12, v11
	v_ldexp_f32 v5, v5, 1
	v_sub_f32_e32 v7, v10, v12
	v_fma_f32 v12, 0x3f317218, v4, -v13
	v_sub_f32_e32 v7, v11, v7
	v_fmamk_f32 v4, v4, 0xb102e308, v12
	v_add_f32_e32 v5, v5, v7
	v_add_f32_e32 v7, v13, v4
	;; [unrolled: 1-line block ×3, first 2 shown]
	v_sub_f32_e32 v13, v7, v13
	v_add_f32_e32 v12, v7, v11
	v_sub_f32_e32 v10, v11, v10
	v_sub_f32_e32 v4, v4, v13
	;; [unrolled: 1-line block ×6, first 2 shown]
	v_add_f32_e32 v11, v4, v5
	v_sub_f32_e32 v7, v7, v22
	v_add_f32_e32 v7, v10, v7
	v_sub_f32_e32 v10, v11, v4
	;; [unrolled: 2-line block ×3, first 2 shown]
	v_sub_f32_e32 v5, v5, v10
	v_add_f32_e32 v13, v12, v7
	v_sub_f32_e32 v4, v4, v11
	v_sub_f32_e32 v10, v13, v12
	v_add_f32_e32 v4, v5, v4
	v_sub_f32_e32 v5, v7, v10
	v_add_f32_e32 v4, v4, v5
	v_add_f32_e32 v4, v13, v4
	v_cndmask_b32_e32 v4, 0x7f800000, v4, vcc_lo
	v_cmp_gt_f32_e64 vcc_lo, 0x33800000, |v6|
	v_cndmask_b32_e32 v4, v4, v6, vcc_lo
	v_add_f32_e32 v22, v3, v4
.LBB96_21:
	s_or_b32 exec_lo, exec_lo, s3
	v_max_f32_e32 v20, v16, v16
	v_max_f32_e32 v3, v22, v22
	v_cmp_u_f32_e32 vcc_lo, v22, v22
	v_cmp_u_f32_e64 s3, v16, v16
	v_min_f32_e32 v4, v3, v20
	v_max_f32_e32 v3, v3, v20
	v_cndmask_b32_e32 v4, v4, v22, vcc_lo
	v_cndmask_b32_e32 v3, v3, v22, vcc_lo
	v_cndmask_b32_e64 v4, v4, v16, s3
	v_cndmask_b32_e64 v3, v3, v16, s3
	v_cmp_class_f32_e64 s8, v4, 0x1f8
	v_cmp_neq_f32_e32 vcc_lo, v4, v3
	s_or_b32 s9, vcc_lo, s8
	s_and_saveexec_b32 s8, s9
	s_cbranch_execz .LBB96_23
; %bb.22:
	v_sub_f32_e32 v4, v4, v3
	s_mov_b32 s9, 0x3e9b6dac
	v_mul_f32_e32 v5, 0x3fb8aa3b, v4
	v_cmp_ngt_f32_e32 vcc_lo, 0xc2ce8ed0, v4
	v_fma_f32 v6, 0x3fb8aa3b, v4, -v5
	v_rndne_f32_e32 v7, v5
	v_fmamk_f32 v6, v4, 0x32a5705f, v6
	v_sub_f32_e32 v5, v5, v7
	v_add_f32_e32 v5, v5, v6
	v_cvt_i32_f32_e32 v6, v7
	v_exp_f32_e32 v5, v5
	v_ldexp_f32 v5, v5, v6
	v_cndmask_b32_e32 v5, 0, v5, vcc_lo
	v_cmp_nlt_f32_e32 vcc_lo, 0x42b17218, v4
	v_cndmask_b32_e32 v6, 0x7f800000, v5, vcc_lo
	v_add_f32_e32 v7, 1.0, v6
	v_cvt_f64_f32_e32 v[4:5], v7
	v_frexp_exp_i32_f64_e32 v4, v[4:5]
	v_frexp_mant_f32_e32 v5, v7
	v_cmp_gt_f32_e32 vcc_lo, 0x3f2aaaab, v5
	v_add_f32_e32 v5, -1.0, v7
	v_sub_f32_e32 v11, v5, v7
	v_sub_f32_e32 v5, v6, v5
	v_add_f32_e32 v11, 1.0, v11
	v_add_f32_e32 v5, v5, v11
	v_subrev_co_ci_u32_e64 v4, null, 0, v4, vcc_lo
	v_cmp_neq_f32_e32 vcc_lo, 0x7f800000, v6
	v_sub_nc_u32_e32 v10, 0, v4
	v_cvt_f32_i32_e32 v4, v4
	v_ldexp_f32 v7, v7, v10
	v_ldexp_f32 v5, v5, v10
	v_add_f32_e32 v12, 1.0, v7
	v_add_f32_e32 v10, -1.0, v7
	v_add_f32_e32 v11, -1.0, v12
	v_add_f32_e32 v13, 1.0, v10
	v_sub_f32_e32 v11, v7, v11
	v_sub_f32_e32 v7, v7, v13
	v_add_f32_e32 v11, v5, v11
	v_add_f32_e32 v5, v5, v7
	;; [unrolled: 1-line block ×4, first 2 shown]
	v_rcp_f32_e32 v7, v13
	v_sub_f32_e32 v12, v12, v13
	v_sub_f32_e32 v10, v10, v22
	v_add_f32_e32 v11, v11, v12
	v_add_f32_e32 v5, v5, v10
	v_mul_f32_e32 v23, v22, v7
	v_mul_f32_e32 v24, v13, v23
	v_fma_f32 v12, v23, v13, -v24
	v_fmac_f32_e32 v12, v23, v11
	v_add_f32_e32 v25, v24, v12
	v_sub_f32_e32 v26, v22, v25
	v_sub_f32_e32 v10, v25, v24
	;; [unrolled: 1-line block ×5, first 2 shown]
	v_add_f32_e32 v5, v5, v22
	v_add_f32_e32 v5, v10, v5
	;; [unrolled: 1-line block ×3, first 2 shown]
	v_mul_f32_e32 v12, v7, v10
	v_sub_f32_e32 v25, v26, v10
	v_mul_f32_e32 v22, v13, v12
	v_add_f32_e32 v5, v5, v25
	v_fma_f32 v13, v12, v13, -v22
	v_fmac_f32_e32 v13, v12, v11
	v_add_f32_e32 v11, v22, v13
	v_sub_f32_e32 v24, v10, v11
	v_sub_f32_e32 v22, v11, v22
	;; [unrolled: 1-line block ×5, first 2 shown]
	v_add_f32_e32 v5, v5, v10
	v_add_f32_e32 v10, v23, v12
	v_add_f32_e32 v5, v11, v5
	v_sub_f32_e32 v11, v10, v23
	v_add_f32_e32 v5, v24, v5
	v_sub_f32_e32 v11, v12, v11
	v_mul_f32_e32 v5, v7, v5
	v_add_f32_e32 v5, v11, v5
	v_add_f32_e32 v7, v10, v5
	v_mul_f32_e32 v11, v7, v7
	v_fmaak_f32 v12, s9, v11, 0x3ecc95a3
	v_mul_f32_e32 v13, v7, v11
	v_fmaak_f32 v11, v11, v12, 0x3f2aaada
	v_ldexp_f32 v12, v7, 1
	v_sub_f32_e32 v7, v7, v10
	v_mul_f32_e32 v11, v13, v11
	v_mul_f32_e32 v13, 0x3f317218, v4
	v_sub_f32_e32 v5, v5, v7
	v_add_f32_e32 v10, v12, v11
	v_ldexp_f32 v5, v5, 1
	v_sub_f32_e32 v7, v10, v12
	v_fma_f32 v12, 0x3f317218, v4, -v13
	v_sub_f32_e32 v7, v11, v7
	v_fmamk_f32 v4, v4, 0xb102e308, v12
	v_add_f32_e32 v5, v5, v7
	v_add_f32_e32 v7, v13, v4
	;; [unrolled: 1-line block ×3, first 2 shown]
	v_sub_f32_e32 v13, v7, v13
	v_add_f32_e32 v12, v7, v11
	v_sub_f32_e32 v10, v11, v10
	v_sub_f32_e32 v4, v4, v13
	;; [unrolled: 1-line block ×6, first 2 shown]
	v_add_f32_e32 v11, v4, v5
	v_sub_f32_e32 v7, v7, v23
	v_add_f32_e32 v7, v10, v7
	v_sub_f32_e32 v10, v11, v4
	;; [unrolled: 2-line block ×3, first 2 shown]
	v_sub_f32_e32 v5, v5, v10
	v_add_f32_e32 v13, v12, v7
	v_sub_f32_e32 v4, v4, v11
	v_sub_f32_e32 v10, v13, v12
	v_add_f32_e32 v4, v5, v4
	v_sub_f32_e32 v5, v7, v10
	v_add_f32_e32 v4, v4, v5
	v_add_f32_e32 v4, v13, v4
	v_cndmask_b32_e32 v4, 0x7f800000, v4, vcc_lo
	v_cmp_gt_f32_e64 vcc_lo, 0x33800000, |v6|
	v_cndmask_b32_e32 v4, v4, v6, vcc_lo
	v_add_f32_e32 v22, v3, v4
.LBB96_23:
	s_or_b32 exec_lo, exec_lo, s8
	v_lshrrev_b32_e32 v3, 3, v0
	v_cmp_gt_u32_e32 vcc_lo, 32, v0
	v_and_b32_e32 v3, 4, v3
	v_lshl_add_u32 v3, v0, 2, v3
	ds_write_b32 v3, v22
	s_waitcnt lgkmcnt(0)
	s_barrier
	buffer_gl0_inv
	s_and_saveexec_b32 s10, vcc_lo
	s_cbranch_execz .LBB96_51
; %bb.24:
	v_lshrrev_b32_e32 v3, 2, v0
	v_lshlrev_b32_e32 v4, 3, v0
	v_and_b32_e32 v3, 12, v3
	v_add_nc_u32_e32 v5, v3, v4
	ds_read2_b32 v[3:4], v5 offset1:1
	s_waitcnt lgkmcnt(0)
	v_max_f32_e32 v7, v4, v4
	v_max_f32_e32 v6, v3, v3
	v_cmp_u_f32_e64 s8, v3, v3
	v_cmp_u_f32_e64 s9, v4, v4
	v_min_f32_e32 v10, v6, v7
	v_max_f32_e32 v7, v6, v7
	v_cndmask_b32_e64 v10, v10, v3, s8
	v_cndmask_b32_e64 v11, v7, v3, s8
	;; [unrolled: 1-line block ×4, first 2 shown]
	v_mov_b32_e32 v10, v3
	v_cmp_class_f32_e64 s16, v7, 0x1f8
	v_cmp_neq_f32_e64 s9, v7, v4
	s_or_b32 s9, s9, s16
	s_and_saveexec_b32 s16, s9
	s_cbranch_execz .LBB96_26
; %bb.25:
	v_sub_f32_e32 v7, v7, v4
	v_mul_f32_e32 v10, 0x3fb8aa3b, v7
	v_cmp_ngt_f32_e64 s9, 0xc2ce8ed0, v7
	v_fma_f32 v11, 0x3fb8aa3b, v7, -v10
	v_rndne_f32_e32 v12, v10
	v_fmamk_f32 v11, v7, 0x32a5705f, v11
	v_sub_f32_e32 v10, v10, v12
	v_add_f32_e32 v10, v10, v11
	v_cvt_i32_f32_e32 v11, v12
	v_exp_f32_e32 v10, v10
	v_ldexp_f32 v10, v10, v11
	v_cndmask_b32_e64 v10, 0, v10, s9
	v_cmp_nlt_f32_e64 s9, 0x42b17218, v7
	v_cndmask_b32_e64 v7, 0x7f800000, v10, s9
	v_add_f32_e32 v12, 1.0, v7
	v_cvt_f64_f32_e32 v[10:11], v12
	v_frexp_exp_i32_f64_e32 v10, v[10:11]
	v_frexp_mant_f32_e32 v11, v12
	v_cmp_gt_f32_e64 s9, 0x3f2aaaab, v11
	v_add_f32_e32 v11, -1.0, v12
	v_sub_f32_e32 v23, v11, v12
	v_sub_f32_e32 v11, v7, v11
	v_add_f32_e32 v23, 1.0, v23
	v_add_f32_e32 v11, v11, v23
	v_subrev_co_ci_u32_e64 v10, null, 0, v10, s9
	s_mov_b32 s9, 0x3e9b6dac
	v_sub_nc_u32_e32 v13, 0, v10
	v_cvt_f32_i32_e32 v10, v10
	v_ldexp_f32 v12, v12, v13
	v_ldexp_f32 v11, v11, v13
	v_add_f32_e32 v24, 1.0, v12
	v_add_f32_e32 v13, -1.0, v12
	v_add_f32_e32 v23, -1.0, v24
	v_add_f32_e32 v25, 1.0, v13
	v_sub_f32_e32 v23, v12, v23
	v_sub_f32_e32 v12, v12, v25
	v_add_f32_e32 v23, v11, v23
	v_add_f32_e32 v11, v11, v12
	;; [unrolled: 1-line block ×4, first 2 shown]
	v_rcp_f32_e32 v12, v25
	v_sub_f32_e32 v24, v24, v25
	v_sub_f32_e32 v13, v13, v26
	v_add_f32_e32 v23, v23, v24
	v_add_f32_e32 v11, v11, v13
	v_mul_f32_e32 v27, v26, v12
	v_mul_f32_e32 v28, v25, v27
	v_fma_f32 v24, v27, v25, -v28
	v_fmac_f32_e32 v24, v27, v23
	v_add_f32_e32 v29, v28, v24
	v_sub_f32_e32 v30, v26, v29
	v_sub_f32_e32 v13, v29, v28
	;; [unrolled: 1-line block ×5, first 2 shown]
	v_add_f32_e32 v11, v11, v26
	v_add_f32_e32 v11, v13, v11
	;; [unrolled: 1-line block ×3, first 2 shown]
	v_mul_f32_e32 v24, v12, v13
	v_sub_f32_e32 v29, v30, v13
	v_mul_f32_e32 v26, v25, v24
	v_add_f32_e32 v11, v11, v29
	v_fma_f32 v25, v24, v25, -v26
	v_fmac_f32_e32 v25, v24, v23
	v_add_f32_e32 v23, v26, v25
	v_sub_f32_e32 v28, v13, v23
	v_sub_f32_e32 v26, v23, v26
	;; [unrolled: 1-line block ×5, first 2 shown]
	v_add_f32_e32 v11, v11, v13
	v_add_f32_e32 v13, v27, v24
	;; [unrolled: 1-line block ×3, first 2 shown]
	v_sub_f32_e32 v23, v13, v27
	v_add_f32_e32 v11, v28, v11
	v_sub_f32_e32 v23, v24, v23
	v_mul_f32_e32 v11, v12, v11
	v_add_f32_e32 v11, v23, v11
	v_add_f32_e32 v12, v13, v11
	v_mul_f32_e32 v23, v12, v12
	v_fmaak_f32 v24, s9, v23, 0x3ecc95a3
	v_mul_f32_e32 v25, v12, v23
	v_cmp_neq_f32_e64 s9, 0x7f800000, v7
	v_fmaak_f32 v23, v23, v24, 0x3f2aaada
	v_ldexp_f32 v24, v12, 1
	v_sub_f32_e32 v12, v12, v13
	v_mul_f32_e32 v23, v25, v23
	v_mul_f32_e32 v25, 0x3f317218, v10
	v_sub_f32_e32 v11, v11, v12
	v_add_f32_e32 v13, v24, v23
	v_ldexp_f32 v11, v11, 1
	v_sub_f32_e32 v12, v13, v24
	v_fma_f32 v24, 0x3f317218, v10, -v25
	v_sub_f32_e32 v12, v23, v12
	v_fmamk_f32 v10, v10, 0xb102e308, v24
	v_add_f32_e32 v11, v11, v12
	v_add_f32_e32 v12, v25, v10
	;; [unrolled: 1-line block ×3, first 2 shown]
	v_sub_f32_e32 v25, v12, v25
	v_add_f32_e32 v24, v12, v23
	v_sub_f32_e32 v13, v23, v13
	v_sub_f32_e32 v10, v10, v25
	;; [unrolled: 1-line block ×6, first 2 shown]
	v_add_f32_e32 v23, v10, v11
	v_sub_f32_e32 v12, v12, v27
	v_add_f32_e32 v12, v13, v12
	v_sub_f32_e32 v13, v23, v10
	;; [unrolled: 2-line block ×3, first 2 shown]
	v_sub_f32_e32 v11, v11, v13
	v_add_f32_e32 v25, v24, v12
	v_sub_f32_e32 v10, v10, v23
	v_sub_f32_e32 v13, v25, v24
	v_add_f32_e32 v10, v11, v10
	v_sub_f32_e32 v11, v12, v13
	v_add_f32_e32 v10, v10, v11
	v_add_f32_e32 v10, v25, v10
	v_cndmask_b32_e64 v10, 0x7f800000, v10, s9
	v_cmp_gt_f32_e64 s9, 0x33800000, |v7|
	v_cndmask_b32_e64 v7, v10, v7, s9
	v_add_f32_e32 v10, v4, v7
.LBB96_26:
	s_or_b32 exec_lo, exec_lo, s16
	v_mbcnt_lo_u32_b32 v4, -1, 0
	v_mov_b32_dpp v11, v10 row_shr:1 row_mask:0xf bank_mask:0xf
	s_mov_b32 s16, exec_lo
	v_and_b32_e32 v7, 15, v4
	v_cmpx_ne_u32_e32 0, v7
	s_xor_b32 s16, exec_lo, s16
	s_cbranch_execz .LBB96_30
; %bb.27:
	v_max_f32_e32 v12, v10, v10
	v_max_f32_e32 v13, v11, v11
	v_cmp_u_f32_e64 s9, v11, v11
	v_min_f32_e32 v23, v13, v12
	v_max_f32_e32 v12, v13, v12
	v_cndmask_b32_e64 v13, v23, v11, s9
	v_cndmask_b32_e64 v23, v12, v11, s9
	v_cmp_u_f32_e64 s9, v10, v10
	v_cndmask_b32_e64 v12, v13, v10, s9
	v_cndmask_b32_e64 v10, v23, v10, s9
	v_cmp_class_f32_e64 s17, v12, 0x1f8
	v_cmp_neq_f32_e64 s9, v12, v10
	s_or_b32 s9, s9, s17
	s_and_saveexec_b32 s17, s9
	s_cbranch_execz .LBB96_29
; %bb.28:
	v_sub_f32_e32 v11, v12, v10
	v_mul_f32_e32 v12, 0x3fb8aa3b, v11
	v_cmp_ngt_f32_e64 s9, 0xc2ce8ed0, v11
	v_fma_f32 v13, 0x3fb8aa3b, v11, -v12
	v_rndne_f32_e32 v23, v12
	v_fmamk_f32 v13, v11, 0x32a5705f, v13
	v_sub_f32_e32 v12, v12, v23
	v_add_f32_e32 v12, v12, v13
	v_cvt_i32_f32_e32 v13, v23
	v_exp_f32_e32 v12, v12
	v_ldexp_f32 v12, v12, v13
	v_cndmask_b32_e64 v12, 0, v12, s9
	v_cmp_nlt_f32_e64 s9, 0x42b17218, v11
	v_cndmask_b32_e64 v13, 0x7f800000, v12, s9
	v_add_f32_e32 v23, 1.0, v13
	v_cvt_f64_f32_e32 v[11:12], v23
	v_frexp_exp_i32_f64_e32 v11, v[11:12]
	v_frexp_mant_f32_e32 v12, v23
	v_cmp_gt_f32_e64 s9, 0x3f2aaaab, v12
	v_add_f32_e32 v12, -1.0, v23
	v_sub_f32_e32 v25, v12, v23
	v_sub_f32_e32 v12, v13, v12
	v_add_f32_e32 v25, 1.0, v25
	v_add_f32_e32 v12, v12, v25
	v_subrev_co_ci_u32_e64 v11, null, 0, v11, s9
	s_mov_b32 s9, 0x3e9b6dac
	v_sub_nc_u32_e32 v24, 0, v11
	v_cvt_f32_i32_e32 v11, v11
	v_ldexp_f32 v23, v23, v24
	v_ldexp_f32 v12, v12, v24
	v_add_f32_e32 v26, 1.0, v23
	v_add_f32_e32 v24, -1.0, v23
	v_add_f32_e32 v25, -1.0, v26
	v_add_f32_e32 v27, 1.0, v24
	v_sub_f32_e32 v25, v23, v25
	v_sub_f32_e32 v23, v23, v27
	v_add_f32_e32 v25, v12, v25
	v_add_f32_e32 v12, v12, v23
	;; [unrolled: 1-line block ×4, first 2 shown]
	v_rcp_f32_e32 v23, v27
	v_sub_f32_e32 v26, v26, v27
	v_sub_f32_e32 v24, v24, v28
	v_add_f32_e32 v25, v25, v26
	v_add_f32_e32 v12, v12, v24
	v_mul_f32_e32 v29, v28, v23
	v_mul_f32_e32 v30, v27, v29
	v_fma_f32 v26, v29, v27, -v30
	v_fmac_f32_e32 v26, v29, v25
	v_add_f32_e32 v31, v30, v26
	v_sub_f32_e32 v32, v28, v31
	v_sub_f32_e32 v24, v31, v30
	;; [unrolled: 1-line block ×5, first 2 shown]
	v_add_f32_e32 v12, v12, v28
	v_add_f32_e32 v12, v24, v12
	;; [unrolled: 1-line block ×3, first 2 shown]
	v_mul_f32_e32 v26, v23, v24
	v_sub_f32_e32 v31, v32, v24
	v_mul_f32_e32 v28, v27, v26
	v_add_f32_e32 v12, v12, v31
	v_fma_f32 v27, v26, v27, -v28
	v_fmac_f32_e32 v27, v26, v25
	v_add_f32_e32 v25, v28, v27
	v_sub_f32_e32 v30, v24, v25
	v_sub_f32_e32 v28, v25, v28
	;; [unrolled: 1-line block ×5, first 2 shown]
	v_add_f32_e32 v12, v12, v24
	v_add_f32_e32 v24, v29, v26
	;; [unrolled: 1-line block ×3, first 2 shown]
	v_sub_f32_e32 v25, v24, v29
	v_add_f32_e32 v12, v30, v12
	v_sub_f32_e32 v25, v26, v25
	v_mul_f32_e32 v12, v23, v12
	v_add_f32_e32 v12, v25, v12
	v_add_f32_e32 v23, v24, v12
	v_mul_f32_e32 v25, v23, v23
	v_fmaak_f32 v26, s9, v25, 0x3ecc95a3
	v_mul_f32_e32 v27, v23, v25
	v_cmp_neq_f32_e64 s9, 0x7f800000, v13
	v_fmaak_f32 v25, v25, v26, 0x3f2aaada
	v_ldexp_f32 v26, v23, 1
	v_sub_f32_e32 v23, v23, v24
	v_mul_f32_e32 v25, v27, v25
	v_mul_f32_e32 v27, 0x3f317218, v11
	v_sub_f32_e32 v12, v12, v23
	v_add_f32_e32 v24, v26, v25
	v_ldexp_f32 v12, v12, 1
	v_sub_f32_e32 v23, v24, v26
	v_fma_f32 v26, 0x3f317218, v11, -v27
	v_sub_f32_e32 v23, v25, v23
	v_fmamk_f32 v11, v11, 0xb102e308, v26
	v_add_f32_e32 v12, v12, v23
	v_add_f32_e32 v23, v27, v11
	;; [unrolled: 1-line block ×3, first 2 shown]
	v_sub_f32_e32 v27, v23, v27
	v_add_f32_e32 v26, v23, v25
	v_sub_f32_e32 v24, v25, v24
	v_sub_f32_e32 v11, v11, v27
	;; [unrolled: 1-line block ×6, first 2 shown]
	v_add_f32_e32 v25, v11, v12
	v_sub_f32_e32 v23, v23, v29
	v_add_f32_e32 v23, v24, v23
	v_sub_f32_e32 v24, v25, v11
	;; [unrolled: 2-line block ×3, first 2 shown]
	v_sub_f32_e32 v12, v12, v24
	v_add_f32_e32 v27, v26, v23
	v_sub_f32_e32 v11, v11, v25
	v_sub_f32_e32 v24, v27, v26
	v_add_f32_e32 v11, v12, v11
	v_sub_f32_e32 v12, v23, v24
	v_add_f32_e32 v11, v11, v12
	v_add_f32_e32 v11, v27, v11
	v_cndmask_b32_e64 v11, 0x7f800000, v11, s9
	v_cmp_gt_f32_e64 s9, 0x33800000, |v13|
	v_cndmask_b32_e64 v11, v11, v13, s9
	v_add_f32_e32 v11, v10, v11
.LBB96_29:
	s_or_b32 exec_lo, exec_lo, s17
	v_mov_b32_e32 v10, v11
.LBB96_30:
	s_or_b32 exec_lo, exec_lo, s16
	v_mov_b32_dpp v11, v10 row_shr:2 row_mask:0xf bank_mask:0xf
	s_mov_b32 s16, exec_lo
	v_cmpx_lt_u32_e32 1, v7
	s_cbranch_execz .LBB96_34
; %bb.31:
	v_max_f32_e32 v12, v10, v10
	v_max_f32_e32 v13, v11, v11
	v_cmp_u_f32_e64 s9, v11, v11
	v_min_f32_e32 v23, v13, v12
	v_max_f32_e32 v12, v13, v12
	v_cndmask_b32_e64 v13, v23, v11, s9
	v_cndmask_b32_e64 v23, v12, v11, s9
	v_cmp_u_f32_e64 s9, v10, v10
	v_cndmask_b32_e64 v12, v13, v10, s9
	v_cndmask_b32_e64 v10, v23, v10, s9
	v_cmp_class_f32_e64 s17, v12, 0x1f8
	v_cmp_neq_f32_e64 s9, v12, v10
	s_or_b32 s9, s9, s17
	s_and_saveexec_b32 s17, s9
	s_cbranch_execz .LBB96_33
; %bb.32:
	v_sub_f32_e32 v11, v12, v10
	v_mul_f32_e32 v12, 0x3fb8aa3b, v11
	v_cmp_ngt_f32_e64 s9, 0xc2ce8ed0, v11
	v_fma_f32 v13, 0x3fb8aa3b, v11, -v12
	v_rndne_f32_e32 v23, v12
	v_fmamk_f32 v13, v11, 0x32a5705f, v13
	v_sub_f32_e32 v12, v12, v23
	v_add_f32_e32 v12, v12, v13
	v_cvt_i32_f32_e32 v13, v23
	v_exp_f32_e32 v12, v12
	v_ldexp_f32 v12, v12, v13
	v_cndmask_b32_e64 v12, 0, v12, s9
	v_cmp_nlt_f32_e64 s9, 0x42b17218, v11
	v_cndmask_b32_e64 v13, 0x7f800000, v12, s9
	v_add_f32_e32 v23, 1.0, v13
	v_cvt_f64_f32_e32 v[11:12], v23
	v_frexp_exp_i32_f64_e32 v11, v[11:12]
	v_frexp_mant_f32_e32 v12, v23
	v_cmp_gt_f32_e64 s9, 0x3f2aaaab, v12
	v_add_f32_e32 v12, -1.0, v23
	v_sub_f32_e32 v25, v12, v23
	v_sub_f32_e32 v12, v13, v12
	v_add_f32_e32 v25, 1.0, v25
	v_add_f32_e32 v12, v12, v25
	v_subrev_co_ci_u32_e64 v11, null, 0, v11, s9
	s_mov_b32 s9, 0x3e9b6dac
	v_sub_nc_u32_e32 v24, 0, v11
	v_cvt_f32_i32_e32 v11, v11
	v_ldexp_f32 v23, v23, v24
	v_ldexp_f32 v12, v12, v24
	v_add_f32_e32 v26, 1.0, v23
	v_add_f32_e32 v24, -1.0, v23
	v_add_f32_e32 v25, -1.0, v26
	v_add_f32_e32 v27, 1.0, v24
	v_sub_f32_e32 v25, v23, v25
	v_sub_f32_e32 v23, v23, v27
	v_add_f32_e32 v25, v12, v25
	v_add_f32_e32 v12, v12, v23
	;; [unrolled: 1-line block ×4, first 2 shown]
	v_rcp_f32_e32 v23, v27
	v_sub_f32_e32 v26, v26, v27
	v_sub_f32_e32 v24, v24, v28
	v_add_f32_e32 v25, v25, v26
	v_add_f32_e32 v12, v12, v24
	v_mul_f32_e32 v29, v28, v23
	v_mul_f32_e32 v30, v27, v29
	v_fma_f32 v26, v29, v27, -v30
	v_fmac_f32_e32 v26, v29, v25
	v_add_f32_e32 v31, v30, v26
	v_sub_f32_e32 v32, v28, v31
	v_sub_f32_e32 v24, v31, v30
	;; [unrolled: 1-line block ×5, first 2 shown]
	v_add_f32_e32 v12, v12, v28
	v_add_f32_e32 v12, v24, v12
	;; [unrolled: 1-line block ×3, first 2 shown]
	v_mul_f32_e32 v26, v23, v24
	v_sub_f32_e32 v31, v32, v24
	v_mul_f32_e32 v28, v27, v26
	v_add_f32_e32 v12, v12, v31
	v_fma_f32 v27, v26, v27, -v28
	v_fmac_f32_e32 v27, v26, v25
	v_add_f32_e32 v25, v28, v27
	v_sub_f32_e32 v30, v24, v25
	v_sub_f32_e32 v28, v25, v28
	;; [unrolled: 1-line block ×5, first 2 shown]
	v_add_f32_e32 v12, v12, v24
	v_add_f32_e32 v24, v29, v26
	;; [unrolled: 1-line block ×3, first 2 shown]
	v_sub_f32_e32 v25, v24, v29
	v_add_f32_e32 v12, v30, v12
	v_sub_f32_e32 v25, v26, v25
	v_mul_f32_e32 v12, v23, v12
	v_add_f32_e32 v12, v25, v12
	v_add_f32_e32 v23, v24, v12
	v_mul_f32_e32 v25, v23, v23
	v_fmaak_f32 v26, s9, v25, 0x3ecc95a3
	v_mul_f32_e32 v27, v23, v25
	v_cmp_neq_f32_e64 s9, 0x7f800000, v13
	v_fmaak_f32 v25, v25, v26, 0x3f2aaada
	v_ldexp_f32 v26, v23, 1
	v_sub_f32_e32 v23, v23, v24
	v_mul_f32_e32 v25, v27, v25
	v_mul_f32_e32 v27, 0x3f317218, v11
	v_sub_f32_e32 v12, v12, v23
	v_add_f32_e32 v24, v26, v25
	v_ldexp_f32 v12, v12, 1
	v_sub_f32_e32 v23, v24, v26
	v_fma_f32 v26, 0x3f317218, v11, -v27
	v_sub_f32_e32 v23, v25, v23
	v_fmamk_f32 v11, v11, 0xb102e308, v26
	v_add_f32_e32 v12, v12, v23
	v_add_f32_e32 v23, v27, v11
	;; [unrolled: 1-line block ×3, first 2 shown]
	v_sub_f32_e32 v27, v23, v27
	v_add_f32_e32 v26, v23, v25
	v_sub_f32_e32 v24, v25, v24
	v_sub_f32_e32 v11, v11, v27
	;; [unrolled: 1-line block ×6, first 2 shown]
	v_add_f32_e32 v25, v11, v12
	v_sub_f32_e32 v23, v23, v29
	v_add_f32_e32 v23, v24, v23
	v_sub_f32_e32 v24, v25, v11
	v_add_f32_e32 v23, v25, v23
	v_sub_f32_e32 v25, v25, v24
	v_sub_f32_e32 v12, v12, v24
	v_add_f32_e32 v27, v26, v23
	v_sub_f32_e32 v11, v11, v25
	v_sub_f32_e32 v24, v27, v26
	v_add_f32_e32 v11, v12, v11
	v_sub_f32_e32 v12, v23, v24
	v_add_f32_e32 v11, v11, v12
	v_add_f32_e32 v11, v27, v11
	v_cndmask_b32_e64 v11, 0x7f800000, v11, s9
	v_cmp_gt_f32_e64 s9, 0x33800000, |v13|
	v_cndmask_b32_e64 v11, v11, v13, s9
	v_add_f32_e32 v11, v10, v11
.LBB96_33:
	s_or_b32 exec_lo, exec_lo, s17
	v_mov_b32_e32 v10, v11
.LBB96_34:
	s_or_b32 exec_lo, exec_lo, s16
	v_mov_b32_dpp v11, v10 row_shr:4 row_mask:0xf bank_mask:0xf
	s_mov_b32 s16, exec_lo
	v_cmpx_lt_u32_e32 3, v7
	s_cbranch_execz .LBB96_38
; %bb.35:
	v_max_f32_e32 v12, v10, v10
	v_max_f32_e32 v13, v11, v11
	v_cmp_u_f32_e64 s9, v11, v11
	v_min_f32_e32 v23, v13, v12
	v_max_f32_e32 v12, v13, v12
	v_cndmask_b32_e64 v13, v23, v11, s9
	v_cndmask_b32_e64 v23, v12, v11, s9
	v_cmp_u_f32_e64 s9, v10, v10
	v_cndmask_b32_e64 v12, v13, v10, s9
	v_cndmask_b32_e64 v10, v23, v10, s9
	v_cmp_class_f32_e64 s17, v12, 0x1f8
	v_cmp_neq_f32_e64 s9, v12, v10
	s_or_b32 s9, s9, s17
	s_and_saveexec_b32 s17, s9
	s_cbranch_execz .LBB96_37
; %bb.36:
	v_sub_f32_e32 v11, v12, v10
	v_mul_f32_e32 v12, 0x3fb8aa3b, v11
	v_cmp_ngt_f32_e64 s9, 0xc2ce8ed0, v11
	v_fma_f32 v13, 0x3fb8aa3b, v11, -v12
	v_rndne_f32_e32 v23, v12
	v_fmamk_f32 v13, v11, 0x32a5705f, v13
	v_sub_f32_e32 v12, v12, v23
	v_add_f32_e32 v12, v12, v13
	v_cvt_i32_f32_e32 v13, v23
	v_exp_f32_e32 v12, v12
	v_ldexp_f32 v12, v12, v13
	v_cndmask_b32_e64 v12, 0, v12, s9
	v_cmp_nlt_f32_e64 s9, 0x42b17218, v11
	v_cndmask_b32_e64 v13, 0x7f800000, v12, s9
	v_add_f32_e32 v23, 1.0, v13
	v_cvt_f64_f32_e32 v[11:12], v23
	v_frexp_exp_i32_f64_e32 v11, v[11:12]
	v_frexp_mant_f32_e32 v12, v23
	v_cmp_gt_f32_e64 s9, 0x3f2aaaab, v12
	v_add_f32_e32 v12, -1.0, v23
	v_sub_f32_e32 v25, v12, v23
	v_sub_f32_e32 v12, v13, v12
	v_add_f32_e32 v25, 1.0, v25
	v_add_f32_e32 v12, v12, v25
	v_subrev_co_ci_u32_e64 v11, null, 0, v11, s9
	s_mov_b32 s9, 0x3e9b6dac
	v_sub_nc_u32_e32 v24, 0, v11
	v_cvt_f32_i32_e32 v11, v11
	v_ldexp_f32 v23, v23, v24
	v_ldexp_f32 v12, v12, v24
	v_add_f32_e32 v26, 1.0, v23
	v_add_f32_e32 v24, -1.0, v23
	v_add_f32_e32 v25, -1.0, v26
	v_add_f32_e32 v27, 1.0, v24
	v_sub_f32_e32 v25, v23, v25
	v_sub_f32_e32 v23, v23, v27
	v_add_f32_e32 v25, v12, v25
	v_add_f32_e32 v12, v12, v23
	;; [unrolled: 1-line block ×4, first 2 shown]
	v_rcp_f32_e32 v23, v27
	v_sub_f32_e32 v26, v26, v27
	v_sub_f32_e32 v24, v24, v28
	v_add_f32_e32 v25, v25, v26
	v_add_f32_e32 v12, v12, v24
	v_mul_f32_e32 v29, v28, v23
	v_mul_f32_e32 v30, v27, v29
	v_fma_f32 v26, v29, v27, -v30
	v_fmac_f32_e32 v26, v29, v25
	v_add_f32_e32 v31, v30, v26
	v_sub_f32_e32 v32, v28, v31
	v_sub_f32_e32 v24, v31, v30
	;; [unrolled: 1-line block ×5, first 2 shown]
	v_add_f32_e32 v12, v12, v28
	v_add_f32_e32 v12, v24, v12
	;; [unrolled: 1-line block ×3, first 2 shown]
	v_mul_f32_e32 v26, v23, v24
	v_sub_f32_e32 v31, v32, v24
	v_mul_f32_e32 v28, v27, v26
	v_add_f32_e32 v12, v12, v31
	v_fma_f32 v27, v26, v27, -v28
	v_fmac_f32_e32 v27, v26, v25
	v_add_f32_e32 v25, v28, v27
	v_sub_f32_e32 v30, v24, v25
	v_sub_f32_e32 v28, v25, v28
	;; [unrolled: 1-line block ×5, first 2 shown]
	v_add_f32_e32 v12, v12, v24
	v_add_f32_e32 v24, v29, v26
	;; [unrolled: 1-line block ×3, first 2 shown]
	v_sub_f32_e32 v25, v24, v29
	v_add_f32_e32 v12, v30, v12
	v_sub_f32_e32 v25, v26, v25
	v_mul_f32_e32 v12, v23, v12
	v_add_f32_e32 v12, v25, v12
	v_add_f32_e32 v23, v24, v12
	v_mul_f32_e32 v25, v23, v23
	v_fmaak_f32 v26, s9, v25, 0x3ecc95a3
	v_mul_f32_e32 v27, v23, v25
	v_cmp_neq_f32_e64 s9, 0x7f800000, v13
	v_fmaak_f32 v25, v25, v26, 0x3f2aaada
	v_ldexp_f32 v26, v23, 1
	v_sub_f32_e32 v23, v23, v24
	v_mul_f32_e32 v25, v27, v25
	v_mul_f32_e32 v27, 0x3f317218, v11
	v_sub_f32_e32 v12, v12, v23
	v_add_f32_e32 v24, v26, v25
	v_ldexp_f32 v12, v12, 1
	v_sub_f32_e32 v23, v24, v26
	v_fma_f32 v26, 0x3f317218, v11, -v27
	v_sub_f32_e32 v23, v25, v23
	v_fmamk_f32 v11, v11, 0xb102e308, v26
	v_add_f32_e32 v12, v12, v23
	v_add_f32_e32 v23, v27, v11
	;; [unrolled: 1-line block ×3, first 2 shown]
	v_sub_f32_e32 v27, v23, v27
	v_add_f32_e32 v26, v23, v25
	v_sub_f32_e32 v24, v25, v24
	v_sub_f32_e32 v11, v11, v27
	;; [unrolled: 1-line block ×6, first 2 shown]
	v_add_f32_e32 v25, v11, v12
	v_sub_f32_e32 v23, v23, v29
	v_add_f32_e32 v23, v24, v23
	v_sub_f32_e32 v24, v25, v11
	;; [unrolled: 2-line block ×3, first 2 shown]
	v_sub_f32_e32 v12, v12, v24
	v_add_f32_e32 v27, v26, v23
	v_sub_f32_e32 v11, v11, v25
	v_sub_f32_e32 v24, v27, v26
	v_add_f32_e32 v11, v12, v11
	v_sub_f32_e32 v12, v23, v24
	v_add_f32_e32 v11, v11, v12
	v_add_f32_e32 v11, v27, v11
	v_cndmask_b32_e64 v11, 0x7f800000, v11, s9
	v_cmp_gt_f32_e64 s9, 0x33800000, |v13|
	v_cndmask_b32_e64 v11, v11, v13, s9
	v_add_f32_e32 v11, v10, v11
.LBB96_37:
	s_or_b32 exec_lo, exec_lo, s17
	v_mov_b32_e32 v10, v11
.LBB96_38:
	s_or_b32 exec_lo, exec_lo, s16
	v_mov_b32_dpp v11, v10 row_shr:8 row_mask:0xf bank_mask:0xf
	s_mov_b32 s16, exec_lo
	v_cmpx_lt_u32_e32 7, v7
	s_cbranch_execz .LBB96_42
; %bb.39:
	v_max_f32_e32 v7, v10, v10
	v_max_f32_e32 v12, v11, v11
	v_cmp_u_f32_e64 s9, v11, v11
	v_min_f32_e32 v13, v12, v7
	v_max_f32_e32 v7, v12, v7
	v_cndmask_b32_e64 v12, v13, v11, s9
	v_cndmask_b32_e64 v7, v7, v11, s9
	v_cmp_u_f32_e64 s9, v10, v10
	v_cndmask_b32_e64 v12, v12, v10, s9
	v_cndmask_b32_e64 v7, v7, v10, s9
	v_cmp_class_f32_e64 s17, v12, 0x1f8
	v_cmp_neq_f32_e64 s9, v12, v7
	s_or_b32 s9, s9, s17
	s_and_saveexec_b32 s17, s9
	s_cbranch_execz .LBB96_41
; %bb.40:
	v_sub_f32_e32 v10, v12, v7
	v_mul_f32_e32 v11, 0x3fb8aa3b, v10
	v_cmp_ngt_f32_e64 s9, 0xc2ce8ed0, v10
	v_fma_f32 v12, 0x3fb8aa3b, v10, -v11
	v_rndne_f32_e32 v13, v11
	v_fmamk_f32 v12, v10, 0x32a5705f, v12
	v_sub_f32_e32 v11, v11, v13
	v_add_f32_e32 v11, v11, v12
	v_cvt_i32_f32_e32 v12, v13
	v_exp_f32_e32 v11, v11
	v_ldexp_f32 v11, v11, v12
	v_cndmask_b32_e64 v11, 0, v11, s9
	v_cmp_nlt_f32_e64 s9, 0x42b17218, v10
	v_cndmask_b32_e64 v12, 0x7f800000, v11, s9
	v_add_f32_e32 v13, 1.0, v12
	v_cvt_f64_f32_e32 v[10:11], v13
	v_frexp_exp_i32_f64_e32 v10, v[10:11]
	v_frexp_mant_f32_e32 v11, v13
	v_cmp_gt_f32_e64 s9, 0x3f2aaaab, v11
	v_add_f32_e32 v11, -1.0, v13
	v_sub_f32_e32 v24, v11, v13
	v_sub_f32_e32 v11, v12, v11
	v_add_f32_e32 v24, 1.0, v24
	v_add_f32_e32 v11, v11, v24
	v_subrev_co_ci_u32_e64 v10, null, 0, v10, s9
	s_mov_b32 s9, 0x3e9b6dac
	v_sub_nc_u32_e32 v23, 0, v10
	v_cvt_f32_i32_e32 v10, v10
	v_ldexp_f32 v13, v13, v23
	v_ldexp_f32 v11, v11, v23
	v_add_f32_e32 v25, 1.0, v13
	v_add_f32_e32 v23, -1.0, v13
	v_add_f32_e32 v24, -1.0, v25
	v_add_f32_e32 v26, 1.0, v23
	v_sub_f32_e32 v24, v13, v24
	v_sub_f32_e32 v13, v13, v26
	v_add_f32_e32 v24, v11, v24
	v_add_f32_e32 v11, v11, v13
	;; [unrolled: 1-line block ×4, first 2 shown]
	v_rcp_f32_e32 v13, v26
	v_sub_f32_e32 v25, v25, v26
	v_sub_f32_e32 v23, v23, v27
	v_add_f32_e32 v24, v24, v25
	v_add_f32_e32 v11, v11, v23
	v_mul_f32_e32 v28, v27, v13
	v_mul_f32_e32 v29, v26, v28
	v_fma_f32 v25, v28, v26, -v29
	v_fmac_f32_e32 v25, v28, v24
	v_add_f32_e32 v30, v29, v25
	v_sub_f32_e32 v31, v27, v30
	v_sub_f32_e32 v23, v30, v29
	;; [unrolled: 1-line block ×5, first 2 shown]
	v_add_f32_e32 v11, v11, v27
	v_add_f32_e32 v11, v23, v11
	;; [unrolled: 1-line block ×3, first 2 shown]
	v_mul_f32_e32 v25, v13, v23
	v_sub_f32_e32 v30, v31, v23
	v_mul_f32_e32 v27, v26, v25
	v_add_f32_e32 v11, v11, v30
	v_fma_f32 v26, v25, v26, -v27
	v_fmac_f32_e32 v26, v25, v24
	v_add_f32_e32 v24, v27, v26
	v_sub_f32_e32 v29, v23, v24
	v_sub_f32_e32 v27, v24, v27
	;; [unrolled: 1-line block ×5, first 2 shown]
	v_add_f32_e32 v11, v11, v23
	v_add_f32_e32 v23, v28, v25
	;; [unrolled: 1-line block ×3, first 2 shown]
	v_sub_f32_e32 v24, v23, v28
	v_add_f32_e32 v11, v29, v11
	v_sub_f32_e32 v24, v25, v24
	v_mul_f32_e32 v11, v13, v11
	v_add_f32_e32 v11, v24, v11
	v_add_f32_e32 v13, v23, v11
	v_mul_f32_e32 v24, v13, v13
	v_fmaak_f32 v25, s9, v24, 0x3ecc95a3
	v_mul_f32_e32 v26, v13, v24
	v_cmp_neq_f32_e64 s9, 0x7f800000, v12
	v_fmaak_f32 v24, v24, v25, 0x3f2aaada
	v_ldexp_f32 v25, v13, 1
	v_sub_f32_e32 v13, v13, v23
	v_mul_f32_e32 v24, v26, v24
	v_mul_f32_e32 v26, 0x3f317218, v10
	v_sub_f32_e32 v11, v11, v13
	v_add_f32_e32 v23, v25, v24
	v_ldexp_f32 v11, v11, 1
	v_sub_f32_e32 v13, v23, v25
	v_fma_f32 v25, 0x3f317218, v10, -v26
	v_sub_f32_e32 v13, v24, v13
	v_fmamk_f32 v10, v10, 0xb102e308, v25
	v_add_f32_e32 v11, v11, v13
	v_add_f32_e32 v13, v26, v10
	;; [unrolled: 1-line block ×3, first 2 shown]
	v_sub_f32_e32 v26, v13, v26
	v_add_f32_e32 v25, v13, v24
	v_sub_f32_e32 v23, v24, v23
	v_sub_f32_e32 v10, v10, v26
	v_sub_f32_e32 v27, v25, v13
	v_sub_f32_e32 v11, v11, v23
	v_sub_f32_e32 v28, v25, v27
	v_sub_f32_e32 v23, v24, v27
	v_add_f32_e32 v24, v10, v11
	v_sub_f32_e32 v13, v13, v28
	v_add_f32_e32 v13, v23, v13
	v_sub_f32_e32 v23, v24, v10
	;; [unrolled: 2-line block ×3, first 2 shown]
	v_sub_f32_e32 v11, v11, v23
	v_add_f32_e32 v26, v25, v13
	v_sub_f32_e32 v10, v10, v24
	v_sub_f32_e32 v23, v26, v25
	v_add_f32_e32 v10, v11, v10
	v_sub_f32_e32 v11, v13, v23
	v_add_f32_e32 v10, v10, v11
	v_add_f32_e32 v10, v26, v10
	v_cndmask_b32_e64 v10, 0x7f800000, v10, s9
	v_cmp_gt_f32_e64 s9, 0x33800000, |v12|
	v_cndmask_b32_e64 v10, v10, v12, s9
	v_add_f32_e32 v11, v7, v10
.LBB96_41:
	s_or_b32 exec_lo, exec_lo, s17
	v_mov_b32_e32 v10, v11
.LBB96_42:
	s_or_b32 exec_lo, exec_lo, s16
	ds_swizzle_b32 v11, v10 offset:swizzle(BROADCAST,32,15)
	v_and_b32_e32 v7, 16, v4
	s_mov_b32 s16, exec_lo
	v_cmpx_ne_u32_e32 0, v7
	s_cbranch_execz .LBB96_46
; %bb.43:
	v_max_f32_e32 v7, v10, v10
	s_waitcnt lgkmcnt(0)
	v_max_f32_e32 v12, v11, v11
	v_cmp_u_f32_e64 s9, v11, v11
	v_min_f32_e32 v13, v12, v7
	v_max_f32_e32 v7, v12, v7
	v_cndmask_b32_e64 v12, v13, v11, s9
	v_cndmask_b32_e64 v7, v7, v11, s9
	v_cmp_u_f32_e64 s9, v10, v10
	v_cndmask_b32_e64 v12, v12, v10, s9
	v_cndmask_b32_e64 v7, v7, v10, s9
	v_cmp_class_f32_e64 s17, v12, 0x1f8
	v_cmp_neq_f32_e64 s9, v12, v7
	s_or_b32 s9, s9, s17
	s_and_saveexec_b32 s17, s9
	s_cbranch_execz .LBB96_45
; %bb.44:
	v_sub_f32_e32 v10, v12, v7
	v_mul_f32_e32 v11, 0x3fb8aa3b, v10
	v_cmp_ngt_f32_e64 s9, 0xc2ce8ed0, v10
	v_fma_f32 v12, 0x3fb8aa3b, v10, -v11
	v_rndne_f32_e32 v13, v11
	v_fmamk_f32 v12, v10, 0x32a5705f, v12
	v_sub_f32_e32 v11, v11, v13
	v_add_f32_e32 v11, v11, v12
	v_cvt_i32_f32_e32 v12, v13
	v_exp_f32_e32 v11, v11
	v_ldexp_f32 v11, v11, v12
	v_cndmask_b32_e64 v11, 0, v11, s9
	v_cmp_nlt_f32_e64 s9, 0x42b17218, v10
	v_cndmask_b32_e64 v12, 0x7f800000, v11, s9
	v_add_f32_e32 v13, 1.0, v12
	v_cvt_f64_f32_e32 v[10:11], v13
	v_frexp_exp_i32_f64_e32 v10, v[10:11]
	v_frexp_mant_f32_e32 v11, v13
	v_cmp_gt_f32_e64 s9, 0x3f2aaaab, v11
	v_add_f32_e32 v11, -1.0, v13
	v_sub_f32_e32 v24, v11, v13
	v_sub_f32_e32 v11, v12, v11
	v_add_f32_e32 v24, 1.0, v24
	v_add_f32_e32 v11, v11, v24
	v_subrev_co_ci_u32_e64 v10, null, 0, v10, s9
	s_mov_b32 s9, 0x3e9b6dac
	v_sub_nc_u32_e32 v23, 0, v10
	v_cvt_f32_i32_e32 v10, v10
	v_ldexp_f32 v13, v13, v23
	v_ldexp_f32 v11, v11, v23
	v_add_f32_e32 v25, 1.0, v13
	v_add_f32_e32 v23, -1.0, v13
	v_add_f32_e32 v24, -1.0, v25
	v_add_f32_e32 v26, 1.0, v23
	v_sub_f32_e32 v24, v13, v24
	v_sub_f32_e32 v13, v13, v26
	v_add_f32_e32 v24, v11, v24
	v_add_f32_e32 v11, v11, v13
	;; [unrolled: 1-line block ×4, first 2 shown]
	v_rcp_f32_e32 v13, v26
	v_sub_f32_e32 v25, v25, v26
	v_sub_f32_e32 v23, v23, v27
	v_add_f32_e32 v24, v24, v25
	v_add_f32_e32 v11, v11, v23
	v_mul_f32_e32 v28, v27, v13
	v_mul_f32_e32 v29, v26, v28
	v_fma_f32 v25, v28, v26, -v29
	v_fmac_f32_e32 v25, v28, v24
	v_add_f32_e32 v30, v29, v25
	v_sub_f32_e32 v31, v27, v30
	v_sub_f32_e32 v23, v30, v29
	;; [unrolled: 1-line block ×5, first 2 shown]
	v_add_f32_e32 v11, v11, v27
	v_add_f32_e32 v11, v23, v11
	;; [unrolled: 1-line block ×3, first 2 shown]
	v_mul_f32_e32 v25, v13, v23
	v_sub_f32_e32 v30, v31, v23
	v_mul_f32_e32 v27, v26, v25
	v_add_f32_e32 v11, v11, v30
	v_fma_f32 v26, v25, v26, -v27
	v_fmac_f32_e32 v26, v25, v24
	v_add_f32_e32 v24, v27, v26
	v_sub_f32_e32 v29, v23, v24
	v_sub_f32_e32 v27, v24, v27
	;; [unrolled: 1-line block ×5, first 2 shown]
	v_add_f32_e32 v11, v11, v23
	v_add_f32_e32 v23, v28, v25
	;; [unrolled: 1-line block ×3, first 2 shown]
	v_sub_f32_e32 v24, v23, v28
	v_add_f32_e32 v11, v29, v11
	v_sub_f32_e32 v24, v25, v24
	v_mul_f32_e32 v11, v13, v11
	v_add_f32_e32 v11, v24, v11
	v_add_f32_e32 v13, v23, v11
	v_mul_f32_e32 v24, v13, v13
	v_fmaak_f32 v25, s9, v24, 0x3ecc95a3
	v_mul_f32_e32 v26, v13, v24
	v_cmp_neq_f32_e64 s9, 0x7f800000, v12
	v_fmaak_f32 v24, v24, v25, 0x3f2aaada
	v_ldexp_f32 v25, v13, 1
	v_sub_f32_e32 v13, v13, v23
	v_mul_f32_e32 v24, v26, v24
	v_mul_f32_e32 v26, 0x3f317218, v10
	v_sub_f32_e32 v11, v11, v13
	v_add_f32_e32 v23, v25, v24
	v_ldexp_f32 v11, v11, 1
	v_sub_f32_e32 v13, v23, v25
	v_fma_f32 v25, 0x3f317218, v10, -v26
	v_sub_f32_e32 v13, v24, v13
	v_fmamk_f32 v10, v10, 0xb102e308, v25
	v_add_f32_e32 v11, v11, v13
	v_add_f32_e32 v13, v26, v10
	;; [unrolled: 1-line block ×3, first 2 shown]
	v_sub_f32_e32 v26, v13, v26
	v_add_f32_e32 v25, v13, v24
	v_sub_f32_e32 v23, v24, v23
	v_sub_f32_e32 v10, v10, v26
	v_sub_f32_e32 v27, v25, v13
	v_sub_f32_e32 v11, v11, v23
	v_sub_f32_e32 v28, v25, v27
	v_sub_f32_e32 v23, v24, v27
	v_add_f32_e32 v24, v10, v11
	v_sub_f32_e32 v13, v13, v28
	v_add_f32_e32 v13, v23, v13
	v_sub_f32_e32 v23, v24, v10
	v_add_f32_e32 v13, v24, v13
	v_sub_f32_e32 v24, v24, v23
	v_sub_f32_e32 v11, v11, v23
	v_add_f32_e32 v26, v25, v13
	v_sub_f32_e32 v10, v10, v24
	v_sub_f32_e32 v23, v26, v25
	v_add_f32_e32 v10, v11, v10
	v_sub_f32_e32 v11, v13, v23
	v_add_f32_e32 v10, v10, v11
	v_add_f32_e32 v10, v26, v10
	v_cndmask_b32_e64 v10, 0x7f800000, v10, s9
	v_cmp_gt_f32_e64 s9, 0x33800000, |v12|
	v_cndmask_b32_e64 v10, v10, v12, s9
	v_add_f32_e32 v11, v7, v10
.LBB96_45:
	s_or_b32 exec_lo, exec_lo, s17
	v_mov_b32_e32 v10, v11
.LBB96_46:
	s_or_b32 exec_lo, exec_lo, s16
	v_add_nc_u32_e32 v7, -1, v4
	v_cmp_gt_i32_e64 s9, 0, v7
	v_cndmask_b32_e64 v4, v7, v4, s9
	v_lshlrev_b32_e32 v4, 2, v4
	ds_bpermute_b32 v4, v4, v10
	s_waitcnt lgkmcnt(0)
	v_max_f32_e32 v7, v4, v4
	v_cmp_u_f32_e64 s9, v4, v4
	v_min_f32_e32 v10, v7, v6
	v_max_f32_e32 v6, v7, v6
	v_cndmask_b32_e64 v7, v10, v4, s9
	v_cndmask_b32_e64 v10, v6, v4, s9
	;; [unrolled: 1-line block ×4, first 2 shown]
	v_cmp_class_f32_e64 s9, v6, 0x1f8
	v_cmp_neq_f32_e64 s8, v6, v3
	s_or_b32 s8, s8, s9
	s_and_saveexec_b32 s9, s8
	s_cbranch_execz .LBB96_48
; %bb.47:
	v_sub_f32_e32 v4, v6, v3
	v_mul_f32_e32 v6, 0x3fb8aa3b, v4
	v_cmp_ngt_f32_e64 s8, 0xc2ce8ed0, v4
	v_fma_f32 v7, 0x3fb8aa3b, v4, -v6
	v_rndne_f32_e32 v10, v6
	v_fmamk_f32 v7, v4, 0x32a5705f, v7
	v_sub_f32_e32 v6, v6, v10
	v_add_f32_e32 v6, v6, v7
	v_cvt_i32_f32_e32 v7, v10
	v_exp_f32_e32 v6, v6
	v_ldexp_f32 v6, v6, v7
	v_cndmask_b32_e64 v6, 0, v6, s8
	v_cmp_nlt_f32_e64 s8, 0x42b17218, v4
	v_cndmask_b32_e64 v4, 0x7f800000, v6, s8
	v_add_f32_e32 v10, 1.0, v4
	v_cvt_f64_f32_e32 v[6:7], v10
	v_frexp_exp_i32_f64_e32 v6, v[6:7]
	v_frexp_mant_f32_e32 v7, v10
	v_cmp_gt_f32_e64 s8, 0x3f2aaaab, v7
	v_add_f32_e32 v7, -1.0, v10
	v_sub_f32_e32 v12, v7, v10
	v_sub_f32_e32 v7, v4, v7
	v_add_f32_e32 v12, 1.0, v12
	v_add_f32_e32 v7, v7, v12
	v_subrev_co_ci_u32_e64 v6, null, 0, v6, s8
	s_mov_b32 s8, 0x3e9b6dac
	v_sub_nc_u32_e32 v11, 0, v6
	v_cvt_f32_i32_e32 v6, v6
	v_ldexp_f32 v10, v10, v11
	v_ldexp_f32 v7, v7, v11
	v_add_f32_e32 v13, 1.0, v10
	v_add_f32_e32 v11, -1.0, v10
	v_add_f32_e32 v12, -1.0, v13
	v_add_f32_e32 v23, 1.0, v11
	v_sub_f32_e32 v12, v10, v12
	v_sub_f32_e32 v10, v10, v23
	v_add_f32_e32 v12, v7, v12
	v_add_f32_e32 v7, v7, v10
	;; [unrolled: 1-line block ×4, first 2 shown]
	v_rcp_f32_e32 v10, v23
	v_sub_f32_e32 v13, v13, v23
	v_sub_f32_e32 v11, v11, v24
	v_add_f32_e32 v12, v12, v13
	v_add_f32_e32 v7, v7, v11
	v_mul_f32_e32 v25, v24, v10
	v_mul_f32_e32 v26, v23, v25
	v_fma_f32 v13, v25, v23, -v26
	v_fmac_f32_e32 v13, v25, v12
	v_add_f32_e32 v27, v26, v13
	v_sub_f32_e32 v28, v24, v27
	v_sub_f32_e32 v11, v27, v26
	;; [unrolled: 1-line block ×5, first 2 shown]
	v_add_f32_e32 v7, v7, v24
	v_add_f32_e32 v7, v11, v7
	v_add_f32_e32 v11, v28, v7
	v_mul_f32_e32 v13, v10, v11
	v_sub_f32_e32 v27, v28, v11
	v_mul_f32_e32 v24, v23, v13
	v_add_f32_e32 v7, v7, v27
	v_fma_f32 v23, v13, v23, -v24
	v_fmac_f32_e32 v23, v13, v12
	v_add_f32_e32 v12, v24, v23
	v_sub_f32_e32 v26, v11, v12
	v_sub_f32_e32 v24, v12, v24
	;; [unrolled: 1-line block ×5, first 2 shown]
	v_add_f32_e32 v7, v7, v11
	v_add_f32_e32 v11, v25, v13
	;; [unrolled: 1-line block ×3, first 2 shown]
	v_sub_f32_e32 v12, v11, v25
	v_add_f32_e32 v7, v26, v7
	v_sub_f32_e32 v12, v13, v12
	v_mul_f32_e32 v7, v10, v7
	v_add_f32_e32 v7, v12, v7
	v_add_f32_e32 v10, v11, v7
	v_mul_f32_e32 v12, v10, v10
	v_fmaak_f32 v13, s8, v12, 0x3ecc95a3
	v_mul_f32_e32 v23, v10, v12
	v_cmp_neq_f32_e64 s8, 0x7f800000, v4
	v_fmaak_f32 v12, v12, v13, 0x3f2aaada
	v_ldexp_f32 v13, v10, 1
	v_sub_f32_e32 v10, v10, v11
	v_mul_f32_e32 v12, v23, v12
	v_mul_f32_e32 v23, 0x3f317218, v6
	v_sub_f32_e32 v7, v7, v10
	v_add_f32_e32 v11, v13, v12
	v_ldexp_f32 v7, v7, 1
	v_sub_f32_e32 v10, v11, v13
	v_fma_f32 v13, 0x3f317218, v6, -v23
	v_sub_f32_e32 v10, v12, v10
	v_fmamk_f32 v6, v6, 0xb102e308, v13
	v_add_f32_e32 v7, v7, v10
	v_add_f32_e32 v10, v23, v6
	;; [unrolled: 1-line block ×3, first 2 shown]
	v_sub_f32_e32 v23, v10, v23
	v_add_f32_e32 v13, v10, v12
	v_sub_f32_e32 v11, v12, v11
	v_sub_f32_e32 v6, v6, v23
	;; [unrolled: 1-line block ×6, first 2 shown]
	v_add_f32_e32 v12, v6, v7
	v_sub_f32_e32 v10, v10, v25
	v_add_f32_e32 v10, v11, v10
	v_sub_f32_e32 v11, v12, v6
	v_add_f32_e32 v10, v12, v10
	v_sub_f32_e32 v12, v12, v11
	v_sub_f32_e32 v7, v7, v11
	v_add_f32_e32 v23, v13, v10
	v_sub_f32_e32 v6, v6, v12
	v_sub_f32_e32 v11, v23, v13
	v_add_f32_e32 v6, v7, v6
	v_sub_f32_e32 v7, v10, v11
	v_add_f32_e32 v6, v6, v7
	v_add_f32_e32 v6, v23, v6
	v_cndmask_b32_e64 v6, 0x7f800000, v6, s8
	v_cmp_gt_f32_e64 s8, 0x33800000, |v4|
	v_cndmask_b32_e64 v4, v6, v4, s8
	v_add_f32_e32 v4, v3, v4
.LBB96_48:
	s_or_b32 exec_lo, exec_lo, s9
	v_cmp_eq_u32_e64 s8, 0, v0
	; wave barrier
	v_cndmask_b32_e64 v4, v4, v22, s8
	ds_write_b32 v5, v4
	; wave barrier
	ds_read_b32 v3, v5 offset:4
	v_max_f32_e32 v6, v4, v4
	v_cmp_u_f32_e64 s8, v4, v4
	s_waitcnt lgkmcnt(0)
	v_max_f32_e32 v7, v3, v3
	v_min_f32_e32 v10, v6, v7
	v_max_f32_e32 v6, v6, v7
	v_cndmask_b32_e64 v7, v10, v4, s8
	v_cndmask_b32_e64 v10, v6, v4, s8
	v_cmp_u_f32_e64 s8, v3, v3
	v_cndmask_b32_e64 v6, v7, v3, s8
	v_cndmask_b32_e64 v3, v10, v3, s8
	v_cmp_class_f32_e64 s9, v6, 0x1f8
	v_cmp_neq_f32_e64 s8, v6, v3
	s_or_b32 s8, s8, s9
	s_and_saveexec_b32 s9, s8
	s_cbranch_execz .LBB96_50
; %bb.49:
	v_sub_f32_e32 v4, v6, v3
	v_mul_f32_e32 v6, 0x3fb8aa3b, v4
	v_cmp_ngt_f32_e64 s8, 0xc2ce8ed0, v4
	v_fma_f32 v7, 0x3fb8aa3b, v4, -v6
	v_rndne_f32_e32 v10, v6
	v_fmamk_f32 v7, v4, 0x32a5705f, v7
	v_sub_f32_e32 v6, v6, v10
	v_add_f32_e32 v6, v6, v7
	v_cvt_i32_f32_e32 v7, v10
	v_exp_f32_e32 v6, v6
	v_ldexp_f32 v6, v6, v7
	v_cndmask_b32_e64 v6, 0, v6, s8
	v_cmp_nlt_f32_e64 s8, 0x42b17218, v4
	v_cndmask_b32_e64 v4, 0x7f800000, v6, s8
	v_add_f32_e32 v10, 1.0, v4
	v_cvt_f64_f32_e32 v[6:7], v10
	v_frexp_exp_i32_f64_e32 v6, v[6:7]
	v_frexp_mant_f32_e32 v7, v10
	v_cmp_gt_f32_e64 s8, 0x3f2aaaab, v7
	v_add_f32_e32 v7, -1.0, v10
	v_sub_f32_e32 v12, v7, v10
	v_sub_f32_e32 v7, v4, v7
	v_add_f32_e32 v12, 1.0, v12
	v_add_f32_e32 v7, v7, v12
	v_subrev_co_ci_u32_e64 v6, null, 0, v6, s8
	s_mov_b32 s8, 0x3e9b6dac
	v_sub_nc_u32_e32 v11, 0, v6
	v_cvt_f32_i32_e32 v6, v6
	v_ldexp_f32 v10, v10, v11
	v_ldexp_f32 v7, v7, v11
	v_add_f32_e32 v13, 1.0, v10
	v_add_f32_e32 v11, -1.0, v10
	v_add_f32_e32 v12, -1.0, v13
	v_add_f32_e32 v23, 1.0, v11
	v_sub_f32_e32 v12, v10, v12
	v_sub_f32_e32 v10, v10, v23
	v_add_f32_e32 v12, v7, v12
	v_add_f32_e32 v7, v7, v10
	;; [unrolled: 1-line block ×4, first 2 shown]
	v_rcp_f32_e32 v10, v23
	v_sub_f32_e32 v13, v13, v23
	v_sub_f32_e32 v11, v11, v24
	v_add_f32_e32 v12, v12, v13
	v_add_f32_e32 v7, v7, v11
	v_mul_f32_e32 v25, v24, v10
	v_mul_f32_e32 v26, v23, v25
	v_fma_f32 v13, v25, v23, -v26
	v_fmac_f32_e32 v13, v25, v12
	v_add_f32_e32 v27, v26, v13
	v_sub_f32_e32 v28, v24, v27
	v_sub_f32_e32 v11, v27, v26
	;; [unrolled: 1-line block ×5, first 2 shown]
	v_add_f32_e32 v7, v7, v24
	v_add_f32_e32 v7, v11, v7
	;; [unrolled: 1-line block ×3, first 2 shown]
	v_mul_f32_e32 v13, v10, v11
	v_sub_f32_e32 v27, v28, v11
	v_mul_f32_e32 v24, v23, v13
	v_add_f32_e32 v7, v7, v27
	v_fma_f32 v23, v13, v23, -v24
	v_fmac_f32_e32 v23, v13, v12
	v_add_f32_e32 v12, v24, v23
	v_sub_f32_e32 v26, v11, v12
	v_sub_f32_e32 v24, v12, v24
	;; [unrolled: 1-line block ×5, first 2 shown]
	v_add_f32_e32 v7, v7, v11
	v_add_f32_e32 v11, v25, v13
	;; [unrolled: 1-line block ×3, first 2 shown]
	v_sub_f32_e32 v12, v11, v25
	v_add_f32_e32 v7, v26, v7
	v_sub_f32_e32 v12, v13, v12
	v_mul_f32_e32 v7, v10, v7
	v_add_f32_e32 v7, v12, v7
	v_add_f32_e32 v10, v11, v7
	v_mul_f32_e32 v12, v10, v10
	v_fmaak_f32 v13, s8, v12, 0x3ecc95a3
	v_mul_f32_e32 v23, v10, v12
	v_cmp_neq_f32_e64 s8, 0x7f800000, v4
	v_fmaak_f32 v12, v12, v13, 0x3f2aaada
	v_ldexp_f32 v13, v10, 1
	v_sub_f32_e32 v10, v10, v11
	v_mul_f32_e32 v12, v23, v12
	v_mul_f32_e32 v23, 0x3f317218, v6
	v_sub_f32_e32 v7, v7, v10
	v_add_f32_e32 v11, v13, v12
	v_ldexp_f32 v7, v7, 1
	v_sub_f32_e32 v10, v11, v13
	v_fma_f32 v13, 0x3f317218, v6, -v23
	v_sub_f32_e32 v10, v12, v10
	v_fmamk_f32 v6, v6, 0xb102e308, v13
	v_add_f32_e32 v7, v7, v10
	v_add_f32_e32 v10, v23, v6
	v_add_f32_e32 v12, v11, v7
	v_sub_f32_e32 v23, v10, v23
	v_add_f32_e32 v13, v10, v12
	v_sub_f32_e32 v11, v12, v11
	v_sub_f32_e32 v6, v6, v23
	;; [unrolled: 1-line block ×6, first 2 shown]
	v_add_f32_e32 v12, v6, v7
	v_sub_f32_e32 v10, v10, v25
	v_add_f32_e32 v10, v11, v10
	v_sub_f32_e32 v11, v12, v6
	;; [unrolled: 2-line block ×3, first 2 shown]
	v_sub_f32_e32 v7, v7, v11
	v_add_f32_e32 v23, v13, v10
	v_sub_f32_e32 v6, v6, v12
	v_sub_f32_e32 v11, v23, v13
	v_add_f32_e32 v6, v7, v6
	v_sub_f32_e32 v7, v10, v11
	v_add_f32_e32 v6, v6, v7
	v_add_f32_e32 v6, v23, v6
	v_cndmask_b32_e64 v6, 0x7f800000, v6, s8
	v_cmp_gt_f32_e64 s8, 0x33800000, |v4|
	v_cndmask_b32_e64 v4, v6, v4, s8
	v_add_f32_e32 v4, v3, v4
.LBB96_50:
	s_or_b32 exec_lo, exec_lo, s9
	ds_write_b32 v5, v4 offset:4
.LBB96_51:
	s_or_b32 exec_lo, exec_lo, s10
	v_cmp_eq_u32_e64 s9, 0, v0
	v_cmp_ne_u32_e64 s8, 0, v0
	s_waitcnt lgkmcnt(0)
	s_barrier
	buffer_gl0_inv
	s_and_saveexec_b32 s10, s8
	s_cbranch_execz .LBB96_53
; %bb.52:
	v_add_nc_u32_e32 v3, -1, v0
	v_lshrrev_b32_e32 v4, 3, v3
	v_and_b32_e32 v4, 0x1ffffffc, v4
	v_lshl_add_u32 v3, v3, 2, v4
	ds_read_b32 v22, v3
.LBB96_53:
	s_or_b32 exec_lo, exec_lo, s10
	s_and_saveexec_b32 s18, vcc_lo
	s_cbranch_execz .LBB96_117
; %bb.54:
	v_mov_b32_e32 v11, 0
	v_mbcnt_lo_u32_b32 v23, -1, 0
	s_mov_b32 s17, 0
	ds_read_b32 v3, v11 offset:256
	v_cmp_eq_u32_e64 s10, 0, v23
	s_and_saveexec_b32 s19, s10
	s_cbranch_execz .LBB96_56
; %bb.55:
	s_add_i32 s16, s6, 32
	v_mov_b32_e32 v4, 1
	s_lshl_b64 s[16:17], s[16:17], 3
	s_add_u32 s16, s26, s16
	s_addc_u32 s17, s27, s17
	s_waitcnt lgkmcnt(0)
	global_store_dwordx2 v11, v[3:4], s[16:17]
.LBB96_56:
	s_or_b32 exec_lo, exec_lo, s19
	v_xad_u32 v4, v23, -1, s6
	v_add_nc_u32_e32 v10, 32, v4
	v_lshlrev_b64 v[5:6], 3, v[10:11]
	v_add_co_u32 v12, vcc_lo, s26, v5
	v_add_co_ci_u32_e64 v13, null, s27, v6, vcc_lo
	global_load_dwordx2 v[6:7], v[12:13], off glc dlc
	s_waitcnt vmcnt(0)
	v_cmp_eq_u16_sdwa s17, v7, v11 src0_sel:BYTE_0 src1_sel:DWORD
	s_and_saveexec_b32 s16, s17
	s_cbranch_execz .LBB96_60
; %bb.57:
	v_mov_b32_e32 v5, 0
	s_mov_b32 s17, 0
.LBB96_58:                              ; =>This Inner Loop Header: Depth=1
	global_load_dwordx2 v[6:7], v[12:13], off glc dlc
	s_waitcnt vmcnt(0)
	v_cmp_ne_u16_sdwa s19, v7, v5 src0_sel:BYTE_0 src1_sel:DWORD
	s_or_b32 s17, s19, s17
	s_andn2_b32 exec_lo, exec_lo, s17
	s_cbranch_execnz .LBB96_58
; %bb.59:
	s_or_b32 exec_lo, exec_lo, s17
.LBB96_60:
	s_or_b32 exec_lo, exec_lo, s16
	v_cmp_ne_u32_e32 vcc_lo, 31, v23
	v_mov_b32_e32 v10, 2
	v_lshlrev_b32_e64 v13, v23, -1
	v_mov_b32_e32 v11, v6
	v_add_co_ci_u32_e64 v5, null, 0, v23, vcc_lo
	v_cmp_eq_u16_sdwa s16, v7, v10 src0_sel:BYTE_0 src1_sel:DWORD
	v_lshlrev_b32_e32 v12, 2, v5
	v_and_or_b32 v5, s16, v13, 0x80000000
	s_mov_b32 s16, exec_lo
	ds_bpermute_b32 v10, v12, v6
	v_ffbl_b32_e32 v5, v5
	v_cmpx_lt_u32_e64 v23, v5
	s_cbranch_execz .LBB96_64
; %bb.61:
	v_max_f32_e32 v11, v6, v6
	s_waitcnt lgkmcnt(0)
	v_max_f32_e32 v24, v10, v10
	v_cmp_u_f32_e32 vcc_lo, v10, v10
	v_min_f32_e32 v25, v24, v11
	v_max_f32_e32 v11, v24, v11
	v_cndmask_b32_e32 v24, v25, v10, vcc_lo
	v_cndmask_b32_e32 v25, v11, v10, vcc_lo
	v_cmp_u_f32_e32 vcc_lo, v6, v6
	v_cndmask_b32_e32 v11, v24, v6, vcc_lo
	v_cndmask_b32_e32 v6, v25, v6, vcc_lo
	v_cmp_class_f32_e64 s17, v11, 0x1f8
	v_cmp_neq_f32_e32 vcc_lo, v11, v6
	s_or_b32 s19, vcc_lo, s17
	s_and_saveexec_b32 s17, s19
	s_cbranch_execz .LBB96_63
; %bb.62:
	v_sub_f32_e32 v10, v11, v6
	s_mov_b32 s19, 0x3e9b6dac
	v_mul_f32_e32 v11, 0x3fb8aa3b, v10
	v_cmp_ngt_f32_e32 vcc_lo, 0xc2ce8ed0, v10
	v_fma_f32 v24, 0x3fb8aa3b, v10, -v11
	v_rndne_f32_e32 v25, v11
	v_fmamk_f32 v24, v10, 0x32a5705f, v24
	v_sub_f32_e32 v11, v11, v25
	v_add_f32_e32 v11, v11, v24
	v_cvt_i32_f32_e32 v24, v25
	v_exp_f32_e32 v11, v11
	v_ldexp_f32 v11, v11, v24
	v_cndmask_b32_e32 v11, 0, v11, vcc_lo
	v_cmp_nlt_f32_e32 vcc_lo, 0x42b17218, v10
	v_cndmask_b32_e32 v24, 0x7f800000, v11, vcc_lo
	v_add_f32_e32 v25, 1.0, v24
	v_cvt_f64_f32_e32 v[10:11], v25
	v_frexp_exp_i32_f64_e32 v10, v[10:11]
	v_frexp_mant_f32_e32 v11, v25
	v_cmp_gt_f32_e32 vcc_lo, 0x3f2aaaab, v11
	v_add_f32_e32 v11, -1.0, v25
	v_sub_f32_e32 v27, v11, v25
	v_sub_f32_e32 v11, v24, v11
	v_add_f32_e32 v27, 1.0, v27
	v_add_f32_e32 v11, v11, v27
	v_subrev_co_ci_u32_e64 v10, null, 0, v10, vcc_lo
	v_cmp_neq_f32_e32 vcc_lo, 0x7f800000, v24
	v_sub_nc_u32_e32 v26, 0, v10
	v_cvt_f32_i32_e32 v10, v10
	v_ldexp_f32 v25, v25, v26
	v_ldexp_f32 v11, v11, v26
	v_add_f32_e32 v28, 1.0, v25
	v_add_f32_e32 v26, -1.0, v25
	v_add_f32_e32 v27, -1.0, v28
	v_add_f32_e32 v29, 1.0, v26
	v_sub_f32_e32 v27, v25, v27
	v_sub_f32_e32 v25, v25, v29
	v_add_f32_e32 v27, v11, v27
	v_add_f32_e32 v11, v11, v25
	;; [unrolled: 1-line block ×4, first 2 shown]
	v_rcp_f32_e32 v25, v29
	v_sub_f32_e32 v28, v28, v29
	v_sub_f32_e32 v26, v26, v30
	v_add_f32_e32 v27, v27, v28
	v_add_f32_e32 v11, v11, v26
	v_mul_f32_e32 v31, v30, v25
	v_mul_f32_e32 v32, v29, v31
	v_fma_f32 v28, v31, v29, -v32
	v_fmac_f32_e32 v28, v31, v27
	v_add_f32_e32 v33, v32, v28
	v_sub_f32_e32 v34, v30, v33
	v_sub_f32_e32 v26, v33, v32
	;; [unrolled: 1-line block ×5, first 2 shown]
	v_add_f32_e32 v11, v11, v30
	v_add_f32_e32 v11, v26, v11
	;; [unrolled: 1-line block ×3, first 2 shown]
	v_mul_f32_e32 v28, v25, v26
	v_sub_f32_e32 v33, v34, v26
	v_mul_f32_e32 v30, v29, v28
	v_add_f32_e32 v11, v11, v33
	v_fma_f32 v29, v28, v29, -v30
	v_fmac_f32_e32 v29, v28, v27
	v_add_f32_e32 v27, v30, v29
	v_sub_f32_e32 v32, v26, v27
	v_sub_f32_e32 v30, v27, v30
	;; [unrolled: 1-line block ×5, first 2 shown]
	v_add_f32_e32 v11, v11, v26
	v_add_f32_e32 v26, v31, v28
	;; [unrolled: 1-line block ×3, first 2 shown]
	v_sub_f32_e32 v27, v26, v31
	v_add_f32_e32 v11, v32, v11
	v_sub_f32_e32 v27, v28, v27
	v_mul_f32_e32 v11, v25, v11
	v_add_f32_e32 v11, v27, v11
	v_add_f32_e32 v25, v26, v11
	v_mul_f32_e32 v27, v25, v25
	v_fmaak_f32 v28, s19, v27, 0x3ecc95a3
	v_mul_f32_e32 v29, v25, v27
	v_fmaak_f32 v27, v27, v28, 0x3f2aaada
	v_ldexp_f32 v28, v25, 1
	v_sub_f32_e32 v25, v25, v26
	v_mul_f32_e32 v27, v29, v27
	v_mul_f32_e32 v29, 0x3f317218, v10
	v_sub_f32_e32 v11, v11, v25
	v_add_f32_e32 v26, v28, v27
	v_ldexp_f32 v11, v11, 1
	v_sub_f32_e32 v25, v26, v28
	v_fma_f32 v28, 0x3f317218, v10, -v29
	v_sub_f32_e32 v25, v27, v25
	v_fmamk_f32 v10, v10, 0xb102e308, v28
	v_add_f32_e32 v11, v11, v25
	v_add_f32_e32 v25, v29, v10
	;; [unrolled: 1-line block ×3, first 2 shown]
	v_sub_f32_e32 v29, v25, v29
	v_add_f32_e32 v28, v25, v27
	v_sub_f32_e32 v26, v27, v26
	v_sub_f32_e32 v10, v10, v29
	v_sub_f32_e32 v30, v28, v25
	v_sub_f32_e32 v11, v11, v26
	v_sub_f32_e32 v31, v28, v30
	v_sub_f32_e32 v26, v27, v30
	v_add_f32_e32 v27, v10, v11
	v_sub_f32_e32 v25, v25, v31
	v_add_f32_e32 v25, v26, v25
	v_sub_f32_e32 v26, v27, v10
	v_add_f32_e32 v25, v27, v25
	v_sub_f32_e32 v27, v27, v26
	v_sub_f32_e32 v11, v11, v26
	v_add_f32_e32 v29, v28, v25
	v_sub_f32_e32 v10, v10, v27
	v_sub_f32_e32 v26, v29, v28
	v_add_f32_e32 v10, v11, v10
	v_sub_f32_e32 v11, v25, v26
	v_add_f32_e32 v10, v10, v11
	v_add_f32_e32 v10, v29, v10
	v_cndmask_b32_e32 v10, 0x7f800000, v10, vcc_lo
	v_cmp_gt_f32_e64 vcc_lo, 0x33800000, |v24|
	v_cndmask_b32_e32 v10, v10, v24, vcc_lo
	v_add_f32_e32 v10, v6, v10
.LBB96_63:
	s_or_b32 exec_lo, exec_lo, s17
	v_mov_b32_e32 v6, v10
	v_mov_b32_e32 v11, v10
.LBB96_64:
	s_or_b32 exec_lo, exec_lo, s16
	v_cmp_gt_u32_e32 vcc_lo, 30, v23
	v_add_nc_u32_e32 v25, 2, v23
	s_mov_b32 s16, exec_lo
	s_waitcnt lgkmcnt(0)
	v_cndmask_b32_e64 v10, 0, 2, vcc_lo
	v_add_lshl_u32 v24, v10, v23, 2
	ds_bpermute_b32 v10, v24, v6
	v_cmpx_le_u32_e64 v25, v5
	s_cbranch_execz .LBB96_68
; %bb.65:
	v_max_f32_e32 v6, v11, v11
	s_waitcnt lgkmcnt(0)
	v_max_f32_e32 v26, v10, v10
	v_cmp_u_f32_e32 vcc_lo, v10, v10
	v_min_f32_e32 v27, v26, v6
	v_max_f32_e32 v6, v26, v6
	v_cndmask_b32_e32 v26, v27, v10, vcc_lo
	v_cndmask_b32_e32 v6, v6, v10, vcc_lo
	v_cmp_u_f32_e32 vcc_lo, v11, v11
	v_cndmask_b32_e32 v26, v26, v11, vcc_lo
	v_cndmask_b32_e32 v6, v6, v11, vcc_lo
	v_cmp_class_f32_e64 s17, v26, 0x1f8
	v_cmp_neq_f32_e32 vcc_lo, v26, v6
	s_or_b32 s19, vcc_lo, s17
	s_and_saveexec_b32 s17, s19
	s_cbranch_execz .LBB96_67
; %bb.66:
	v_sub_f32_e32 v10, v26, v6
	s_mov_b32 s19, 0x3e9b6dac
	v_mul_f32_e32 v11, 0x3fb8aa3b, v10
	v_cmp_ngt_f32_e32 vcc_lo, 0xc2ce8ed0, v10
	v_fma_f32 v26, 0x3fb8aa3b, v10, -v11
	v_rndne_f32_e32 v27, v11
	v_fmamk_f32 v26, v10, 0x32a5705f, v26
	v_sub_f32_e32 v11, v11, v27
	v_add_f32_e32 v11, v11, v26
	v_cvt_i32_f32_e32 v26, v27
	v_exp_f32_e32 v11, v11
	v_ldexp_f32 v11, v11, v26
	v_cndmask_b32_e32 v11, 0, v11, vcc_lo
	v_cmp_nlt_f32_e32 vcc_lo, 0x42b17218, v10
	v_cndmask_b32_e32 v26, 0x7f800000, v11, vcc_lo
	v_add_f32_e32 v27, 1.0, v26
	v_cvt_f64_f32_e32 v[10:11], v27
	v_frexp_exp_i32_f64_e32 v10, v[10:11]
	v_frexp_mant_f32_e32 v11, v27
	v_cmp_gt_f32_e32 vcc_lo, 0x3f2aaaab, v11
	v_add_f32_e32 v11, -1.0, v27
	v_sub_f32_e32 v29, v11, v27
	v_sub_f32_e32 v11, v26, v11
	v_add_f32_e32 v29, 1.0, v29
	v_add_f32_e32 v11, v11, v29
	v_subrev_co_ci_u32_e64 v10, null, 0, v10, vcc_lo
	v_cmp_neq_f32_e32 vcc_lo, 0x7f800000, v26
	v_sub_nc_u32_e32 v28, 0, v10
	v_cvt_f32_i32_e32 v10, v10
	v_ldexp_f32 v27, v27, v28
	v_ldexp_f32 v11, v11, v28
	v_add_f32_e32 v30, 1.0, v27
	v_add_f32_e32 v28, -1.0, v27
	v_add_f32_e32 v29, -1.0, v30
	v_add_f32_e32 v31, 1.0, v28
	v_sub_f32_e32 v29, v27, v29
	v_sub_f32_e32 v27, v27, v31
	v_add_f32_e32 v29, v11, v29
	v_add_f32_e32 v11, v11, v27
	;; [unrolled: 1-line block ×4, first 2 shown]
	v_rcp_f32_e32 v27, v31
	v_sub_f32_e32 v30, v30, v31
	v_sub_f32_e32 v28, v28, v32
	v_add_f32_e32 v29, v29, v30
	v_add_f32_e32 v11, v11, v28
	v_mul_f32_e32 v33, v32, v27
	v_mul_f32_e32 v34, v31, v33
	v_fma_f32 v30, v33, v31, -v34
	v_fmac_f32_e32 v30, v33, v29
	v_add_f32_e32 v35, v34, v30
	v_sub_f32_e32 v36, v32, v35
	v_sub_f32_e32 v28, v35, v34
	;; [unrolled: 1-line block ×5, first 2 shown]
	v_add_f32_e32 v11, v11, v32
	v_add_f32_e32 v11, v28, v11
	;; [unrolled: 1-line block ×3, first 2 shown]
	v_mul_f32_e32 v30, v27, v28
	v_sub_f32_e32 v35, v36, v28
	v_mul_f32_e32 v32, v31, v30
	v_add_f32_e32 v11, v11, v35
	v_fma_f32 v31, v30, v31, -v32
	v_fmac_f32_e32 v31, v30, v29
	v_add_f32_e32 v29, v32, v31
	v_sub_f32_e32 v34, v28, v29
	v_sub_f32_e32 v32, v29, v32
	;; [unrolled: 1-line block ×5, first 2 shown]
	v_add_f32_e32 v11, v11, v28
	v_add_f32_e32 v28, v33, v30
	;; [unrolled: 1-line block ×3, first 2 shown]
	v_sub_f32_e32 v29, v28, v33
	v_add_f32_e32 v11, v34, v11
	v_sub_f32_e32 v29, v30, v29
	v_mul_f32_e32 v11, v27, v11
	v_add_f32_e32 v11, v29, v11
	v_add_f32_e32 v27, v28, v11
	v_mul_f32_e32 v29, v27, v27
	v_fmaak_f32 v30, s19, v29, 0x3ecc95a3
	v_mul_f32_e32 v31, v27, v29
	v_fmaak_f32 v29, v29, v30, 0x3f2aaada
	v_ldexp_f32 v30, v27, 1
	v_sub_f32_e32 v27, v27, v28
	v_mul_f32_e32 v29, v31, v29
	v_mul_f32_e32 v31, 0x3f317218, v10
	v_sub_f32_e32 v11, v11, v27
	v_add_f32_e32 v28, v30, v29
	v_ldexp_f32 v11, v11, 1
	v_sub_f32_e32 v27, v28, v30
	v_fma_f32 v30, 0x3f317218, v10, -v31
	v_sub_f32_e32 v27, v29, v27
	v_fmamk_f32 v10, v10, 0xb102e308, v30
	v_add_f32_e32 v11, v11, v27
	v_add_f32_e32 v27, v31, v10
	;; [unrolled: 1-line block ×3, first 2 shown]
	v_sub_f32_e32 v31, v27, v31
	v_add_f32_e32 v30, v27, v29
	v_sub_f32_e32 v28, v29, v28
	v_sub_f32_e32 v10, v10, v31
	;; [unrolled: 1-line block ×6, first 2 shown]
	v_add_f32_e32 v29, v10, v11
	v_sub_f32_e32 v27, v27, v33
	v_add_f32_e32 v27, v28, v27
	v_sub_f32_e32 v28, v29, v10
	;; [unrolled: 2-line block ×3, first 2 shown]
	v_sub_f32_e32 v11, v11, v28
	v_add_f32_e32 v31, v30, v27
	v_sub_f32_e32 v10, v10, v29
	v_sub_f32_e32 v28, v31, v30
	v_add_f32_e32 v10, v11, v10
	v_sub_f32_e32 v11, v27, v28
	v_add_f32_e32 v10, v10, v11
	v_add_f32_e32 v10, v31, v10
	v_cndmask_b32_e32 v10, 0x7f800000, v10, vcc_lo
	v_cmp_gt_f32_e64 vcc_lo, 0x33800000, |v26|
	v_cndmask_b32_e32 v10, v10, v26, vcc_lo
	v_add_f32_e32 v10, v6, v10
.LBB96_67:
	s_or_b32 exec_lo, exec_lo, s17
	v_mov_b32_e32 v6, v10
	v_mov_b32_e32 v11, v10
.LBB96_68:
	s_or_b32 exec_lo, exec_lo, s16
	v_cmp_gt_u32_e32 vcc_lo, 28, v23
	v_add_nc_u32_e32 v27, 4, v23
	s_mov_b32 s16, exec_lo
	s_waitcnt lgkmcnt(0)
	v_cndmask_b32_e64 v10, 0, 4, vcc_lo
	v_add_lshl_u32 v26, v10, v23, 2
	ds_bpermute_b32 v10, v26, v6
	v_cmpx_le_u32_e64 v27, v5
	s_cbranch_execz .LBB96_72
; %bb.69:
	v_max_f32_e32 v6, v11, v11
	s_waitcnt lgkmcnt(0)
	v_max_f32_e32 v28, v10, v10
	v_cmp_u_f32_e32 vcc_lo, v10, v10
	v_min_f32_e32 v29, v28, v6
	v_max_f32_e32 v6, v28, v6
	v_cndmask_b32_e32 v28, v29, v10, vcc_lo
	v_cndmask_b32_e32 v6, v6, v10, vcc_lo
	v_cmp_u_f32_e32 vcc_lo, v11, v11
	v_cndmask_b32_e32 v28, v28, v11, vcc_lo
	v_cndmask_b32_e32 v6, v6, v11, vcc_lo
	v_cmp_class_f32_e64 s17, v28, 0x1f8
	v_cmp_neq_f32_e32 vcc_lo, v28, v6
	s_or_b32 s19, vcc_lo, s17
	s_and_saveexec_b32 s17, s19
	s_cbranch_execz .LBB96_71
; %bb.70:
	v_sub_f32_e32 v10, v28, v6
	s_mov_b32 s19, 0x3e9b6dac
	v_mul_f32_e32 v11, 0x3fb8aa3b, v10
	v_cmp_ngt_f32_e32 vcc_lo, 0xc2ce8ed0, v10
	v_fma_f32 v28, 0x3fb8aa3b, v10, -v11
	v_rndne_f32_e32 v29, v11
	v_fmamk_f32 v28, v10, 0x32a5705f, v28
	v_sub_f32_e32 v11, v11, v29
	v_add_f32_e32 v11, v11, v28
	v_cvt_i32_f32_e32 v28, v29
	v_exp_f32_e32 v11, v11
	v_ldexp_f32 v11, v11, v28
	v_cndmask_b32_e32 v11, 0, v11, vcc_lo
	v_cmp_nlt_f32_e32 vcc_lo, 0x42b17218, v10
	v_cndmask_b32_e32 v28, 0x7f800000, v11, vcc_lo
	v_add_f32_e32 v29, 1.0, v28
	v_cvt_f64_f32_e32 v[10:11], v29
	v_frexp_exp_i32_f64_e32 v10, v[10:11]
	v_frexp_mant_f32_e32 v11, v29
	v_cmp_gt_f32_e32 vcc_lo, 0x3f2aaaab, v11
	v_add_f32_e32 v11, -1.0, v29
	v_sub_f32_e32 v31, v11, v29
	v_sub_f32_e32 v11, v28, v11
	v_add_f32_e32 v31, 1.0, v31
	v_add_f32_e32 v11, v11, v31
	v_subrev_co_ci_u32_e64 v10, null, 0, v10, vcc_lo
	v_cmp_neq_f32_e32 vcc_lo, 0x7f800000, v28
	v_sub_nc_u32_e32 v30, 0, v10
	v_cvt_f32_i32_e32 v10, v10
	v_ldexp_f32 v29, v29, v30
	v_ldexp_f32 v11, v11, v30
	v_add_f32_e32 v32, 1.0, v29
	v_add_f32_e32 v30, -1.0, v29
	v_add_f32_e32 v31, -1.0, v32
	v_add_f32_e32 v33, 1.0, v30
	v_sub_f32_e32 v31, v29, v31
	v_sub_f32_e32 v29, v29, v33
	v_add_f32_e32 v31, v11, v31
	v_add_f32_e32 v11, v11, v29
	;; [unrolled: 1-line block ×4, first 2 shown]
	v_rcp_f32_e32 v29, v33
	v_sub_f32_e32 v32, v32, v33
	v_sub_f32_e32 v30, v30, v34
	v_add_f32_e32 v31, v31, v32
	v_add_f32_e32 v11, v11, v30
	v_mul_f32_e32 v35, v34, v29
	v_mul_f32_e32 v36, v33, v35
	v_fma_f32 v32, v35, v33, -v36
	v_fmac_f32_e32 v32, v35, v31
	v_add_f32_e32 v37, v36, v32
	v_sub_f32_e32 v38, v34, v37
	v_sub_f32_e32 v30, v37, v36
	;; [unrolled: 1-line block ×5, first 2 shown]
	v_add_f32_e32 v11, v11, v34
	v_add_f32_e32 v11, v30, v11
	;; [unrolled: 1-line block ×3, first 2 shown]
	v_mul_f32_e32 v32, v29, v30
	v_sub_f32_e32 v37, v38, v30
	v_mul_f32_e32 v34, v33, v32
	v_add_f32_e32 v11, v11, v37
	v_fma_f32 v33, v32, v33, -v34
	v_fmac_f32_e32 v33, v32, v31
	v_add_f32_e32 v31, v34, v33
	v_sub_f32_e32 v36, v30, v31
	v_sub_f32_e32 v34, v31, v34
	;; [unrolled: 1-line block ×5, first 2 shown]
	v_add_f32_e32 v11, v11, v30
	v_add_f32_e32 v30, v35, v32
	;; [unrolled: 1-line block ×3, first 2 shown]
	v_sub_f32_e32 v31, v30, v35
	v_add_f32_e32 v11, v36, v11
	v_sub_f32_e32 v31, v32, v31
	v_mul_f32_e32 v11, v29, v11
	v_add_f32_e32 v11, v31, v11
	v_add_f32_e32 v29, v30, v11
	v_mul_f32_e32 v31, v29, v29
	v_fmaak_f32 v32, s19, v31, 0x3ecc95a3
	v_mul_f32_e32 v33, v29, v31
	v_fmaak_f32 v31, v31, v32, 0x3f2aaada
	v_ldexp_f32 v32, v29, 1
	v_sub_f32_e32 v29, v29, v30
	v_mul_f32_e32 v31, v33, v31
	v_mul_f32_e32 v33, 0x3f317218, v10
	v_sub_f32_e32 v11, v11, v29
	v_add_f32_e32 v30, v32, v31
	v_ldexp_f32 v11, v11, 1
	v_sub_f32_e32 v29, v30, v32
	v_fma_f32 v32, 0x3f317218, v10, -v33
	v_sub_f32_e32 v29, v31, v29
	v_fmamk_f32 v10, v10, 0xb102e308, v32
	v_add_f32_e32 v11, v11, v29
	v_add_f32_e32 v29, v33, v10
	;; [unrolled: 1-line block ×3, first 2 shown]
	v_sub_f32_e32 v33, v29, v33
	v_add_f32_e32 v32, v29, v31
	v_sub_f32_e32 v30, v31, v30
	v_sub_f32_e32 v10, v10, v33
	;; [unrolled: 1-line block ×6, first 2 shown]
	v_add_f32_e32 v31, v10, v11
	v_sub_f32_e32 v29, v29, v35
	v_add_f32_e32 v29, v30, v29
	v_sub_f32_e32 v30, v31, v10
	;; [unrolled: 2-line block ×3, first 2 shown]
	v_sub_f32_e32 v11, v11, v30
	v_add_f32_e32 v33, v32, v29
	v_sub_f32_e32 v10, v10, v31
	v_sub_f32_e32 v30, v33, v32
	v_add_f32_e32 v10, v11, v10
	v_sub_f32_e32 v11, v29, v30
	v_add_f32_e32 v10, v10, v11
	v_add_f32_e32 v10, v33, v10
	v_cndmask_b32_e32 v10, 0x7f800000, v10, vcc_lo
	v_cmp_gt_f32_e64 vcc_lo, 0x33800000, |v28|
	v_cndmask_b32_e32 v10, v10, v28, vcc_lo
	v_add_f32_e32 v10, v6, v10
.LBB96_71:
	s_or_b32 exec_lo, exec_lo, s17
	v_mov_b32_e32 v6, v10
	v_mov_b32_e32 v11, v10
.LBB96_72:
	s_or_b32 exec_lo, exec_lo, s16
	v_cmp_gt_u32_e32 vcc_lo, 24, v23
	v_add_nc_u32_e32 v29, 8, v23
	s_mov_b32 s16, exec_lo
	s_waitcnt lgkmcnt(0)
	v_cndmask_b32_e64 v10, 0, 8, vcc_lo
	v_add_lshl_u32 v28, v10, v23, 2
	ds_bpermute_b32 v10, v28, v6
	v_cmpx_le_u32_e64 v29, v5
	s_cbranch_execz .LBB96_76
; %bb.73:
	v_max_f32_e32 v6, v11, v11
	s_waitcnt lgkmcnt(0)
	v_max_f32_e32 v30, v10, v10
	v_cmp_u_f32_e32 vcc_lo, v10, v10
	v_min_f32_e32 v31, v30, v6
	v_max_f32_e32 v6, v30, v6
	v_cndmask_b32_e32 v30, v31, v10, vcc_lo
	v_cndmask_b32_e32 v6, v6, v10, vcc_lo
	v_cmp_u_f32_e32 vcc_lo, v11, v11
	v_cndmask_b32_e32 v30, v30, v11, vcc_lo
	v_cndmask_b32_e32 v6, v6, v11, vcc_lo
	v_cmp_class_f32_e64 s17, v30, 0x1f8
	v_cmp_neq_f32_e32 vcc_lo, v30, v6
	s_or_b32 s19, vcc_lo, s17
	s_and_saveexec_b32 s17, s19
	s_cbranch_execz .LBB96_75
; %bb.74:
	v_sub_f32_e32 v10, v30, v6
	s_mov_b32 s19, 0x3e9b6dac
	v_mul_f32_e32 v11, 0x3fb8aa3b, v10
	v_cmp_ngt_f32_e32 vcc_lo, 0xc2ce8ed0, v10
	v_fma_f32 v30, 0x3fb8aa3b, v10, -v11
	v_rndne_f32_e32 v31, v11
	v_fmamk_f32 v30, v10, 0x32a5705f, v30
	v_sub_f32_e32 v11, v11, v31
	v_add_f32_e32 v11, v11, v30
	v_cvt_i32_f32_e32 v30, v31
	v_exp_f32_e32 v11, v11
	v_ldexp_f32 v11, v11, v30
	v_cndmask_b32_e32 v11, 0, v11, vcc_lo
	v_cmp_nlt_f32_e32 vcc_lo, 0x42b17218, v10
	v_cndmask_b32_e32 v30, 0x7f800000, v11, vcc_lo
	v_add_f32_e32 v31, 1.0, v30
	v_cvt_f64_f32_e32 v[10:11], v31
	v_frexp_exp_i32_f64_e32 v10, v[10:11]
	v_frexp_mant_f32_e32 v11, v31
	v_cmp_gt_f32_e32 vcc_lo, 0x3f2aaaab, v11
	v_add_f32_e32 v11, -1.0, v31
	v_sub_f32_e32 v33, v11, v31
	v_sub_f32_e32 v11, v30, v11
	v_add_f32_e32 v33, 1.0, v33
	v_add_f32_e32 v11, v11, v33
	v_subrev_co_ci_u32_e64 v10, null, 0, v10, vcc_lo
	v_cmp_neq_f32_e32 vcc_lo, 0x7f800000, v30
	v_sub_nc_u32_e32 v32, 0, v10
	v_cvt_f32_i32_e32 v10, v10
	v_ldexp_f32 v31, v31, v32
	v_ldexp_f32 v11, v11, v32
	v_add_f32_e32 v34, 1.0, v31
	v_add_f32_e32 v32, -1.0, v31
	v_add_f32_e32 v33, -1.0, v34
	v_add_f32_e32 v35, 1.0, v32
	v_sub_f32_e32 v33, v31, v33
	v_sub_f32_e32 v31, v31, v35
	v_add_f32_e32 v33, v11, v33
	v_add_f32_e32 v11, v11, v31
	;; [unrolled: 1-line block ×4, first 2 shown]
	v_rcp_f32_e32 v31, v35
	v_sub_f32_e32 v34, v34, v35
	v_sub_f32_e32 v32, v32, v36
	v_add_f32_e32 v33, v33, v34
	v_add_f32_e32 v11, v11, v32
	v_mul_f32_e32 v37, v36, v31
	v_mul_f32_e32 v38, v35, v37
	v_fma_f32 v34, v37, v35, -v38
	v_fmac_f32_e32 v34, v37, v33
	v_add_f32_e32 v39, v38, v34
	v_sub_f32_e32 v40, v36, v39
	v_sub_f32_e32 v32, v39, v38
	;; [unrolled: 1-line block ×5, first 2 shown]
	v_add_f32_e32 v11, v11, v36
	v_add_f32_e32 v11, v32, v11
	;; [unrolled: 1-line block ×3, first 2 shown]
	v_mul_f32_e32 v34, v31, v32
	v_sub_f32_e32 v39, v40, v32
	v_mul_f32_e32 v36, v35, v34
	v_add_f32_e32 v11, v11, v39
	v_fma_f32 v35, v34, v35, -v36
	v_fmac_f32_e32 v35, v34, v33
	v_add_f32_e32 v33, v36, v35
	v_sub_f32_e32 v38, v32, v33
	v_sub_f32_e32 v36, v33, v36
	;; [unrolled: 1-line block ×5, first 2 shown]
	v_add_f32_e32 v11, v11, v32
	v_add_f32_e32 v32, v37, v34
	;; [unrolled: 1-line block ×3, first 2 shown]
	v_sub_f32_e32 v33, v32, v37
	v_add_f32_e32 v11, v38, v11
	v_sub_f32_e32 v33, v34, v33
	v_mul_f32_e32 v11, v31, v11
	v_add_f32_e32 v11, v33, v11
	v_add_f32_e32 v31, v32, v11
	v_mul_f32_e32 v33, v31, v31
	v_fmaak_f32 v34, s19, v33, 0x3ecc95a3
	v_mul_f32_e32 v35, v31, v33
	v_fmaak_f32 v33, v33, v34, 0x3f2aaada
	v_ldexp_f32 v34, v31, 1
	v_sub_f32_e32 v31, v31, v32
	v_mul_f32_e32 v33, v35, v33
	v_mul_f32_e32 v35, 0x3f317218, v10
	v_sub_f32_e32 v11, v11, v31
	v_add_f32_e32 v32, v34, v33
	v_ldexp_f32 v11, v11, 1
	v_sub_f32_e32 v31, v32, v34
	v_fma_f32 v34, 0x3f317218, v10, -v35
	v_sub_f32_e32 v31, v33, v31
	v_fmamk_f32 v10, v10, 0xb102e308, v34
	v_add_f32_e32 v11, v11, v31
	v_add_f32_e32 v31, v35, v10
	;; [unrolled: 1-line block ×3, first 2 shown]
	v_sub_f32_e32 v35, v31, v35
	v_add_f32_e32 v34, v31, v33
	v_sub_f32_e32 v32, v33, v32
	v_sub_f32_e32 v10, v10, v35
	v_sub_f32_e32 v36, v34, v31
	v_sub_f32_e32 v11, v11, v32
	v_sub_f32_e32 v37, v34, v36
	v_sub_f32_e32 v32, v33, v36
	v_add_f32_e32 v33, v10, v11
	v_sub_f32_e32 v31, v31, v37
	v_add_f32_e32 v31, v32, v31
	v_sub_f32_e32 v32, v33, v10
	;; [unrolled: 2-line block ×3, first 2 shown]
	v_sub_f32_e32 v11, v11, v32
	v_add_f32_e32 v35, v34, v31
	v_sub_f32_e32 v10, v10, v33
	v_sub_f32_e32 v32, v35, v34
	v_add_f32_e32 v10, v11, v10
	v_sub_f32_e32 v11, v31, v32
	v_add_f32_e32 v10, v10, v11
	v_add_f32_e32 v10, v35, v10
	v_cndmask_b32_e32 v10, 0x7f800000, v10, vcc_lo
	v_cmp_gt_f32_e64 vcc_lo, 0x33800000, |v30|
	v_cndmask_b32_e32 v10, v10, v30, vcc_lo
	v_add_f32_e32 v10, v6, v10
.LBB96_75:
	s_or_b32 exec_lo, exec_lo, s17
	v_mov_b32_e32 v6, v10
	v_mov_b32_e32 v11, v10
.LBB96_76:
	s_or_b32 exec_lo, exec_lo, s16
	v_lshl_or_b32 v31, v23, 2, 64
	v_add_nc_u32_e32 v32, 16, v23
	s_mov_b32 s16, exec_lo
	ds_bpermute_b32 v6, v31, v6
	v_cmpx_le_u32_e64 v32, v5
	s_cbranch_execz .LBB96_80
; %bb.77:
	v_max_f32_e32 v5, v11, v11
	s_waitcnt lgkmcnt(0)
	v_max_f32_e32 v10, v6, v6
	v_cmp_u_f32_e32 vcc_lo, v6, v6
	v_min_f32_e32 v30, v10, v5
	v_max_f32_e32 v5, v10, v5
	v_cndmask_b32_e32 v10, v30, v6, vcc_lo
	v_cndmask_b32_e32 v5, v5, v6, vcc_lo
	v_cmp_u_f32_e32 vcc_lo, v11, v11
	v_cndmask_b32_e32 v10, v10, v11, vcc_lo
	v_cndmask_b32_e32 v5, v5, v11, vcc_lo
	v_cmp_class_f32_e64 s17, v10, 0x1f8
	v_cmp_neq_f32_e32 vcc_lo, v10, v5
	s_or_b32 s19, vcc_lo, s17
	s_and_saveexec_b32 s17, s19
	s_cbranch_execz .LBB96_79
; %bb.78:
	v_sub_f32_e32 v6, v10, v5
	s_mov_b32 s19, 0x3e9b6dac
	v_mul_f32_e32 v10, 0x3fb8aa3b, v6
	v_cmp_ngt_f32_e32 vcc_lo, 0xc2ce8ed0, v6
	v_fma_f32 v11, 0x3fb8aa3b, v6, -v10
	v_rndne_f32_e32 v30, v10
	v_fmamk_f32 v11, v6, 0x32a5705f, v11
	v_sub_f32_e32 v10, v10, v30
	v_add_f32_e32 v10, v10, v11
	v_cvt_i32_f32_e32 v11, v30
	v_exp_f32_e32 v10, v10
	v_ldexp_f32 v10, v10, v11
	v_cndmask_b32_e32 v10, 0, v10, vcc_lo
	v_cmp_nlt_f32_e32 vcc_lo, 0x42b17218, v6
	v_cndmask_b32_e32 v6, 0x7f800000, v10, vcc_lo
	v_add_f32_e32 v30, 1.0, v6
	v_cvt_f64_f32_e32 v[10:11], v30
	v_frexp_exp_i32_f64_e32 v10, v[10:11]
	v_frexp_mant_f32_e32 v11, v30
	v_cmp_gt_f32_e32 vcc_lo, 0x3f2aaaab, v11
	v_add_f32_e32 v11, -1.0, v30
	v_sub_f32_e32 v34, v11, v30
	v_sub_f32_e32 v11, v6, v11
	v_add_f32_e32 v34, 1.0, v34
	v_add_f32_e32 v11, v11, v34
	v_subrev_co_ci_u32_e64 v10, null, 0, v10, vcc_lo
	v_cmp_neq_f32_e32 vcc_lo, 0x7f800000, v6
	v_sub_nc_u32_e32 v33, 0, v10
	v_cvt_f32_i32_e32 v10, v10
	v_ldexp_f32 v30, v30, v33
	v_ldexp_f32 v11, v11, v33
	v_add_f32_e32 v35, 1.0, v30
	v_add_f32_e32 v33, -1.0, v30
	v_add_f32_e32 v34, -1.0, v35
	v_add_f32_e32 v36, 1.0, v33
	v_sub_f32_e32 v34, v30, v34
	v_sub_f32_e32 v30, v30, v36
	v_add_f32_e32 v34, v11, v34
	v_add_f32_e32 v11, v11, v30
	;; [unrolled: 1-line block ×4, first 2 shown]
	v_rcp_f32_e32 v30, v36
	v_sub_f32_e32 v35, v35, v36
	v_sub_f32_e32 v33, v33, v37
	v_add_f32_e32 v34, v34, v35
	v_add_f32_e32 v11, v11, v33
	v_mul_f32_e32 v38, v37, v30
	v_mul_f32_e32 v39, v36, v38
	v_fma_f32 v35, v38, v36, -v39
	v_fmac_f32_e32 v35, v38, v34
	v_add_f32_e32 v40, v39, v35
	v_sub_f32_e32 v41, v37, v40
	v_sub_f32_e32 v33, v40, v39
	;; [unrolled: 1-line block ×5, first 2 shown]
	v_add_f32_e32 v11, v11, v37
	v_add_f32_e32 v11, v33, v11
	v_add_f32_e32 v33, v41, v11
	v_mul_f32_e32 v35, v30, v33
	v_sub_f32_e32 v40, v41, v33
	v_mul_f32_e32 v37, v36, v35
	v_add_f32_e32 v11, v11, v40
	v_fma_f32 v36, v35, v36, -v37
	v_fmac_f32_e32 v36, v35, v34
	v_add_f32_e32 v34, v37, v36
	v_sub_f32_e32 v39, v33, v34
	v_sub_f32_e32 v37, v34, v37
	v_sub_f32_e32 v33, v33, v39
	v_sub_f32_e32 v33, v33, v34
	v_sub_f32_e32 v34, v37, v36
	v_add_f32_e32 v11, v11, v33
	v_add_f32_e32 v33, v38, v35
	;; [unrolled: 1-line block ×3, first 2 shown]
	v_sub_f32_e32 v34, v33, v38
	v_add_f32_e32 v11, v39, v11
	v_sub_f32_e32 v34, v35, v34
	v_mul_f32_e32 v11, v30, v11
	v_add_f32_e32 v11, v34, v11
	v_add_f32_e32 v30, v33, v11
	v_mul_f32_e32 v34, v30, v30
	v_fmaak_f32 v35, s19, v34, 0x3ecc95a3
	v_mul_f32_e32 v36, v30, v34
	v_fmaak_f32 v34, v34, v35, 0x3f2aaada
	v_ldexp_f32 v35, v30, 1
	v_sub_f32_e32 v30, v30, v33
	v_mul_f32_e32 v34, v36, v34
	v_mul_f32_e32 v36, 0x3f317218, v10
	v_sub_f32_e32 v11, v11, v30
	v_add_f32_e32 v33, v35, v34
	v_ldexp_f32 v11, v11, 1
	v_sub_f32_e32 v30, v33, v35
	v_fma_f32 v35, 0x3f317218, v10, -v36
	v_sub_f32_e32 v30, v34, v30
	v_fmamk_f32 v10, v10, 0xb102e308, v35
	v_add_f32_e32 v11, v11, v30
	v_add_f32_e32 v30, v36, v10
	;; [unrolled: 1-line block ×3, first 2 shown]
	v_sub_f32_e32 v36, v30, v36
	v_add_f32_e32 v35, v30, v34
	v_sub_f32_e32 v33, v34, v33
	v_sub_f32_e32 v10, v10, v36
	v_sub_f32_e32 v37, v35, v30
	v_sub_f32_e32 v11, v11, v33
	v_sub_f32_e32 v38, v35, v37
	v_sub_f32_e32 v33, v34, v37
	v_add_f32_e32 v34, v10, v11
	v_sub_f32_e32 v30, v30, v38
	v_add_f32_e32 v30, v33, v30
	v_sub_f32_e32 v33, v34, v10
	v_add_f32_e32 v30, v34, v30
	v_sub_f32_e32 v34, v34, v33
	v_sub_f32_e32 v11, v11, v33
	v_add_f32_e32 v36, v35, v30
	v_sub_f32_e32 v10, v10, v34
	v_sub_f32_e32 v33, v36, v35
	v_add_f32_e32 v10, v11, v10
	v_sub_f32_e32 v11, v30, v33
	v_add_f32_e32 v10, v10, v11
	v_add_f32_e32 v10, v36, v10
	v_cndmask_b32_e32 v10, 0x7f800000, v10, vcc_lo
	v_cmp_gt_f32_e64 vcc_lo, 0x33800000, |v6|
	v_cndmask_b32_e32 v6, v10, v6, vcc_lo
	v_add_f32_e32 v6, v5, v6
.LBB96_79:
	s_or_b32 exec_lo, exec_lo, s17
	v_mov_b32_e32 v11, v6
.LBB96_80:
	s_or_b32 exec_lo, exec_lo, s16
	v_mov_b32_e32 v5, 0
	v_mov_b32_e32 v33, 2
	s_mov_b32 s16, 0x3e9b6dac
	s_branch .LBB96_83
.LBB96_81:                              ;   in Loop: Header=BB96_83 Depth=1
	s_or_b32 exec_lo, exec_lo, s17
	v_subrev_nc_u32_e32 v4, 32, v4
	s_mov_b32 s17, 0
.LBB96_82:                              ;   in Loop: Header=BB96_83 Depth=1
	s_and_b32 vcc_lo, exec_lo, s17
	s_cbranch_vccnz .LBB96_111
.LBB96_83:                              ; =>This Loop Header: Depth=1
                                        ;     Child Loop BB96_86 Depth 2
	v_cmp_ne_u16_sdwa s17, v7, v33 src0_sel:BYTE_0 src1_sel:DWORD
	v_mov_b32_e32 v30, v11
                                        ; implicit-def: $vgpr11
                                        ; implicit-def: $vgpr7
	s_cmp_lg_u32 s17, exec_lo
	s_mov_b32 s17, -1
	s_cbranch_scc1 .LBB96_82
; %bb.84:                               ;   in Loop: Header=BB96_83 Depth=1
	s_waitcnt lgkmcnt(0)
	v_lshlrev_b64 v[6:7], 3, v[4:5]
	v_add_co_u32 v10, vcc_lo, s26, v6
	v_add_co_ci_u32_e64 v11, null, s27, v7, vcc_lo
	global_load_dwordx2 v[6:7], v[10:11], off glc dlc
	s_waitcnt vmcnt(0)
	v_cmp_eq_u16_sdwa s19, v7, v5 src0_sel:BYTE_0 src1_sel:DWORD
	s_and_saveexec_b32 s17, s19
	s_cbranch_execz .LBB96_88
; %bb.85:                               ;   in Loop: Header=BB96_83 Depth=1
	s_mov_b32 s19, 0
.LBB96_86:                              ;   Parent Loop BB96_83 Depth=1
                                        ; =>  This Inner Loop Header: Depth=2
	global_load_dwordx2 v[6:7], v[10:11], off glc dlc
	s_waitcnt vmcnt(0)
	v_cmp_ne_u16_sdwa s20, v7, v5 src0_sel:BYTE_0 src1_sel:DWORD
	s_or_b32 s19, s20, s19
	s_andn2_b32 exec_lo, exec_lo, s19
	s_cbranch_execnz .LBB96_86
; %bb.87:                               ;   in Loop: Header=BB96_83 Depth=1
	s_or_b32 exec_lo, exec_lo, s19
.LBB96_88:                              ;   in Loop: Header=BB96_83 Depth=1
	s_or_b32 exec_lo, exec_lo, s17
	ds_bpermute_b32 v34, v12, v6
	v_cmp_eq_u16_sdwa s17, v7, v33 src0_sel:BYTE_0 src1_sel:DWORD
	v_mov_b32_e32 v11, v6
	v_and_or_b32 v10, s17, v13, 0x80000000
	s_mov_b32 s17, exec_lo
	v_ffbl_b32_e32 v10, v10
	v_cmpx_lt_u32_e64 v23, v10
	s_cbranch_execz .LBB96_92
; %bb.89:                               ;   in Loop: Header=BB96_83 Depth=1
	v_max_f32_e32 v11, v6, v6
	s_waitcnt lgkmcnt(0)
	v_max_f32_e32 v35, v34, v34
	v_cmp_u_f32_e32 vcc_lo, v34, v34
	v_min_f32_e32 v36, v35, v11
	v_max_f32_e32 v11, v35, v11
	v_cndmask_b32_e32 v35, v36, v34, vcc_lo
	v_cndmask_b32_e32 v36, v11, v34, vcc_lo
	v_cmp_u_f32_e32 vcc_lo, v6, v6
	v_cndmask_b32_e32 v11, v35, v6, vcc_lo
	v_cndmask_b32_e32 v6, v36, v6, vcc_lo
	v_cmp_class_f32_e64 s19, v11, 0x1f8
	v_cmp_neq_f32_e32 vcc_lo, v11, v6
	s_or_b32 s20, vcc_lo, s19
	s_and_saveexec_b32 s19, s20
	s_cbranch_execz .LBB96_91
; %bb.90:                               ;   in Loop: Header=BB96_83 Depth=1
	v_sub_f32_e32 v11, v11, v6
	v_mul_f32_e32 v34, 0x3fb8aa3b, v11
	v_cmp_ngt_f32_e32 vcc_lo, 0xc2ce8ed0, v11
	v_fma_f32 v35, 0x3fb8aa3b, v11, -v34
	v_rndne_f32_e32 v36, v34
	v_fmac_f32_e32 v35, 0x32a5705f, v11
	v_sub_f32_e32 v34, v34, v36
	v_add_f32_e32 v34, v34, v35
	v_cvt_i32_f32_e32 v35, v36
	v_exp_f32_e32 v34, v34
	v_ldexp_f32 v34, v34, v35
	v_cndmask_b32_e32 v34, 0, v34, vcc_lo
	v_cmp_nlt_f32_e32 vcc_lo, 0x42b17218, v11
	v_cndmask_b32_e32 v11, 0x7f800000, v34, vcc_lo
	v_add_f32_e32 v36, 1.0, v11
	v_cvt_f64_f32_e32 v[34:35], v36
	v_frexp_exp_i32_f64_e32 v34, v[34:35]
	v_frexp_mant_f32_e32 v35, v36
	v_cmp_gt_f32_e32 vcc_lo, 0x3f2aaaab, v35
	v_add_f32_e32 v35, -1.0, v36
	v_sub_f32_e32 v38, v35, v36
	v_sub_f32_e32 v35, v11, v35
	v_add_f32_e32 v38, 1.0, v38
	v_add_f32_e32 v35, v35, v38
	v_subrev_co_ci_u32_e64 v34, null, 0, v34, vcc_lo
	v_cmp_neq_f32_e32 vcc_lo, 0x7f800000, v11
	v_sub_nc_u32_e32 v37, 0, v34
	v_cvt_f32_i32_e32 v34, v34
	v_ldexp_f32 v36, v36, v37
	v_ldexp_f32 v35, v35, v37
	v_add_f32_e32 v39, 1.0, v36
	v_add_f32_e32 v37, -1.0, v36
	v_add_f32_e32 v38, -1.0, v39
	v_add_f32_e32 v40, 1.0, v37
	v_sub_f32_e32 v38, v36, v38
	v_sub_f32_e32 v36, v36, v40
	v_add_f32_e32 v38, v35, v38
	v_add_f32_e32 v35, v35, v36
	;; [unrolled: 1-line block ×4, first 2 shown]
	v_rcp_f32_e32 v36, v40
	v_sub_f32_e32 v39, v39, v40
	v_sub_f32_e32 v37, v37, v41
	v_add_f32_e32 v38, v38, v39
	v_add_f32_e32 v35, v35, v37
	v_mul_f32_e32 v42, v41, v36
	v_mul_f32_e32 v43, v40, v42
	v_fma_f32 v39, v42, v40, -v43
	v_fmac_f32_e32 v39, v42, v38
	v_add_f32_e32 v44, v43, v39
	v_sub_f32_e32 v45, v41, v44
	v_sub_f32_e32 v37, v44, v43
	;; [unrolled: 1-line block ×5, first 2 shown]
	v_add_f32_e32 v35, v35, v41
	v_add_f32_e32 v35, v37, v35
	;; [unrolled: 1-line block ×3, first 2 shown]
	v_mul_f32_e32 v39, v36, v37
	v_sub_f32_e32 v44, v45, v37
	v_mul_f32_e32 v41, v40, v39
	v_add_f32_e32 v35, v35, v44
	v_fma_f32 v40, v39, v40, -v41
	v_fmac_f32_e32 v40, v39, v38
	v_add_f32_e32 v38, v41, v40
	v_sub_f32_e32 v43, v37, v38
	v_sub_f32_e32 v41, v38, v41
	;; [unrolled: 1-line block ×5, first 2 shown]
	v_add_f32_e32 v35, v35, v37
	v_add_f32_e32 v37, v42, v39
	;; [unrolled: 1-line block ×3, first 2 shown]
	v_sub_f32_e32 v38, v37, v42
	v_add_f32_e32 v35, v43, v35
	v_sub_f32_e32 v38, v39, v38
	v_mul_f32_e32 v35, v36, v35
	v_add_f32_e32 v35, v38, v35
	v_add_f32_e32 v36, v37, v35
	v_mul_f32_e32 v38, v36, v36
	v_fmaak_f32 v39, s16, v38, 0x3ecc95a3
	v_mul_f32_e32 v40, v36, v38
	v_fmaak_f32 v38, v38, v39, 0x3f2aaada
	v_ldexp_f32 v39, v36, 1
	v_sub_f32_e32 v36, v36, v37
	v_mul_f32_e32 v38, v40, v38
	v_mul_f32_e32 v40, 0x3f317218, v34
	v_sub_f32_e32 v35, v35, v36
	v_add_f32_e32 v37, v39, v38
	v_ldexp_f32 v35, v35, 1
	v_sub_f32_e32 v36, v37, v39
	v_fma_f32 v39, 0x3f317218, v34, -v40
	v_sub_f32_e32 v36, v38, v36
	v_fmac_f32_e32 v39, 0xb102e308, v34
	v_add_f32_e32 v34, v35, v36
	v_add_f32_e32 v35, v40, v39
	;; [unrolled: 1-line block ×3, first 2 shown]
	v_sub_f32_e32 v40, v35, v40
	v_add_f32_e32 v38, v35, v36
	v_sub_f32_e32 v37, v36, v37
	v_sub_f32_e32 v39, v39, v40
	;; [unrolled: 1-line block ×6, first 2 shown]
	v_add_f32_e32 v37, v39, v34
	v_sub_f32_e32 v35, v35, v42
	v_add_f32_e32 v35, v36, v35
	v_sub_f32_e32 v36, v37, v39
	;; [unrolled: 2-line block ×3, first 2 shown]
	v_sub_f32_e32 v34, v34, v36
	v_add_f32_e32 v40, v38, v35
	v_sub_f32_e32 v37, v39, v37
	v_sub_f32_e32 v36, v40, v38
	v_add_f32_e32 v34, v34, v37
	v_sub_f32_e32 v35, v35, v36
	v_add_f32_e32 v34, v34, v35
	v_add_f32_e32 v34, v40, v34
	v_cndmask_b32_e32 v34, 0x7f800000, v34, vcc_lo
	v_cmp_gt_f32_e64 vcc_lo, 0x33800000, |v11|
	v_cndmask_b32_e32 v11, v34, v11, vcc_lo
	v_add_f32_e32 v34, v6, v11
.LBB96_91:                              ;   in Loop: Header=BB96_83 Depth=1
	s_or_b32 exec_lo, exec_lo, s19
	v_mov_b32_e32 v6, v34
	v_mov_b32_e32 v11, v34
.LBB96_92:                              ;   in Loop: Header=BB96_83 Depth=1
	s_or_b32 exec_lo, exec_lo, s17
	s_waitcnt lgkmcnt(0)
	ds_bpermute_b32 v34, v24, v6
	s_mov_b32 s17, exec_lo
	v_cmpx_le_u32_e64 v25, v10
	s_cbranch_execz .LBB96_96
; %bb.93:                               ;   in Loop: Header=BB96_83 Depth=1
	v_max_f32_e32 v6, v11, v11
	s_waitcnt lgkmcnt(0)
	v_max_f32_e32 v35, v34, v34
	v_cmp_u_f32_e32 vcc_lo, v34, v34
	v_min_f32_e32 v36, v35, v6
	v_max_f32_e32 v6, v35, v6
	v_cndmask_b32_e32 v35, v36, v34, vcc_lo
	v_cndmask_b32_e32 v6, v6, v34, vcc_lo
	v_cmp_u_f32_e32 vcc_lo, v11, v11
	v_cndmask_b32_e32 v35, v35, v11, vcc_lo
	v_cndmask_b32_e32 v6, v6, v11, vcc_lo
	v_cmp_class_f32_e64 s19, v35, 0x1f8
	v_cmp_neq_f32_e32 vcc_lo, v35, v6
	s_or_b32 s20, vcc_lo, s19
	s_and_saveexec_b32 s19, s20
	s_cbranch_execz .LBB96_95
; %bb.94:                               ;   in Loop: Header=BB96_83 Depth=1
	v_sub_f32_e32 v11, v35, v6
	v_mul_f32_e32 v34, 0x3fb8aa3b, v11
	v_cmp_ngt_f32_e32 vcc_lo, 0xc2ce8ed0, v11
	v_fma_f32 v35, 0x3fb8aa3b, v11, -v34
	v_rndne_f32_e32 v36, v34
	v_fmac_f32_e32 v35, 0x32a5705f, v11
	v_sub_f32_e32 v34, v34, v36
	v_add_f32_e32 v34, v34, v35
	v_cvt_i32_f32_e32 v35, v36
	v_exp_f32_e32 v34, v34
	v_ldexp_f32 v34, v34, v35
	v_cndmask_b32_e32 v34, 0, v34, vcc_lo
	v_cmp_nlt_f32_e32 vcc_lo, 0x42b17218, v11
	v_cndmask_b32_e32 v11, 0x7f800000, v34, vcc_lo
	v_add_f32_e32 v36, 1.0, v11
	v_cvt_f64_f32_e32 v[34:35], v36
	v_frexp_exp_i32_f64_e32 v34, v[34:35]
	v_frexp_mant_f32_e32 v35, v36
	v_cmp_gt_f32_e32 vcc_lo, 0x3f2aaaab, v35
	v_add_f32_e32 v35, -1.0, v36
	v_sub_f32_e32 v38, v35, v36
	v_sub_f32_e32 v35, v11, v35
	v_add_f32_e32 v38, 1.0, v38
	v_add_f32_e32 v35, v35, v38
	v_subrev_co_ci_u32_e64 v34, null, 0, v34, vcc_lo
	v_cmp_neq_f32_e32 vcc_lo, 0x7f800000, v11
	v_sub_nc_u32_e32 v37, 0, v34
	v_cvt_f32_i32_e32 v34, v34
	v_ldexp_f32 v36, v36, v37
	v_ldexp_f32 v35, v35, v37
	v_add_f32_e32 v39, 1.0, v36
	v_add_f32_e32 v37, -1.0, v36
	v_add_f32_e32 v38, -1.0, v39
	v_add_f32_e32 v40, 1.0, v37
	v_sub_f32_e32 v38, v36, v38
	v_sub_f32_e32 v36, v36, v40
	v_add_f32_e32 v38, v35, v38
	v_add_f32_e32 v35, v35, v36
	;; [unrolled: 1-line block ×4, first 2 shown]
	v_rcp_f32_e32 v36, v40
	v_sub_f32_e32 v39, v39, v40
	v_sub_f32_e32 v37, v37, v41
	v_add_f32_e32 v38, v38, v39
	v_add_f32_e32 v35, v35, v37
	v_mul_f32_e32 v42, v41, v36
	v_mul_f32_e32 v43, v40, v42
	v_fma_f32 v39, v42, v40, -v43
	v_fmac_f32_e32 v39, v42, v38
	v_add_f32_e32 v44, v43, v39
	v_sub_f32_e32 v45, v41, v44
	v_sub_f32_e32 v37, v44, v43
	;; [unrolled: 1-line block ×5, first 2 shown]
	v_add_f32_e32 v35, v35, v41
	v_add_f32_e32 v35, v37, v35
	;; [unrolled: 1-line block ×3, first 2 shown]
	v_mul_f32_e32 v39, v36, v37
	v_sub_f32_e32 v44, v45, v37
	v_mul_f32_e32 v41, v40, v39
	v_add_f32_e32 v35, v35, v44
	v_fma_f32 v40, v39, v40, -v41
	v_fmac_f32_e32 v40, v39, v38
	v_add_f32_e32 v38, v41, v40
	v_sub_f32_e32 v43, v37, v38
	v_sub_f32_e32 v41, v38, v41
	;; [unrolled: 1-line block ×5, first 2 shown]
	v_add_f32_e32 v35, v35, v37
	v_add_f32_e32 v37, v42, v39
	;; [unrolled: 1-line block ×3, first 2 shown]
	v_sub_f32_e32 v38, v37, v42
	v_add_f32_e32 v35, v43, v35
	v_sub_f32_e32 v38, v39, v38
	v_mul_f32_e32 v35, v36, v35
	v_add_f32_e32 v35, v38, v35
	v_add_f32_e32 v36, v37, v35
	v_mul_f32_e32 v38, v36, v36
	v_fmaak_f32 v39, s16, v38, 0x3ecc95a3
	v_mul_f32_e32 v40, v36, v38
	v_fmaak_f32 v38, v38, v39, 0x3f2aaada
	v_ldexp_f32 v39, v36, 1
	v_sub_f32_e32 v36, v36, v37
	v_mul_f32_e32 v38, v40, v38
	v_mul_f32_e32 v40, 0x3f317218, v34
	v_sub_f32_e32 v35, v35, v36
	v_add_f32_e32 v37, v39, v38
	v_ldexp_f32 v35, v35, 1
	v_sub_f32_e32 v36, v37, v39
	v_fma_f32 v39, 0x3f317218, v34, -v40
	v_sub_f32_e32 v36, v38, v36
	v_fmac_f32_e32 v39, 0xb102e308, v34
	v_add_f32_e32 v34, v35, v36
	v_add_f32_e32 v35, v40, v39
	;; [unrolled: 1-line block ×3, first 2 shown]
	v_sub_f32_e32 v40, v35, v40
	v_add_f32_e32 v38, v35, v36
	v_sub_f32_e32 v37, v36, v37
	v_sub_f32_e32 v39, v39, v40
	;; [unrolled: 1-line block ×6, first 2 shown]
	v_add_f32_e32 v37, v39, v34
	v_sub_f32_e32 v35, v35, v42
	v_add_f32_e32 v35, v36, v35
	v_sub_f32_e32 v36, v37, v39
	;; [unrolled: 2-line block ×3, first 2 shown]
	v_sub_f32_e32 v34, v34, v36
	v_add_f32_e32 v40, v38, v35
	v_sub_f32_e32 v37, v39, v37
	v_sub_f32_e32 v36, v40, v38
	v_add_f32_e32 v34, v34, v37
	v_sub_f32_e32 v35, v35, v36
	v_add_f32_e32 v34, v34, v35
	v_add_f32_e32 v34, v40, v34
	v_cndmask_b32_e32 v34, 0x7f800000, v34, vcc_lo
	v_cmp_gt_f32_e64 vcc_lo, 0x33800000, |v11|
	v_cndmask_b32_e32 v11, v34, v11, vcc_lo
	v_add_f32_e32 v34, v6, v11
.LBB96_95:                              ;   in Loop: Header=BB96_83 Depth=1
	s_or_b32 exec_lo, exec_lo, s19
	v_mov_b32_e32 v6, v34
	v_mov_b32_e32 v11, v34
.LBB96_96:                              ;   in Loop: Header=BB96_83 Depth=1
	s_or_b32 exec_lo, exec_lo, s17
	s_waitcnt lgkmcnt(0)
	ds_bpermute_b32 v34, v26, v6
	s_mov_b32 s17, exec_lo
	v_cmpx_le_u32_e64 v27, v10
	s_cbranch_execz .LBB96_100
; %bb.97:                               ;   in Loop: Header=BB96_83 Depth=1
	v_max_f32_e32 v6, v11, v11
	s_waitcnt lgkmcnt(0)
	v_max_f32_e32 v35, v34, v34
	v_cmp_u_f32_e32 vcc_lo, v34, v34
	v_min_f32_e32 v36, v35, v6
	v_max_f32_e32 v6, v35, v6
	v_cndmask_b32_e32 v35, v36, v34, vcc_lo
	v_cndmask_b32_e32 v6, v6, v34, vcc_lo
	v_cmp_u_f32_e32 vcc_lo, v11, v11
	v_cndmask_b32_e32 v35, v35, v11, vcc_lo
	v_cndmask_b32_e32 v6, v6, v11, vcc_lo
	v_cmp_class_f32_e64 s19, v35, 0x1f8
	v_cmp_neq_f32_e32 vcc_lo, v35, v6
	s_or_b32 s20, vcc_lo, s19
	s_and_saveexec_b32 s19, s20
	s_cbranch_execz .LBB96_99
; %bb.98:                               ;   in Loop: Header=BB96_83 Depth=1
	v_sub_f32_e32 v11, v35, v6
	v_mul_f32_e32 v34, 0x3fb8aa3b, v11
	v_cmp_ngt_f32_e32 vcc_lo, 0xc2ce8ed0, v11
	v_fma_f32 v35, 0x3fb8aa3b, v11, -v34
	v_rndne_f32_e32 v36, v34
	v_fmac_f32_e32 v35, 0x32a5705f, v11
	v_sub_f32_e32 v34, v34, v36
	v_add_f32_e32 v34, v34, v35
	v_cvt_i32_f32_e32 v35, v36
	v_exp_f32_e32 v34, v34
	v_ldexp_f32 v34, v34, v35
	v_cndmask_b32_e32 v34, 0, v34, vcc_lo
	v_cmp_nlt_f32_e32 vcc_lo, 0x42b17218, v11
	v_cndmask_b32_e32 v11, 0x7f800000, v34, vcc_lo
	v_add_f32_e32 v36, 1.0, v11
	v_cvt_f64_f32_e32 v[34:35], v36
	v_frexp_exp_i32_f64_e32 v34, v[34:35]
	v_frexp_mant_f32_e32 v35, v36
	v_cmp_gt_f32_e32 vcc_lo, 0x3f2aaaab, v35
	v_add_f32_e32 v35, -1.0, v36
	v_sub_f32_e32 v38, v35, v36
	v_sub_f32_e32 v35, v11, v35
	v_add_f32_e32 v38, 1.0, v38
	v_add_f32_e32 v35, v35, v38
	v_subrev_co_ci_u32_e64 v34, null, 0, v34, vcc_lo
	v_cmp_neq_f32_e32 vcc_lo, 0x7f800000, v11
	v_sub_nc_u32_e32 v37, 0, v34
	v_cvt_f32_i32_e32 v34, v34
	v_ldexp_f32 v36, v36, v37
	v_ldexp_f32 v35, v35, v37
	v_add_f32_e32 v39, 1.0, v36
	v_add_f32_e32 v37, -1.0, v36
	v_add_f32_e32 v38, -1.0, v39
	v_add_f32_e32 v40, 1.0, v37
	v_sub_f32_e32 v38, v36, v38
	v_sub_f32_e32 v36, v36, v40
	v_add_f32_e32 v38, v35, v38
	v_add_f32_e32 v35, v35, v36
	;; [unrolled: 1-line block ×4, first 2 shown]
	v_rcp_f32_e32 v36, v40
	v_sub_f32_e32 v39, v39, v40
	v_sub_f32_e32 v37, v37, v41
	v_add_f32_e32 v38, v38, v39
	v_add_f32_e32 v35, v35, v37
	v_mul_f32_e32 v42, v41, v36
	v_mul_f32_e32 v43, v40, v42
	v_fma_f32 v39, v42, v40, -v43
	v_fmac_f32_e32 v39, v42, v38
	v_add_f32_e32 v44, v43, v39
	v_sub_f32_e32 v45, v41, v44
	v_sub_f32_e32 v37, v44, v43
	;; [unrolled: 1-line block ×5, first 2 shown]
	v_add_f32_e32 v35, v35, v41
	v_add_f32_e32 v35, v37, v35
	;; [unrolled: 1-line block ×3, first 2 shown]
	v_mul_f32_e32 v39, v36, v37
	v_sub_f32_e32 v44, v45, v37
	v_mul_f32_e32 v41, v40, v39
	v_add_f32_e32 v35, v35, v44
	v_fma_f32 v40, v39, v40, -v41
	v_fmac_f32_e32 v40, v39, v38
	v_add_f32_e32 v38, v41, v40
	v_sub_f32_e32 v43, v37, v38
	v_sub_f32_e32 v41, v38, v41
	;; [unrolled: 1-line block ×5, first 2 shown]
	v_add_f32_e32 v35, v35, v37
	v_add_f32_e32 v37, v42, v39
	;; [unrolled: 1-line block ×3, first 2 shown]
	v_sub_f32_e32 v38, v37, v42
	v_add_f32_e32 v35, v43, v35
	v_sub_f32_e32 v38, v39, v38
	v_mul_f32_e32 v35, v36, v35
	v_add_f32_e32 v35, v38, v35
	v_add_f32_e32 v36, v37, v35
	v_mul_f32_e32 v38, v36, v36
	v_fmaak_f32 v39, s16, v38, 0x3ecc95a3
	v_mul_f32_e32 v40, v36, v38
	v_fmaak_f32 v38, v38, v39, 0x3f2aaada
	v_ldexp_f32 v39, v36, 1
	v_sub_f32_e32 v36, v36, v37
	v_mul_f32_e32 v38, v40, v38
	v_mul_f32_e32 v40, 0x3f317218, v34
	v_sub_f32_e32 v35, v35, v36
	v_add_f32_e32 v37, v39, v38
	v_ldexp_f32 v35, v35, 1
	v_sub_f32_e32 v36, v37, v39
	v_fma_f32 v39, 0x3f317218, v34, -v40
	v_sub_f32_e32 v36, v38, v36
	v_fmac_f32_e32 v39, 0xb102e308, v34
	v_add_f32_e32 v34, v35, v36
	v_add_f32_e32 v35, v40, v39
	;; [unrolled: 1-line block ×3, first 2 shown]
	v_sub_f32_e32 v40, v35, v40
	v_add_f32_e32 v38, v35, v36
	v_sub_f32_e32 v37, v36, v37
	v_sub_f32_e32 v39, v39, v40
	v_sub_f32_e32 v41, v38, v35
	v_sub_f32_e32 v34, v34, v37
	v_sub_f32_e32 v42, v38, v41
	v_sub_f32_e32 v36, v36, v41
	v_add_f32_e32 v37, v39, v34
	v_sub_f32_e32 v35, v35, v42
	v_add_f32_e32 v35, v36, v35
	v_sub_f32_e32 v36, v37, v39
	;; [unrolled: 2-line block ×3, first 2 shown]
	v_sub_f32_e32 v34, v34, v36
	v_add_f32_e32 v40, v38, v35
	v_sub_f32_e32 v37, v39, v37
	v_sub_f32_e32 v36, v40, v38
	v_add_f32_e32 v34, v34, v37
	v_sub_f32_e32 v35, v35, v36
	v_add_f32_e32 v34, v34, v35
	v_add_f32_e32 v34, v40, v34
	v_cndmask_b32_e32 v34, 0x7f800000, v34, vcc_lo
	v_cmp_gt_f32_e64 vcc_lo, 0x33800000, |v11|
	v_cndmask_b32_e32 v11, v34, v11, vcc_lo
	v_add_f32_e32 v34, v6, v11
.LBB96_99:                              ;   in Loop: Header=BB96_83 Depth=1
	s_or_b32 exec_lo, exec_lo, s19
	v_mov_b32_e32 v6, v34
	v_mov_b32_e32 v11, v34
.LBB96_100:                             ;   in Loop: Header=BB96_83 Depth=1
	s_or_b32 exec_lo, exec_lo, s17
	s_waitcnt lgkmcnt(0)
	ds_bpermute_b32 v34, v28, v6
	s_mov_b32 s17, exec_lo
	v_cmpx_le_u32_e64 v29, v10
	s_cbranch_execz .LBB96_104
; %bb.101:                              ;   in Loop: Header=BB96_83 Depth=1
	v_max_f32_e32 v6, v11, v11
	s_waitcnt lgkmcnt(0)
	v_max_f32_e32 v35, v34, v34
	v_cmp_u_f32_e32 vcc_lo, v34, v34
	v_min_f32_e32 v36, v35, v6
	v_max_f32_e32 v6, v35, v6
	v_cndmask_b32_e32 v35, v36, v34, vcc_lo
	v_cndmask_b32_e32 v6, v6, v34, vcc_lo
	v_cmp_u_f32_e32 vcc_lo, v11, v11
	v_cndmask_b32_e32 v35, v35, v11, vcc_lo
	v_cndmask_b32_e32 v6, v6, v11, vcc_lo
	v_cmp_class_f32_e64 s19, v35, 0x1f8
	v_cmp_neq_f32_e32 vcc_lo, v35, v6
	s_or_b32 s20, vcc_lo, s19
	s_and_saveexec_b32 s19, s20
	s_cbranch_execz .LBB96_103
; %bb.102:                              ;   in Loop: Header=BB96_83 Depth=1
	v_sub_f32_e32 v11, v35, v6
	v_mul_f32_e32 v34, 0x3fb8aa3b, v11
	v_cmp_ngt_f32_e32 vcc_lo, 0xc2ce8ed0, v11
	v_fma_f32 v35, 0x3fb8aa3b, v11, -v34
	v_rndne_f32_e32 v36, v34
	v_fmac_f32_e32 v35, 0x32a5705f, v11
	v_sub_f32_e32 v34, v34, v36
	v_add_f32_e32 v34, v34, v35
	v_cvt_i32_f32_e32 v35, v36
	v_exp_f32_e32 v34, v34
	v_ldexp_f32 v34, v34, v35
	v_cndmask_b32_e32 v34, 0, v34, vcc_lo
	v_cmp_nlt_f32_e32 vcc_lo, 0x42b17218, v11
	v_cndmask_b32_e32 v11, 0x7f800000, v34, vcc_lo
	v_add_f32_e32 v36, 1.0, v11
	v_cvt_f64_f32_e32 v[34:35], v36
	v_frexp_exp_i32_f64_e32 v34, v[34:35]
	v_frexp_mant_f32_e32 v35, v36
	v_cmp_gt_f32_e32 vcc_lo, 0x3f2aaaab, v35
	v_add_f32_e32 v35, -1.0, v36
	v_sub_f32_e32 v38, v35, v36
	v_sub_f32_e32 v35, v11, v35
	v_add_f32_e32 v38, 1.0, v38
	v_add_f32_e32 v35, v35, v38
	v_subrev_co_ci_u32_e64 v34, null, 0, v34, vcc_lo
	v_cmp_neq_f32_e32 vcc_lo, 0x7f800000, v11
	v_sub_nc_u32_e32 v37, 0, v34
	v_cvt_f32_i32_e32 v34, v34
	v_ldexp_f32 v36, v36, v37
	v_ldexp_f32 v35, v35, v37
	v_add_f32_e32 v39, 1.0, v36
	v_add_f32_e32 v37, -1.0, v36
	v_add_f32_e32 v38, -1.0, v39
	v_add_f32_e32 v40, 1.0, v37
	v_sub_f32_e32 v38, v36, v38
	v_sub_f32_e32 v36, v36, v40
	v_add_f32_e32 v38, v35, v38
	v_add_f32_e32 v35, v35, v36
	;; [unrolled: 1-line block ×4, first 2 shown]
	v_rcp_f32_e32 v36, v40
	v_sub_f32_e32 v39, v39, v40
	v_sub_f32_e32 v37, v37, v41
	v_add_f32_e32 v38, v38, v39
	v_add_f32_e32 v35, v35, v37
	v_mul_f32_e32 v42, v41, v36
	v_mul_f32_e32 v43, v40, v42
	v_fma_f32 v39, v42, v40, -v43
	v_fmac_f32_e32 v39, v42, v38
	v_add_f32_e32 v44, v43, v39
	v_sub_f32_e32 v45, v41, v44
	v_sub_f32_e32 v37, v44, v43
	;; [unrolled: 1-line block ×5, first 2 shown]
	v_add_f32_e32 v35, v35, v41
	v_add_f32_e32 v35, v37, v35
	v_add_f32_e32 v37, v45, v35
	v_mul_f32_e32 v39, v36, v37
	v_sub_f32_e32 v44, v45, v37
	v_mul_f32_e32 v41, v40, v39
	v_add_f32_e32 v35, v35, v44
	v_fma_f32 v40, v39, v40, -v41
	v_fmac_f32_e32 v40, v39, v38
	v_add_f32_e32 v38, v41, v40
	v_sub_f32_e32 v43, v37, v38
	v_sub_f32_e32 v41, v38, v41
	;; [unrolled: 1-line block ×5, first 2 shown]
	v_add_f32_e32 v35, v35, v37
	v_add_f32_e32 v37, v42, v39
	v_add_f32_e32 v35, v38, v35
	v_sub_f32_e32 v38, v37, v42
	v_add_f32_e32 v35, v43, v35
	v_sub_f32_e32 v38, v39, v38
	v_mul_f32_e32 v35, v36, v35
	v_add_f32_e32 v35, v38, v35
	v_add_f32_e32 v36, v37, v35
	v_mul_f32_e32 v38, v36, v36
	v_fmaak_f32 v39, s16, v38, 0x3ecc95a3
	v_mul_f32_e32 v40, v36, v38
	v_fmaak_f32 v38, v38, v39, 0x3f2aaada
	v_ldexp_f32 v39, v36, 1
	v_sub_f32_e32 v36, v36, v37
	v_mul_f32_e32 v38, v40, v38
	v_mul_f32_e32 v40, 0x3f317218, v34
	v_sub_f32_e32 v35, v35, v36
	v_add_f32_e32 v37, v39, v38
	v_ldexp_f32 v35, v35, 1
	v_sub_f32_e32 v36, v37, v39
	v_fma_f32 v39, 0x3f317218, v34, -v40
	v_sub_f32_e32 v36, v38, v36
	v_fmac_f32_e32 v39, 0xb102e308, v34
	v_add_f32_e32 v34, v35, v36
	v_add_f32_e32 v35, v40, v39
	v_add_f32_e32 v36, v37, v34
	v_sub_f32_e32 v40, v35, v40
	v_add_f32_e32 v38, v35, v36
	v_sub_f32_e32 v37, v36, v37
	v_sub_f32_e32 v39, v39, v40
	v_sub_f32_e32 v41, v38, v35
	v_sub_f32_e32 v34, v34, v37
	v_sub_f32_e32 v42, v38, v41
	v_sub_f32_e32 v36, v36, v41
	v_add_f32_e32 v37, v39, v34
	v_sub_f32_e32 v35, v35, v42
	v_add_f32_e32 v35, v36, v35
	v_sub_f32_e32 v36, v37, v39
	;; [unrolled: 2-line block ×3, first 2 shown]
	v_sub_f32_e32 v34, v34, v36
	v_add_f32_e32 v40, v38, v35
	v_sub_f32_e32 v37, v39, v37
	v_sub_f32_e32 v36, v40, v38
	v_add_f32_e32 v34, v34, v37
	v_sub_f32_e32 v35, v35, v36
	v_add_f32_e32 v34, v34, v35
	v_add_f32_e32 v34, v40, v34
	v_cndmask_b32_e32 v34, 0x7f800000, v34, vcc_lo
	v_cmp_gt_f32_e64 vcc_lo, 0x33800000, |v11|
	v_cndmask_b32_e32 v11, v34, v11, vcc_lo
	v_add_f32_e32 v34, v6, v11
.LBB96_103:                             ;   in Loop: Header=BB96_83 Depth=1
	s_or_b32 exec_lo, exec_lo, s19
	v_mov_b32_e32 v6, v34
	v_mov_b32_e32 v11, v34
.LBB96_104:                             ;   in Loop: Header=BB96_83 Depth=1
	s_or_b32 exec_lo, exec_lo, s17
	s_waitcnt lgkmcnt(0)
	ds_bpermute_b32 v34, v31, v6
	s_mov_b32 s17, exec_lo
	v_cmpx_le_u32_e64 v32, v10
	s_cbranch_execz .LBB96_108
; %bb.105:                              ;   in Loop: Header=BB96_83 Depth=1
	v_max_f32_e32 v6, v11, v11
	s_waitcnt lgkmcnt(0)
	v_max_f32_e32 v10, v34, v34
	v_cmp_u_f32_e32 vcc_lo, v34, v34
	v_min_f32_e32 v35, v10, v6
	v_max_f32_e32 v6, v10, v6
	v_cndmask_b32_e32 v10, v35, v34, vcc_lo
	v_cndmask_b32_e32 v6, v6, v34, vcc_lo
	v_cmp_u_f32_e32 vcc_lo, v11, v11
	v_cndmask_b32_e32 v10, v10, v11, vcc_lo
	v_cndmask_b32_e32 v6, v6, v11, vcc_lo
	v_cmp_class_f32_e64 s19, v10, 0x1f8
	v_cmp_neq_f32_e32 vcc_lo, v10, v6
	s_or_b32 s20, vcc_lo, s19
	s_and_saveexec_b32 s19, s20
	s_cbranch_execz .LBB96_107
; %bb.106:                              ;   in Loop: Header=BB96_83 Depth=1
	v_sub_f32_e32 v10, v10, v6
	v_mul_f32_e32 v11, 0x3fb8aa3b, v10
	v_cmp_ngt_f32_e32 vcc_lo, 0xc2ce8ed0, v10
	v_fma_f32 v34, 0x3fb8aa3b, v10, -v11
	v_rndne_f32_e32 v35, v11
	v_fmac_f32_e32 v34, 0x32a5705f, v10
	v_sub_f32_e32 v11, v11, v35
	v_add_f32_e32 v11, v11, v34
	v_cvt_i32_f32_e32 v34, v35
	v_exp_f32_e32 v11, v11
	v_ldexp_f32 v11, v11, v34
	v_cndmask_b32_e32 v11, 0, v11, vcc_lo
	v_cmp_nlt_f32_e32 vcc_lo, 0x42b17218, v10
	v_cndmask_b32_e32 v34, 0x7f800000, v11, vcc_lo
	v_add_f32_e32 v35, 1.0, v34
	v_cvt_f64_f32_e32 v[10:11], v35
	v_frexp_exp_i32_f64_e32 v10, v[10:11]
	v_frexp_mant_f32_e32 v11, v35
	v_cmp_gt_f32_e32 vcc_lo, 0x3f2aaaab, v11
	v_add_f32_e32 v11, -1.0, v35
	v_sub_f32_e32 v37, v11, v35
	v_sub_f32_e32 v11, v34, v11
	v_add_f32_e32 v37, 1.0, v37
	v_add_f32_e32 v11, v11, v37
	v_subrev_co_ci_u32_e64 v10, null, 0, v10, vcc_lo
	v_cmp_neq_f32_e32 vcc_lo, 0x7f800000, v34
	v_sub_nc_u32_e32 v36, 0, v10
	v_cvt_f32_i32_e32 v10, v10
	v_ldexp_f32 v35, v35, v36
	v_ldexp_f32 v11, v11, v36
	v_add_f32_e32 v38, 1.0, v35
	v_add_f32_e32 v36, -1.0, v35
	v_add_f32_e32 v37, -1.0, v38
	v_add_f32_e32 v39, 1.0, v36
	v_sub_f32_e32 v37, v35, v37
	v_sub_f32_e32 v35, v35, v39
	v_add_f32_e32 v37, v11, v37
	v_add_f32_e32 v11, v11, v35
	;; [unrolled: 1-line block ×4, first 2 shown]
	v_rcp_f32_e32 v35, v39
	v_sub_f32_e32 v38, v38, v39
	v_sub_f32_e32 v36, v36, v40
	v_add_f32_e32 v37, v37, v38
	v_add_f32_e32 v11, v11, v36
	v_mul_f32_e32 v41, v40, v35
	v_mul_f32_e32 v42, v39, v41
	v_fma_f32 v38, v41, v39, -v42
	v_fmac_f32_e32 v38, v41, v37
	v_add_f32_e32 v43, v42, v38
	v_sub_f32_e32 v44, v40, v43
	v_sub_f32_e32 v36, v43, v42
	;; [unrolled: 1-line block ×5, first 2 shown]
	v_add_f32_e32 v11, v11, v40
	v_add_f32_e32 v11, v36, v11
	;; [unrolled: 1-line block ×3, first 2 shown]
	v_mul_f32_e32 v38, v35, v36
	v_sub_f32_e32 v43, v44, v36
	v_mul_f32_e32 v40, v39, v38
	v_add_f32_e32 v11, v11, v43
	v_fma_f32 v39, v38, v39, -v40
	v_fmac_f32_e32 v39, v38, v37
	v_add_f32_e32 v37, v40, v39
	v_sub_f32_e32 v42, v36, v37
	v_sub_f32_e32 v40, v37, v40
	;; [unrolled: 1-line block ×5, first 2 shown]
	v_add_f32_e32 v11, v11, v36
	v_add_f32_e32 v36, v41, v38
	;; [unrolled: 1-line block ×3, first 2 shown]
	v_sub_f32_e32 v37, v36, v41
	v_add_f32_e32 v11, v42, v11
	v_sub_f32_e32 v37, v38, v37
	v_mul_f32_e32 v11, v35, v11
	v_add_f32_e32 v11, v37, v11
	v_add_f32_e32 v35, v36, v11
	v_mul_f32_e32 v37, v35, v35
	v_fmaak_f32 v38, s16, v37, 0x3ecc95a3
	v_mul_f32_e32 v39, v35, v37
	v_fmaak_f32 v37, v37, v38, 0x3f2aaada
	v_ldexp_f32 v38, v35, 1
	v_sub_f32_e32 v35, v35, v36
	v_mul_f32_e32 v37, v39, v37
	v_mul_f32_e32 v39, 0x3f317218, v10
	v_sub_f32_e32 v11, v11, v35
	v_add_f32_e32 v36, v38, v37
	v_ldexp_f32 v11, v11, 1
	v_sub_f32_e32 v35, v36, v38
	v_fma_f32 v38, 0x3f317218, v10, -v39
	v_sub_f32_e32 v35, v37, v35
	v_fmac_f32_e32 v38, 0xb102e308, v10
	v_add_f32_e32 v10, v11, v35
	v_add_f32_e32 v11, v39, v38
	;; [unrolled: 1-line block ×3, first 2 shown]
	v_sub_f32_e32 v39, v11, v39
	v_add_f32_e32 v37, v11, v35
	v_sub_f32_e32 v36, v35, v36
	v_sub_f32_e32 v38, v38, v39
	;; [unrolled: 1-line block ×6, first 2 shown]
	v_add_f32_e32 v36, v38, v10
	v_sub_f32_e32 v11, v11, v41
	v_add_f32_e32 v11, v35, v11
	v_sub_f32_e32 v35, v36, v38
	;; [unrolled: 2-line block ×3, first 2 shown]
	v_sub_f32_e32 v10, v10, v35
	v_add_f32_e32 v39, v37, v11
	v_sub_f32_e32 v36, v38, v36
	v_sub_f32_e32 v35, v39, v37
	v_add_f32_e32 v10, v10, v36
	v_sub_f32_e32 v11, v11, v35
	v_add_f32_e32 v10, v10, v11
	v_add_f32_e32 v10, v39, v10
	v_cndmask_b32_e32 v10, 0x7f800000, v10, vcc_lo
	v_cmp_gt_f32_e64 vcc_lo, 0x33800000, |v34|
	v_cndmask_b32_e32 v10, v10, v34, vcc_lo
	v_add_f32_e32 v34, v6, v10
.LBB96_107:                             ;   in Loop: Header=BB96_83 Depth=1
	s_or_b32 exec_lo, exec_lo, s19
	v_mov_b32_e32 v11, v34
.LBB96_108:                             ;   in Loop: Header=BB96_83 Depth=1
	s_or_b32 exec_lo, exec_lo, s17
	v_max_f32_e32 v6, v30, v30
	v_max_f32_e32 v10, v11, v11
	v_cmp_u_f32_e32 vcc_lo, v11, v11
	s_waitcnt lgkmcnt(0)
	v_min_f32_e32 v34, v10, v6
	v_max_f32_e32 v6, v10, v6
	v_cndmask_b32_e32 v10, v34, v11, vcc_lo
	v_cndmask_b32_e32 v6, v6, v11, vcc_lo
	v_cmp_u_f32_e32 vcc_lo, v30, v30
	v_cndmask_b32_e32 v10, v10, v30, vcc_lo
	v_cndmask_b32_e32 v6, v6, v30, vcc_lo
	v_cmp_class_f32_e64 s17, v10, 0x1f8
	v_cmp_neq_f32_e32 vcc_lo, v10, v6
	s_or_b32 s17, vcc_lo, s17
	s_and_saveexec_b32 s19, s17
	s_xor_b32 s17, exec_lo, s19
	s_cbranch_execz .LBB96_81
; %bb.109:                              ;   in Loop: Header=BB96_83 Depth=1
	v_sub_f32_e32 v10, v10, v6
	v_mul_f32_e32 v11, 0x3fb8aa3b, v10
	v_cmp_ngt_f32_e32 vcc_lo, 0xc2ce8ed0, v10
	v_fma_f32 v34, 0x3fb8aa3b, v10, -v11
	v_rndne_f32_e32 v35, v11
	v_fmac_f32_e32 v34, 0x32a5705f, v10
	v_sub_f32_e32 v11, v11, v35
	v_add_f32_e32 v11, v11, v34
	v_cvt_i32_f32_e32 v34, v35
	v_exp_f32_e32 v11, v11
	v_ldexp_f32 v11, v11, v34
	v_cndmask_b32_e32 v11, 0, v11, vcc_lo
	v_cmp_nlt_f32_e32 vcc_lo, 0x42b17218, v10
	v_cndmask_b32_e32 v34, 0x7f800000, v11, vcc_lo
	v_add_f32_e32 v35, 1.0, v34
	v_cvt_f64_f32_e32 v[10:11], v35
	v_frexp_exp_i32_f64_e32 v10, v[10:11]
	v_frexp_mant_f32_e32 v11, v35
	v_cmp_gt_f32_e32 vcc_lo, 0x3f2aaaab, v11
	v_add_f32_e32 v11, -1.0, v35
	v_sub_f32_e32 v37, v11, v35
	v_sub_f32_e32 v11, v34, v11
	v_add_f32_e32 v37, 1.0, v37
	v_add_f32_e32 v11, v11, v37
	v_subrev_co_ci_u32_e64 v10, null, 0, v10, vcc_lo
	v_cmp_neq_f32_e32 vcc_lo, 0x7f800000, v34
	v_sub_nc_u32_e32 v36, 0, v10
	v_cvt_f32_i32_e32 v10, v10
	v_ldexp_f32 v35, v35, v36
	v_ldexp_f32 v11, v11, v36
	v_add_f32_e32 v38, 1.0, v35
	v_add_f32_e32 v36, -1.0, v35
	v_add_f32_e32 v37, -1.0, v38
	v_add_f32_e32 v39, 1.0, v36
	v_sub_f32_e32 v37, v35, v37
	v_sub_f32_e32 v35, v35, v39
	v_add_f32_e32 v37, v11, v37
	v_add_f32_e32 v11, v11, v35
	v_add_f32_e32 v39, v38, v37
	v_add_f32_e32 v40, v36, v11
	v_rcp_f32_e32 v35, v39
	v_sub_f32_e32 v38, v38, v39
	v_sub_f32_e32 v36, v36, v40
	v_add_f32_e32 v37, v37, v38
	v_add_f32_e32 v11, v11, v36
	v_mul_f32_e32 v41, v40, v35
	v_mul_f32_e32 v42, v39, v41
	v_fma_f32 v38, v41, v39, -v42
	v_fmac_f32_e32 v38, v41, v37
	v_add_f32_e32 v43, v42, v38
	v_sub_f32_e32 v44, v40, v43
	v_sub_f32_e32 v36, v43, v42
	;; [unrolled: 1-line block ×5, first 2 shown]
	v_add_f32_e32 v11, v11, v40
	v_add_f32_e32 v11, v36, v11
	;; [unrolled: 1-line block ×3, first 2 shown]
	v_mul_f32_e32 v38, v35, v36
	v_sub_f32_e32 v43, v44, v36
	v_mul_f32_e32 v40, v39, v38
	v_add_f32_e32 v11, v11, v43
	v_fma_f32 v39, v38, v39, -v40
	v_fmac_f32_e32 v39, v38, v37
	v_add_f32_e32 v37, v40, v39
	v_sub_f32_e32 v42, v36, v37
	v_sub_f32_e32 v40, v37, v40
	;; [unrolled: 1-line block ×5, first 2 shown]
	v_add_f32_e32 v11, v11, v36
	v_add_f32_e32 v36, v41, v38
	v_add_f32_e32 v11, v37, v11
	v_sub_f32_e32 v37, v36, v41
	v_add_f32_e32 v11, v42, v11
	v_sub_f32_e32 v37, v38, v37
	v_mul_f32_e32 v11, v35, v11
	v_add_f32_e32 v11, v37, v11
	v_add_f32_e32 v35, v36, v11
	v_mul_f32_e32 v37, v35, v35
	v_fmaak_f32 v38, s16, v37, 0x3ecc95a3
	v_mul_f32_e32 v39, v35, v37
	v_fmaak_f32 v37, v37, v38, 0x3f2aaada
	v_ldexp_f32 v38, v35, 1
	v_sub_f32_e32 v35, v35, v36
	v_mul_f32_e32 v37, v39, v37
	v_mul_f32_e32 v39, 0x3f317218, v10
	v_sub_f32_e32 v11, v11, v35
	v_add_f32_e32 v36, v38, v37
	v_ldexp_f32 v11, v11, 1
	v_sub_f32_e32 v35, v36, v38
	v_fma_f32 v38, 0x3f317218, v10, -v39
	v_sub_f32_e32 v35, v37, v35
	v_fmac_f32_e32 v38, 0xb102e308, v10
	v_add_f32_e32 v10, v11, v35
	v_add_f32_e32 v11, v39, v38
	v_add_f32_e32 v35, v36, v10
	v_sub_f32_e32 v39, v11, v39
	v_add_f32_e32 v37, v11, v35
	v_sub_f32_e32 v36, v35, v36
	v_sub_f32_e32 v38, v38, v39
	;; [unrolled: 1-line block ×6, first 2 shown]
	v_add_f32_e32 v36, v38, v10
	v_sub_f32_e32 v11, v11, v41
	v_add_f32_e32 v11, v35, v11
	v_sub_f32_e32 v35, v36, v38
	;; [unrolled: 2-line block ×3, first 2 shown]
	v_sub_f32_e32 v10, v10, v35
	v_add_f32_e32 v39, v37, v11
	v_sub_f32_e32 v36, v38, v36
	v_sub_f32_e32 v35, v39, v37
	v_add_f32_e32 v10, v10, v36
	v_sub_f32_e32 v11, v11, v35
	v_add_f32_e32 v10, v10, v11
	v_add_f32_e32 v10, v39, v10
	v_cndmask_b32_e32 v10, 0x7f800000, v10, vcc_lo
	v_cmp_gt_f32_e64 vcc_lo, 0x33800000, |v34|
	v_cndmask_b32_e32 v10, v10, v34, vcc_lo
	v_add_f32_e32 v11, v6, v10
	s_branch .LBB96_81
.LBB96_110:
                                        ; implicit-def: $vgpr3_vgpr4_vgpr5_vgpr6_vgpr7
	s_load_dwordx8 s[16:23], s[4:5], 0x38
	s_cbranch_execnz .LBB96_132
	s_branch .LBB96_187
.LBB96_111:
	s_and_saveexec_b32 s16, s10
	s_cbranch_execz .LBB96_115
; %bb.112:
	v_max_f32_e32 v4, v3, v3
	v_max_f32_e32 v5, v30, v30
	v_cmp_u_f32_e32 vcc_lo, v30, v30
	s_waitcnt lgkmcnt(0)
	v_min_f32_e32 v6, v5, v4
	v_max_f32_e32 v4, v5, v4
	v_cndmask_b32_e32 v5, v6, v30, vcc_lo
	v_cndmask_b32_e32 v4, v4, v30, vcc_lo
	v_cmp_u_f32_e32 vcc_lo, v3, v3
	v_cndmask_b32_e32 v5, v5, v3, vcc_lo
	v_cndmask_b32_e32 v4, v4, v3, vcc_lo
	v_mov_b32_e32 v3, v30
	v_cmp_class_f32_e64 s10, v5, 0x1f8
	v_cmp_neq_f32_e32 vcc_lo, v5, v4
	s_or_b32 s17, vcc_lo, s10
	s_and_saveexec_b32 s10, s17
	s_cbranch_execz .LBB96_114
; %bb.113:
	v_sub_f32_e32 v3, v5, v4
	s_mov_b32 s17, 0x3e9b6dac
	v_mul_f32_e32 v5, 0x3fb8aa3b, v3
	v_cmp_ngt_f32_e32 vcc_lo, 0xc2ce8ed0, v3
	v_fma_f32 v6, 0x3fb8aa3b, v3, -v5
	v_rndne_f32_e32 v7, v5
	v_fmamk_f32 v6, v3, 0x32a5705f, v6
	v_sub_f32_e32 v5, v5, v7
	v_add_f32_e32 v5, v5, v6
	v_cvt_i32_f32_e32 v6, v7
	v_exp_f32_e32 v5, v5
	v_ldexp_f32 v5, v5, v6
	v_cndmask_b32_e32 v5, 0, v5, vcc_lo
	v_cmp_nlt_f32_e32 vcc_lo, 0x42b17218, v3
	v_cndmask_b32_e32 v3, 0x7f800000, v5, vcc_lo
	v_add_f32_e32 v7, 1.0, v3
	v_cvt_f64_f32_e32 v[5:6], v7
	v_frexp_exp_i32_f64_e32 v5, v[5:6]
	v_frexp_mant_f32_e32 v6, v7
	v_cmp_gt_f32_e32 vcc_lo, 0x3f2aaaab, v6
	v_add_f32_e32 v6, -1.0, v7
	v_sub_f32_e32 v11, v6, v7
	v_sub_f32_e32 v6, v3, v6
	v_add_f32_e32 v11, 1.0, v11
	v_add_f32_e32 v6, v6, v11
	v_subrev_co_ci_u32_e64 v5, null, 0, v5, vcc_lo
	v_cmp_neq_f32_e32 vcc_lo, 0x7f800000, v3
	v_sub_nc_u32_e32 v10, 0, v5
	v_cvt_f32_i32_e32 v5, v5
	v_ldexp_f32 v7, v7, v10
	v_ldexp_f32 v6, v6, v10
	v_add_f32_e32 v12, 1.0, v7
	v_add_f32_e32 v10, -1.0, v7
	v_add_f32_e32 v11, -1.0, v12
	v_add_f32_e32 v13, 1.0, v10
	v_sub_f32_e32 v11, v7, v11
	v_sub_f32_e32 v7, v7, v13
	v_add_f32_e32 v11, v6, v11
	v_add_f32_e32 v6, v6, v7
	;; [unrolled: 1-line block ×4, first 2 shown]
	v_rcp_f32_e32 v7, v13
	v_sub_f32_e32 v12, v12, v13
	v_sub_f32_e32 v10, v10, v23
	v_add_f32_e32 v11, v11, v12
	v_add_f32_e32 v6, v6, v10
	v_mul_f32_e32 v24, v23, v7
	v_mul_f32_e32 v25, v13, v24
	v_fma_f32 v12, v24, v13, -v25
	v_fmac_f32_e32 v12, v24, v11
	v_add_f32_e32 v26, v25, v12
	v_sub_f32_e32 v27, v23, v26
	v_sub_f32_e32 v10, v26, v25
	;; [unrolled: 1-line block ×5, first 2 shown]
	v_add_f32_e32 v6, v6, v23
	v_add_f32_e32 v6, v10, v6
	;; [unrolled: 1-line block ×3, first 2 shown]
	v_mul_f32_e32 v12, v7, v10
	v_sub_f32_e32 v26, v27, v10
	v_mul_f32_e32 v23, v13, v12
	v_add_f32_e32 v6, v6, v26
	v_fma_f32 v13, v12, v13, -v23
	v_fmac_f32_e32 v13, v12, v11
	v_add_f32_e32 v11, v23, v13
	v_sub_f32_e32 v25, v10, v11
	v_sub_f32_e32 v23, v11, v23
	v_sub_f32_e32 v10, v10, v25
	v_sub_f32_e32 v10, v10, v11
	v_sub_f32_e32 v11, v23, v13
	v_add_f32_e32 v6, v6, v10
	v_add_f32_e32 v10, v24, v12
	;; [unrolled: 1-line block ×3, first 2 shown]
	v_sub_f32_e32 v11, v10, v24
	v_add_f32_e32 v6, v25, v6
	v_sub_f32_e32 v11, v12, v11
	v_mul_f32_e32 v6, v7, v6
	v_add_f32_e32 v6, v11, v6
	v_add_f32_e32 v7, v10, v6
	v_mul_f32_e32 v11, v7, v7
	v_fmaak_f32 v12, s17, v11, 0x3ecc95a3
	v_mul_f32_e32 v13, v7, v11
	v_fmaak_f32 v11, v11, v12, 0x3f2aaada
	v_ldexp_f32 v12, v7, 1
	v_sub_f32_e32 v7, v7, v10
	v_mul_f32_e32 v11, v13, v11
	v_mul_f32_e32 v13, 0x3f317218, v5
	v_sub_f32_e32 v6, v6, v7
	v_add_f32_e32 v10, v12, v11
	v_ldexp_f32 v6, v6, 1
	v_sub_f32_e32 v7, v10, v12
	v_fma_f32 v12, 0x3f317218, v5, -v13
	v_sub_f32_e32 v7, v11, v7
	v_fmamk_f32 v5, v5, 0xb102e308, v12
	v_add_f32_e32 v6, v6, v7
	v_add_f32_e32 v7, v13, v5
	;; [unrolled: 1-line block ×3, first 2 shown]
	v_sub_f32_e32 v13, v7, v13
	v_add_f32_e32 v12, v7, v11
	v_sub_f32_e32 v10, v11, v10
	v_sub_f32_e32 v5, v5, v13
	;; [unrolled: 1-line block ×6, first 2 shown]
	v_add_f32_e32 v11, v5, v6
	v_sub_f32_e32 v7, v7, v24
	v_add_f32_e32 v7, v10, v7
	v_sub_f32_e32 v10, v11, v5
	;; [unrolled: 2-line block ×3, first 2 shown]
	v_sub_f32_e32 v6, v6, v10
	v_add_f32_e32 v13, v12, v7
	v_sub_f32_e32 v5, v5, v11
	v_sub_f32_e32 v10, v13, v12
	v_add_f32_e32 v5, v6, v5
	v_sub_f32_e32 v6, v7, v10
	v_add_f32_e32 v5, v5, v6
	v_add_f32_e32 v5, v13, v5
	v_cndmask_b32_e32 v5, 0x7f800000, v5, vcc_lo
	v_cmp_gt_f32_e64 vcc_lo, 0x33800000, |v3|
	v_cndmask_b32_e32 v3, v5, v3, vcc_lo
	v_add_f32_e32 v3, v4, v3
.LBB96_114:
	s_or_b32 exec_lo, exec_lo, s10
	s_add_i32 s20, s6, 32
	s_mov_b32 s21, 0
	v_mov_b32_e32 v5, 0
	s_lshl_b64 s[20:21], s[20:21], 3
	v_mov_b32_e32 v4, 2
	s_add_u32 s20, s26, s20
	s_addc_u32 s21, s27, s21
	global_store_dwordx2 v5, v[3:4], s[20:21]
.LBB96_115:
	s_or_b32 exec_lo, exec_lo, s16
	s_and_b32 exec_lo, exec_lo, s9
; %bb.116:
	v_mov_b32_e32 v3, 0
	ds_write_b32 v3, v30
.LBB96_117:
	s_or_b32 exec_lo, exec_lo, s18
	v_mov_b32_e32 v3, 0
	s_waitcnt lgkmcnt(0)
	s_waitcnt_vscnt null, 0x0
	s_barrier
	buffer_gl0_inv
	v_mov_b32_e32 v4, v1
	ds_read_b32 v3, v3
	s_and_saveexec_b32 s6, s8
	s_cbranch_execz .LBB96_121
; %bb.118:
	v_max_f32_e32 v4, v22, v22
	v_cmp_u_f32_e32 vcc_lo, v22, v22
	v_min_f32_e32 v5, v4, v21
	v_max_f32_e32 v4, v4, v21
	v_cndmask_b32_e32 v5, v5, v22, vcc_lo
	v_cndmask_b32_e32 v4, v4, v22, vcc_lo
	v_cndmask_b32_e64 v5, v5, v1, s7
	v_cndmask_b32_e64 v4, v4, v1, s7
	v_cmp_class_f32_e64 s7, v5, 0x1f8
	v_cmp_neq_f32_e32 vcc_lo, v5, v4
	s_or_b32 s8, vcc_lo, s7
	s_and_saveexec_b32 s7, s8
	s_cbranch_execz .LBB96_120
; %bb.119:
	v_sub_f32_e32 v5, v5, v4
	s_mov_b32 s8, 0x3e9b6dac
	v_mul_f32_e32 v6, 0x3fb8aa3b, v5
	v_cmp_ngt_f32_e32 vcc_lo, 0xc2ce8ed0, v5
	v_fma_f32 v7, 0x3fb8aa3b, v5, -v6
	v_rndne_f32_e32 v10, v6
	v_fmamk_f32 v7, v5, 0x32a5705f, v7
	v_sub_f32_e32 v6, v6, v10
	v_add_f32_e32 v6, v6, v7
	v_cvt_i32_f32_e32 v7, v10
	v_exp_f32_e32 v6, v6
	v_ldexp_f32 v6, v6, v7
	v_cndmask_b32_e32 v6, 0, v6, vcc_lo
	v_cmp_nlt_f32_e32 vcc_lo, 0x42b17218, v5
	v_cndmask_b32_e32 v7, 0x7f800000, v6, vcc_lo
	v_add_f32_e32 v10, 1.0, v7
	v_cvt_f64_f32_e32 v[5:6], v10
	v_frexp_exp_i32_f64_e32 v5, v[5:6]
	v_frexp_mant_f32_e32 v6, v10
	v_cmp_gt_f32_e32 vcc_lo, 0x3f2aaaab, v6
	v_add_f32_e32 v6, -1.0, v10
	v_sub_f32_e32 v12, v6, v10
	v_sub_f32_e32 v6, v7, v6
	v_add_f32_e32 v12, 1.0, v12
	v_add_f32_e32 v6, v6, v12
	v_subrev_co_ci_u32_e64 v5, null, 0, v5, vcc_lo
	v_cmp_neq_f32_e32 vcc_lo, 0x7f800000, v7
	v_sub_nc_u32_e32 v11, 0, v5
	v_cvt_f32_i32_e32 v5, v5
	v_ldexp_f32 v10, v10, v11
	v_ldexp_f32 v6, v6, v11
	v_add_f32_e32 v13, 1.0, v10
	v_add_f32_e32 v11, -1.0, v10
	v_add_f32_e32 v12, -1.0, v13
	v_add_f32_e32 v21, 1.0, v11
	v_sub_f32_e32 v12, v10, v12
	v_sub_f32_e32 v10, v10, v21
	v_add_f32_e32 v12, v6, v12
	v_add_f32_e32 v6, v6, v10
	;; [unrolled: 1-line block ×4, first 2 shown]
	v_rcp_f32_e32 v10, v21
	v_sub_f32_e32 v13, v13, v21
	v_sub_f32_e32 v11, v11, v22
	v_add_f32_e32 v12, v12, v13
	v_add_f32_e32 v6, v6, v11
	v_mul_f32_e32 v23, v22, v10
	v_mul_f32_e32 v24, v21, v23
	v_fma_f32 v13, v23, v21, -v24
	v_fmac_f32_e32 v13, v23, v12
	v_add_f32_e32 v25, v24, v13
	v_sub_f32_e32 v26, v22, v25
	v_sub_f32_e32 v11, v25, v24
	;; [unrolled: 1-line block ×5, first 2 shown]
	v_add_f32_e32 v6, v6, v22
	v_add_f32_e32 v6, v11, v6
	;; [unrolled: 1-line block ×3, first 2 shown]
	v_mul_f32_e32 v13, v10, v11
	v_sub_f32_e32 v25, v26, v11
	v_mul_f32_e32 v22, v21, v13
	v_add_f32_e32 v6, v6, v25
	v_fma_f32 v21, v13, v21, -v22
	v_fmac_f32_e32 v21, v13, v12
	v_add_f32_e32 v12, v22, v21
	v_sub_f32_e32 v24, v11, v12
	v_sub_f32_e32 v22, v12, v22
	;; [unrolled: 1-line block ×5, first 2 shown]
	v_add_f32_e32 v6, v6, v11
	v_add_f32_e32 v11, v23, v13
	;; [unrolled: 1-line block ×3, first 2 shown]
	v_sub_f32_e32 v12, v11, v23
	v_add_f32_e32 v6, v24, v6
	v_sub_f32_e32 v12, v13, v12
	v_mul_f32_e32 v6, v10, v6
	v_add_f32_e32 v6, v12, v6
	v_add_f32_e32 v10, v11, v6
	v_mul_f32_e32 v12, v10, v10
	v_fmaak_f32 v13, s8, v12, 0x3ecc95a3
	v_mul_f32_e32 v21, v10, v12
	v_fmaak_f32 v12, v12, v13, 0x3f2aaada
	v_ldexp_f32 v13, v10, 1
	v_sub_f32_e32 v10, v10, v11
	v_mul_f32_e32 v12, v21, v12
	v_mul_f32_e32 v21, 0x3f317218, v5
	v_sub_f32_e32 v6, v6, v10
	v_add_f32_e32 v11, v13, v12
	v_ldexp_f32 v6, v6, 1
	v_sub_f32_e32 v10, v11, v13
	v_fma_f32 v13, 0x3f317218, v5, -v21
	v_sub_f32_e32 v10, v12, v10
	v_fmamk_f32 v5, v5, 0xb102e308, v13
	v_add_f32_e32 v6, v6, v10
	v_add_f32_e32 v10, v21, v5
	;; [unrolled: 1-line block ×3, first 2 shown]
	v_sub_f32_e32 v21, v10, v21
	v_add_f32_e32 v13, v10, v12
	v_sub_f32_e32 v11, v12, v11
	v_sub_f32_e32 v5, v5, v21
	;; [unrolled: 1-line block ×6, first 2 shown]
	v_add_f32_e32 v12, v5, v6
	v_sub_f32_e32 v10, v10, v23
	v_add_f32_e32 v10, v11, v10
	v_sub_f32_e32 v11, v12, v5
	;; [unrolled: 2-line block ×3, first 2 shown]
	v_sub_f32_e32 v6, v6, v11
	v_add_f32_e32 v21, v13, v10
	v_sub_f32_e32 v5, v5, v12
	v_sub_f32_e32 v11, v21, v13
	v_add_f32_e32 v5, v6, v5
	v_sub_f32_e32 v6, v10, v11
	v_add_f32_e32 v5, v5, v6
	v_add_f32_e32 v5, v21, v5
	v_cndmask_b32_e32 v5, 0x7f800000, v5, vcc_lo
	v_cmp_gt_f32_e64 vcc_lo, 0x33800000, |v7|
	v_cndmask_b32_e32 v5, v5, v7, vcc_lo
	v_add_f32_e32 v22, v4, v5
.LBB96_120:
	s_or_b32 exec_lo, exec_lo, s7
	v_mov_b32_e32 v4, v22
.LBB96_121:
	s_or_b32 exec_lo, exec_lo, s6
	v_max_f32_e32 v5, v4, v4
	s_waitcnt lgkmcnt(0)
	v_max_f32_e32 v6, v3, v3
	v_cmp_u_f32_e32 vcc_lo, v3, v3
	v_min_f32_e32 v7, v6, v5
	v_max_f32_e32 v5, v6, v5
	v_cndmask_b32_e32 v6, v7, v3, vcc_lo
	v_cndmask_b32_e32 v7, v5, v3, vcc_lo
	v_cmp_u_f32_e32 vcc_lo, v4, v4
	v_cndmask_b32_e32 v5, v6, v4, vcc_lo
	v_cndmask_b32_e32 v4, v7, v4, vcc_lo
	v_cmp_class_f32_e64 s6, v5, 0x1f8
	v_cmp_neq_f32_e32 vcc_lo, v5, v4
	s_or_b32 s7, vcc_lo, s6
	s_and_saveexec_b32 s6, s7
	s_cbranch_execz .LBB96_123
; %bb.122:
	v_sub_f32_e32 v3, v5, v4
	s_mov_b32 s7, 0x3e9b6dac
	v_mul_f32_e32 v5, 0x3fb8aa3b, v3
	v_cmp_ngt_f32_e32 vcc_lo, 0xc2ce8ed0, v3
	v_fma_f32 v6, 0x3fb8aa3b, v3, -v5
	v_rndne_f32_e32 v7, v5
	v_fmamk_f32 v6, v3, 0x32a5705f, v6
	v_sub_f32_e32 v5, v5, v7
	v_add_f32_e32 v5, v5, v6
	v_cvt_i32_f32_e32 v6, v7
	v_exp_f32_e32 v5, v5
	v_ldexp_f32 v5, v5, v6
	v_cndmask_b32_e32 v5, 0, v5, vcc_lo
	v_cmp_nlt_f32_e32 vcc_lo, 0x42b17218, v3
	v_cndmask_b32_e32 v3, 0x7f800000, v5, vcc_lo
	v_add_f32_e32 v7, 1.0, v3
	v_cvt_f64_f32_e32 v[5:6], v7
	v_frexp_exp_i32_f64_e32 v5, v[5:6]
	v_frexp_mant_f32_e32 v6, v7
	v_cmp_gt_f32_e32 vcc_lo, 0x3f2aaaab, v6
	v_add_f32_e32 v6, -1.0, v7
	v_sub_f32_e32 v11, v6, v7
	v_sub_f32_e32 v6, v3, v6
	v_add_f32_e32 v11, 1.0, v11
	v_add_f32_e32 v6, v6, v11
	v_subrev_co_ci_u32_e64 v5, null, 0, v5, vcc_lo
	v_cmp_neq_f32_e32 vcc_lo, 0x7f800000, v3
	v_sub_nc_u32_e32 v10, 0, v5
	v_cvt_f32_i32_e32 v5, v5
	v_ldexp_f32 v7, v7, v10
	v_ldexp_f32 v6, v6, v10
	v_add_f32_e32 v12, 1.0, v7
	v_add_f32_e32 v10, -1.0, v7
	v_add_f32_e32 v11, -1.0, v12
	v_add_f32_e32 v13, 1.0, v10
	v_sub_f32_e32 v11, v7, v11
	v_sub_f32_e32 v7, v7, v13
	v_add_f32_e32 v11, v6, v11
	v_add_f32_e32 v6, v6, v7
	;; [unrolled: 1-line block ×4, first 2 shown]
	v_rcp_f32_e32 v7, v13
	v_sub_f32_e32 v12, v12, v13
	v_sub_f32_e32 v10, v10, v21
	v_add_f32_e32 v11, v11, v12
	v_add_f32_e32 v6, v6, v10
	v_mul_f32_e32 v22, v21, v7
	v_mul_f32_e32 v23, v13, v22
	v_fma_f32 v12, v22, v13, -v23
	v_fmac_f32_e32 v12, v22, v11
	v_add_f32_e32 v24, v23, v12
	v_sub_f32_e32 v25, v21, v24
	v_sub_f32_e32 v10, v24, v23
	v_sub_f32_e32 v21, v21, v25
	v_sub_f32_e32 v10, v10, v12
	v_sub_f32_e32 v21, v21, v24
	v_add_f32_e32 v6, v6, v21
	v_add_f32_e32 v6, v10, v6
	;; [unrolled: 1-line block ×3, first 2 shown]
	v_mul_f32_e32 v12, v7, v10
	v_sub_f32_e32 v24, v25, v10
	v_mul_f32_e32 v21, v13, v12
	v_add_f32_e32 v6, v6, v24
	v_fma_f32 v13, v12, v13, -v21
	v_fmac_f32_e32 v13, v12, v11
	v_add_f32_e32 v11, v21, v13
	v_sub_f32_e32 v23, v10, v11
	v_sub_f32_e32 v21, v11, v21
	;; [unrolled: 1-line block ×5, first 2 shown]
	v_add_f32_e32 v6, v6, v10
	v_add_f32_e32 v10, v22, v12
	;; [unrolled: 1-line block ×3, first 2 shown]
	v_sub_f32_e32 v11, v10, v22
	v_add_f32_e32 v6, v23, v6
	v_sub_f32_e32 v11, v12, v11
	v_mul_f32_e32 v6, v7, v6
	v_add_f32_e32 v6, v11, v6
	v_add_f32_e32 v7, v10, v6
	v_mul_f32_e32 v11, v7, v7
	v_fmaak_f32 v12, s7, v11, 0x3ecc95a3
	v_mul_f32_e32 v13, v7, v11
	v_fmaak_f32 v11, v11, v12, 0x3f2aaada
	v_ldexp_f32 v12, v7, 1
	v_sub_f32_e32 v7, v7, v10
	v_mul_f32_e32 v11, v13, v11
	v_mul_f32_e32 v13, 0x3f317218, v5
	v_sub_f32_e32 v6, v6, v7
	v_add_f32_e32 v10, v12, v11
	v_ldexp_f32 v6, v6, 1
	v_sub_f32_e32 v7, v10, v12
	v_fma_f32 v12, 0x3f317218, v5, -v13
	v_sub_f32_e32 v7, v11, v7
	v_fmamk_f32 v5, v5, 0xb102e308, v12
	v_add_f32_e32 v6, v6, v7
	v_add_f32_e32 v7, v13, v5
	v_add_f32_e32 v11, v10, v6
	v_sub_f32_e32 v13, v7, v13
	v_add_f32_e32 v12, v7, v11
	v_sub_f32_e32 v10, v11, v10
	v_sub_f32_e32 v5, v5, v13
	;; [unrolled: 1-line block ×6, first 2 shown]
	v_add_f32_e32 v11, v5, v6
	v_sub_f32_e32 v7, v7, v22
	v_add_f32_e32 v7, v10, v7
	v_sub_f32_e32 v10, v11, v5
	v_add_f32_e32 v7, v11, v7
	v_sub_f32_e32 v11, v11, v10
	v_sub_f32_e32 v6, v6, v10
	v_add_f32_e32 v13, v12, v7
	v_sub_f32_e32 v5, v5, v11
	v_sub_f32_e32 v10, v13, v12
	v_add_f32_e32 v5, v6, v5
	v_sub_f32_e32 v6, v7, v10
	v_add_f32_e32 v5, v5, v6
	v_add_f32_e32 v5, v13, v5
	v_cndmask_b32_e32 v5, 0x7f800000, v5, vcc_lo
	v_cmp_gt_f32_e64 vcc_lo, 0x33800000, |v3|
	v_cndmask_b32_e32 v3, v5, v3, vcc_lo
	v_add_f32_e32 v3, v4, v3
.LBB96_123:
	s_or_b32 exec_lo, exec_lo, s6
	v_max_f32_e32 v4, v3, v3
	v_cmp_u_f32_e32 vcc_lo, v3, v3
	v_min_f32_e32 v5, v4, v17
	v_max_f32_e32 v4, v4, v17
	v_cndmask_b32_e32 v5, v5, v3, vcc_lo
	v_cndmask_b32_e32 v4, v4, v3, vcc_lo
	v_cndmask_b32_e64 v6, v5, v2, s0
	v_cndmask_b32_e64 v5, v4, v2, s0
	v_mov_b32_e32 v4, v3
	v_cmp_class_f32_e64 s0, v6, 0x1f8
	v_cmp_neq_f32_e32 vcc_lo, v6, v5
	s_or_b32 s6, vcc_lo, s0
	s_and_saveexec_b32 s0, s6
	s_cbranch_execz .LBB96_125
; %bb.124:
	v_sub_f32_e32 v4, v6, v5
	s_mov_b32 s6, 0x3e9b6dac
	v_mul_f32_e32 v6, 0x3fb8aa3b, v4
	v_cmp_ngt_f32_e32 vcc_lo, 0xc2ce8ed0, v4
	v_fma_f32 v7, 0x3fb8aa3b, v4, -v6
	v_rndne_f32_e32 v10, v6
	v_fmamk_f32 v7, v4, 0x32a5705f, v7
	v_sub_f32_e32 v6, v6, v10
	v_add_f32_e32 v6, v6, v7
	v_cvt_i32_f32_e32 v7, v10
	v_exp_f32_e32 v6, v6
	v_ldexp_f32 v6, v6, v7
	v_cndmask_b32_e32 v6, 0, v6, vcc_lo
	v_cmp_nlt_f32_e32 vcc_lo, 0x42b17218, v4
	v_cndmask_b32_e32 v4, 0x7f800000, v6, vcc_lo
	v_add_f32_e32 v10, 1.0, v4
	v_cvt_f64_f32_e32 v[6:7], v10
	v_frexp_exp_i32_f64_e32 v6, v[6:7]
	v_frexp_mant_f32_e32 v7, v10
	v_cmp_gt_f32_e32 vcc_lo, 0x3f2aaaab, v7
	v_add_f32_e32 v7, -1.0, v10
	v_sub_f32_e32 v12, v7, v10
	v_sub_f32_e32 v7, v4, v7
	v_add_f32_e32 v12, 1.0, v12
	v_add_f32_e32 v7, v7, v12
	v_subrev_co_ci_u32_e64 v6, null, 0, v6, vcc_lo
	v_cmp_neq_f32_e32 vcc_lo, 0x7f800000, v4
	v_sub_nc_u32_e32 v11, 0, v6
	v_cvt_f32_i32_e32 v6, v6
	v_ldexp_f32 v10, v10, v11
	v_ldexp_f32 v7, v7, v11
	v_add_f32_e32 v13, 1.0, v10
	v_add_f32_e32 v11, -1.0, v10
	v_add_f32_e32 v12, -1.0, v13
	v_add_f32_e32 v21, 1.0, v11
	v_sub_f32_e32 v12, v10, v12
	v_sub_f32_e32 v10, v10, v21
	v_add_f32_e32 v12, v7, v12
	v_add_f32_e32 v7, v7, v10
	;; [unrolled: 1-line block ×4, first 2 shown]
	v_rcp_f32_e32 v10, v21
	v_sub_f32_e32 v13, v13, v21
	v_sub_f32_e32 v11, v11, v22
	v_add_f32_e32 v12, v12, v13
	v_add_f32_e32 v7, v7, v11
	v_mul_f32_e32 v23, v22, v10
	v_mul_f32_e32 v24, v21, v23
	v_fma_f32 v13, v23, v21, -v24
	v_fmac_f32_e32 v13, v23, v12
	v_add_f32_e32 v25, v24, v13
	v_sub_f32_e32 v26, v22, v25
	v_sub_f32_e32 v11, v25, v24
	;; [unrolled: 1-line block ×5, first 2 shown]
	v_add_f32_e32 v7, v7, v22
	v_add_f32_e32 v7, v11, v7
	v_add_f32_e32 v11, v26, v7
	v_mul_f32_e32 v13, v10, v11
	v_sub_f32_e32 v25, v26, v11
	v_mul_f32_e32 v22, v21, v13
	v_add_f32_e32 v7, v7, v25
	v_fma_f32 v21, v13, v21, -v22
	v_fmac_f32_e32 v21, v13, v12
	v_add_f32_e32 v12, v22, v21
	v_sub_f32_e32 v24, v11, v12
	v_sub_f32_e32 v22, v12, v22
	;; [unrolled: 1-line block ×5, first 2 shown]
	v_add_f32_e32 v7, v7, v11
	v_add_f32_e32 v11, v23, v13
	;; [unrolled: 1-line block ×3, first 2 shown]
	v_sub_f32_e32 v12, v11, v23
	v_add_f32_e32 v7, v24, v7
	v_sub_f32_e32 v12, v13, v12
	v_mul_f32_e32 v7, v10, v7
	v_add_f32_e32 v7, v12, v7
	v_add_f32_e32 v10, v11, v7
	v_mul_f32_e32 v12, v10, v10
	v_fmaak_f32 v13, s6, v12, 0x3ecc95a3
	v_mul_f32_e32 v21, v10, v12
	v_fmaak_f32 v12, v12, v13, 0x3f2aaada
	v_ldexp_f32 v13, v10, 1
	v_sub_f32_e32 v10, v10, v11
	v_mul_f32_e32 v12, v21, v12
	v_mul_f32_e32 v21, 0x3f317218, v6
	v_sub_f32_e32 v7, v7, v10
	v_add_f32_e32 v11, v13, v12
	v_ldexp_f32 v7, v7, 1
	v_sub_f32_e32 v10, v11, v13
	v_fma_f32 v13, 0x3f317218, v6, -v21
	v_sub_f32_e32 v10, v12, v10
	v_fmamk_f32 v6, v6, 0xb102e308, v13
	v_add_f32_e32 v7, v7, v10
	v_add_f32_e32 v10, v21, v6
	v_add_f32_e32 v12, v11, v7
	v_sub_f32_e32 v21, v10, v21
	v_add_f32_e32 v13, v10, v12
	v_sub_f32_e32 v11, v12, v11
	v_sub_f32_e32 v6, v6, v21
	;; [unrolled: 1-line block ×6, first 2 shown]
	v_add_f32_e32 v12, v6, v7
	v_sub_f32_e32 v10, v10, v23
	v_add_f32_e32 v10, v11, v10
	v_sub_f32_e32 v11, v12, v6
	;; [unrolled: 2-line block ×3, first 2 shown]
	v_sub_f32_e32 v7, v7, v11
	v_add_f32_e32 v21, v13, v10
	v_sub_f32_e32 v6, v6, v12
	v_sub_f32_e32 v11, v21, v13
	v_add_f32_e32 v6, v7, v6
	v_sub_f32_e32 v7, v10, v11
	v_add_f32_e32 v6, v6, v7
	v_add_f32_e32 v6, v21, v6
	v_cndmask_b32_e32 v6, 0x7f800000, v6, vcc_lo
	v_cmp_gt_f32_e64 vcc_lo, 0x33800000, |v4|
	v_cndmask_b32_e32 v4, v6, v4, vcc_lo
	v_add_f32_e32 v4, v5, v4
.LBB96_125:
	s_or_b32 exec_lo, exec_lo, s0
	v_max_f32_e32 v5, v4, v4
	v_cmp_u_f32_e32 vcc_lo, v4, v4
	v_min_f32_e32 v6, v5, v18
	v_max_f32_e32 v5, v5, v18
	v_cndmask_b32_e32 v6, v6, v4, vcc_lo
	v_cndmask_b32_e32 v5, v5, v4, vcc_lo
	v_cndmask_b32_e64 v7, v6, v8, s1
	v_cndmask_b32_e64 v6, v5, v8, s1
	v_mov_b32_e32 v5, v4
	v_cmp_class_f32_e64 s0, v7, 0x1f8
	v_cmp_neq_f32_e32 vcc_lo, v7, v6
	s_or_b32 s1, vcc_lo, s0
	s_and_saveexec_b32 s0, s1
	s_cbranch_execz .LBB96_127
; %bb.126:
	v_sub_f32_e32 v5, v7, v6
	s_mov_b32 s1, 0x3e9b6dac
	v_mul_f32_e32 v7, 0x3fb8aa3b, v5
	v_cmp_ngt_f32_e32 vcc_lo, 0xc2ce8ed0, v5
	v_fma_f32 v10, 0x3fb8aa3b, v5, -v7
	v_rndne_f32_e32 v11, v7
	v_fmamk_f32 v10, v5, 0x32a5705f, v10
	v_sub_f32_e32 v7, v7, v11
	v_add_f32_e32 v7, v7, v10
	v_cvt_i32_f32_e32 v10, v11
	v_exp_f32_e32 v7, v7
	v_ldexp_f32 v7, v7, v10
	v_cndmask_b32_e32 v7, 0, v7, vcc_lo
	v_cmp_nlt_f32_e32 vcc_lo, 0x42b17218, v5
	v_cndmask_b32_e32 v5, 0x7f800000, v7, vcc_lo
	v_add_f32_e32 v7, 1.0, v5
	v_cvt_f64_f32_e32 v[10:11], v7
	v_frexp_exp_i32_f64_e32 v10, v[10:11]
	v_frexp_mant_f32_e32 v11, v7
	v_cmp_gt_f32_e32 vcc_lo, 0x3f2aaaab, v11
	v_add_f32_e32 v11, -1.0, v7
	v_sub_f32_e32 v13, v11, v7
	v_sub_f32_e32 v11, v5, v11
	v_add_f32_e32 v13, 1.0, v13
	v_add_f32_e32 v11, v11, v13
	v_subrev_co_ci_u32_e64 v10, null, 0, v10, vcc_lo
	v_cmp_neq_f32_e32 vcc_lo, 0x7f800000, v5
	v_sub_nc_u32_e32 v12, 0, v10
	v_cvt_f32_i32_e32 v10, v10
	v_ldexp_f32 v7, v7, v12
	v_ldexp_f32 v11, v11, v12
	v_add_f32_e32 v18, 1.0, v7
	v_add_f32_e32 v12, -1.0, v7
	v_add_f32_e32 v13, -1.0, v18
	v_add_f32_e32 v21, 1.0, v12
	v_sub_f32_e32 v13, v7, v13
	v_sub_f32_e32 v7, v7, v21
	v_add_f32_e32 v13, v11, v13
	v_add_f32_e32 v7, v11, v7
	;; [unrolled: 1-line block ×4, first 2 shown]
	v_rcp_f32_e32 v11, v21
	v_sub_f32_e32 v18, v18, v21
	v_sub_f32_e32 v12, v12, v22
	v_add_f32_e32 v13, v13, v18
	v_add_f32_e32 v7, v7, v12
	v_mul_f32_e32 v23, v22, v11
	v_mul_f32_e32 v24, v21, v23
	v_fma_f32 v18, v23, v21, -v24
	v_fmac_f32_e32 v18, v23, v13
	v_add_f32_e32 v25, v24, v18
	v_sub_f32_e32 v26, v22, v25
	v_sub_f32_e32 v12, v25, v24
	;; [unrolled: 1-line block ×5, first 2 shown]
	v_add_f32_e32 v7, v7, v22
	v_add_f32_e32 v7, v12, v7
	;; [unrolled: 1-line block ×3, first 2 shown]
	v_mul_f32_e32 v18, v11, v12
	v_sub_f32_e32 v25, v26, v12
	v_mul_f32_e32 v22, v21, v18
	v_add_f32_e32 v7, v7, v25
	v_fma_f32 v21, v18, v21, -v22
	v_fmac_f32_e32 v21, v18, v13
	v_add_f32_e32 v13, v22, v21
	v_sub_f32_e32 v24, v12, v13
	v_sub_f32_e32 v22, v13, v22
	;; [unrolled: 1-line block ×5, first 2 shown]
	v_add_f32_e32 v7, v7, v12
	v_add_f32_e32 v12, v23, v18
	v_add_f32_e32 v7, v13, v7
	v_sub_f32_e32 v13, v12, v23
	v_add_f32_e32 v7, v24, v7
	v_sub_f32_e32 v13, v18, v13
	v_mul_f32_e32 v7, v11, v7
	v_add_f32_e32 v7, v13, v7
	v_add_f32_e32 v11, v12, v7
	v_mul_f32_e32 v13, v11, v11
	v_fmaak_f32 v18, s1, v13, 0x3ecc95a3
	v_mul_f32_e32 v21, v11, v13
	v_fmaak_f32 v13, v13, v18, 0x3f2aaada
	v_ldexp_f32 v18, v11, 1
	v_sub_f32_e32 v11, v11, v12
	v_mul_f32_e32 v13, v21, v13
	v_mul_f32_e32 v21, 0x3f317218, v10
	v_sub_f32_e32 v7, v7, v11
	v_add_f32_e32 v12, v18, v13
	v_ldexp_f32 v7, v7, 1
	v_sub_f32_e32 v11, v12, v18
	v_fma_f32 v18, 0x3f317218, v10, -v21
	v_sub_f32_e32 v11, v13, v11
	v_fmamk_f32 v10, v10, 0xb102e308, v18
	v_add_f32_e32 v7, v7, v11
	v_add_f32_e32 v11, v21, v10
	;; [unrolled: 1-line block ×3, first 2 shown]
	v_sub_f32_e32 v21, v11, v21
	v_add_f32_e32 v18, v11, v13
	v_sub_f32_e32 v12, v13, v12
	v_sub_f32_e32 v10, v10, v21
	;; [unrolled: 1-line block ×6, first 2 shown]
	v_add_f32_e32 v13, v10, v7
	v_sub_f32_e32 v11, v11, v23
	v_add_f32_e32 v11, v12, v11
	v_sub_f32_e32 v12, v13, v10
	;; [unrolled: 2-line block ×3, first 2 shown]
	v_sub_f32_e32 v7, v7, v12
	v_add_f32_e32 v21, v18, v11
	v_sub_f32_e32 v10, v10, v13
	v_sub_f32_e32 v12, v21, v18
	v_add_f32_e32 v7, v7, v10
	v_sub_f32_e32 v10, v11, v12
	v_add_f32_e32 v7, v7, v10
	v_add_f32_e32 v7, v21, v7
	v_cndmask_b32_e32 v7, 0x7f800000, v7, vcc_lo
	v_cmp_gt_f32_e64 vcc_lo, 0x33800000, |v5|
	v_cndmask_b32_e32 v5, v7, v5, vcc_lo
	v_add_f32_e32 v5, v6, v5
.LBB96_127:
	s_or_b32 exec_lo, exec_lo, s0
	v_max_f32_e32 v6, v5, v5
	v_cmp_u_f32_e32 vcc_lo, v5, v5
	v_min_f32_e32 v7, v6, v19
	v_max_f32_e32 v6, v6, v19
	v_cndmask_b32_e32 v7, v7, v5, vcc_lo
	v_cndmask_b32_e32 v6, v6, v5, vcc_lo
	v_cndmask_b32_e64 v10, v7, v9, s2
	v_cndmask_b32_e64 v7, v6, v9, s2
	v_mov_b32_e32 v6, v5
	v_cmp_class_f32_e64 s0, v10, 0x1f8
	v_cmp_neq_f32_e32 vcc_lo, v10, v7
	s_or_b32 s1, vcc_lo, s0
	s_and_saveexec_b32 s0, s1
	s_cbranch_execz .LBB96_129
; %bb.128:
	v_sub_f32_e32 v6, v10, v7
	s_mov_b32 s1, 0x3e9b6dac
	v_mul_f32_e32 v10, 0x3fb8aa3b, v6
	v_cmp_ngt_f32_e32 vcc_lo, 0xc2ce8ed0, v6
	v_fma_f32 v11, 0x3fb8aa3b, v6, -v10
	v_rndne_f32_e32 v12, v10
	v_fmamk_f32 v11, v6, 0x32a5705f, v11
	v_sub_f32_e32 v10, v10, v12
	v_add_f32_e32 v10, v10, v11
	v_cvt_i32_f32_e32 v11, v12
	v_exp_f32_e32 v10, v10
	v_ldexp_f32 v10, v10, v11
	v_cndmask_b32_e32 v10, 0, v10, vcc_lo
	v_cmp_nlt_f32_e32 vcc_lo, 0x42b17218, v6
	v_cndmask_b32_e32 v6, 0x7f800000, v10, vcc_lo
	v_add_f32_e32 v12, 1.0, v6
	v_cvt_f64_f32_e32 v[10:11], v12
	v_frexp_exp_i32_f64_e32 v10, v[10:11]
	v_frexp_mant_f32_e32 v11, v12
	v_cmp_gt_f32_e32 vcc_lo, 0x3f2aaaab, v11
	v_add_f32_e32 v11, -1.0, v12
	v_sub_f32_e32 v18, v11, v12
	v_sub_f32_e32 v11, v6, v11
	v_add_f32_e32 v18, 1.0, v18
	v_add_f32_e32 v11, v11, v18
	v_subrev_co_ci_u32_e64 v10, null, 0, v10, vcc_lo
	v_cmp_neq_f32_e32 vcc_lo, 0x7f800000, v6
	v_sub_nc_u32_e32 v13, 0, v10
	v_cvt_f32_i32_e32 v10, v10
	v_ldexp_f32 v12, v12, v13
	v_ldexp_f32 v11, v11, v13
	v_add_f32_e32 v19, 1.0, v12
	v_add_f32_e32 v13, -1.0, v12
	v_add_f32_e32 v18, -1.0, v19
	v_add_f32_e32 v21, 1.0, v13
	v_sub_f32_e32 v18, v12, v18
	v_sub_f32_e32 v12, v12, v21
	v_add_f32_e32 v18, v11, v18
	v_add_f32_e32 v11, v11, v12
	;; [unrolled: 1-line block ×4, first 2 shown]
	v_rcp_f32_e32 v12, v21
	v_sub_f32_e32 v19, v19, v21
	v_sub_f32_e32 v13, v13, v22
	v_add_f32_e32 v18, v18, v19
	v_add_f32_e32 v11, v11, v13
	v_mul_f32_e32 v23, v22, v12
	v_mul_f32_e32 v24, v21, v23
	v_fma_f32 v19, v23, v21, -v24
	v_fmac_f32_e32 v19, v23, v18
	v_add_f32_e32 v25, v24, v19
	v_sub_f32_e32 v26, v22, v25
	v_sub_f32_e32 v13, v25, v24
	;; [unrolled: 1-line block ×5, first 2 shown]
	v_add_f32_e32 v11, v11, v22
	v_add_f32_e32 v11, v13, v11
	;; [unrolled: 1-line block ×3, first 2 shown]
	v_mul_f32_e32 v19, v12, v13
	v_sub_f32_e32 v25, v26, v13
	v_mul_f32_e32 v22, v21, v19
	v_add_f32_e32 v11, v11, v25
	v_fma_f32 v21, v19, v21, -v22
	v_fmac_f32_e32 v21, v19, v18
	v_add_f32_e32 v18, v22, v21
	v_sub_f32_e32 v24, v13, v18
	v_sub_f32_e32 v22, v18, v22
	v_sub_f32_e32 v13, v13, v24
	v_sub_f32_e32 v13, v13, v18
	v_sub_f32_e32 v18, v22, v21
	v_add_f32_e32 v11, v11, v13
	v_add_f32_e32 v13, v23, v19
	;; [unrolled: 1-line block ×3, first 2 shown]
	v_sub_f32_e32 v18, v13, v23
	v_add_f32_e32 v11, v24, v11
	v_sub_f32_e32 v18, v19, v18
	v_mul_f32_e32 v11, v12, v11
	v_add_f32_e32 v11, v18, v11
	v_add_f32_e32 v12, v13, v11
	v_mul_f32_e32 v18, v12, v12
	v_fmaak_f32 v19, s1, v18, 0x3ecc95a3
	v_mul_f32_e32 v21, v12, v18
	v_fmaak_f32 v18, v18, v19, 0x3f2aaada
	v_ldexp_f32 v19, v12, 1
	v_sub_f32_e32 v12, v12, v13
	v_mul_f32_e32 v18, v21, v18
	v_mul_f32_e32 v21, 0x3f317218, v10
	v_sub_f32_e32 v11, v11, v12
	v_add_f32_e32 v13, v19, v18
	v_ldexp_f32 v11, v11, 1
	v_sub_f32_e32 v12, v13, v19
	v_fma_f32 v19, 0x3f317218, v10, -v21
	v_sub_f32_e32 v12, v18, v12
	v_fmamk_f32 v10, v10, 0xb102e308, v19
	v_add_f32_e32 v11, v11, v12
	v_add_f32_e32 v12, v21, v10
	;; [unrolled: 1-line block ×3, first 2 shown]
	v_sub_f32_e32 v21, v12, v21
	v_add_f32_e32 v19, v12, v18
	v_sub_f32_e32 v13, v18, v13
	v_sub_f32_e32 v10, v10, v21
	;; [unrolled: 1-line block ×6, first 2 shown]
	v_add_f32_e32 v18, v10, v11
	v_sub_f32_e32 v12, v12, v23
	v_add_f32_e32 v12, v13, v12
	v_sub_f32_e32 v13, v18, v10
	;; [unrolled: 2-line block ×3, first 2 shown]
	v_sub_f32_e32 v11, v11, v13
	v_add_f32_e32 v21, v19, v12
	v_sub_f32_e32 v10, v10, v18
	v_sub_f32_e32 v13, v21, v19
	v_add_f32_e32 v10, v11, v10
	v_sub_f32_e32 v11, v12, v13
	v_add_f32_e32 v10, v10, v11
	v_add_f32_e32 v10, v21, v10
	v_cndmask_b32_e32 v10, 0x7f800000, v10, vcc_lo
	v_cmp_gt_f32_e64 vcc_lo, 0x33800000, |v6|
	v_cndmask_b32_e32 v6, v10, v6, vcc_lo
	v_add_f32_e32 v6, v7, v6
.LBB96_129:
	s_or_b32 exec_lo, exec_lo, s0
	v_max_f32_e32 v7, v6, v6
	v_cmp_u_f32_e32 vcc_lo, v6, v6
	v_min_f32_e32 v10, v7, v20
	v_max_f32_e32 v7, v7, v20
	v_cndmask_b32_e32 v10, v10, v6, vcc_lo
	v_cndmask_b32_e32 v7, v7, v6, vcc_lo
	v_cndmask_b32_e64 v11, v10, v16, s3
	v_cndmask_b32_e64 v10, v7, v16, s3
	v_mov_b32_e32 v7, v6
	v_cmp_class_f32_e64 s0, v11, 0x1f8
	v_cmp_neq_f32_e32 vcc_lo, v11, v10
	s_or_b32 s1, vcc_lo, s0
	s_and_saveexec_b32 s0, s1
	s_cbranch_execz .LBB96_131
; %bb.130:
	v_sub_f32_e32 v7, v11, v10
	s_mov_b32 s1, 0x3e9b6dac
	v_mul_f32_e32 v11, 0x3fb8aa3b, v7
	v_cmp_ngt_f32_e32 vcc_lo, 0xc2ce8ed0, v7
	v_fma_f32 v12, 0x3fb8aa3b, v7, -v11
	v_rndne_f32_e32 v13, v11
	v_fmamk_f32 v12, v7, 0x32a5705f, v12
	v_sub_f32_e32 v11, v11, v13
	v_add_f32_e32 v11, v11, v12
	v_cvt_i32_f32_e32 v12, v13
	v_exp_f32_e32 v11, v11
	v_ldexp_f32 v11, v11, v12
	v_cndmask_b32_e32 v11, 0, v11, vcc_lo
	v_cmp_nlt_f32_e32 vcc_lo, 0x42b17218, v7
	v_cndmask_b32_e32 v7, 0x7f800000, v11, vcc_lo
	v_add_f32_e32 v13, 1.0, v7
	v_cvt_f64_f32_e32 v[11:12], v13
	v_frexp_exp_i32_f64_e32 v11, v[11:12]
	v_frexp_mant_f32_e32 v12, v13
	v_cmp_gt_f32_e32 vcc_lo, 0x3f2aaaab, v12
	v_add_f32_e32 v12, -1.0, v13
	v_sub_f32_e32 v19, v12, v13
	v_sub_f32_e32 v12, v7, v12
	v_add_f32_e32 v19, 1.0, v19
	v_add_f32_e32 v12, v12, v19
	v_subrev_co_ci_u32_e64 v11, null, 0, v11, vcc_lo
	v_cmp_neq_f32_e32 vcc_lo, 0x7f800000, v7
	v_sub_nc_u32_e32 v18, 0, v11
	v_cvt_f32_i32_e32 v11, v11
	v_ldexp_f32 v13, v13, v18
	v_ldexp_f32 v12, v12, v18
	v_add_f32_e32 v20, 1.0, v13
	v_add_f32_e32 v18, -1.0, v13
	v_add_f32_e32 v19, -1.0, v20
	v_add_f32_e32 v21, 1.0, v18
	v_sub_f32_e32 v19, v13, v19
	v_sub_f32_e32 v13, v13, v21
	v_add_f32_e32 v19, v12, v19
	v_add_f32_e32 v12, v12, v13
	;; [unrolled: 1-line block ×4, first 2 shown]
	v_rcp_f32_e32 v13, v21
	v_sub_f32_e32 v20, v20, v21
	v_sub_f32_e32 v18, v18, v22
	v_add_f32_e32 v19, v19, v20
	v_add_f32_e32 v12, v12, v18
	v_mul_f32_e32 v23, v22, v13
	v_mul_f32_e32 v24, v21, v23
	v_fma_f32 v20, v23, v21, -v24
	v_fmac_f32_e32 v20, v23, v19
	v_add_f32_e32 v25, v24, v20
	v_sub_f32_e32 v26, v22, v25
	v_sub_f32_e32 v18, v25, v24
	;; [unrolled: 1-line block ×5, first 2 shown]
	v_add_f32_e32 v12, v12, v22
	v_add_f32_e32 v12, v18, v12
	;; [unrolled: 1-line block ×3, first 2 shown]
	v_mul_f32_e32 v20, v13, v18
	v_sub_f32_e32 v25, v26, v18
	v_mul_f32_e32 v22, v21, v20
	v_add_f32_e32 v12, v12, v25
	v_fma_f32 v21, v20, v21, -v22
	v_fmac_f32_e32 v21, v20, v19
	v_add_f32_e32 v19, v22, v21
	v_sub_f32_e32 v24, v18, v19
	v_sub_f32_e32 v22, v19, v22
	;; [unrolled: 1-line block ×5, first 2 shown]
	v_add_f32_e32 v12, v12, v18
	v_add_f32_e32 v18, v23, v20
	;; [unrolled: 1-line block ×3, first 2 shown]
	v_sub_f32_e32 v19, v18, v23
	v_add_f32_e32 v12, v24, v12
	v_sub_f32_e32 v19, v20, v19
	v_mul_f32_e32 v12, v13, v12
	v_add_f32_e32 v12, v19, v12
	v_add_f32_e32 v13, v18, v12
	v_mul_f32_e32 v19, v13, v13
	v_fmaak_f32 v20, s1, v19, 0x3ecc95a3
	v_mul_f32_e32 v21, v13, v19
	v_fmaak_f32 v19, v19, v20, 0x3f2aaada
	v_ldexp_f32 v20, v13, 1
	v_sub_f32_e32 v13, v13, v18
	v_mul_f32_e32 v19, v21, v19
	v_mul_f32_e32 v21, 0x3f317218, v11
	v_sub_f32_e32 v12, v12, v13
	v_add_f32_e32 v18, v20, v19
	v_ldexp_f32 v12, v12, 1
	v_sub_f32_e32 v13, v18, v20
	v_fma_f32 v20, 0x3f317218, v11, -v21
	v_sub_f32_e32 v13, v19, v13
	v_fmamk_f32 v11, v11, 0xb102e308, v20
	v_add_f32_e32 v12, v12, v13
	v_add_f32_e32 v13, v21, v11
	;; [unrolled: 1-line block ×3, first 2 shown]
	v_sub_f32_e32 v21, v13, v21
	v_add_f32_e32 v20, v13, v19
	v_sub_f32_e32 v18, v19, v18
	v_sub_f32_e32 v11, v11, v21
	;; [unrolled: 1-line block ×6, first 2 shown]
	v_add_f32_e32 v19, v11, v12
	v_sub_f32_e32 v13, v13, v23
	v_add_f32_e32 v13, v18, v13
	v_sub_f32_e32 v18, v19, v11
	;; [unrolled: 2-line block ×3, first 2 shown]
	v_sub_f32_e32 v12, v12, v18
	v_add_f32_e32 v21, v20, v13
	v_sub_f32_e32 v11, v11, v19
	v_sub_f32_e32 v18, v21, v20
	v_add_f32_e32 v11, v12, v11
	v_sub_f32_e32 v12, v13, v18
	v_add_f32_e32 v11, v11, v12
	v_add_f32_e32 v11, v21, v11
	v_cndmask_b32_e32 v11, 0x7f800000, v11, vcc_lo
	v_cmp_gt_f32_e64 vcc_lo, 0x33800000, |v7|
	v_cndmask_b32_e32 v7, v11, v7, vcc_lo
	v_add_f32_e32 v7, v10, v7
.LBB96_131:
	s_or_b32 exec_lo, exec_lo, s0
	s_load_dwordx8 s[16:23], s[4:5], 0x38
	s_branch .LBB96_187
.LBB96_132:
	v_cmp_eq_u32_e64 s5, 0, v0
	s_waitcnt lgkmcnt(0)
	s_cmp_lg_u64 s[20:21], 0
	v_mov_b32_e32 v7, v5
	v_mov_b32_e32 v6, v4
	;; [unrolled: 1-line block ×5, first 2 shown]
	s_cselect_b32 s0, -1, 0
	v_cmp_ne_u32_e32 vcc_lo, 0, v0
	s_and_b32 s0, s5, s0
	s_and_saveexec_b32 s1, s0
	s_cbranch_execz .LBB96_136
; %bb.133:
	v_mov_b32_e32 v3, 0
	v_max_f32_e32 v4, v1, v1
	global_load_dword v3, v3, s[16:17]
	s_waitcnt vmcnt(0)
	v_max_f32_e32 v5, v3, v3
	v_cmp_u_f32_e64 s0, v3, v3
	v_min_f32_e32 v6, v5, v4
	v_max_f32_e32 v4, v5, v4
	v_cndmask_b32_e64 v5, v6, v3, s0
	v_cndmask_b32_e64 v6, v4, v3, s0
	v_cmp_u_f32_e64 s0, v1, v1
	v_cndmask_b32_e64 v4, v5, v1, s0
	v_cndmask_b32_e64 v1, v6, v1, s0
	v_cmp_class_f32_e64 s2, v4, 0x1f8
	v_cmp_neq_f32_e64 s0, v4, v1
	s_or_b32 s0, s0, s2
	s_and_saveexec_b32 s2, s0
	s_cbranch_execz .LBB96_135
; %bb.134:
	v_sub_f32_e32 v3, v4, v1
	v_mul_f32_e32 v4, 0x3fb8aa3b, v3
	v_cmp_ngt_f32_e64 s0, 0xc2ce8ed0, v3
	v_fma_f32 v5, 0x3fb8aa3b, v3, -v4
	v_rndne_f32_e32 v6, v4
	v_fmamk_f32 v5, v3, 0x32a5705f, v5
	v_sub_f32_e32 v4, v4, v6
	v_add_f32_e32 v4, v4, v5
	v_cvt_i32_f32_e32 v5, v6
	v_exp_f32_e32 v4, v4
	v_ldexp_f32 v4, v4, v5
	v_cndmask_b32_e64 v4, 0, v4, s0
	v_cmp_nlt_f32_e64 s0, 0x42b17218, v3
	v_cndmask_b32_e64 v5, 0x7f800000, v4, s0
	v_add_f32_e32 v6, 1.0, v5
	v_cvt_f64_f32_e32 v[3:4], v6
	v_frexp_exp_i32_f64_e32 v3, v[3:4]
	v_frexp_mant_f32_e32 v4, v6
	v_cmp_gt_f32_e64 s0, 0x3f2aaaab, v4
	v_add_f32_e32 v4, -1.0, v6
	v_sub_f32_e32 v10, v4, v6
	v_sub_f32_e32 v4, v5, v4
	v_add_f32_e32 v10, 1.0, v10
	v_add_f32_e32 v4, v4, v10
	v_subrev_co_ci_u32_e64 v3, null, 0, v3, s0
	s_mov_b32 s0, 0x3e9b6dac
	v_sub_nc_u32_e32 v7, 0, v3
	v_cvt_f32_i32_e32 v3, v3
	v_ldexp_f32 v6, v6, v7
	v_ldexp_f32 v4, v4, v7
	v_add_f32_e32 v11, 1.0, v6
	v_add_f32_e32 v7, -1.0, v6
	v_add_f32_e32 v10, -1.0, v11
	v_add_f32_e32 v12, 1.0, v7
	v_sub_f32_e32 v10, v6, v10
	v_sub_f32_e32 v6, v6, v12
	v_add_f32_e32 v10, v4, v10
	v_add_f32_e32 v4, v4, v6
	;; [unrolled: 1-line block ×4, first 2 shown]
	v_rcp_f32_e32 v6, v12
	v_sub_f32_e32 v11, v11, v12
	v_sub_f32_e32 v7, v7, v13
	v_add_f32_e32 v10, v10, v11
	v_add_f32_e32 v4, v4, v7
	v_mul_f32_e32 v18, v13, v6
	v_mul_f32_e32 v19, v12, v18
	v_fma_f32 v11, v18, v12, -v19
	v_fmac_f32_e32 v11, v18, v10
	v_add_f32_e32 v20, v19, v11
	v_sub_f32_e32 v21, v13, v20
	v_sub_f32_e32 v7, v20, v19
	;; [unrolled: 1-line block ×5, first 2 shown]
	v_add_f32_e32 v4, v4, v13
	v_add_f32_e32 v4, v7, v4
	;; [unrolled: 1-line block ×3, first 2 shown]
	v_mul_f32_e32 v11, v6, v7
	v_sub_f32_e32 v20, v21, v7
	v_mul_f32_e32 v13, v12, v11
	v_add_f32_e32 v4, v4, v20
	v_fma_f32 v12, v11, v12, -v13
	v_fmac_f32_e32 v12, v11, v10
	v_add_f32_e32 v10, v13, v12
	v_sub_f32_e32 v19, v7, v10
	v_sub_f32_e32 v13, v10, v13
	;; [unrolled: 1-line block ×5, first 2 shown]
	v_add_f32_e32 v4, v4, v7
	v_add_f32_e32 v7, v18, v11
	;; [unrolled: 1-line block ×3, first 2 shown]
	v_sub_f32_e32 v10, v7, v18
	v_add_f32_e32 v4, v19, v4
	v_sub_f32_e32 v10, v11, v10
	v_mul_f32_e32 v4, v6, v4
	v_add_f32_e32 v4, v10, v4
	v_add_f32_e32 v6, v7, v4
	v_mul_f32_e32 v10, v6, v6
	v_fmaak_f32 v11, s0, v10, 0x3ecc95a3
	v_mul_f32_e32 v12, v6, v10
	v_cmp_neq_f32_e64 s0, 0x7f800000, v5
	v_fmaak_f32 v10, v10, v11, 0x3f2aaada
	v_ldexp_f32 v11, v6, 1
	v_sub_f32_e32 v6, v6, v7
	v_mul_f32_e32 v10, v12, v10
	v_mul_f32_e32 v12, 0x3f317218, v3
	v_sub_f32_e32 v4, v4, v6
	v_add_f32_e32 v7, v11, v10
	v_ldexp_f32 v4, v4, 1
	v_sub_f32_e32 v6, v7, v11
	v_fma_f32 v11, 0x3f317218, v3, -v12
	v_sub_f32_e32 v6, v10, v6
	v_fmamk_f32 v3, v3, 0xb102e308, v11
	v_add_f32_e32 v4, v4, v6
	v_add_f32_e32 v6, v12, v3
	v_add_f32_e32 v10, v7, v4
	v_sub_f32_e32 v12, v6, v12
	v_add_f32_e32 v11, v6, v10
	v_sub_f32_e32 v7, v10, v7
	v_sub_f32_e32 v3, v3, v12
	;; [unrolled: 1-line block ×6, first 2 shown]
	v_add_f32_e32 v10, v3, v4
	v_sub_f32_e32 v6, v6, v18
	v_add_f32_e32 v6, v7, v6
	v_sub_f32_e32 v7, v10, v3
	;; [unrolled: 2-line block ×3, first 2 shown]
	v_sub_f32_e32 v4, v4, v7
	v_add_f32_e32 v12, v11, v6
	v_sub_f32_e32 v3, v3, v10
	v_sub_f32_e32 v7, v12, v11
	v_add_f32_e32 v3, v4, v3
	v_sub_f32_e32 v4, v6, v7
	v_add_f32_e32 v3, v3, v4
	v_add_f32_e32 v3, v12, v3
	v_cndmask_b32_e64 v3, 0x7f800000, v3, s0
	v_cmp_gt_f32_e64 s0, 0x33800000, |v5|
	v_cndmask_b32_e64 v3, v3, v5, s0
	v_add_f32_e32 v3, v1, v3
.LBB96_135:
	s_or_b32 exec_lo, exec_lo, s2
	v_mov_b32_e32 v1, v3
.LBB96_136:
	s_or_b32 exec_lo, exec_lo, s1
	v_max_f32_e32 v13, v1, v1
	v_cmp_u_f32_e64 s4, v1, v1
	v_cmp_u_f32_e64 s0, v2, v2
	v_mov_b32_e32 v19, v1
	v_min_f32_e32 v11, v13, v17
	v_max_f32_e32 v12, v13, v17
	v_cndmask_b32_e64 v4, v11, v1, s4
	v_cndmask_b32_e64 v6, v12, v1, s4
	;; [unrolled: 1-line block ×4, first 2 shown]
	v_cmp_class_f32_e64 s2, v5, 0x1f8
	v_cmp_neq_f32_e64 s1, v5, v4
	s_or_b32 s1, s1, s2
	s_and_saveexec_b32 s2, s1
	s_cbranch_execz .LBB96_138
; %bb.137:
	v_sub_f32_e32 v5, v5, v4
	v_mul_f32_e32 v6, 0x3fb8aa3b, v5
	v_cmp_ngt_f32_e64 s1, 0xc2ce8ed0, v5
	v_fma_f32 v7, 0x3fb8aa3b, v5, -v6
	v_rndne_f32_e32 v10, v6
	v_fmamk_f32 v7, v5, 0x32a5705f, v7
	v_sub_f32_e32 v6, v6, v10
	v_add_f32_e32 v6, v6, v7
	v_cvt_i32_f32_e32 v7, v10
	v_exp_f32_e32 v6, v6
	v_ldexp_f32 v6, v6, v7
	v_cndmask_b32_e64 v6, 0, v6, s1
	v_cmp_nlt_f32_e64 s1, 0x42b17218, v5
	v_cndmask_b32_e64 v7, 0x7f800000, v6, s1
	v_add_f32_e32 v10, 1.0, v7
	v_cvt_f64_f32_e32 v[5:6], v10
	v_frexp_exp_i32_f64_e32 v5, v[5:6]
	v_frexp_mant_f32_e32 v6, v10
	v_cmp_gt_f32_e64 s1, 0x3f2aaaab, v6
	v_add_f32_e32 v6, -1.0, v10
	v_sub_f32_e32 v19, v6, v10
	v_sub_f32_e32 v6, v7, v6
	v_add_f32_e32 v19, 1.0, v19
	v_add_f32_e32 v6, v6, v19
	v_subrev_co_ci_u32_e64 v5, null, 0, v5, s1
	s_mov_b32 s1, 0x3e9b6dac
	v_sub_nc_u32_e32 v18, 0, v5
	v_cvt_f32_i32_e32 v5, v5
	v_ldexp_f32 v10, v10, v18
	v_ldexp_f32 v6, v6, v18
	v_add_f32_e32 v20, 1.0, v10
	v_add_f32_e32 v18, -1.0, v10
	v_add_f32_e32 v19, -1.0, v20
	v_add_f32_e32 v21, 1.0, v18
	v_sub_f32_e32 v19, v10, v19
	v_sub_f32_e32 v10, v10, v21
	v_add_f32_e32 v19, v6, v19
	v_add_f32_e32 v6, v6, v10
	;; [unrolled: 1-line block ×4, first 2 shown]
	v_rcp_f32_e32 v10, v21
	v_sub_f32_e32 v20, v20, v21
	v_sub_f32_e32 v18, v18, v22
	v_add_f32_e32 v19, v19, v20
	v_add_f32_e32 v6, v6, v18
	v_mul_f32_e32 v23, v22, v10
	v_mul_f32_e32 v24, v21, v23
	v_fma_f32 v20, v23, v21, -v24
	v_fmac_f32_e32 v20, v23, v19
	v_add_f32_e32 v25, v24, v20
	v_sub_f32_e32 v26, v22, v25
	v_sub_f32_e32 v18, v25, v24
	;; [unrolled: 1-line block ×5, first 2 shown]
	v_add_f32_e32 v6, v6, v22
	v_add_f32_e32 v6, v18, v6
	;; [unrolled: 1-line block ×3, first 2 shown]
	v_mul_f32_e32 v20, v10, v18
	v_sub_f32_e32 v25, v26, v18
	v_mul_f32_e32 v22, v21, v20
	v_add_f32_e32 v6, v6, v25
	v_fma_f32 v21, v20, v21, -v22
	v_fmac_f32_e32 v21, v20, v19
	v_add_f32_e32 v19, v22, v21
	v_sub_f32_e32 v24, v18, v19
	v_sub_f32_e32 v22, v19, v22
	;; [unrolled: 1-line block ×5, first 2 shown]
	v_add_f32_e32 v6, v6, v18
	v_add_f32_e32 v18, v23, v20
	;; [unrolled: 1-line block ×3, first 2 shown]
	v_sub_f32_e32 v19, v18, v23
	v_add_f32_e32 v6, v24, v6
	v_sub_f32_e32 v19, v20, v19
	v_mul_f32_e32 v6, v10, v6
	v_add_f32_e32 v6, v19, v6
	v_add_f32_e32 v10, v18, v6
	v_mul_f32_e32 v19, v10, v10
	v_fmaak_f32 v20, s1, v19, 0x3ecc95a3
	v_mul_f32_e32 v21, v10, v19
	v_cmp_neq_f32_e64 s1, 0x7f800000, v7
	v_fmaak_f32 v19, v19, v20, 0x3f2aaada
	v_ldexp_f32 v20, v10, 1
	v_sub_f32_e32 v10, v10, v18
	v_mul_f32_e32 v19, v21, v19
	v_mul_f32_e32 v21, 0x3f317218, v5
	v_sub_f32_e32 v6, v6, v10
	v_add_f32_e32 v18, v20, v19
	v_ldexp_f32 v6, v6, 1
	v_sub_f32_e32 v10, v18, v20
	v_fma_f32 v20, 0x3f317218, v5, -v21
	v_sub_f32_e32 v10, v19, v10
	v_fmamk_f32 v5, v5, 0xb102e308, v20
	v_add_f32_e32 v6, v6, v10
	v_add_f32_e32 v10, v21, v5
	;; [unrolled: 1-line block ×3, first 2 shown]
	v_sub_f32_e32 v21, v10, v21
	v_add_f32_e32 v20, v10, v19
	v_sub_f32_e32 v18, v19, v18
	v_sub_f32_e32 v5, v5, v21
	;; [unrolled: 1-line block ×6, first 2 shown]
	v_add_f32_e32 v19, v5, v6
	v_sub_f32_e32 v10, v10, v23
	v_add_f32_e32 v10, v18, v10
	v_sub_f32_e32 v18, v19, v5
	;; [unrolled: 2-line block ×3, first 2 shown]
	v_sub_f32_e32 v6, v6, v18
	v_add_f32_e32 v21, v20, v10
	v_sub_f32_e32 v5, v5, v19
	v_sub_f32_e32 v18, v21, v20
	v_add_f32_e32 v5, v6, v5
	v_sub_f32_e32 v6, v10, v18
	v_add_f32_e32 v5, v5, v6
	v_add_f32_e32 v5, v21, v5
	v_cndmask_b32_e64 v5, 0x7f800000, v5, s1
	v_cmp_gt_f32_e64 s1, 0x33800000, |v7|
	v_cndmask_b32_e64 v5, v5, v7, s1
	v_add_f32_e32 v19, v4, v5
.LBB96_138:
	s_or_b32 exec_lo, exec_lo, s2
	v_max_f32_e32 v6, v8, v8
	v_max_f32_e32 v4, v19, v19
	v_cmp_u_f32_e64 s1, v19, v19
	v_min_f32_e32 v5, v4, v6
	v_max_f32_e32 v4, v4, v6
	v_cndmask_b32_e64 v5, v5, v19, s1
	v_cndmask_b32_e64 v4, v4, v19, s1
	v_cmp_u_f32_e64 s1, v8, v8
	v_cndmask_b32_e64 v5, v5, v8, s1
	v_cndmask_b32_e64 v4, v4, v8, s1
	v_cmp_class_f32_e64 s3, v5, 0x1f8
	v_cmp_neq_f32_e64 s2, v5, v4
	s_or_b32 s2, s2, s3
	s_and_saveexec_b32 s3, s2
	s_cbranch_execz .LBB96_140
; %bb.139:
	v_sub_f32_e32 v5, v5, v4
	v_mul_f32_e32 v7, 0x3fb8aa3b, v5
	v_cmp_ngt_f32_e64 s2, 0xc2ce8ed0, v5
	v_fma_f32 v10, 0x3fb8aa3b, v5, -v7
	v_rndne_f32_e32 v18, v7
	v_fmamk_f32 v10, v5, 0x32a5705f, v10
	v_sub_f32_e32 v7, v7, v18
	v_add_f32_e32 v7, v7, v10
	v_cvt_i32_f32_e32 v10, v18
	v_exp_f32_e32 v7, v7
	v_ldexp_f32 v7, v7, v10
	v_cndmask_b32_e64 v7, 0, v7, s2
	v_cmp_nlt_f32_e64 s2, 0x42b17218, v5
	v_cndmask_b32_e64 v5, 0x7f800000, v7, s2
	v_add_f32_e32 v7, 1.0, v5
	v_cvt_f64_f32_e32 v[18:19], v7
	v_frexp_exp_i32_f64_e32 v10, v[18:19]
	v_frexp_mant_f32_e32 v18, v7
	v_cmp_gt_f32_e64 s2, 0x3f2aaaab, v18
	v_add_f32_e32 v18, -1.0, v7
	v_sub_f32_e32 v20, v18, v7
	v_sub_f32_e32 v18, v5, v18
	v_add_f32_e32 v20, 1.0, v20
	v_add_f32_e32 v18, v18, v20
	v_subrev_co_ci_u32_e64 v10, null, 0, v10, s2
	s_mov_b32 s2, 0x3e9b6dac
	v_sub_nc_u32_e32 v19, 0, v10
	v_cvt_f32_i32_e32 v10, v10
	v_ldexp_f32 v7, v7, v19
	v_ldexp_f32 v18, v18, v19
	v_add_f32_e32 v21, 1.0, v7
	v_add_f32_e32 v19, -1.0, v7
	v_add_f32_e32 v20, -1.0, v21
	v_add_f32_e32 v22, 1.0, v19
	v_sub_f32_e32 v20, v7, v20
	v_sub_f32_e32 v7, v7, v22
	v_add_f32_e32 v20, v18, v20
	v_add_f32_e32 v7, v18, v7
	;; [unrolled: 1-line block ×4, first 2 shown]
	v_rcp_f32_e32 v18, v22
	v_sub_f32_e32 v21, v21, v22
	v_sub_f32_e32 v19, v19, v23
	v_add_f32_e32 v20, v20, v21
	v_add_f32_e32 v7, v7, v19
	v_mul_f32_e32 v24, v23, v18
	v_mul_f32_e32 v25, v22, v24
	v_fma_f32 v21, v24, v22, -v25
	v_fmac_f32_e32 v21, v24, v20
	v_add_f32_e32 v26, v25, v21
	v_sub_f32_e32 v27, v23, v26
	v_sub_f32_e32 v19, v26, v25
	;; [unrolled: 1-line block ×5, first 2 shown]
	v_add_f32_e32 v7, v7, v23
	v_add_f32_e32 v7, v19, v7
	v_add_f32_e32 v19, v27, v7
	v_mul_f32_e32 v21, v18, v19
	v_sub_f32_e32 v26, v27, v19
	v_mul_f32_e32 v23, v22, v21
	v_add_f32_e32 v7, v7, v26
	v_fma_f32 v22, v21, v22, -v23
	v_fmac_f32_e32 v22, v21, v20
	v_add_f32_e32 v20, v23, v22
	v_sub_f32_e32 v25, v19, v20
	v_sub_f32_e32 v23, v20, v23
	;; [unrolled: 1-line block ×5, first 2 shown]
	v_add_f32_e32 v7, v7, v19
	v_add_f32_e32 v19, v24, v21
	;; [unrolled: 1-line block ×3, first 2 shown]
	v_sub_f32_e32 v20, v19, v24
	v_add_f32_e32 v7, v25, v7
	v_sub_f32_e32 v20, v21, v20
	v_mul_f32_e32 v7, v18, v7
	v_add_f32_e32 v7, v20, v7
	v_add_f32_e32 v18, v19, v7
	v_mul_f32_e32 v20, v18, v18
	v_fmaak_f32 v21, s2, v20, 0x3ecc95a3
	v_mul_f32_e32 v22, v18, v20
	v_cmp_neq_f32_e64 s2, 0x7f800000, v5
	v_fmaak_f32 v20, v20, v21, 0x3f2aaada
	v_ldexp_f32 v21, v18, 1
	v_sub_f32_e32 v18, v18, v19
	v_mul_f32_e32 v20, v22, v20
	v_mul_f32_e32 v22, 0x3f317218, v10
	v_sub_f32_e32 v7, v7, v18
	v_add_f32_e32 v19, v21, v20
	v_ldexp_f32 v7, v7, 1
	v_sub_f32_e32 v18, v19, v21
	v_fma_f32 v21, 0x3f317218, v10, -v22
	v_sub_f32_e32 v18, v20, v18
	v_fmamk_f32 v10, v10, 0xb102e308, v21
	v_add_f32_e32 v7, v7, v18
	v_add_f32_e32 v18, v22, v10
	;; [unrolled: 1-line block ×3, first 2 shown]
	v_sub_f32_e32 v22, v18, v22
	v_add_f32_e32 v21, v18, v20
	v_sub_f32_e32 v19, v20, v19
	v_sub_f32_e32 v10, v10, v22
	;; [unrolled: 1-line block ×6, first 2 shown]
	v_add_f32_e32 v20, v10, v7
	v_sub_f32_e32 v18, v18, v24
	v_add_f32_e32 v18, v19, v18
	v_sub_f32_e32 v19, v20, v10
	;; [unrolled: 2-line block ×3, first 2 shown]
	v_sub_f32_e32 v7, v7, v19
	v_add_f32_e32 v22, v21, v18
	v_sub_f32_e32 v10, v10, v20
	v_sub_f32_e32 v19, v22, v21
	v_add_f32_e32 v7, v7, v10
	v_sub_f32_e32 v10, v18, v19
	v_add_f32_e32 v7, v7, v10
	v_add_f32_e32 v7, v22, v7
	v_cndmask_b32_e64 v7, 0x7f800000, v7, s2
	v_cmp_gt_f32_e64 s2, 0x33800000, |v5|
	v_cndmask_b32_e64 v5, v7, v5, s2
	v_add_f32_e32 v19, v4, v5
.LBB96_140:
	s_or_b32 exec_lo, exec_lo, s3
	v_max_f32_e32 v7, v9, v9
	v_max_f32_e32 v4, v19, v19
	v_cmp_u_f32_e64 s2, v19, v19
	v_min_f32_e32 v5, v4, v7
	v_max_f32_e32 v4, v4, v7
	v_cndmask_b32_e64 v5, v5, v19, s2
	v_cndmask_b32_e64 v4, v4, v19, s2
	v_cmp_u_f32_e64 s2, v9, v9
	v_cndmask_b32_e64 v5, v5, v9, s2
	v_cndmask_b32_e64 v4, v4, v9, s2
	v_cmp_class_f32_e64 s6, v5, 0x1f8
	v_cmp_neq_f32_e64 s3, v5, v4
	s_or_b32 s3, s3, s6
	s_and_saveexec_b32 s6, s3
	s_cbranch_execz .LBB96_142
; %bb.141:
	v_sub_f32_e32 v5, v5, v4
	v_mul_f32_e32 v10, 0x3fb8aa3b, v5
	v_cmp_ngt_f32_e64 s3, 0xc2ce8ed0, v5
	v_fma_f32 v18, 0x3fb8aa3b, v5, -v10
	v_rndne_f32_e32 v19, v10
	v_fmamk_f32 v18, v5, 0x32a5705f, v18
	v_sub_f32_e32 v10, v10, v19
	v_add_f32_e32 v10, v10, v18
	v_cvt_i32_f32_e32 v18, v19
	v_exp_f32_e32 v10, v10
	v_ldexp_f32 v10, v10, v18
	v_cndmask_b32_e64 v10, 0, v10, s3
	v_cmp_nlt_f32_e64 s3, 0x42b17218, v5
	v_cndmask_b32_e64 v5, 0x7f800000, v10, s3
	v_add_f32_e32 v10, 1.0, v5
	v_cvt_f64_f32_e32 v[18:19], v10
	v_frexp_exp_i32_f64_e32 v18, v[18:19]
	v_frexp_mant_f32_e32 v19, v10
	v_cmp_gt_f32_e64 s3, 0x3f2aaaab, v19
	v_add_f32_e32 v19, -1.0, v10
	v_sub_f32_e32 v21, v19, v10
	v_sub_f32_e32 v19, v5, v19
	v_add_f32_e32 v21, 1.0, v21
	v_add_f32_e32 v19, v19, v21
	v_subrev_co_ci_u32_e64 v18, null, 0, v18, s3
	s_mov_b32 s3, 0x3e9b6dac
	v_sub_nc_u32_e32 v20, 0, v18
	v_cvt_f32_i32_e32 v18, v18
	v_ldexp_f32 v10, v10, v20
	v_ldexp_f32 v19, v19, v20
	v_add_f32_e32 v22, 1.0, v10
	v_add_f32_e32 v20, -1.0, v10
	v_add_f32_e32 v21, -1.0, v22
	v_add_f32_e32 v23, 1.0, v20
	v_sub_f32_e32 v21, v10, v21
	v_sub_f32_e32 v10, v10, v23
	v_add_f32_e32 v21, v19, v21
	v_add_f32_e32 v10, v19, v10
	;; [unrolled: 1-line block ×4, first 2 shown]
	v_rcp_f32_e32 v19, v23
	v_sub_f32_e32 v22, v22, v23
	v_sub_f32_e32 v20, v20, v24
	v_add_f32_e32 v21, v21, v22
	v_add_f32_e32 v10, v10, v20
	v_mul_f32_e32 v25, v24, v19
	v_mul_f32_e32 v26, v23, v25
	v_fma_f32 v22, v25, v23, -v26
	v_fmac_f32_e32 v22, v25, v21
	v_add_f32_e32 v27, v26, v22
	v_sub_f32_e32 v28, v24, v27
	v_sub_f32_e32 v20, v27, v26
	;; [unrolled: 1-line block ×5, first 2 shown]
	v_add_f32_e32 v10, v10, v24
	v_add_f32_e32 v10, v20, v10
	;; [unrolled: 1-line block ×3, first 2 shown]
	v_mul_f32_e32 v22, v19, v20
	v_sub_f32_e32 v27, v28, v20
	v_mul_f32_e32 v24, v23, v22
	v_add_f32_e32 v10, v10, v27
	v_fma_f32 v23, v22, v23, -v24
	v_fmac_f32_e32 v23, v22, v21
	v_add_f32_e32 v21, v24, v23
	v_sub_f32_e32 v26, v20, v21
	v_sub_f32_e32 v24, v21, v24
	;; [unrolled: 1-line block ×5, first 2 shown]
	v_add_f32_e32 v10, v10, v20
	v_add_f32_e32 v20, v25, v22
	;; [unrolled: 1-line block ×3, first 2 shown]
	v_sub_f32_e32 v21, v20, v25
	v_add_f32_e32 v10, v26, v10
	v_sub_f32_e32 v21, v22, v21
	v_mul_f32_e32 v10, v19, v10
	v_add_f32_e32 v10, v21, v10
	v_add_f32_e32 v19, v20, v10
	v_mul_f32_e32 v21, v19, v19
	v_fmaak_f32 v22, s3, v21, 0x3ecc95a3
	v_mul_f32_e32 v23, v19, v21
	v_cmp_neq_f32_e64 s3, 0x7f800000, v5
	v_fmaak_f32 v21, v21, v22, 0x3f2aaada
	v_ldexp_f32 v22, v19, 1
	v_sub_f32_e32 v19, v19, v20
	v_mul_f32_e32 v21, v23, v21
	v_mul_f32_e32 v23, 0x3f317218, v18
	v_sub_f32_e32 v10, v10, v19
	v_add_f32_e32 v20, v22, v21
	v_ldexp_f32 v10, v10, 1
	v_sub_f32_e32 v19, v20, v22
	v_fma_f32 v22, 0x3f317218, v18, -v23
	v_sub_f32_e32 v19, v21, v19
	v_fmamk_f32 v18, v18, 0xb102e308, v22
	v_add_f32_e32 v10, v10, v19
	v_add_f32_e32 v19, v23, v18
	;; [unrolled: 1-line block ×3, first 2 shown]
	v_sub_f32_e32 v23, v19, v23
	v_add_f32_e32 v22, v19, v21
	v_sub_f32_e32 v20, v21, v20
	v_sub_f32_e32 v18, v18, v23
	;; [unrolled: 1-line block ×6, first 2 shown]
	v_add_f32_e32 v21, v18, v10
	v_sub_f32_e32 v19, v19, v25
	v_add_f32_e32 v19, v20, v19
	v_sub_f32_e32 v20, v21, v18
	;; [unrolled: 2-line block ×3, first 2 shown]
	v_sub_f32_e32 v10, v10, v20
	v_add_f32_e32 v23, v22, v19
	v_sub_f32_e32 v18, v18, v21
	v_sub_f32_e32 v20, v23, v22
	v_add_f32_e32 v10, v10, v18
	v_sub_f32_e32 v18, v19, v20
	v_add_f32_e32 v10, v10, v18
	v_add_f32_e32 v10, v23, v10
	v_cndmask_b32_e64 v10, 0x7f800000, v10, s3
	v_cmp_gt_f32_e64 s3, 0x33800000, |v5|
	v_cndmask_b32_e64 v5, v10, v5, s3
	v_add_f32_e32 v19, v4, v5
.LBB96_142:
	s_or_b32 exec_lo, exec_lo, s6
	v_max_f32_e32 v10, v16, v16
	v_max_f32_e32 v4, v19, v19
	v_cmp_u_f32_e64 s3, v19, v19
	v_min_f32_e32 v5, v4, v10
	v_max_f32_e32 v4, v4, v10
	v_cndmask_b32_e64 v5, v5, v19, s3
	v_cndmask_b32_e64 v4, v4, v19, s3
	v_cmp_u_f32_e64 s3, v16, v16
	v_cndmask_b32_e64 v5, v5, v16, s3
	v_cndmask_b32_e64 v4, v4, v16, s3
	v_cmp_class_f32_e64 s7, v5, 0x1f8
	v_cmp_neq_f32_e64 s6, v5, v4
	s_or_b32 s6, s6, s7
	s_and_saveexec_b32 s7, s6
	s_cbranch_execz .LBB96_144
; %bb.143:
	v_sub_f32_e32 v5, v5, v4
	v_mul_f32_e32 v18, 0x3fb8aa3b, v5
	v_cmp_ngt_f32_e64 s6, 0xc2ce8ed0, v5
	v_fma_f32 v19, 0x3fb8aa3b, v5, -v18
	v_rndne_f32_e32 v20, v18
	v_fmamk_f32 v19, v5, 0x32a5705f, v19
	v_sub_f32_e32 v18, v18, v20
	v_add_f32_e32 v18, v18, v19
	v_cvt_i32_f32_e32 v19, v20
	v_exp_f32_e32 v18, v18
	v_ldexp_f32 v18, v18, v19
	v_cndmask_b32_e64 v18, 0, v18, s6
	v_cmp_nlt_f32_e64 s6, 0x42b17218, v5
	v_cndmask_b32_e64 v5, 0x7f800000, v18, s6
	v_add_f32_e32 v20, 1.0, v5
	v_cvt_f64_f32_e32 v[18:19], v20
	v_frexp_exp_i32_f64_e32 v18, v[18:19]
	v_frexp_mant_f32_e32 v19, v20
	v_cmp_gt_f32_e64 s6, 0x3f2aaaab, v19
	v_add_f32_e32 v19, -1.0, v20
	v_sub_f32_e32 v22, v19, v20
	v_sub_f32_e32 v19, v5, v19
	v_add_f32_e32 v22, 1.0, v22
	v_add_f32_e32 v19, v19, v22
	v_subrev_co_ci_u32_e64 v18, null, 0, v18, s6
	s_mov_b32 s6, 0x3e9b6dac
	v_sub_nc_u32_e32 v21, 0, v18
	v_cvt_f32_i32_e32 v18, v18
	v_ldexp_f32 v20, v20, v21
	v_ldexp_f32 v19, v19, v21
	v_add_f32_e32 v23, 1.0, v20
	v_add_f32_e32 v21, -1.0, v20
	v_add_f32_e32 v22, -1.0, v23
	v_add_f32_e32 v24, 1.0, v21
	v_sub_f32_e32 v22, v20, v22
	v_sub_f32_e32 v20, v20, v24
	v_add_f32_e32 v22, v19, v22
	v_add_f32_e32 v19, v19, v20
	;; [unrolled: 1-line block ×4, first 2 shown]
	v_rcp_f32_e32 v20, v24
	v_sub_f32_e32 v23, v23, v24
	v_sub_f32_e32 v21, v21, v25
	v_add_f32_e32 v22, v22, v23
	v_add_f32_e32 v19, v19, v21
	v_mul_f32_e32 v26, v25, v20
	v_mul_f32_e32 v27, v24, v26
	v_fma_f32 v23, v26, v24, -v27
	v_fmac_f32_e32 v23, v26, v22
	v_add_f32_e32 v28, v27, v23
	v_sub_f32_e32 v29, v25, v28
	v_sub_f32_e32 v21, v28, v27
	;; [unrolled: 1-line block ×5, first 2 shown]
	v_add_f32_e32 v19, v19, v25
	v_add_f32_e32 v19, v21, v19
	;; [unrolled: 1-line block ×3, first 2 shown]
	v_mul_f32_e32 v23, v20, v21
	v_sub_f32_e32 v28, v29, v21
	v_mul_f32_e32 v25, v24, v23
	v_add_f32_e32 v19, v19, v28
	v_fma_f32 v24, v23, v24, -v25
	v_fmac_f32_e32 v24, v23, v22
	v_add_f32_e32 v22, v25, v24
	v_sub_f32_e32 v27, v21, v22
	v_sub_f32_e32 v25, v22, v25
	;; [unrolled: 1-line block ×5, first 2 shown]
	v_add_f32_e32 v19, v19, v21
	v_add_f32_e32 v21, v26, v23
	;; [unrolled: 1-line block ×3, first 2 shown]
	v_sub_f32_e32 v22, v21, v26
	v_add_f32_e32 v19, v27, v19
	v_sub_f32_e32 v22, v23, v22
	v_mul_f32_e32 v19, v20, v19
	v_add_f32_e32 v19, v22, v19
	v_add_f32_e32 v20, v21, v19
	v_mul_f32_e32 v22, v20, v20
	v_fmaak_f32 v23, s6, v22, 0x3ecc95a3
	v_mul_f32_e32 v24, v20, v22
	v_cmp_neq_f32_e64 s6, 0x7f800000, v5
	v_fmaak_f32 v22, v22, v23, 0x3f2aaada
	v_ldexp_f32 v23, v20, 1
	v_sub_f32_e32 v20, v20, v21
	v_mul_f32_e32 v22, v24, v22
	v_mul_f32_e32 v24, 0x3f317218, v18
	v_sub_f32_e32 v19, v19, v20
	v_add_f32_e32 v21, v23, v22
	v_ldexp_f32 v19, v19, 1
	v_sub_f32_e32 v20, v21, v23
	v_fma_f32 v23, 0x3f317218, v18, -v24
	v_sub_f32_e32 v20, v22, v20
	v_fmamk_f32 v18, v18, 0xb102e308, v23
	v_add_f32_e32 v19, v19, v20
	v_add_f32_e32 v20, v24, v18
	;; [unrolled: 1-line block ×3, first 2 shown]
	v_sub_f32_e32 v24, v20, v24
	v_add_f32_e32 v23, v20, v22
	v_sub_f32_e32 v21, v22, v21
	v_sub_f32_e32 v18, v18, v24
	;; [unrolled: 1-line block ×6, first 2 shown]
	v_add_f32_e32 v22, v18, v19
	v_sub_f32_e32 v20, v20, v26
	v_add_f32_e32 v20, v21, v20
	v_sub_f32_e32 v21, v22, v18
	;; [unrolled: 2-line block ×3, first 2 shown]
	v_sub_f32_e32 v19, v19, v21
	v_add_f32_e32 v24, v23, v20
	v_sub_f32_e32 v18, v18, v22
	v_sub_f32_e32 v21, v24, v23
	v_add_f32_e32 v18, v19, v18
	v_sub_f32_e32 v19, v20, v21
	v_add_f32_e32 v18, v18, v19
	v_add_f32_e32 v18, v24, v18
	v_cndmask_b32_e64 v18, 0x7f800000, v18, s6
	v_cmp_gt_f32_e64 s6, 0x33800000, |v5|
	v_cndmask_b32_e64 v5, v18, v5, s6
	v_add_f32_e32 v19, v4, v5
.LBB96_144:
	s_or_b32 exec_lo, exec_lo, s7
	v_lshrrev_b32_e32 v4, 3, v0
	s_mov_b32 s8, exec_lo
	v_and_b32_e32 v4, 4, v4
	v_lshl_add_u32 v4, v0, 2, v4
	ds_write_b32 v4, v19
	s_waitcnt lgkmcnt(0)
	s_barrier
	buffer_gl0_inv
	v_cmpx_gt_u32_e32 32, v0
	s_cbranch_execz .LBB96_172
; %bb.145:
	v_lshrrev_b32_e32 v4, 2, v0
	v_lshlrev_b32_e32 v5, 3, v0
	v_and_b32_e32 v4, 12, v4
	v_add_nc_u32_e32 v18, v4, v5
	ds_read2_b32 v[4:5], v18 offset1:1
	s_waitcnt lgkmcnt(0)
	v_max_f32_e32 v21, v5, v5
	v_max_f32_e32 v20, v4, v4
	v_cmp_u_f32_e64 s6, v4, v4
	v_cmp_u_f32_e64 s7, v5, v5
	v_min_f32_e32 v22, v20, v21
	v_max_f32_e32 v21, v20, v21
	v_cndmask_b32_e64 v22, v22, v4, s6
	v_cndmask_b32_e64 v23, v21, v4, s6
	;; [unrolled: 1-line block ×4, first 2 shown]
	v_mov_b32_e32 v22, v4
	v_cmp_class_f32_e64 s9, v21, 0x1f8
	v_cmp_neq_f32_e64 s7, v21, v5
	s_or_b32 s7, s7, s9
	s_and_saveexec_b32 s9, s7
	s_cbranch_execz .LBB96_147
; %bb.146:
	v_sub_f32_e32 v21, v21, v5
	v_mul_f32_e32 v22, 0x3fb8aa3b, v21
	v_cmp_ngt_f32_e64 s7, 0xc2ce8ed0, v21
	v_fma_f32 v23, 0x3fb8aa3b, v21, -v22
	v_rndne_f32_e32 v24, v22
	v_fmamk_f32 v23, v21, 0x32a5705f, v23
	v_sub_f32_e32 v22, v22, v24
	v_add_f32_e32 v22, v22, v23
	v_cvt_i32_f32_e32 v23, v24
	v_exp_f32_e32 v22, v22
	v_ldexp_f32 v22, v22, v23
	v_cndmask_b32_e64 v22, 0, v22, s7
	v_cmp_nlt_f32_e64 s7, 0x42b17218, v21
	v_cndmask_b32_e64 v23, 0x7f800000, v22, s7
	v_add_f32_e32 v24, 1.0, v23
	v_cvt_f64_f32_e32 v[21:22], v24
	v_frexp_exp_i32_f64_e32 v21, v[21:22]
	v_frexp_mant_f32_e32 v22, v24
	v_cmp_gt_f32_e64 s7, 0x3f2aaaab, v22
	v_add_f32_e32 v22, -1.0, v24
	v_sub_f32_e32 v26, v22, v24
	v_sub_f32_e32 v22, v23, v22
	v_add_f32_e32 v26, 1.0, v26
	v_add_f32_e32 v22, v22, v26
	v_subrev_co_ci_u32_e64 v21, null, 0, v21, s7
	s_mov_b32 s7, 0x3e9b6dac
	v_sub_nc_u32_e32 v25, 0, v21
	v_cvt_f32_i32_e32 v21, v21
	v_ldexp_f32 v24, v24, v25
	v_ldexp_f32 v22, v22, v25
	v_add_f32_e32 v27, 1.0, v24
	v_add_f32_e32 v25, -1.0, v24
	v_add_f32_e32 v26, -1.0, v27
	v_add_f32_e32 v28, 1.0, v25
	v_sub_f32_e32 v26, v24, v26
	v_sub_f32_e32 v24, v24, v28
	v_add_f32_e32 v26, v22, v26
	v_add_f32_e32 v22, v22, v24
	;; [unrolled: 1-line block ×4, first 2 shown]
	v_rcp_f32_e32 v24, v28
	v_sub_f32_e32 v27, v27, v28
	v_sub_f32_e32 v25, v25, v29
	v_add_f32_e32 v26, v26, v27
	v_add_f32_e32 v22, v22, v25
	v_mul_f32_e32 v30, v29, v24
	v_mul_f32_e32 v31, v28, v30
	v_fma_f32 v27, v30, v28, -v31
	v_fmac_f32_e32 v27, v30, v26
	v_add_f32_e32 v32, v31, v27
	v_sub_f32_e32 v33, v29, v32
	v_sub_f32_e32 v25, v32, v31
	;; [unrolled: 1-line block ×5, first 2 shown]
	v_add_f32_e32 v22, v22, v29
	v_add_f32_e32 v22, v25, v22
	;; [unrolled: 1-line block ×3, first 2 shown]
	v_mul_f32_e32 v27, v24, v25
	v_sub_f32_e32 v32, v33, v25
	v_mul_f32_e32 v29, v28, v27
	v_add_f32_e32 v22, v22, v32
	v_fma_f32 v28, v27, v28, -v29
	v_fmac_f32_e32 v28, v27, v26
	v_add_f32_e32 v26, v29, v28
	v_sub_f32_e32 v31, v25, v26
	v_sub_f32_e32 v29, v26, v29
	;; [unrolled: 1-line block ×5, first 2 shown]
	v_add_f32_e32 v22, v22, v25
	v_add_f32_e32 v25, v30, v27
	v_add_f32_e32 v22, v26, v22
	v_sub_f32_e32 v26, v25, v30
	v_add_f32_e32 v22, v31, v22
	v_sub_f32_e32 v26, v27, v26
	v_mul_f32_e32 v22, v24, v22
	v_add_f32_e32 v22, v26, v22
	v_add_f32_e32 v24, v25, v22
	v_mul_f32_e32 v26, v24, v24
	v_fmaak_f32 v27, s7, v26, 0x3ecc95a3
	v_mul_f32_e32 v28, v24, v26
	v_cmp_neq_f32_e64 s7, 0x7f800000, v23
	v_fmaak_f32 v26, v26, v27, 0x3f2aaada
	v_ldexp_f32 v27, v24, 1
	v_sub_f32_e32 v24, v24, v25
	v_mul_f32_e32 v26, v28, v26
	v_mul_f32_e32 v28, 0x3f317218, v21
	v_sub_f32_e32 v22, v22, v24
	v_add_f32_e32 v25, v27, v26
	v_ldexp_f32 v22, v22, 1
	v_sub_f32_e32 v24, v25, v27
	v_fma_f32 v27, 0x3f317218, v21, -v28
	v_sub_f32_e32 v24, v26, v24
	v_fmamk_f32 v21, v21, 0xb102e308, v27
	v_add_f32_e32 v22, v22, v24
	v_add_f32_e32 v24, v28, v21
	;; [unrolled: 1-line block ×3, first 2 shown]
	v_sub_f32_e32 v28, v24, v28
	v_add_f32_e32 v27, v24, v26
	v_sub_f32_e32 v25, v26, v25
	v_sub_f32_e32 v21, v21, v28
	;; [unrolled: 1-line block ×6, first 2 shown]
	v_add_f32_e32 v26, v21, v22
	v_sub_f32_e32 v24, v24, v30
	v_add_f32_e32 v24, v25, v24
	v_sub_f32_e32 v25, v26, v21
	;; [unrolled: 2-line block ×3, first 2 shown]
	v_sub_f32_e32 v22, v22, v25
	v_add_f32_e32 v28, v27, v24
	v_sub_f32_e32 v21, v21, v26
	v_sub_f32_e32 v25, v28, v27
	v_add_f32_e32 v21, v22, v21
	v_sub_f32_e32 v22, v24, v25
	v_add_f32_e32 v21, v21, v22
	v_add_f32_e32 v21, v28, v21
	v_cndmask_b32_e64 v21, 0x7f800000, v21, s7
	v_cmp_gt_f32_e64 s7, 0x33800000, |v23|
	v_cndmask_b32_e64 v21, v21, v23, s7
	v_add_f32_e32 v22, v5, v21
.LBB96_147:
	s_or_b32 exec_lo, exec_lo, s9
	v_mbcnt_lo_u32_b32 v5, -1, 0
	v_mov_b32_dpp v23, v22 row_shr:1 row_mask:0xf bank_mask:0xf
	s_mov_b32 s9, exec_lo
	v_and_b32_e32 v21, 15, v5
	v_cmpx_ne_u32_e32 0, v21
	s_xor_b32 s9, exec_lo, s9
	s_cbranch_execz .LBB96_151
; %bb.148:
	v_max_f32_e32 v24, v22, v22
	v_max_f32_e32 v25, v23, v23
	v_cmp_u_f32_e64 s7, v23, v23
	v_min_f32_e32 v26, v25, v24
	v_max_f32_e32 v24, v25, v24
	v_cndmask_b32_e64 v25, v26, v23, s7
	v_cndmask_b32_e64 v26, v24, v23, s7
	v_cmp_u_f32_e64 s7, v22, v22
	v_cndmask_b32_e64 v24, v25, v22, s7
	v_cndmask_b32_e64 v22, v26, v22, s7
	v_cmp_class_f32_e64 s10, v24, 0x1f8
	v_cmp_neq_f32_e64 s7, v24, v22
	s_or_b32 s7, s7, s10
	s_and_saveexec_b32 s10, s7
	s_cbranch_execz .LBB96_150
; %bb.149:
	v_sub_f32_e32 v23, v24, v22
	v_mul_f32_e32 v24, 0x3fb8aa3b, v23
	v_cmp_ngt_f32_e64 s7, 0xc2ce8ed0, v23
	v_fma_f32 v25, 0x3fb8aa3b, v23, -v24
	v_rndne_f32_e32 v26, v24
	v_fmamk_f32 v25, v23, 0x32a5705f, v25
	v_sub_f32_e32 v24, v24, v26
	v_add_f32_e32 v24, v24, v25
	v_cvt_i32_f32_e32 v25, v26
	v_exp_f32_e32 v24, v24
	v_ldexp_f32 v24, v24, v25
	v_cndmask_b32_e64 v24, 0, v24, s7
	v_cmp_nlt_f32_e64 s7, 0x42b17218, v23
	v_cndmask_b32_e64 v25, 0x7f800000, v24, s7
	v_add_f32_e32 v26, 1.0, v25
	v_cvt_f64_f32_e32 v[23:24], v26
	v_frexp_exp_i32_f64_e32 v23, v[23:24]
	v_frexp_mant_f32_e32 v24, v26
	v_cmp_gt_f32_e64 s7, 0x3f2aaaab, v24
	v_add_f32_e32 v24, -1.0, v26
	v_sub_f32_e32 v28, v24, v26
	v_sub_f32_e32 v24, v25, v24
	v_add_f32_e32 v28, 1.0, v28
	v_add_f32_e32 v24, v24, v28
	v_subrev_co_ci_u32_e64 v23, null, 0, v23, s7
	s_mov_b32 s7, 0x3e9b6dac
	v_sub_nc_u32_e32 v27, 0, v23
	v_cvt_f32_i32_e32 v23, v23
	v_ldexp_f32 v26, v26, v27
	v_ldexp_f32 v24, v24, v27
	v_add_f32_e32 v29, 1.0, v26
	v_add_f32_e32 v27, -1.0, v26
	v_add_f32_e32 v28, -1.0, v29
	v_add_f32_e32 v30, 1.0, v27
	v_sub_f32_e32 v28, v26, v28
	v_sub_f32_e32 v26, v26, v30
	v_add_f32_e32 v28, v24, v28
	v_add_f32_e32 v24, v24, v26
	;; [unrolled: 1-line block ×4, first 2 shown]
	v_rcp_f32_e32 v26, v30
	v_sub_f32_e32 v29, v29, v30
	v_sub_f32_e32 v27, v27, v31
	v_add_f32_e32 v28, v28, v29
	v_add_f32_e32 v24, v24, v27
	v_mul_f32_e32 v32, v31, v26
	v_mul_f32_e32 v33, v30, v32
	v_fma_f32 v29, v32, v30, -v33
	v_fmac_f32_e32 v29, v32, v28
	v_add_f32_e32 v34, v33, v29
	v_sub_f32_e32 v35, v31, v34
	v_sub_f32_e32 v27, v34, v33
	;; [unrolled: 1-line block ×5, first 2 shown]
	v_add_f32_e32 v24, v24, v31
	v_add_f32_e32 v24, v27, v24
	;; [unrolled: 1-line block ×3, first 2 shown]
	v_mul_f32_e32 v29, v26, v27
	v_sub_f32_e32 v34, v35, v27
	v_mul_f32_e32 v31, v30, v29
	v_add_f32_e32 v24, v24, v34
	v_fma_f32 v30, v29, v30, -v31
	v_fmac_f32_e32 v30, v29, v28
	v_add_f32_e32 v28, v31, v30
	v_sub_f32_e32 v33, v27, v28
	v_sub_f32_e32 v31, v28, v31
	;; [unrolled: 1-line block ×5, first 2 shown]
	v_add_f32_e32 v24, v24, v27
	v_add_f32_e32 v27, v32, v29
	;; [unrolled: 1-line block ×3, first 2 shown]
	v_sub_f32_e32 v28, v27, v32
	v_add_f32_e32 v24, v33, v24
	v_sub_f32_e32 v28, v29, v28
	v_mul_f32_e32 v24, v26, v24
	v_add_f32_e32 v24, v28, v24
	v_add_f32_e32 v26, v27, v24
	v_mul_f32_e32 v28, v26, v26
	v_fmaak_f32 v29, s7, v28, 0x3ecc95a3
	v_mul_f32_e32 v30, v26, v28
	v_cmp_neq_f32_e64 s7, 0x7f800000, v25
	v_fmaak_f32 v28, v28, v29, 0x3f2aaada
	v_ldexp_f32 v29, v26, 1
	v_sub_f32_e32 v26, v26, v27
	v_mul_f32_e32 v28, v30, v28
	v_mul_f32_e32 v30, 0x3f317218, v23
	v_sub_f32_e32 v24, v24, v26
	v_add_f32_e32 v27, v29, v28
	v_ldexp_f32 v24, v24, 1
	v_sub_f32_e32 v26, v27, v29
	v_fma_f32 v29, 0x3f317218, v23, -v30
	v_sub_f32_e32 v26, v28, v26
	v_fmamk_f32 v23, v23, 0xb102e308, v29
	v_add_f32_e32 v24, v24, v26
	v_add_f32_e32 v26, v30, v23
	;; [unrolled: 1-line block ×3, first 2 shown]
	v_sub_f32_e32 v30, v26, v30
	v_add_f32_e32 v29, v26, v28
	v_sub_f32_e32 v27, v28, v27
	v_sub_f32_e32 v23, v23, v30
	;; [unrolled: 1-line block ×6, first 2 shown]
	v_add_f32_e32 v28, v23, v24
	v_sub_f32_e32 v26, v26, v32
	v_add_f32_e32 v26, v27, v26
	v_sub_f32_e32 v27, v28, v23
	;; [unrolled: 2-line block ×3, first 2 shown]
	v_sub_f32_e32 v24, v24, v27
	v_add_f32_e32 v30, v29, v26
	v_sub_f32_e32 v23, v23, v28
	v_sub_f32_e32 v27, v30, v29
	v_add_f32_e32 v23, v24, v23
	v_sub_f32_e32 v24, v26, v27
	v_add_f32_e32 v23, v23, v24
	v_add_f32_e32 v23, v30, v23
	v_cndmask_b32_e64 v23, 0x7f800000, v23, s7
	v_cmp_gt_f32_e64 s7, 0x33800000, |v25|
	v_cndmask_b32_e64 v23, v23, v25, s7
	v_add_f32_e32 v23, v22, v23
.LBB96_150:
	s_or_b32 exec_lo, exec_lo, s10
	v_mov_b32_e32 v22, v23
.LBB96_151:
	s_or_b32 exec_lo, exec_lo, s9
	v_mov_b32_dpp v23, v22 row_shr:2 row_mask:0xf bank_mask:0xf
	s_mov_b32 s9, exec_lo
	v_cmpx_lt_u32_e32 1, v21
	s_cbranch_execz .LBB96_155
; %bb.152:
	v_max_f32_e32 v24, v22, v22
	v_max_f32_e32 v25, v23, v23
	v_cmp_u_f32_e64 s7, v23, v23
	v_min_f32_e32 v26, v25, v24
	v_max_f32_e32 v24, v25, v24
	v_cndmask_b32_e64 v25, v26, v23, s7
	v_cndmask_b32_e64 v26, v24, v23, s7
	v_cmp_u_f32_e64 s7, v22, v22
	v_cndmask_b32_e64 v24, v25, v22, s7
	v_cndmask_b32_e64 v22, v26, v22, s7
	v_cmp_class_f32_e64 s10, v24, 0x1f8
	v_cmp_neq_f32_e64 s7, v24, v22
	s_or_b32 s7, s7, s10
	s_and_saveexec_b32 s10, s7
	s_cbranch_execz .LBB96_154
; %bb.153:
	v_sub_f32_e32 v23, v24, v22
	v_mul_f32_e32 v24, 0x3fb8aa3b, v23
	v_cmp_ngt_f32_e64 s7, 0xc2ce8ed0, v23
	v_fma_f32 v25, 0x3fb8aa3b, v23, -v24
	v_rndne_f32_e32 v26, v24
	v_fmamk_f32 v25, v23, 0x32a5705f, v25
	v_sub_f32_e32 v24, v24, v26
	v_add_f32_e32 v24, v24, v25
	v_cvt_i32_f32_e32 v25, v26
	v_exp_f32_e32 v24, v24
	v_ldexp_f32 v24, v24, v25
	v_cndmask_b32_e64 v24, 0, v24, s7
	v_cmp_nlt_f32_e64 s7, 0x42b17218, v23
	v_cndmask_b32_e64 v25, 0x7f800000, v24, s7
	v_add_f32_e32 v26, 1.0, v25
	v_cvt_f64_f32_e32 v[23:24], v26
	v_frexp_exp_i32_f64_e32 v23, v[23:24]
	v_frexp_mant_f32_e32 v24, v26
	v_cmp_gt_f32_e64 s7, 0x3f2aaaab, v24
	v_add_f32_e32 v24, -1.0, v26
	v_sub_f32_e32 v28, v24, v26
	v_sub_f32_e32 v24, v25, v24
	v_add_f32_e32 v28, 1.0, v28
	v_add_f32_e32 v24, v24, v28
	v_subrev_co_ci_u32_e64 v23, null, 0, v23, s7
	s_mov_b32 s7, 0x3e9b6dac
	v_sub_nc_u32_e32 v27, 0, v23
	v_cvt_f32_i32_e32 v23, v23
	v_ldexp_f32 v26, v26, v27
	v_ldexp_f32 v24, v24, v27
	v_add_f32_e32 v29, 1.0, v26
	v_add_f32_e32 v27, -1.0, v26
	v_add_f32_e32 v28, -1.0, v29
	v_add_f32_e32 v30, 1.0, v27
	v_sub_f32_e32 v28, v26, v28
	v_sub_f32_e32 v26, v26, v30
	v_add_f32_e32 v28, v24, v28
	v_add_f32_e32 v24, v24, v26
	;; [unrolled: 1-line block ×4, first 2 shown]
	v_rcp_f32_e32 v26, v30
	v_sub_f32_e32 v29, v29, v30
	v_sub_f32_e32 v27, v27, v31
	v_add_f32_e32 v28, v28, v29
	v_add_f32_e32 v24, v24, v27
	v_mul_f32_e32 v32, v31, v26
	v_mul_f32_e32 v33, v30, v32
	v_fma_f32 v29, v32, v30, -v33
	v_fmac_f32_e32 v29, v32, v28
	v_add_f32_e32 v34, v33, v29
	v_sub_f32_e32 v35, v31, v34
	v_sub_f32_e32 v27, v34, v33
	;; [unrolled: 1-line block ×5, first 2 shown]
	v_add_f32_e32 v24, v24, v31
	v_add_f32_e32 v24, v27, v24
	;; [unrolled: 1-line block ×3, first 2 shown]
	v_mul_f32_e32 v29, v26, v27
	v_sub_f32_e32 v34, v35, v27
	v_mul_f32_e32 v31, v30, v29
	v_add_f32_e32 v24, v24, v34
	v_fma_f32 v30, v29, v30, -v31
	v_fmac_f32_e32 v30, v29, v28
	v_add_f32_e32 v28, v31, v30
	v_sub_f32_e32 v33, v27, v28
	v_sub_f32_e32 v31, v28, v31
	;; [unrolled: 1-line block ×5, first 2 shown]
	v_add_f32_e32 v24, v24, v27
	v_add_f32_e32 v27, v32, v29
	;; [unrolled: 1-line block ×3, first 2 shown]
	v_sub_f32_e32 v28, v27, v32
	v_add_f32_e32 v24, v33, v24
	v_sub_f32_e32 v28, v29, v28
	v_mul_f32_e32 v24, v26, v24
	v_add_f32_e32 v24, v28, v24
	v_add_f32_e32 v26, v27, v24
	v_mul_f32_e32 v28, v26, v26
	v_fmaak_f32 v29, s7, v28, 0x3ecc95a3
	v_mul_f32_e32 v30, v26, v28
	v_cmp_neq_f32_e64 s7, 0x7f800000, v25
	v_fmaak_f32 v28, v28, v29, 0x3f2aaada
	v_ldexp_f32 v29, v26, 1
	v_sub_f32_e32 v26, v26, v27
	v_mul_f32_e32 v28, v30, v28
	v_mul_f32_e32 v30, 0x3f317218, v23
	v_sub_f32_e32 v24, v24, v26
	v_add_f32_e32 v27, v29, v28
	v_ldexp_f32 v24, v24, 1
	v_sub_f32_e32 v26, v27, v29
	v_fma_f32 v29, 0x3f317218, v23, -v30
	v_sub_f32_e32 v26, v28, v26
	v_fmamk_f32 v23, v23, 0xb102e308, v29
	v_add_f32_e32 v24, v24, v26
	v_add_f32_e32 v26, v30, v23
	;; [unrolled: 1-line block ×3, first 2 shown]
	v_sub_f32_e32 v30, v26, v30
	v_add_f32_e32 v29, v26, v28
	v_sub_f32_e32 v27, v28, v27
	v_sub_f32_e32 v23, v23, v30
	v_sub_f32_e32 v31, v29, v26
	v_sub_f32_e32 v24, v24, v27
	v_sub_f32_e32 v32, v29, v31
	v_sub_f32_e32 v27, v28, v31
	v_add_f32_e32 v28, v23, v24
	v_sub_f32_e32 v26, v26, v32
	v_add_f32_e32 v26, v27, v26
	v_sub_f32_e32 v27, v28, v23
	;; [unrolled: 2-line block ×3, first 2 shown]
	v_sub_f32_e32 v24, v24, v27
	v_add_f32_e32 v30, v29, v26
	v_sub_f32_e32 v23, v23, v28
	v_sub_f32_e32 v27, v30, v29
	v_add_f32_e32 v23, v24, v23
	v_sub_f32_e32 v24, v26, v27
	v_add_f32_e32 v23, v23, v24
	v_add_f32_e32 v23, v30, v23
	v_cndmask_b32_e64 v23, 0x7f800000, v23, s7
	v_cmp_gt_f32_e64 s7, 0x33800000, |v25|
	v_cndmask_b32_e64 v23, v23, v25, s7
	v_add_f32_e32 v23, v22, v23
.LBB96_154:
	s_or_b32 exec_lo, exec_lo, s10
	v_mov_b32_e32 v22, v23
.LBB96_155:
	s_or_b32 exec_lo, exec_lo, s9
	v_mov_b32_dpp v23, v22 row_shr:4 row_mask:0xf bank_mask:0xf
	s_mov_b32 s9, exec_lo
	v_cmpx_lt_u32_e32 3, v21
	s_cbranch_execz .LBB96_159
; %bb.156:
	v_max_f32_e32 v24, v22, v22
	v_max_f32_e32 v25, v23, v23
	v_cmp_u_f32_e64 s7, v23, v23
	v_min_f32_e32 v26, v25, v24
	v_max_f32_e32 v24, v25, v24
	v_cndmask_b32_e64 v25, v26, v23, s7
	v_cndmask_b32_e64 v26, v24, v23, s7
	v_cmp_u_f32_e64 s7, v22, v22
	v_cndmask_b32_e64 v24, v25, v22, s7
	v_cndmask_b32_e64 v22, v26, v22, s7
	v_cmp_class_f32_e64 s10, v24, 0x1f8
	v_cmp_neq_f32_e64 s7, v24, v22
	s_or_b32 s7, s7, s10
	s_and_saveexec_b32 s10, s7
	s_cbranch_execz .LBB96_158
; %bb.157:
	v_sub_f32_e32 v23, v24, v22
	v_mul_f32_e32 v24, 0x3fb8aa3b, v23
	v_cmp_ngt_f32_e64 s7, 0xc2ce8ed0, v23
	v_fma_f32 v25, 0x3fb8aa3b, v23, -v24
	v_rndne_f32_e32 v26, v24
	v_fmamk_f32 v25, v23, 0x32a5705f, v25
	v_sub_f32_e32 v24, v24, v26
	v_add_f32_e32 v24, v24, v25
	v_cvt_i32_f32_e32 v25, v26
	v_exp_f32_e32 v24, v24
	v_ldexp_f32 v24, v24, v25
	v_cndmask_b32_e64 v24, 0, v24, s7
	v_cmp_nlt_f32_e64 s7, 0x42b17218, v23
	v_cndmask_b32_e64 v25, 0x7f800000, v24, s7
	v_add_f32_e32 v26, 1.0, v25
	v_cvt_f64_f32_e32 v[23:24], v26
	v_frexp_exp_i32_f64_e32 v23, v[23:24]
	v_frexp_mant_f32_e32 v24, v26
	v_cmp_gt_f32_e64 s7, 0x3f2aaaab, v24
	v_add_f32_e32 v24, -1.0, v26
	v_sub_f32_e32 v28, v24, v26
	v_sub_f32_e32 v24, v25, v24
	v_add_f32_e32 v28, 1.0, v28
	v_add_f32_e32 v24, v24, v28
	v_subrev_co_ci_u32_e64 v23, null, 0, v23, s7
	s_mov_b32 s7, 0x3e9b6dac
	v_sub_nc_u32_e32 v27, 0, v23
	v_cvt_f32_i32_e32 v23, v23
	v_ldexp_f32 v26, v26, v27
	v_ldexp_f32 v24, v24, v27
	v_add_f32_e32 v29, 1.0, v26
	v_add_f32_e32 v27, -1.0, v26
	v_add_f32_e32 v28, -1.0, v29
	v_add_f32_e32 v30, 1.0, v27
	v_sub_f32_e32 v28, v26, v28
	v_sub_f32_e32 v26, v26, v30
	v_add_f32_e32 v28, v24, v28
	v_add_f32_e32 v24, v24, v26
	;; [unrolled: 1-line block ×4, first 2 shown]
	v_rcp_f32_e32 v26, v30
	v_sub_f32_e32 v29, v29, v30
	v_sub_f32_e32 v27, v27, v31
	v_add_f32_e32 v28, v28, v29
	v_add_f32_e32 v24, v24, v27
	v_mul_f32_e32 v32, v31, v26
	v_mul_f32_e32 v33, v30, v32
	v_fma_f32 v29, v32, v30, -v33
	v_fmac_f32_e32 v29, v32, v28
	v_add_f32_e32 v34, v33, v29
	v_sub_f32_e32 v35, v31, v34
	v_sub_f32_e32 v27, v34, v33
	;; [unrolled: 1-line block ×5, first 2 shown]
	v_add_f32_e32 v24, v24, v31
	v_add_f32_e32 v24, v27, v24
	;; [unrolled: 1-line block ×3, first 2 shown]
	v_mul_f32_e32 v29, v26, v27
	v_sub_f32_e32 v34, v35, v27
	v_mul_f32_e32 v31, v30, v29
	v_add_f32_e32 v24, v24, v34
	v_fma_f32 v30, v29, v30, -v31
	v_fmac_f32_e32 v30, v29, v28
	v_add_f32_e32 v28, v31, v30
	v_sub_f32_e32 v33, v27, v28
	v_sub_f32_e32 v31, v28, v31
	;; [unrolled: 1-line block ×5, first 2 shown]
	v_add_f32_e32 v24, v24, v27
	v_add_f32_e32 v27, v32, v29
	;; [unrolled: 1-line block ×3, first 2 shown]
	v_sub_f32_e32 v28, v27, v32
	v_add_f32_e32 v24, v33, v24
	v_sub_f32_e32 v28, v29, v28
	v_mul_f32_e32 v24, v26, v24
	v_add_f32_e32 v24, v28, v24
	v_add_f32_e32 v26, v27, v24
	v_mul_f32_e32 v28, v26, v26
	v_fmaak_f32 v29, s7, v28, 0x3ecc95a3
	v_mul_f32_e32 v30, v26, v28
	v_cmp_neq_f32_e64 s7, 0x7f800000, v25
	v_fmaak_f32 v28, v28, v29, 0x3f2aaada
	v_ldexp_f32 v29, v26, 1
	v_sub_f32_e32 v26, v26, v27
	v_mul_f32_e32 v28, v30, v28
	v_mul_f32_e32 v30, 0x3f317218, v23
	v_sub_f32_e32 v24, v24, v26
	v_add_f32_e32 v27, v29, v28
	v_ldexp_f32 v24, v24, 1
	v_sub_f32_e32 v26, v27, v29
	v_fma_f32 v29, 0x3f317218, v23, -v30
	v_sub_f32_e32 v26, v28, v26
	v_fmamk_f32 v23, v23, 0xb102e308, v29
	v_add_f32_e32 v24, v24, v26
	v_add_f32_e32 v26, v30, v23
	;; [unrolled: 1-line block ×3, first 2 shown]
	v_sub_f32_e32 v30, v26, v30
	v_add_f32_e32 v29, v26, v28
	v_sub_f32_e32 v27, v28, v27
	v_sub_f32_e32 v23, v23, v30
	v_sub_f32_e32 v31, v29, v26
	v_sub_f32_e32 v24, v24, v27
	v_sub_f32_e32 v32, v29, v31
	v_sub_f32_e32 v27, v28, v31
	v_add_f32_e32 v28, v23, v24
	v_sub_f32_e32 v26, v26, v32
	v_add_f32_e32 v26, v27, v26
	v_sub_f32_e32 v27, v28, v23
	;; [unrolled: 2-line block ×3, first 2 shown]
	v_sub_f32_e32 v24, v24, v27
	v_add_f32_e32 v30, v29, v26
	v_sub_f32_e32 v23, v23, v28
	v_sub_f32_e32 v27, v30, v29
	v_add_f32_e32 v23, v24, v23
	v_sub_f32_e32 v24, v26, v27
	v_add_f32_e32 v23, v23, v24
	v_add_f32_e32 v23, v30, v23
	v_cndmask_b32_e64 v23, 0x7f800000, v23, s7
	v_cmp_gt_f32_e64 s7, 0x33800000, |v25|
	v_cndmask_b32_e64 v23, v23, v25, s7
	v_add_f32_e32 v23, v22, v23
.LBB96_158:
	s_or_b32 exec_lo, exec_lo, s10
	v_mov_b32_e32 v22, v23
.LBB96_159:
	s_or_b32 exec_lo, exec_lo, s9
	v_mov_b32_dpp v23, v22 row_shr:8 row_mask:0xf bank_mask:0xf
	s_mov_b32 s9, exec_lo
	v_cmpx_lt_u32_e32 7, v21
	s_cbranch_execz .LBB96_163
; %bb.160:
	v_max_f32_e32 v21, v22, v22
	v_max_f32_e32 v24, v23, v23
	v_cmp_u_f32_e64 s7, v23, v23
	v_min_f32_e32 v25, v24, v21
	v_max_f32_e32 v21, v24, v21
	v_cndmask_b32_e64 v24, v25, v23, s7
	v_cndmask_b32_e64 v21, v21, v23, s7
	v_cmp_u_f32_e64 s7, v22, v22
	v_cndmask_b32_e64 v24, v24, v22, s7
	v_cndmask_b32_e64 v21, v21, v22, s7
	v_cmp_class_f32_e64 s10, v24, 0x1f8
	v_cmp_neq_f32_e64 s7, v24, v21
	s_or_b32 s7, s7, s10
	s_and_saveexec_b32 s10, s7
	s_cbranch_execz .LBB96_162
; %bb.161:
	v_sub_f32_e32 v22, v24, v21
	v_mul_f32_e32 v23, 0x3fb8aa3b, v22
	v_cmp_ngt_f32_e64 s7, 0xc2ce8ed0, v22
	v_fma_f32 v24, 0x3fb8aa3b, v22, -v23
	v_rndne_f32_e32 v25, v23
	v_fmamk_f32 v24, v22, 0x32a5705f, v24
	v_sub_f32_e32 v23, v23, v25
	v_add_f32_e32 v23, v23, v24
	v_cvt_i32_f32_e32 v24, v25
	v_exp_f32_e32 v23, v23
	v_ldexp_f32 v23, v23, v24
	v_cndmask_b32_e64 v23, 0, v23, s7
	v_cmp_nlt_f32_e64 s7, 0x42b17218, v22
	v_cndmask_b32_e64 v24, 0x7f800000, v23, s7
	v_add_f32_e32 v25, 1.0, v24
	v_cvt_f64_f32_e32 v[22:23], v25
	v_frexp_exp_i32_f64_e32 v22, v[22:23]
	v_frexp_mant_f32_e32 v23, v25
	v_cmp_gt_f32_e64 s7, 0x3f2aaaab, v23
	v_add_f32_e32 v23, -1.0, v25
	v_sub_f32_e32 v27, v23, v25
	v_sub_f32_e32 v23, v24, v23
	v_add_f32_e32 v27, 1.0, v27
	v_add_f32_e32 v23, v23, v27
	v_subrev_co_ci_u32_e64 v22, null, 0, v22, s7
	s_mov_b32 s7, 0x3e9b6dac
	v_sub_nc_u32_e32 v26, 0, v22
	v_cvt_f32_i32_e32 v22, v22
	v_ldexp_f32 v25, v25, v26
	v_ldexp_f32 v23, v23, v26
	v_add_f32_e32 v28, 1.0, v25
	v_add_f32_e32 v26, -1.0, v25
	v_add_f32_e32 v27, -1.0, v28
	v_add_f32_e32 v29, 1.0, v26
	v_sub_f32_e32 v27, v25, v27
	v_sub_f32_e32 v25, v25, v29
	v_add_f32_e32 v27, v23, v27
	v_add_f32_e32 v23, v23, v25
	;; [unrolled: 1-line block ×4, first 2 shown]
	v_rcp_f32_e32 v25, v29
	v_sub_f32_e32 v28, v28, v29
	v_sub_f32_e32 v26, v26, v30
	v_add_f32_e32 v27, v27, v28
	v_add_f32_e32 v23, v23, v26
	v_mul_f32_e32 v31, v30, v25
	v_mul_f32_e32 v32, v29, v31
	v_fma_f32 v28, v31, v29, -v32
	v_fmac_f32_e32 v28, v31, v27
	v_add_f32_e32 v33, v32, v28
	v_sub_f32_e32 v34, v30, v33
	v_sub_f32_e32 v26, v33, v32
	;; [unrolled: 1-line block ×5, first 2 shown]
	v_add_f32_e32 v23, v23, v30
	v_add_f32_e32 v23, v26, v23
	;; [unrolled: 1-line block ×3, first 2 shown]
	v_mul_f32_e32 v28, v25, v26
	v_sub_f32_e32 v33, v34, v26
	v_mul_f32_e32 v30, v29, v28
	v_add_f32_e32 v23, v23, v33
	v_fma_f32 v29, v28, v29, -v30
	v_fmac_f32_e32 v29, v28, v27
	v_add_f32_e32 v27, v30, v29
	v_sub_f32_e32 v32, v26, v27
	v_sub_f32_e32 v30, v27, v30
	;; [unrolled: 1-line block ×5, first 2 shown]
	v_add_f32_e32 v23, v23, v26
	v_add_f32_e32 v26, v31, v28
	v_add_f32_e32 v23, v27, v23
	v_sub_f32_e32 v27, v26, v31
	v_add_f32_e32 v23, v32, v23
	v_sub_f32_e32 v27, v28, v27
	v_mul_f32_e32 v23, v25, v23
	v_add_f32_e32 v23, v27, v23
	v_add_f32_e32 v25, v26, v23
	v_mul_f32_e32 v27, v25, v25
	v_fmaak_f32 v28, s7, v27, 0x3ecc95a3
	v_mul_f32_e32 v29, v25, v27
	v_cmp_neq_f32_e64 s7, 0x7f800000, v24
	v_fmaak_f32 v27, v27, v28, 0x3f2aaada
	v_ldexp_f32 v28, v25, 1
	v_sub_f32_e32 v25, v25, v26
	v_mul_f32_e32 v27, v29, v27
	v_mul_f32_e32 v29, 0x3f317218, v22
	v_sub_f32_e32 v23, v23, v25
	v_add_f32_e32 v26, v28, v27
	v_ldexp_f32 v23, v23, 1
	v_sub_f32_e32 v25, v26, v28
	v_fma_f32 v28, 0x3f317218, v22, -v29
	v_sub_f32_e32 v25, v27, v25
	v_fmamk_f32 v22, v22, 0xb102e308, v28
	v_add_f32_e32 v23, v23, v25
	v_add_f32_e32 v25, v29, v22
	;; [unrolled: 1-line block ×3, first 2 shown]
	v_sub_f32_e32 v29, v25, v29
	v_add_f32_e32 v28, v25, v27
	v_sub_f32_e32 v26, v27, v26
	v_sub_f32_e32 v22, v22, v29
	;; [unrolled: 1-line block ×6, first 2 shown]
	v_add_f32_e32 v27, v22, v23
	v_sub_f32_e32 v25, v25, v31
	v_add_f32_e32 v25, v26, v25
	v_sub_f32_e32 v26, v27, v22
	;; [unrolled: 2-line block ×3, first 2 shown]
	v_sub_f32_e32 v23, v23, v26
	v_add_f32_e32 v29, v28, v25
	v_sub_f32_e32 v22, v22, v27
	v_sub_f32_e32 v26, v29, v28
	v_add_f32_e32 v22, v23, v22
	v_sub_f32_e32 v23, v25, v26
	v_add_f32_e32 v22, v22, v23
	v_add_f32_e32 v22, v29, v22
	v_cndmask_b32_e64 v22, 0x7f800000, v22, s7
	v_cmp_gt_f32_e64 s7, 0x33800000, |v24|
	v_cndmask_b32_e64 v22, v22, v24, s7
	v_add_f32_e32 v23, v21, v22
.LBB96_162:
	s_or_b32 exec_lo, exec_lo, s10
	v_mov_b32_e32 v22, v23
.LBB96_163:
	s_or_b32 exec_lo, exec_lo, s9
	ds_swizzle_b32 v23, v22 offset:swizzle(BROADCAST,32,15)
	v_and_b32_e32 v21, 16, v5
	s_mov_b32 s9, exec_lo
	v_cmpx_ne_u32_e32 0, v21
	s_cbranch_execz .LBB96_167
; %bb.164:
	v_max_f32_e32 v21, v22, v22
	s_waitcnt lgkmcnt(0)
	v_max_f32_e32 v24, v23, v23
	v_cmp_u_f32_e64 s7, v23, v23
	v_min_f32_e32 v25, v24, v21
	v_max_f32_e32 v21, v24, v21
	v_cndmask_b32_e64 v24, v25, v23, s7
	v_cndmask_b32_e64 v21, v21, v23, s7
	v_cmp_u_f32_e64 s7, v22, v22
	v_cndmask_b32_e64 v24, v24, v22, s7
	v_cndmask_b32_e64 v21, v21, v22, s7
	v_cmp_class_f32_e64 s10, v24, 0x1f8
	v_cmp_neq_f32_e64 s7, v24, v21
	s_or_b32 s7, s7, s10
	s_and_saveexec_b32 s10, s7
	s_cbranch_execz .LBB96_166
; %bb.165:
	v_sub_f32_e32 v22, v24, v21
	v_mul_f32_e32 v23, 0x3fb8aa3b, v22
	v_cmp_ngt_f32_e64 s7, 0xc2ce8ed0, v22
	v_fma_f32 v24, 0x3fb8aa3b, v22, -v23
	v_rndne_f32_e32 v25, v23
	v_fmamk_f32 v24, v22, 0x32a5705f, v24
	v_sub_f32_e32 v23, v23, v25
	v_add_f32_e32 v23, v23, v24
	v_cvt_i32_f32_e32 v24, v25
	v_exp_f32_e32 v23, v23
	v_ldexp_f32 v23, v23, v24
	v_cndmask_b32_e64 v23, 0, v23, s7
	v_cmp_nlt_f32_e64 s7, 0x42b17218, v22
	v_cndmask_b32_e64 v24, 0x7f800000, v23, s7
	v_add_f32_e32 v25, 1.0, v24
	v_cvt_f64_f32_e32 v[22:23], v25
	v_frexp_exp_i32_f64_e32 v22, v[22:23]
	v_frexp_mant_f32_e32 v23, v25
	v_cmp_gt_f32_e64 s7, 0x3f2aaaab, v23
	v_add_f32_e32 v23, -1.0, v25
	v_sub_f32_e32 v27, v23, v25
	v_sub_f32_e32 v23, v24, v23
	v_add_f32_e32 v27, 1.0, v27
	v_add_f32_e32 v23, v23, v27
	v_subrev_co_ci_u32_e64 v22, null, 0, v22, s7
	s_mov_b32 s7, 0x3e9b6dac
	v_sub_nc_u32_e32 v26, 0, v22
	v_cvt_f32_i32_e32 v22, v22
	v_ldexp_f32 v25, v25, v26
	v_ldexp_f32 v23, v23, v26
	v_add_f32_e32 v28, 1.0, v25
	v_add_f32_e32 v26, -1.0, v25
	v_add_f32_e32 v27, -1.0, v28
	v_add_f32_e32 v29, 1.0, v26
	v_sub_f32_e32 v27, v25, v27
	v_sub_f32_e32 v25, v25, v29
	v_add_f32_e32 v27, v23, v27
	v_add_f32_e32 v23, v23, v25
	;; [unrolled: 1-line block ×4, first 2 shown]
	v_rcp_f32_e32 v25, v29
	v_sub_f32_e32 v28, v28, v29
	v_sub_f32_e32 v26, v26, v30
	v_add_f32_e32 v27, v27, v28
	v_add_f32_e32 v23, v23, v26
	v_mul_f32_e32 v31, v30, v25
	v_mul_f32_e32 v32, v29, v31
	v_fma_f32 v28, v31, v29, -v32
	v_fmac_f32_e32 v28, v31, v27
	v_add_f32_e32 v33, v32, v28
	v_sub_f32_e32 v34, v30, v33
	v_sub_f32_e32 v26, v33, v32
	;; [unrolled: 1-line block ×5, first 2 shown]
	v_add_f32_e32 v23, v23, v30
	v_add_f32_e32 v23, v26, v23
	;; [unrolled: 1-line block ×3, first 2 shown]
	v_mul_f32_e32 v28, v25, v26
	v_sub_f32_e32 v33, v34, v26
	v_mul_f32_e32 v30, v29, v28
	v_add_f32_e32 v23, v23, v33
	v_fma_f32 v29, v28, v29, -v30
	v_fmac_f32_e32 v29, v28, v27
	v_add_f32_e32 v27, v30, v29
	v_sub_f32_e32 v32, v26, v27
	v_sub_f32_e32 v30, v27, v30
	;; [unrolled: 1-line block ×5, first 2 shown]
	v_add_f32_e32 v23, v23, v26
	v_add_f32_e32 v26, v31, v28
	;; [unrolled: 1-line block ×3, first 2 shown]
	v_sub_f32_e32 v27, v26, v31
	v_add_f32_e32 v23, v32, v23
	v_sub_f32_e32 v27, v28, v27
	v_mul_f32_e32 v23, v25, v23
	v_add_f32_e32 v23, v27, v23
	v_add_f32_e32 v25, v26, v23
	v_mul_f32_e32 v27, v25, v25
	v_fmaak_f32 v28, s7, v27, 0x3ecc95a3
	v_mul_f32_e32 v29, v25, v27
	v_cmp_neq_f32_e64 s7, 0x7f800000, v24
	v_fmaak_f32 v27, v27, v28, 0x3f2aaada
	v_ldexp_f32 v28, v25, 1
	v_sub_f32_e32 v25, v25, v26
	v_mul_f32_e32 v27, v29, v27
	v_mul_f32_e32 v29, 0x3f317218, v22
	v_sub_f32_e32 v23, v23, v25
	v_add_f32_e32 v26, v28, v27
	v_ldexp_f32 v23, v23, 1
	v_sub_f32_e32 v25, v26, v28
	v_fma_f32 v28, 0x3f317218, v22, -v29
	v_sub_f32_e32 v25, v27, v25
	v_fmamk_f32 v22, v22, 0xb102e308, v28
	v_add_f32_e32 v23, v23, v25
	v_add_f32_e32 v25, v29, v22
	;; [unrolled: 1-line block ×3, first 2 shown]
	v_sub_f32_e32 v29, v25, v29
	v_add_f32_e32 v28, v25, v27
	v_sub_f32_e32 v26, v27, v26
	v_sub_f32_e32 v22, v22, v29
	;; [unrolled: 1-line block ×6, first 2 shown]
	v_add_f32_e32 v27, v22, v23
	v_sub_f32_e32 v25, v25, v31
	v_add_f32_e32 v25, v26, v25
	v_sub_f32_e32 v26, v27, v22
	;; [unrolled: 2-line block ×3, first 2 shown]
	v_sub_f32_e32 v23, v23, v26
	v_add_f32_e32 v29, v28, v25
	v_sub_f32_e32 v22, v22, v27
	v_sub_f32_e32 v26, v29, v28
	v_add_f32_e32 v22, v23, v22
	v_sub_f32_e32 v23, v25, v26
	v_add_f32_e32 v22, v22, v23
	v_add_f32_e32 v22, v29, v22
	v_cndmask_b32_e64 v22, 0x7f800000, v22, s7
	v_cmp_gt_f32_e64 s7, 0x33800000, |v24|
	v_cndmask_b32_e64 v22, v22, v24, s7
	v_add_f32_e32 v23, v21, v22
.LBB96_166:
	s_or_b32 exec_lo, exec_lo, s10
	v_mov_b32_e32 v22, v23
.LBB96_167:
	s_or_b32 exec_lo, exec_lo, s9
	v_add_nc_u32_e32 v21, -1, v5
	v_cmp_gt_i32_e64 s7, 0, v21
	v_cndmask_b32_e64 v5, v21, v5, s7
	v_lshlrev_b32_e32 v5, 2, v5
	ds_bpermute_b32 v5, v5, v22
	s_waitcnt lgkmcnt(0)
	v_max_f32_e32 v21, v5, v5
	v_cmp_u_f32_e64 s7, v5, v5
	v_min_f32_e32 v22, v21, v20
	v_max_f32_e32 v20, v21, v20
	v_cndmask_b32_e64 v21, v22, v5, s7
	v_cndmask_b32_e64 v22, v20, v5, s7
	v_cndmask_b32_e64 v20, v21, v4, s6
	v_cndmask_b32_e64 v4, v22, v4, s6
	v_cmp_class_f32_e64 s7, v20, 0x1f8
	v_cmp_neq_f32_e64 s6, v20, v4
	s_or_b32 s6, s6, s7
	s_and_saveexec_b32 s7, s6
	s_cbranch_execz .LBB96_169
; %bb.168:
	v_sub_f32_e32 v5, v20, v4
	v_mul_f32_e32 v20, 0x3fb8aa3b, v5
	v_cmp_ngt_f32_e64 s6, 0xc2ce8ed0, v5
	v_fma_f32 v21, 0x3fb8aa3b, v5, -v20
	v_rndne_f32_e32 v22, v20
	v_fmamk_f32 v21, v5, 0x32a5705f, v21
	v_sub_f32_e32 v20, v20, v22
	v_add_f32_e32 v20, v20, v21
	v_cvt_i32_f32_e32 v21, v22
	v_exp_f32_e32 v20, v20
	v_ldexp_f32 v20, v20, v21
	v_cndmask_b32_e64 v20, 0, v20, s6
	v_cmp_nlt_f32_e64 s6, 0x42b17218, v5
	v_cndmask_b32_e64 v5, 0x7f800000, v20, s6
	v_add_f32_e32 v22, 1.0, v5
	v_cvt_f64_f32_e32 v[20:21], v22
	v_frexp_exp_i32_f64_e32 v20, v[20:21]
	v_frexp_mant_f32_e32 v21, v22
	v_cmp_gt_f32_e64 s6, 0x3f2aaaab, v21
	v_add_f32_e32 v21, -1.0, v22
	v_sub_f32_e32 v24, v21, v22
	v_sub_f32_e32 v21, v5, v21
	v_add_f32_e32 v24, 1.0, v24
	v_add_f32_e32 v21, v21, v24
	v_subrev_co_ci_u32_e64 v20, null, 0, v20, s6
	s_mov_b32 s6, 0x3e9b6dac
	v_sub_nc_u32_e32 v23, 0, v20
	v_cvt_f32_i32_e32 v20, v20
	v_ldexp_f32 v22, v22, v23
	v_ldexp_f32 v21, v21, v23
	v_add_f32_e32 v25, 1.0, v22
	v_add_f32_e32 v23, -1.0, v22
	v_add_f32_e32 v24, -1.0, v25
	v_add_f32_e32 v26, 1.0, v23
	v_sub_f32_e32 v24, v22, v24
	v_sub_f32_e32 v22, v22, v26
	v_add_f32_e32 v24, v21, v24
	v_add_f32_e32 v21, v21, v22
	;; [unrolled: 1-line block ×4, first 2 shown]
	v_rcp_f32_e32 v22, v26
	v_sub_f32_e32 v25, v25, v26
	v_sub_f32_e32 v23, v23, v27
	v_add_f32_e32 v24, v24, v25
	v_add_f32_e32 v21, v21, v23
	v_mul_f32_e32 v28, v27, v22
	v_mul_f32_e32 v29, v26, v28
	v_fma_f32 v25, v28, v26, -v29
	v_fmac_f32_e32 v25, v28, v24
	v_add_f32_e32 v30, v29, v25
	v_sub_f32_e32 v31, v27, v30
	v_sub_f32_e32 v23, v30, v29
	;; [unrolled: 1-line block ×5, first 2 shown]
	v_add_f32_e32 v21, v21, v27
	v_add_f32_e32 v21, v23, v21
	;; [unrolled: 1-line block ×3, first 2 shown]
	v_mul_f32_e32 v25, v22, v23
	v_sub_f32_e32 v30, v31, v23
	v_mul_f32_e32 v27, v26, v25
	v_add_f32_e32 v21, v21, v30
	v_fma_f32 v26, v25, v26, -v27
	v_fmac_f32_e32 v26, v25, v24
	v_add_f32_e32 v24, v27, v26
	v_sub_f32_e32 v29, v23, v24
	v_sub_f32_e32 v27, v24, v27
	;; [unrolled: 1-line block ×5, first 2 shown]
	v_add_f32_e32 v21, v21, v23
	v_add_f32_e32 v23, v28, v25
	;; [unrolled: 1-line block ×3, first 2 shown]
	v_sub_f32_e32 v24, v23, v28
	v_add_f32_e32 v21, v29, v21
	v_sub_f32_e32 v24, v25, v24
	v_mul_f32_e32 v21, v22, v21
	v_add_f32_e32 v21, v24, v21
	v_add_f32_e32 v22, v23, v21
	v_mul_f32_e32 v24, v22, v22
	v_fmaak_f32 v25, s6, v24, 0x3ecc95a3
	v_mul_f32_e32 v26, v22, v24
	v_cmp_neq_f32_e64 s6, 0x7f800000, v5
	v_fmaak_f32 v24, v24, v25, 0x3f2aaada
	v_ldexp_f32 v25, v22, 1
	v_sub_f32_e32 v22, v22, v23
	v_mul_f32_e32 v24, v26, v24
	v_mul_f32_e32 v26, 0x3f317218, v20
	v_sub_f32_e32 v21, v21, v22
	v_add_f32_e32 v23, v25, v24
	v_ldexp_f32 v21, v21, 1
	v_sub_f32_e32 v22, v23, v25
	v_fma_f32 v25, 0x3f317218, v20, -v26
	v_sub_f32_e32 v22, v24, v22
	v_fmamk_f32 v20, v20, 0xb102e308, v25
	v_add_f32_e32 v21, v21, v22
	v_add_f32_e32 v22, v26, v20
	;; [unrolled: 1-line block ×3, first 2 shown]
	v_sub_f32_e32 v26, v22, v26
	v_add_f32_e32 v25, v22, v24
	v_sub_f32_e32 v23, v24, v23
	v_sub_f32_e32 v20, v20, v26
	;; [unrolled: 1-line block ×6, first 2 shown]
	v_add_f32_e32 v24, v20, v21
	v_sub_f32_e32 v22, v22, v28
	v_add_f32_e32 v22, v23, v22
	v_sub_f32_e32 v23, v24, v20
	;; [unrolled: 2-line block ×3, first 2 shown]
	v_sub_f32_e32 v21, v21, v23
	v_add_f32_e32 v26, v25, v22
	v_sub_f32_e32 v20, v20, v24
	v_sub_f32_e32 v23, v26, v25
	v_add_f32_e32 v20, v21, v20
	v_sub_f32_e32 v21, v22, v23
	v_add_f32_e32 v20, v20, v21
	v_add_f32_e32 v20, v26, v20
	v_cndmask_b32_e64 v20, 0x7f800000, v20, s6
	v_cmp_gt_f32_e64 s6, 0x33800000, |v5|
	v_cndmask_b32_e64 v5, v20, v5, s6
	v_add_f32_e32 v5, v4, v5
.LBB96_169:
	s_or_b32 exec_lo, exec_lo, s7
	v_cndmask_b32_e64 v5, v5, v19, s5
	; wave barrier
	ds_write_b32 v18, v5
	; wave barrier
	ds_read_b32 v4, v18 offset:4
	v_max_f32_e32 v19, v5, v5
	v_cmp_u_f32_e64 s5, v5, v5
	s_waitcnt lgkmcnt(0)
	v_max_f32_e32 v20, v4, v4
	v_min_f32_e32 v21, v19, v20
	v_max_f32_e32 v19, v19, v20
	v_cndmask_b32_e64 v20, v21, v5, s5
	v_cndmask_b32_e64 v21, v19, v5, s5
	v_cmp_u_f32_e64 s5, v4, v4
	v_cndmask_b32_e64 v19, v20, v4, s5
	v_cndmask_b32_e64 v4, v21, v4, s5
	v_cmp_class_f32_e64 s6, v19, 0x1f8
	v_cmp_neq_f32_e64 s5, v19, v4
	s_or_b32 s5, s5, s6
	s_and_saveexec_b32 s6, s5
	s_cbranch_execz .LBB96_171
; %bb.170:
	v_sub_f32_e32 v5, v19, v4
	v_mul_f32_e32 v19, 0x3fb8aa3b, v5
	v_cmp_ngt_f32_e64 s5, 0xc2ce8ed0, v5
	v_fma_f32 v20, 0x3fb8aa3b, v5, -v19
	v_rndne_f32_e32 v21, v19
	v_fmamk_f32 v20, v5, 0x32a5705f, v20
	v_sub_f32_e32 v19, v19, v21
	v_add_f32_e32 v19, v19, v20
	v_cvt_i32_f32_e32 v20, v21
	v_exp_f32_e32 v19, v19
	v_ldexp_f32 v19, v19, v20
	v_cndmask_b32_e64 v19, 0, v19, s5
	v_cmp_nlt_f32_e64 s5, 0x42b17218, v5
	v_cndmask_b32_e64 v5, 0x7f800000, v19, s5
	v_add_f32_e32 v21, 1.0, v5
	v_cvt_f64_f32_e32 v[19:20], v21
	v_frexp_exp_i32_f64_e32 v19, v[19:20]
	v_frexp_mant_f32_e32 v20, v21
	v_cmp_gt_f32_e64 s5, 0x3f2aaaab, v20
	v_add_f32_e32 v20, -1.0, v21
	v_sub_f32_e32 v23, v20, v21
	v_sub_f32_e32 v20, v5, v20
	v_add_f32_e32 v23, 1.0, v23
	v_add_f32_e32 v20, v20, v23
	v_subrev_co_ci_u32_e64 v19, null, 0, v19, s5
	s_mov_b32 s5, 0x3e9b6dac
	v_sub_nc_u32_e32 v22, 0, v19
	v_cvt_f32_i32_e32 v19, v19
	v_ldexp_f32 v21, v21, v22
	v_ldexp_f32 v20, v20, v22
	v_add_f32_e32 v24, 1.0, v21
	v_add_f32_e32 v22, -1.0, v21
	v_add_f32_e32 v23, -1.0, v24
	v_add_f32_e32 v25, 1.0, v22
	v_sub_f32_e32 v23, v21, v23
	v_sub_f32_e32 v21, v21, v25
	v_add_f32_e32 v23, v20, v23
	v_add_f32_e32 v20, v20, v21
	;; [unrolled: 1-line block ×4, first 2 shown]
	v_rcp_f32_e32 v21, v25
	v_sub_f32_e32 v24, v24, v25
	v_sub_f32_e32 v22, v22, v26
	v_add_f32_e32 v23, v23, v24
	v_add_f32_e32 v20, v20, v22
	v_mul_f32_e32 v27, v26, v21
	v_mul_f32_e32 v28, v25, v27
	v_fma_f32 v24, v27, v25, -v28
	v_fmac_f32_e32 v24, v27, v23
	v_add_f32_e32 v29, v28, v24
	v_sub_f32_e32 v30, v26, v29
	v_sub_f32_e32 v22, v29, v28
	;; [unrolled: 1-line block ×5, first 2 shown]
	v_add_f32_e32 v20, v20, v26
	v_add_f32_e32 v20, v22, v20
	;; [unrolled: 1-line block ×3, first 2 shown]
	v_mul_f32_e32 v24, v21, v22
	v_sub_f32_e32 v29, v30, v22
	v_mul_f32_e32 v26, v25, v24
	v_add_f32_e32 v20, v20, v29
	v_fma_f32 v25, v24, v25, -v26
	v_fmac_f32_e32 v25, v24, v23
	v_add_f32_e32 v23, v26, v25
	v_sub_f32_e32 v28, v22, v23
	v_sub_f32_e32 v26, v23, v26
	;; [unrolled: 1-line block ×5, first 2 shown]
	v_add_f32_e32 v20, v20, v22
	v_add_f32_e32 v22, v27, v24
	;; [unrolled: 1-line block ×3, first 2 shown]
	v_sub_f32_e32 v23, v22, v27
	v_add_f32_e32 v20, v28, v20
	v_sub_f32_e32 v23, v24, v23
	v_mul_f32_e32 v20, v21, v20
	v_add_f32_e32 v20, v23, v20
	v_add_f32_e32 v21, v22, v20
	v_mul_f32_e32 v23, v21, v21
	v_fmaak_f32 v24, s5, v23, 0x3ecc95a3
	v_mul_f32_e32 v25, v21, v23
	v_cmp_neq_f32_e64 s5, 0x7f800000, v5
	v_fmaak_f32 v23, v23, v24, 0x3f2aaada
	v_ldexp_f32 v24, v21, 1
	v_sub_f32_e32 v21, v21, v22
	v_mul_f32_e32 v23, v25, v23
	v_mul_f32_e32 v25, 0x3f317218, v19
	v_sub_f32_e32 v20, v20, v21
	v_add_f32_e32 v22, v24, v23
	v_ldexp_f32 v20, v20, 1
	v_sub_f32_e32 v21, v22, v24
	v_fma_f32 v24, 0x3f317218, v19, -v25
	v_sub_f32_e32 v21, v23, v21
	v_fmamk_f32 v19, v19, 0xb102e308, v24
	v_add_f32_e32 v20, v20, v21
	v_add_f32_e32 v21, v25, v19
	;; [unrolled: 1-line block ×3, first 2 shown]
	v_sub_f32_e32 v25, v21, v25
	v_add_f32_e32 v24, v21, v23
	v_sub_f32_e32 v22, v23, v22
	v_sub_f32_e32 v19, v19, v25
	;; [unrolled: 1-line block ×6, first 2 shown]
	v_add_f32_e32 v23, v19, v20
	v_sub_f32_e32 v21, v21, v27
	v_add_f32_e32 v21, v22, v21
	v_sub_f32_e32 v22, v23, v19
	;; [unrolled: 2-line block ×3, first 2 shown]
	v_sub_f32_e32 v20, v20, v22
	v_add_f32_e32 v25, v24, v21
	v_sub_f32_e32 v19, v19, v23
	v_sub_f32_e32 v22, v25, v24
	v_add_f32_e32 v19, v20, v19
	v_sub_f32_e32 v20, v21, v22
	v_add_f32_e32 v19, v19, v20
	v_add_f32_e32 v19, v25, v19
	v_cndmask_b32_e64 v19, 0x7f800000, v19, s5
	v_cmp_gt_f32_e64 s5, 0x33800000, |v5|
	v_cndmask_b32_e64 v5, v19, v5, s5
	v_add_f32_e32 v5, v4, v5
.LBB96_171:
	s_or_b32 exec_lo, exec_lo, s6
	ds_write_b32 v18, v5 offset:4
.LBB96_172:
	s_or_b32 exec_lo, exec_lo, s8
	s_waitcnt lgkmcnt(0)
	s_barrier
	buffer_gl0_inv
	s_and_saveexec_b32 s5, vcc_lo
	s_cbranch_execz .LBB96_176
; %bb.173:
	v_add_nc_u32_e32 v3, -1, v0
	v_lshrrev_b32_e32 v4, 3, v3
	v_and_b32_e32 v4, 0x1ffffffc, v4
	v_lshl_add_u32 v3, v3, 2, v4
	ds_read_b32 v3, v3
	s_waitcnt lgkmcnt(0)
	v_max_f32_e32 v4, v3, v3
	v_cmp_u_f32_e32 vcc_lo, v3, v3
	v_min_f32_e32 v5, v4, v13
	v_max_f32_e32 v4, v4, v13
	v_cndmask_b32_e32 v5, v5, v3, vcc_lo
	v_cndmask_b32_e32 v11, v4, v3, vcc_lo
	v_cndmask_b32_e64 v4, v5, v1, s4
	v_cndmask_b32_e64 v1, v11, v1, s4
	v_cmp_class_f32_e64 s4, v4, 0x1f8
	v_cmp_neq_f32_e32 vcc_lo, v4, v1
	s_or_b32 s6, vcc_lo, s4
	s_and_saveexec_b32 s4, s6
	s_cbranch_execz .LBB96_175
; %bb.174:
	v_sub_f32_e32 v3, v4, v1
	s_mov_b32 s6, 0x3e9b6dac
	v_mul_f32_e32 v4, 0x3fb8aa3b, v3
	v_cmp_ngt_f32_e32 vcc_lo, 0xc2ce8ed0, v3
	v_fma_f32 v5, 0x3fb8aa3b, v3, -v4
	v_rndne_f32_e32 v11, v4
	v_fmamk_f32 v5, v3, 0x32a5705f, v5
	v_sub_f32_e32 v4, v4, v11
	v_add_f32_e32 v4, v4, v5
	v_cvt_i32_f32_e32 v5, v11
	v_exp_f32_e32 v4, v4
	v_ldexp_f32 v4, v4, v5
	v_cndmask_b32_e32 v4, 0, v4, vcc_lo
	v_cmp_nlt_f32_e32 vcc_lo, 0x42b17218, v3
	v_cndmask_b32_e32 v5, 0x7f800000, v4, vcc_lo
	v_add_f32_e32 v11, 1.0, v5
	v_cvt_f64_f32_e32 v[3:4], v11
	v_frexp_exp_i32_f64_e32 v3, v[3:4]
	v_frexp_mant_f32_e32 v4, v11
	v_cmp_gt_f32_e32 vcc_lo, 0x3f2aaaab, v4
	v_add_f32_e32 v4, -1.0, v11
	v_sub_f32_e32 v13, v4, v11
	v_sub_f32_e32 v4, v5, v4
	v_add_f32_e32 v13, 1.0, v13
	v_add_f32_e32 v4, v4, v13
	v_subrev_co_ci_u32_e64 v3, null, 0, v3, vcc_lo
	v_cmp_neq_f32_e32 vcc_lo, 0x7f800000, v5
	v_sub_nc_u32_e32 v12, 0, v3
	v_cvt_f32_i32_e32 v3, v3
	v_ldexp_f32 v11, v11, v12
	v_ldexp_f32 v4, v4, v12
	v_add_f32_e32 v18, 1.0, v11
	v_add_f32_e32 v12, -1.0, v11
	v_add_f32_e32 v13, -1.0, v18
	v_add_f32_e32 v19, 1.0, v12
	v_sub_f32_e32 v13, v11, v13
	v_sub_f32_e32 v11, v11, v19
	v_add_f32_e32 v13, v4, v13
	v_add_f32_e32 v4, v4, v11
	v_add_f32_e32 v19, v18, v13
	v_add_f32_e32 v20, v12, v4
	v_rcp_f32_e32 v11, v19
	v_sub_f32_e32 v18, v18, v19
	v_sub_f32_e32 v12, v12, v20
	v_add_f32_e32 v13, v13, v18
	v_add_f32_e32 v4, v4, v12
	v_mul_f32_e32 v21, v20, v11
	v_mul_f32_e32 v22, v19, v21
	v_fma_f32 v18, v21, v19, -v22
	v_fmac_f32_e32 v18, v21, v13
	v_add_f32_e32 v23, v22, v18
	v_sub_f32_e32 v24, v20, v23
	v_sub_f32_e32 v12, v23, v22
	;; [unrolled: 1-line block ×5, first 2 shown]
	v_add_f32_e32 v4, v4, v20
	v_add_f32_e32 v4, v12, v4
	;; [unrolled: 1-line block ×3, first 2 shown]
	v_mul_f32_e32 v18, v11, v12
	v_sub_f32_e32 v23, v24, v12
	v_mul_f32_e32 v20, v19, v18
	v_add_f32_e32 v4, v4, v23
	v_fma_f32 v19, v18, v19, -v20
	v_fmac_f32_e32 v19, v18, v13
	v_add_f32_e32 v13, v20, v19
	v_sub_f32_e32 v22, v12, v13
	v_sub_f32_e32 v20, v13, v20
	;; [unrolled: 1-line block ×5, first 2 shown]
	v_add_f32_e32 v4, v4, v12
	v_add_f32_e32 v12, v21, v18
	;; [unrolled: 1-line block ×3, first 2 shown]
	v_sub_f32_e32 v13, v12, v21
	v_add_f32_e32 v4, v22, v4
	v_sub_f32_e32 v13, v18, v13
	v_mul_f32_e32 v4, v11, v4
	v_add_f32_e32 v4, v13, v4
	v_add_f32_e32 v11, v12, v4
	v_mul_f32_e32 v13, v11, v11
	v_fmaak_f32 v18, s6, v13, 0x3ecc95a3
	v_mul_f32_e32 v19, v11, v13
	v_fmaak_f32 v13, v13, v18, 0x3f2aaada
	v_ldexp_f32 v18, v11, 1
	v_sub_f32_e32 v11, v11, v12
	v_mul_f32_e32 v13, v19, v13
	v_mul_f32_e32 v19, 0x3f317218, v3
	v_sub_f32_e32 v4, v4, v11
	v_add_f32_e32 v12, v18, v13
	v_ldexp_f32 v4, v4, 1
	v_sub_f32_e32 v11, v12, v18
	v_fma_f32 v18, 0x3f317218, v3, -v19
	v_sub_f32_e32 v11, v13, v11
	v_fmamk_f32 v3, v3, 0xb102e308, v18
	v_add_f32_e32 v4, v4, v11
	v_add_f32_e32 v11, v19, v3
	;; [unrolled: 1-line block ×3, first 2 shown]
	v_sub_f32_e32 v19, v11, v19
	v_add_f32_e32 v18, v11, v13
	v_sub_f32_e32 v12, v13, v12
	v_sub_f32_e32 v3, v3, v19
	;; [unrolled: 1-line block ×6, first 2 shown]
	v_add_f32_e32 v13, v3, v4
	v_sub_f32_e32 v11, v11, v21
	v_add_f32_e32 v11, v12, v11
	v_sub_f32_e32 v12, v13, v3
	;; [unrolled: 2-line block ×3, first 2 shown]
	v_sub_f32_e32 v4, v4, v12
	v_add_f32_e32 v19, v18, v11
	v_sub_f32_e32 v3, v3, v13
	v_sub_f32_e32 v12, v19, v18
	v_add_f32_e32 v3, v4, v3
	v_sub_f32_e32 v4, v11, v12
	v_add_f32_e32 v3, v3, v4
	v_add_f32_e32 v3, v19, v3
	v_cndmask_b32_e32 v3, 0x7f800000, v3, vcc_lo
	v_cmp_gt_f32_e64 vcc_lo, 0x33800000, |v5|
	v_cndmask_b32_e32 v3, v3, v5, vcc_lo
	v_add_f32_e32 v3, v1, v3
.LBB96_175:
	s_or_b32 exec_lo, exec_lo, s4
	v_max_f32_e32 v1, v3, v3
	;;#ASMSTART
	;;#ASMEND
	v_min_f32_e32 v11, v1, v17
	v_max_f32_e32 v12, v1, v17
	v_mov_b32_e32 v1, v3
.LBB96_176:
	s_or_b32 exec_lo, exec_lo, s5
	v_cmp_u_f32_e32 vcc_lo, v1, v1
	v_cndmask_b32_e32 v4, v11, v1, vcc_lo
	v_cndmask_b32_e32 v5, v12, v1, vcc_lo
	v_cndmask_b32_e64 v4, v4, v2, s0
	v_cndmask_b32_e64 v2, v5, v2, s0
	v_cmp_class_f32_e64 s0, v4, 0x1f8
	v_cmp_neq_f32_e32 vcc_lo, v4, v2
	s_or_b32 s4, vcc_lo, s0
	s_and_saveexec_b32 s0, s4
	s_cbranch_execz .LBB96_178
; %bb.177:
	v_sub_f32_e32 v1, v4, v2
	s_mov_b32 s4, 0x3e9b6dac
	v_mul_f32_e32 v4, 0x3fb8aa3b, v1
	v_cmp_ngt_f32_e32 vcc_lo, 0xc2ce8ed0, v1
	v_fma_f32 v5, 0x3fb8aa3b, v1, -v4
	v_rndne_f32_e32 v11, v4
	v_fmamk_f32 v5, v1, 0x32a5705f, v5
	v_sub_f32_e32 v4, v4, v11
	v_add_f32_e32 v4, v4, v5
	v_cvt_i32_f32_e32 v5, v11
	v_exp_f32_e32 v4, v4
	v_ldexp_f32 v4, v4, v5
	v_cndmask_b32_e32 v4, 0, v4, vcc_lo
	v_cmp_nlt_f32_e32 vcc_lo, 0x42b17218, v1
	v_cndmask_b32_e32 v1, 0x7f800000, v4, vcc_lo
	v_add_f32_e32 v11, 1.0, v1
	v_cvt_f64_f32_e32 v[4:5], v11
	v_frexp_exp_i32_f64_e32 v4, v[4:5]
	v_frexp_mant_f32_e32 v5, v11
	v_cmp_gt_f32_e32 vcc_lo, 0x3f2aaaab, v5
	v_add_f32_e32 v5, -1.0, v11
	v_sub_f32_e32 v13, v5, v11
	v_sub_f32_e32 v5, v1, v5
	v_add_f32_e32 v13, 1.0, v13
	v_add_f32_e32 v5, v5, v13
	v_subrev_co_ci_u32_e64 v4, null, 0, v4, vcc_lo
	v_cmp_neq_f32_e32 vcc_lo, 0x7f800000, v1
	v_sub_nc_u32_e32 v12, 0, v4
	v_cvt_f32_i32_e32 v4, v4
	v_ldexp_f32 v11, v11, v12
	v_ldexp_f32 v5, v5, v12
	v_add_f32_e32 v17, 1.0, v11
	v_add_f32_e32 v12, -1.0, v11
	v_add_f32_e32 v13, -1.0, v17
	v_add_f32_e32 v18, 1.0, v12
	v_sub_f32_e32 v13, v11, v13
	v_sub_f32_e32 v11, v11, v18
	v_add_f32_e32 v13, v5, v13
	v_add_f32_e32 v5, v5, v11
	;; [unrolled: 1-line block ×4, first 2 shown]
	v_rcp_f32_e32 v11, v18
	v_sub_f32_e32 v17, v17, v18
	v_sub_f32_e32 v12, v12, v19
	v_add_f32_e32 v13, v13, v17
	v_add_f32_e32 v5, v5, v12
	v_mul_f32_e32 v20, v19, v11
	v_mul_f32_e32 v21, v18, v20
	v_fma_f32 v17, v20, v18, -v21
	v_fmac_f32_e32 v17, v20, v13
	v_add_f32_e32 v22, v21, v17
	v_sub_f32_e32 v23, v19, v22
	v_sub_f32_e32 v12, v22, v21
	;; [unrolled: 1-line block ×5, first 2 shown]
	v_add_f32_e32 v5, v5, v19
	v_add_f32_e32 v5, v12, v5
	;; [unrolled: 1-line block ×3, first 2 shown]
	v_mul_f32_e32 v17, v11, v12
	v_sub_f32_e32 v22, v23, v12
	v_mul_f32_e32 v19, v18, v17
	v_add_f32_e32 v5, v5, v22
	v_fma_f32 v18, v17, v18, -v19
	v_fmac_f32_e32 v18, v17, v13
	v_add_f32_e32 v13, v19, v18
	v_sub_f32_e32 v21, v12, v13
	v_sub_f32_e32 v19, v13, v19
	;; [unrolled: 1-line block ×5, first 2 shown]
	v_add_f32_e32 v5, v5, v12
	v_add_f32_e32 v12, v20, v17
	;; [unrolled: 1-line block ×3, first 2 shown]
	v_sub_f32_e32 v13, v12, v20
	v_add_f32_e32 v5, v21, v5
	v_sub_f32_e32 v13, v17, v13
	v_mul_f32_e32 v5, v11, v5
	v_add_f32_e32 v5, v13, v5
	v_add_f32_e32 v11, v12, v5
	v_mul_f32_e32 v13, v11, v11
	v_fmaak_f32 v17, s4, v13, 0x3ecc95a3
	v_mul_f32_e32 v18, v11, v13
	v_fmaak_f32 v13, v13, v17, 0x3f2aaada
	v_ldexp_f32 v17, v11, 1
	v_sub_f32_e32 v11, v11, v12
	v_mul_f32_e32 v13, v18, v13
	v_mul_f32_e32 v18, 0x3f317218, v4
	v_sub_f32_e32 v5, v5, v11
	v_add_f32_e32 v12, v17, v13
	v_ldexp_f32 v5, v5, 1
	v_sub_f32_e32 v11, v12, v17
	v_fma_f32 v17, 0x3f317218, v4, -v18
	v_sub_f32_e32 v11, v13, v11
	v_fmamk_f32 v4, v4, 0xb102e308, v17
	v_add_f32_e32 v5, v5, v11
	v_add_f32_e32 v11, v18, v4
	;; [unrolled: 1-line block ×3, first 2 shown]
	v_sub_f32_e32 v18, v11, v18
	v_add_f32_e32 v17, v11, v13
	v_sub_f32_e32 v12, v13, v12
	v_sub_f32_e32 v4, v4, v18
	;; [unrolled: 1-line block ×6, first 2 shown]
	v_add_f32_e32 v13, v4, v5
	v_sub_f32_e32 v11, v11, v20
	v_add_f32_e32 v11, v12, v11
	v_sub_f32_e32 v12, v13, v4
	;; [unrolled: 2-line block ×3, first 2 shown]
	v_sub_f32_e32 v5, v5, v12
	v_add_f32_e32 v18, v17, v11
	v_sub_f32_e32 v4, v4, v13
	v_sub_f32_e32 v12, v18, v17
	v_add_f32_e32 v4, v5, v4
	v_sub_f32_e32 v5, v11, v12
	v_add_f32_e32 v4, v4, v5
	v_add_f32_e32 v4, v18, v4
	v_cndmask_b32_e32 v4, 0x7f800000, v4, vcc_lo
	v_cmp_gt_f32_e64 vcc_lo, 0x33800000, |v1|
	v_cndmask_b32_e32 v1, v4, v1, vcc_lo
	v_add_f32_e32 v1, v2, v1
.LBB96_178:
	s_or_b32 exec_lo, exec_lo, s0
	v_max_f32_e32 v2, v1, v1
	v_cmp_u_f32_e32 vcc_lo, v1, v1
	v_mov_b32_e32 v5, v1
	v_min_f32_e32 v4, v2, v6
	v_max_f32_e32 v2, v2, v6
	v_cndmask_b32_e32 v4, v4, v1, vcc_lo
	v_cndmask_b32_e32 v2, v2, v1, vcc_lo
	v_cndmask_b32_e64 v4, v4, v8, s1
	v_cndmask_b32_e64 v2, v2, v8, s1
	v_cmp_class_f32_e64 s0, v4, 0x1f8
	v_cmp_neq_f32_e32 vcc_lo, v4, v2
	s_or_b32 s1, vcc_lo, s0
	s_and_saveexec_b32 s0, s1
	s_cbranch_execz .LBB96_180
; %bb.179:
	v_sub_f32_e32 v4, v4, v2
	s_mov_b32 s1, 0x3e9b6dac
	v_mul_f32_e32 v5, 0x3fb8aa3b, v4
	v_cmp_ngt_f32_e32 vcc_lo, 0xc2ce8ed0, v4
	v_fma_f32 v6, 0x3fb8aa3b, v4, -v5
	v_rndne_f32_e32 v8, v5
	v_fmamk_f32 v6, v4, 0x32a5705f, v6
	v_sub_f32_e32 v5, v5, v8
	v_add_f32_e32 v5, v5, v6
	v_cvt_i32_f32_e32 v6, v8
	v_exp_f32_e32 v5, v5
	v_ldexp_f32 v5, v5, v6
	v_cndmask_b32_e32 v5, 0, v5, vcc_lo
	v_cmp_nlt_f32_e32 vcc_lo, 0x42b17218, v4
	v_cndmask_b32_e32 v6, 0x7f800000, v5, vcc_lo
	v_add_f32_e32 v8, 1.0, v6
	v_cvt_f64_f32_e32 v[4:5], v8
	v_frexp_exp_i32_f64_e32 v4, v[4:5]
	v_frexp_mant_f32_e32 v5, v8
	v_cmp_gt_f32_e32 vcc_lo, 0x3f2aaaab, v5
	v_add_f32_e32 v5, -1.0, v8
	v_sub_f32_e32 v12, v5, v8
	v_sub_f32_e32 v5, v6, v5
	v_add_f32_e32 v12, 1.0, v12
	v_add_f32_e32 v5, v5, v12
	v_subrev_co_ci_u32_e64 v4, null, 0, v4, vcc_lo
	v_cmp_neq_f32_e32 vcc_lo, 0x7f800000, v6
	v_sub_nc_u32_e32 v11, 0, v4
	v_cvt_f32_i32_e32 v4, v4
	v_ldexp_f32 v8, v8, v11
	v_ldexp_f32 v5, v5, v11
	v_add_f32_e32 v13, 1.0, v8
	v_add_f32_e32 v11, -1.0, v8
	v_add_f32_e32 v12, -1.0, v13
	v_add_f32_e32 v17, 1.0, v11
	v_sub_f32_e32 v12, v8, v12
	v_sub_f32_e32 v8, v8, v17
	v_add_f32_e32 v12, v5, v12
	v_add_f32_e32 v5, v5, v8
	;; [unrolled: 1-line block ×4, first 2 shown]
	v_rcp_f32_e32 v8, v17
	v_sub_f32_e32 v13, v13, v17
	v_sub_f32_e32 v11, v11, v18
	v_add_f32_e32 v12, v12, v13
	v_add_f32_e32 v5, v5, v11
	v_mul_f32_e32 v19, v18, v8
	v_mul_f32_e32 v20, v17, v19
	v_fma_f32 v13, v19, v17, -v20
	v_fmac_f32_e32 v13, v19, v12
	v_add_f32_e32 v21, v20, v13
	v_sub_f32_e32 v22, v18, v21
	v_sub_f32_e32 v11, v21, v20
	v_sub_f32_e32 v18, v18, v22
	v_sub_f32_e32 v11, v11, v13
	v_sub_f32_e32 v18, v18, v21
	v_add_f32_e32 v5, v5, v18
	v_add_f32_e32 v5, v11, v5
	;; [unrolled: 1-line block ×3, first 2 shown]
	v_mul_f32_e32 v13, v8, v11
	v_sub_f32_e32 v21, v22, v11
	v_mul_f32_e32 v18, v17, v13
	v_add_f32_e32 v5, v5, v21
	v_fma_f32 v17, v13, v17, -v18
	v_fmac_f32_e32 v17, v13, v12
	v_add_f32_e32 v12, v18, v17
	v_sub_f32_e32 v20, v11, v12
	v_sub_f32_e32 v18, v12, v18
	;; [unrolled: 1-line block ×5, first 2 shown]
	v_add_f32_e32 v5, v5, v11
	v_add_f32_e32 v11, v19, v13
	;; [unrolled: 1-line block ×3, first 2 shown]
	v_sub_f32_e32 v12, v11, v19
	v_add_f32_e32 v5, v20, v5
	v_sub_f32_e32 v12, v13, v12
	v_mul_f32_e32 v5, v8, v5
	v_add_f32_e32 v5, v12, v5
	v_add_f32_e32 v8, v11, v5
	v_mul_f32_e32 v12, v8, v8
	v_fmaak_f32 v13, s1, v12, 0x3ecc95a3
	v_mul_f32_e32 v17, v8, v12
	v_fmaak_f32 v12, v12, v13, 0x3f2aaada
	v_ldexp_f32 v13, v8, 1
	v_sub_f32_e32 v8, v8, v11
	v_mul_f32_e32 v12, v17, v12
	v_mul_f32_e32 v17, 0x3f317218, v4
	v_sub_f32_e32 v5, v5, v8
	v_add_f32_e32 v11, v13, v12
	v_ldexp_f32 v5, v5, 1
	v_sub_f32_e32 v8, v11, v13
	v_fma_f32 v13, 0x3f317218, v4, -v17
	v_sub_f32_e32 v8, v12, v8
	v_fmamk_f32 v4, v4, 0xb102e308, v13
	v_add_f32_e32 v5, v5, v8
	v_add_f32_e32 v8, v17, v4
	;; [unrolled: 1-line block ×3, first 2 shown]
	v_sub_f32_e32 v17, v8, v17
	v_add_f32_e32 v13, v8, v12
	v_sub_f32_e32 v11, v12, v11
	v_sub_f32_e32 v4, v4, v17
	;; [unrolled: 1-line block ×6, first 2 shown]
	v_add_f32_e32 v12, v4, v5
	v_sub_f32_e32 v8, v8, v19
	v_add_f32_e32 v8, v11, v8
	v_sub_f32_e32 v11, v12, v4
	;; [unrolled: 2-line block ×3, first 2 shown]
	v_sub_f32_e32 v5, v5, v11
	v_add_f32_e32 v17, v13, v8
	v_sub_f32_e32 v4, v4, v12
	v_sub_f32_e32 v11, v17, v13
	v_add_f32_e32 v4, v5, v4
	v_sub_f32_e32 v5, v8, v11
	v_add_f32_e32 v4, v4, v5
	v_add_f32_e32 v4, v17, v4
	v_cndmask_b32_e32 v4, 0x7f800000, v4, vcc_lo
	v_cmp_gt_f32_e64 vcc_lo, 0x33800000, |v6|
	v_cndmask_b32_e32 v4, v4, v6, vcc_lo
	v_add_f32_e32 v5, v2, v4
.LBB96_180:
	s_or_b32 exec_lo, exec_lo, s0
	v_max_f32_e32 v2, v5, v5
	v_cmp_u_f32_e32 vcc_lo, v5, v5
	v_mov_b32_e32 v6, v5
	v_min_f32_e32 v4, v2, v7
	v_max_f32_e32 v2, v2, v7
	v_cndmask_b32_e32 v4, v4, v5, vcc_lo
	v_cndmask_b32_e32 v2, v2, v5, vcc_lo
	v_cndmask_b32_e64 v4, v4, v9, s2
	v_cndmask_b32_e64 v2, v2, v9, s2
	v_cmp_class_f32_e64 s0, v4, 0x1f8
	v_cmp_neq_f32_e32 vcc_lo, v4, v2
	s_or_b32 s1, vcc_lo, s0
	s_and_saveexec_b32 s0, s1
	s_cbranch_execz .LBB96_182
; %bb.181:
	v_sub_f32_e32 v4, v4, v2
	s_mov_b32 s1, 0x3e9b6dac
	v_mul_f32_e32 v6, 0x3fb8aa3b, v4
	v_cmp_ngt_f32_e32 vcc_lo, 0xc2ce8ed0, v4
	v_fma_f32 v7, 0x3fb8aa3b, v4, -v6
	v_rndne_f32_e32 v8, v6
	v_fmamk_f32 v7, v4, 0x32a5705f, v7
	v_sub_f32_e32 v6, v6, v8
	v_add_f32_e32 v6, v6, v7
	v_cvt_i32_f32_e32 v7, v8
	v_exp_f32_e32 v6, v6
	v_ldexp_f32 v6, v6, v7
	v_cndmask_b32_e32 v6, 0, v6, vcc_lo
	v_cmp_nlt_f32_e32 vcc_lo, 0x42b17218, v4
	v_cndmask_b32_e32 v4, 0x7f800000, v6, vcc_lo
	v_add_f32_e32 v8, 1.0, v4
	v_cvt_f64_f32_e32 v[6:7], v8
	v_frexp_exp_i32_f64_e32 v6, v[6:7]
	v_frexp_mant_f32_e32 v7, v8
	v_cmp_gt_f32_e32 vcc_lo, 0x3f2aaaab, v7
	v_add_f32_e32 v7, -1.0, v8
	v_sub_f32_e32 v11, v7, v8
	v_sub_f32_e32 v7, v4, v7
	v_add_f32_e32 v11, 1.0, v11
	v_add_f32_e32 v7, v7, v11
	v_subrev_co_ci_u32_e64 v6, null, 0, v6, vcc_lo
	v_cmp_neq_f32_e32 vcc_lo, 0x7f800000, v4
	v_sub_nc_u32_e32 v9, 0, v6
	v_cvt_f32_i32_e32 v6, v6
	v_ldexp_f32 v8, v8, v9
	v_ldexp_f32 v7, v7, v9
	v_add_f32_e32 v12, 1.0, v8
	v_add_f32_e32 v9, -1.0, v8
	v_add_f32_e32 v11, -1.0, v12
	v_add_f32_e32 v13, 1.0, v9
	v_sub_f32_e32 v11, v8, v11
	v_sub_f32_e32 v8, v8, v13
	v_add_f32_e32 v11, v7, v11
	v_add_f32_e32 v7, v7, v8
	v_add_f32_e32 v13, v12, v11
	v_add_f32_e32 v17, v9, v7
	v_rcp_f32_e32 v8, v13
	v_sub_f32_e32 v12, v12, v13
	v_sub_f32_e32 v9, v9, v17
	v_add_f32_e32 v11, v11, v12
	v_add_f32_e32 v7, v7, v9
	v_mul_f32_e32 v18, v17, v8
	v_mul_f32_e32 v19, v13, v18
	v_fma_f32 v12, v18, v13, -v19
	v_fmac_f32_e32 v12, v18, v11
	v_add_f32_e32 v20, v19, v12
	v_sub_f32_e32 v21, v17, v20
	v_sub_f32_e32 v9, v20, v19
	;; [unrolled: 1-line block ×5, first 2 shown]
	v_add_f32_e32 v7, v7, v17
	v_add_f32_e32 v7, v9, v7
	v_add_f32_e32 v9, v21, v7
	v_mul_f32_e32 v12, v8, v9
	v_sub_f32_e32 v20, v21, v9
	v_mul_f32_e32 v17, v13, v12
	v_add_f32_e32 v7, v7, v20
	v_fma_f32 v13, v12, v13, -v17
	v_fmac_f32_e32 v13, v12, v11
	v_add_f32_e32 v11, v17, v13
	v_sub_f32_e32 v19, v9, v11
	v_sub_f32_e32 v17, v11, v17
	;; [unrolled: 1-line block ×5, first 2 shown]
	v_add_f32_e32 v7, v7, v9
	v_add_f32_e32 v9, v18, v12
	;; [unrolled: 1-line block ×3, first 2 shown]
	v_sub_f32_e32 v11, v9, v18
	v_add_f32_e32 v7, v19, v7
	v_sub_f32_e32 v11, v12, v11
	v_mul_f32_e32 v7, v8, v7
	v_add_f32_e32 v7, v11, v7
	v_add_f32_e32 v8, v9, v7
	v_mul_f32_e32 v11, v8, v8
	v_fmaak_f32 v12, s1, v11, 0x3ecc95a3
	v_mul_f32_e32 v13, v8, v11
	v_fmaak_f32 v11, v11, v12, 0x3f2aaada
	v_ldexp_f32 v12, v8, 1
	v_sub_f32_e32 v8, v8, v9
	v_mul_f32_e32 v11, v13, v11
	v_mul_f32_e32 v13, 0x3f317218, v6
	v_sub_f32_e32 v7, v7, v8
	v_add_f32_e32 v9, v12, v11
	v_ldexp_f32 v7, v7, 1
	v_sub_f32_e32 v8, v9, v12
	v_fma_f32 v12, 0x3f317218, v6, -v13
	v_sub_f32_e32 v8, v11, v8
	v_fmamk_f32 v6, v6, 0xb102e308, v12
	v_add_f32_e32 v7, v7, v8
	v_add_f32_e32 v8, v13, v6
	v_add_f32_e32 v11, v9, v7
	v_sub_f32_e32 v13, v8, v13
	v_add_f32_e32 v12, v8, v11
	v_sub_f32_e32 v9, v11, v9
	v_sub_f32_e32 v6, v6, v13
	;; [unrolled: 1-line block ×6, first 2 shown]
	v_add_f32_e32 v11, v6, v7
	v_sub_f32_e32 v8, v8, v18
	v_add_f32_e32 v8, v9, v8
	v_sub_f32_e32 v9, v11, v6
	;; [unrolled: 2-line block ×3, first 2 shown]
	v_sub_f32_e32 v7, v7, v9
	v_add_f32_e32 v13, v12, v8
	v_sub_f32_e32 v6, v6, v11
	v_sub_f32_e32 v9, v13, v12
	v_add_f32_e32 v6, v7, v6
	v_sub_f32_e32 v7, v8, v9
	v_add_f32_e32 v6, v6, v7
	v_add_f32_e32 v6, v13, v6
	v_cndmask_b32_e32 v6, 0x7f800000, v6, vcc_lo
	v_cmp_gt_f32_e64 vcc_lo, 0x33800000, |v4|
	v_cndmask_b32_e32 v4, v6, v4, vcc_lo
	v_add_f32_e32 v6, v2, v4
.LBB96_182:
	s_or_b32 exec_lo, exec_lo, s0
	v_max_f32_e32 v2, v6, v6
	v_cmp_u_f32_e32 vcc_lo, v6, v6
	v_mov_b32_e32 v7, v6
	v_min_f32_e32 v4, v2, v10
	v_max_f32_e32 v2, v2, v10
	v_cndmask_b32_e32 v4, v4, v6, vcc_lo
	v_cndmask_b32_e32 v2, v2, v6, vcc_lo
	v_cndmask_b32_e64 v4, v4, v16, s3
	v_cndmask_b32_e64 v2, v2, v16, s3
	v_cmp_class_f32_e64 s0, v4, 0x1f8
	v_cmp_neq_f32_e32 vcc_lo, v4, v2
	s_or_b32 s1, vcc_lo, s0
	s_and_saveexec_b32 s0, s1
	s_cbranch_execz .LBB96_184
; %bb.183:
	v_sub_f32_e32 v4, v4, v2
	s_mov_b32 s1, 0x3e9b6dac
	v_mul_f32_e32 v7, 0x3fb8aa3b, v4
	v_cmp_ngt_f32_e32 vcc_lo, 0xc2ce8ed0, v4
	v_fma_f32 v8, 0x3fb8aa3b, v4, -v7
	v_rndne_f32_e32 v9, v7
	v_fmamk_f32 v8, v4, 0x32a5705f, v8
	v_sub_f32_e32 v7, v7, v9
	v_add_f32_e32 v7, v7, v8
	v_cvt_i32_f32_e32 v8, v9
	v_exp_f32_e32 v7, v7
	v_ldexp_f32 v7, v7, v8
	v_cndmask_b32_e32 v7, 0, v7, vcc_lo
	v_cmp_nlt_f32_e32 vcc_lo, 0x42b17218, v4
	v_cndmask_b32_e32 v4, 0x7f800000, v7, vcc_lo
	v_add_f32_e32 v9, 1.0, v4
	v_cvt_f64_f32_e32 v[7:8], v9
	v_frexp_exp_i32_f64_e32 v7, v[7:8]
	v_frexp_mant_f32_e32 v8, v9
	v_cmp_gt_f32_e32 vcc_lo, 0x3f2aaaab, v8
	v_add_f32_e32 v8, -1.0, v9
	v_sub_f32_e32 v11, v8, v9
	v_sub_f32_e32 v8, v4, v8
	v_add_f32_e32 v11, 1.0, v11
	v_add_f32_e32 v8, v8, v11
	v_subrev_co_ci_u32_e64 v7, null, 0, v7, vcc_lo
	v_cmp_neq_f32_e32 vcc_lo, 0x7f800000, v4
	v_sub_nc_u32_e32 v10, 0, v7
	v_cvt_f32_i32_e32 v7, v7
	v_ldexp_f32 v9, v9, v10
	v_ldexp_f32 v8, v8, v10
	v_add_f32_e32 v12, 1.0, v9
	v_add_f32_e32 v10, -1.0, v9
	v_add_f32_e32 v11, -1.0, v12
	v_add_f32_e32 v13, 1.0, v10
	v_sub_f32_e32 v11, v9, v11
	v_sub_f32_e32 v9, v9, v13
	v_add_f32_e32 v11, v8, v11
	v_add_f32_e32 v8, v8, v9
	;; [unrolled: 1-line block ×4, first 2 shown]
	v_rcp_f32_e32 v9, v13
	v_sub_f32_e32 v12, v12, v13
	v_sub_f32_e32 v10, v10, v16
	v_add_f32_e32 v11, v11, v12
	v_add_f32_e32 v8, v8, v10
	v_mul_f32_e32 v17, v16, v9
	v_mul_f32_e32 v18, v13, v17
	v_fma_f32 v12, v17, v13, -v18
	v_fmac_f32_e32 v12, v17, v11
	v_add_f32_e32 v19, v18, v12
	v_sub_f32_e32 v20, v16, v19
	v_sub_f32_e32 v10, v19, v18
	;; [unrolled: 1-line block ×5, first 2 shown]
	v_add_f32_e32 v8, v8, v16
	v_add_f32_e32 v8, v10, v8
	;; [unrolled: 1-line block ×3, first 2 shown]
	v_mul_f32_e32 v12, v9, v10
	v_sub_f32_e32 v19, v20, v10
	v_mul_f32_e32 v16, v13, v12
	v_add_f32_e32 v8, v8, v19
	v_fma_f32 v13, v12, v13, -v16
	v_fmac_f32_e32 v13, v12, v11
	v_add_f32_e32 v11, v16, v13
	v_sub_f32_e32 v18, v10, v11
	v_sub_f32_e32 v16, v11, v16
	v_sub_f32_e32 v10, v10, v18
	v_sub_f32_e32 v10, v10, v11
	v_sub_f32_e32 v11, v16, v13
	v_add_f32_e32 v8, v8, v10
	v_add_f32_e32 v10, v17, v12
	;; [unrolled: 1-line block ×3, first 2 shown]
	v_sub_f32_e32 v11, v10, v17
	v_add_f32_e32 v8, v18, v8
	v_sub_f32_e32 v11, v12, v11
	v_mul_f32_e32 v8, v9, v8
	v_add_f32_e32 v8, v11, v8
	v_add_f32_e32 v9, v10, v8
	v_mul_f32_e32 v11, v9, v9
	v_fmaak_f32 v12, s1, v11, 0x3ecc95a3
	v_mul_f32_e32 v13, v9, v11
	v_fmaak_f32 v11, v11, v12, 0x3f2aaada
	v_ldexp_f32 v12, v9, 1
	v_sub_f32_e32 v9, v9, v10
	v_mul_f32_e32 v11, v13, v11
	v_mul_f32_e32 v13, 0x3f317218, v7
	v_sub_f32_e32 v8, v8, v9
	v_add_f32_e32 v10, v12, v11
	v_ldexp_f32 v8, v8, 1
	v_sub_f32_e32 v9, v10, v12
	v_fma_f32 v12, 0x3f317218, v7, -v13
	v_sub_f32_e32 v9, v11, v9
	v_fmamk_f32 v7, v7, 0xb102e308, v12
	v_add_f32_e32 v8, v8, v9
	v_add_f32_e32 v9, v13, v7
	;; [unrolled: 1-line block ×3, first 2 shown]
	v_sub_f32_e32 v13, v9, v13
	v_add_f32_e32 v12, v9, v11
	v_sub_f32_e32 v10, v11, v10
	v_sub_f32_e32 v7, v7, v13
	;; [unrolled: 1-line block ×6, first 2 shown]
	v_add_f32_e32 v11, v7, v8
	v_sub_f32_e32 v9, v9, v17
	v_add_f32_e32 v9, v10, v9
	v_sub_f32_e32 v10, v11, v7
	;; [unrolled: 2-line block ×3, first 2 shown]
	v_sub_f32_e32 v8, v8, v10
	v_add_f32_e32 v13, v12, v9
	v_sub_f32_e32 v7, v7, v11
	v_sub_f32_e32 v10, v13, v12
	v_add_f32_e32 v7, v8, v7
	v_sub_f32_e32 v8, v9, v10
	v_add_f32_e32 v7, v7, v8
	v_add_f32_e32 v7, v13, v7
	v_cndmask_b32_e32 v7, 0x7f800000, v7, vcc_lo
	v_cmp_gt_f32_e64 vcc_lo, 0x33800000, |v4|
	v_cndmask_b32_e32 v4, v7, v4, vcc_lo
	v_add_f32_e32 v7, v2, v4
.LBB96_184:
	s_or_b32 exec_lo, exec_lo, s0
	v_mov_b32_e32 v4, v1
	s_mov_b32 s0, exec_lo
	v_cmpx_eq_u32_e32 63, v0
	s_cbranch_execz .LBB96_186
; %bb.185:
	v_mov_b32_e32 v8, 0
	v_mov_b32_e32 v2, 2
	;; [unrolled: 1-line block ×3, first 2 shown]
	global_store_dwordx2 v8, v[1:2], s[26:27] offset:256
.LBB96_186:
	s_or_b32 exec_lo, exec_lo, s0
.LBB96_187:
	s_add_u32 s0, s12, s24
	s_addc_u32 s1, s13, s25
	s_add_u32 s0, s0, s14
	s_addc_u32 s1, s1, s15
	s_and_b32 vcc_lo, exec_lo, s29
	s_mov_b32 s2, -1
	s_waitcnt lgkmcnt(0)
	s_waitcnt_vscnt null, 0x0
	s_barrier
	buffer_gl0_inv
	s_cbranch_vccz .LBB96_189
; %bb.188:
	ds_write2_b32 v15, v3, v4 offset1:1
	ds_write2_b32 v15, v5, v6 offset0:2 offset1:3
	ds_write_b32 v15, v7 offset:16
	s_waitcnt lgkmcnt(0)
	s_barrier
	buffer_gl0_inv
	ds_read2st64_b32 v[1:2], v14 offset1:1
	ds_read2st64_b32 v[8:9], v14 offset0:2 offset1:3
	ds_read_b32 v10, v14 offset:1024
	s_mov_b32 s2, 0
	s_waitcnt lgkmcnt(2)
	global_store_dword v14, v1, s[0:1]
	global_store_dword v14, v2, s[0:1] offset:256
	s_waitcnt lgkmcnt(1)
	global_store_dword v14, v8, s[0:1] offset:512
	global_store_dword v14, v9, s[0:1] offset:768
	s_waitcnt lgkmcnt(0)
	global_store_dword v14, v10, s[0:1] offset:1024
.LBB96_189:
	s_andn2_b32 vcc_lo, exec_lo, s2
	s_cbranch_vccnz .LBB96_216
; %bb.190:
	ds_write2_b32 v15, v3, v4 offset1:1
	ds_write2_b32 v15, v5, v6 offset0:2 offset1:3
	ds_write_b32 v15, v7 offset:16
	s_waitcnt lgkmcnt(0)
	s_waitcnt_vscnt null, 0x0
	s_barrier
	buffer_gl0_inv
	ds_read2st64_b32 v[2:3], v14 offset1:1
	ds_read2st64_b32 v[4:5], v14 offset0:2 offset1:3
	ds_read_b32 v8, v14 offset:1024
	v_add_co_u32 v6, s0, s0, v14
	v_mov_b32_e32 v1, 0
	v_add_co_ci_u32_e64 v7, null, s1, 0, s0
	s_mov_b32 s0, exec_lo
	v_cmpx_gt_u32_e64 s11, v0
	s_cbranch_execz .LBB96_192
; %bb.191:
	s_waitcnt lgkmcnt(2)
	global_store_dword v[6:7], v2, off
.LBB96_192:
	s_or_b32 exec_lo, exec_lo, s0
	v_or_b32_e32 v9, 64, v0
	s_mov_b32 s0, exec_lo
	v_cmpx_gt_u32_e64 s11, v9
	s_cbranch_execz .LBB96_194
; %bb.193:
	s_waitcnt lgkmcnt(2)
	global_store_dword v[6:7], v3, off offset:256
.LBB96_194:
	s_or_b32 exec_lo, exec_lo, s0
	v_or_b32_e32 v9, 0x80, v0
	s_mov_b32 s0, exec_lo
	v_cmpx_gt_u32_e64 s11, v9
	s_cbranch_execz .LBB96_196
; %bb.195:
	s_waitcnt lgkmcnt(1)
	global_store_dword v[6:7], v4, off offset:512
.LBB96_196:
	;; [unrolled: 9-line block ×4, first 2 shown]
	s_or_b32 exec_lo, exec_lo, s0
	v_cmp_lt_u64_e64 s0, s[22:23], 2
	s_and_b32 vcc_lo, exec_lo, s0
	s_cbranch_vccnz .LBB96_216
; %bb.201:
	s_add_u32 s0, s11, -1
	s_addc_u32 s1, s28, -1
	s_mul_hi_u32 s5, s0, 0xcccccccd
	s_mul_i32 s4, s1, 0xcccccccd
	s_mul_hi_u32 s6, s1, 0xcccccccd
	s_mul_i32 s3, s0, 0xcccccccc
	s_add_u32 s4, s4, s5
	s_mul_hi_u32 s2, s0, 0xcccccccc
	s_addc_u32 s5, s6, 0
	s_add_u32 s3, s3, s4
	s_addc_u32 s2, s2, 0
	s_mul_i32 s4, s1, 0xcccccccc
	s_add_u32 s2, s5, s2
	s_addc_u32 s3, 0, 0
	s_mul_hi_u32 s5, s1, 0xcccccccc
	s_add_u32 s2, s4, s2
	s_addc_u32 s3, s5, s3
	s_lshr_b64 s[2:3], s[2:3], 2
	v_cmp_eq_u64_e32 vcc_lo, s[2:3], v[0:1]
	s_and_saveexec_b32 s2, vcc_lo
	s_cbranch_execz .LBB96_216
; %bb.202:
	v_mul_u32_u24_e32 v1, 5, v0
	v_mul_hi_u32_u24_e32 v6, 5, v0
	v_sub_co_u32 v0, vcc_lo, s0, v1
	v_sub_co_ci_u32_e64 v1, null, s1, v6, vcc_lo
	s_mov_b32 s0, exec_lo
	v_cmpx_lt_i64_e32 2, v[0:1]
	s_xor_b32 s0, exec_lo, s0
	s_cbranch_execz .LBB96_208
; %bb.203:
	s_mov_b32 s1, exec_lo
	v_cmpx_lt_i64_e32 3, v[0:1]
	s_xor_b32 s1, exec_lo, s1
	s_cbranch_execz .LBB96_205
; %bb.204:
	v_mov_b32_e32 v0, 0
                                        ; implicit-def: $vgpr4_vgpr5
	s_waitcnt lgkmcnt(0)
	global_store_dword v0, v8, s[18:19]
.LBB96_205:
	s_andn2_saveexec_b32 s1, s1
	s_cbranch_execz .LBB96_207
; %bb.206:
	v_mov_b32_e32 v0, 0
	s_waitcnt lgkmcnt(1)
	global_store_dword v0, v5, s[18:19]
.LBB96_207:
	s_or_b32 exec_lo, exec_lo, s1
                                        ; implicit-def: $vgpr0_vgpr1
                                        ; implicit-def: $vgpr4_vgpr5
                                        ; implicit-def: $vgpr2_vgpr3
.LBB96_208:
	s_andn2_saveexec_b32 s0, s0
	s_cbranch_execz .LBB96_216
; %bb.209:
	s_mov_b32 s0, exec_lo
	v_cmpx_lt_i64_e32 1, v[0:1]
	s_xor_b32 s0, exec_lo, s0
	s_cbranch_execz .LBB96_211
; %bb.210:
	v_mov_b32_e32 v0, 0
                                        ; implicit-def: $vgpr2_vgpr3
	s_waitcnt lgkmcnt(1)
	global_store_dword v0, v4, s[18:19]
                                        ; implicit-def: $vgpr0_vgpr1
.LBB96_211:
	s_andn2_saveexec_b32 s0, s0
	s_cbranch_execz .LBB96_216
; %bb.212:
	s_mov_b32 s0, exec_lo
	v_cmpx_ne_u64_e32 1, v[0:1]
	s_xor_b32 s0, exec_lo, s0
	s_cbranch_execz .LBB96_214
; %bb.213:
	v_mov_b32_e32 v0, 0
	s_waitcnt lgkmcnt(2)
	global_store_dword v0, v2, s[18:19]
                                        ; implicit-def: $vgpr2_vgpr3
.LBB96_214:
	s_andn2_saveexec_b32 s0, s0
	s_cbranch_execz .LBB96_216
; %bb.215:
	v_mov_b32_e32 v0, 0
	s_waitcnt lgkmcnt(2)
	global_store_dword v0, v3, s[18:19]
.LBB96_216:
	s_endpgm
	.section	.rodata,"a",@progbits
	.p2align	6, 0x0
	.amdhsa_kernel _ZN7rocprim17ROCPRIM_400000_NS6detail17trampoline_kernelINS0_14default_configENS1_20scan_config_selectorIfEEZZNS1_9scan_implILNS1_25lookback_scan_determinismE0ELb0ELb0ES3_PKfPffZZZN2at6native31launch_logcumsumexp_cuda_kernelERKNSB_10TensorBaseESF_lENKUlvE_clEvENKUlvE0_clEvEUlffE_fEEDaPvRmT3_T4_T5_mT6_P12ihipStream_tbENKUlT_T0_E_clISt17integral_constantIbLb0EESW_EEDaSR_SS_EUlSR_E_NS1_11comp_targetILNS1_3genE8ELNS1_11target_archE1030ELNS1_3gpuE2ELNS1_3repE0EEENS1_30default_config_static_selectorELNS0_4arch9wavefront6targetE0EEEvT1_
		.amdhsa_group_segment_fixed_size 1280
		.amdhsa_private_segment_fixed_size 0
		.amdhsa_kernarg_size 96
		.amdhsa_user_sgpr_count 6
		.amdhsa_user_sgpr_private_segment_buffer 1
		.amdhsa_user_sgpr_dispatch_ptr 0
		.amdhsa_user_sgpr_queue_ptr 0
		.amdhsa_user_sgpr_kernarg_segment_ptr 1
		.amdhsa_user_sgpr_dispatch_id 0
		.amdhsa_user_sgpr_flat_scratch_init 0
		.amdhsa_user_sgpr_private_segment_size 0
		.amdhsa_wavefront_size32 1
		.amdhsa_uses_dynamic_stack 0
		.amdhsa_system_sgpr_private_segment_wavefront_offset 0
		.amdhsa_system_sgpr_workgroup_id_x 1
		.amdhsa_system_sgpr_workgroup_id_y 0
		.amdhsa_system_sgpr_workgroup_id_z 0
		.amdhsa_system_sgpr_workgroup_info 0
		.amdhsa_system_vgpr_workitem_id 0
		.amdhsa_next_free_vgpr 46
		.amdhsa_next_free_sgpr 30
		.amdhsa_reserve_vcc 1
		.amdhsa_reserve_flat_scratch 0
		.amdhsa_float_round_mode_32 0
		.amdhsa_float_round_mode_16_64 0
		.amdhsa_float_denorm_mode_32 3
		.amdhsa_float_denorm_mode_16_64 3
		.amdhsa_dx10_clamp 1
		.amdhsa_ieee_mode 1
		.amdhsa_fp16_overflow 0
		.amdhsa_workgroup_processor_mode 1
		.amdhsa_memory_ordered 1
		.amdhsa_forward_progress 1
		.amdhsa_shared_vgpr_count 0
		.amdhsa_exception_fp_ieee_invalid_op 0
		.amdhsa_exception_fp_denorm_src 0
		.amdhsa_exception_fp_ieee_div_zero 0
		.amdhsa_exception_fp_ieee_overflow 0
		.amdhsa_exception_fp_ieee_underflow 0
		.amdhsa_exception_fp_ieee_inexact 0
		.amdhsa_exception_int_div_zero 0
	.end_amdhsa_kernel
	.section	.text._ZN7rocprim17ROCPRIM_400000_NS6detail17trampoline_kernelINS0_14default_configENS1_20scan_config_selectorIfEEZZNS1_9scan_implILNS1_25lookback_scan_determinismE0ELb0ELb0ES3_PKfPffZZZN2at6native31launch_logcumsumexp_cuda_kernelERKNSB_10TensorBaseESF_lENKUlvE_clEvENKUlvE0_clEvEUlffE_fEEDaPvRmT3_T4_T5_mT6_P12ihipStream_tbENKUlT_T0_E_clISt17integral_constantIbLb0EESW_EEDaSR_SS_EUlSR_E_NS1_11comp_targetILNS1_3genE8ELNS1_11target_archE1030ELNS1_3gpuE2ELNS1_3repE0EEENS1_30default_config_static_selectorELNS0_4arch9wavefront6targetE0EEEvT1_,"axG",@progbits,_ZN7rocprim17ROCPRIM_400000_NS6detail17trampoline_kernelINS0_14default_configENS1_20scan_config_selectorIfEEZZNS1_9scan_implILNS1_25lookback_scan_determinismE0ELb0ELb0ES3_PKfPffZZZN2at6native31launch_logcumsumexp_cuda_kernelERKNSB_10TensorBaseESF_lENKUlvE_clEvENKUlvE0_clEvEUlffE_fEEDaPvRmT3_T4_T5_mT6_P12ihipStream_tbENKUlT_T0_E_clISt17integral_constantIbLb0EESW_EEDaSR_SS_EUlSR_E_NS1_11comp_targetILNS1_3genE8ELNS1_11target_archE1030ELNS1_3gpuE2ELNS1_3repE0EEENS1_30default_config_static_selectorELNS0_4arch9wavefront6targetE0EEEvT1_,comdat
.Lfunc_end96:
	.size	_ZN7rocprim17ROCPRIM_400000_NS6detail17trampoline_kernelINS0_14default_configENS1_20scan_config_selectorIfEEZZNS1_9scan_implILNS1_25lookback_scan_determinismE0ELb0ELb0ES3_PKfPffZZZN2at6native31launch_logcumsumexp_cuda_kernelERKNSB_10TensorBaseESF_lENKUlvE_clEvENKUlvE0_clEvEUlffE_fEEDaPvRmT3_T4_T5_mT6_P12ihipStream_tbENKUlT_T0_E_clISt17integral_constantIbLb0EESW_EEDaSR_SS_EUlSR_E_NS1_11comp_targetILNS1_3genE8ELNS1_11target_archE1030ELNS1_3gpuE2ELNS1_3repE0EEENS1_30default_config_static_selectorELNS0_4arch9wavefront6targetE0EEEvT1_, .Lfunc_end96-_ZN7rocprim17ROCPRIM_400000_NS6detail17trampoline_kernelINS0_14default_configENS1_20scan_config_selectorIfEEZZNS1_9scan_implILNS1_25lookback_scan_determinismE0ELb0ELb0ES3_PKfPffZZZN2at6native31launch_logcumsumexp_cuda_kernelERKNSB_10TensorBaseESF_lENKUlvE_clEvENKUlvE0_clEvEUlffE_fEEDaPvRmT3_T4_T5_mT6_P12ihipStream_tbENKUlT_T0_E_clISt17integral_constantIbLb0EESW_EEDaSR_SS_EUlSR_E_NS1_11comp_targetILNS1_3genE8ELNS1_11target_archE1030ELNS1_3gpuE2ELNS1_3repE0EEENS1_30default_config_static_selectorELNS0_4arch9wavefront6targetE0EEEvT1_
                                        ; -- End function
	.set _ZN7rocprim17ROCPRIM_400000_NS6detail17trampoline_kernelINS0_14default_configENS1_20scan_config_selectorIfEEZZNS1_9scan_implILNS1_25lookback_scan_determinismE0ELb0ELb0ES3_PKfPffZZZN2at6native31launch_logcumsumexp_cuda_kernelERKNSB_10TensorBaseESF_lENKUlvE_clEvENKUlvE0_clEvEUlffE_fEEDaPvRmT3_T4_T5_mT6_P12ihipStream_tbENKUlT_T0_E_clISt17integral_constantIbLb0EESW_EEDaSR_SS_EUlSR_E_NS1_11comp_targetILNS1_3genE8ELNS1_11target_archE1030ELNS1_3gpuE2ELNS1_3repE0EEENS1_30default_config_static_selectorELNS0_4arch9wavefront6targetE0EEEvT1_.num_vgpr, 46
	.set _ZN7rocprim17ROCPRIM_400000_NS6detail17trampoline_kernelINS0_14default_configENS1_20scan_config_selectorIfEEZZNS1_9scan_implILNS1_25lookback_scan_determinismE0ELb0ELb0ES3_PKfPffZZZN2at6native31launch_logcumsumexp_cuda_kernelERKNSB_10TensorBaseESF_lENKUlvE_clEvENKUlvE0_clEvEUlffE_fEEDaPvRmT3_T4_T5_mT6_P12ihipStream_tbENKUlT_T0_E_clISt17integral_constantIbLb0EESW_EEDaSR_SS_EUlSR_E_NS1_11comp_targetILNS1_3genE8ELNS1_11target_archE1030ELNS1_3gpuE2ELNS1_3repE0EEENS1_30default_config_static_selectorELNS0_4arch9wavefront6targetE0EEEvT1_.num_agpr, 0
	.set _ZN7rocprim17ROCPRIM_400000_NS6detail17trampoline_kernelINS0_14default_configENS1_20scan_config_selectorIfEEZZNS1_9scan_implILNS1_25lookback_scan_determinismE0ELb0ELb0ES3_PKfPffZZZN2at6native31launch_logcumsumexp_cuda_kernelERKNSB_10TensorBaseESF_lENKUlvE_clEvENKUlvE0_clEvEUlffE_fEEDaPvRmT3_T4_T5_mT6_P12ihipStream_tbENKUlT_T0_E_clISt17integral_constantIbLb0EESW_EEDaSR_SS_EUlSR_E_NS1_11comp_targetILNS1_3genE8ELNS1_11target_archE1030ELNS1_3gpuE2ELNS1_3repE0EEENS1_30default_config_static_selectorELNS0_4arch9wavefront6targetE0EEEvT1_.numbered_sgpr, 30
	.set _ZN7rocprim17ROCPRIM_400000_NS6detail17trampoline_kernelINS0_14default_configENS1_20scan_config_selectorIfEEZZNS1_9scan_implILNS1_25lookback_scan_determinismE0ELb0ELb0ES3_PKfPffZZZN2at6native31launch_logcumsumexp_cuda_kernelERKNSB_10TensorBaseESF_lENKUlvE_clEvENKUlvE0_clEvEUlffE_fEEDaPvRmT3_T4_T5_mT6_P12ihipStream_tbENKUlT_T0_E_clISt17integral_constantIbLb0EESW_EEDaSR_SS_EUlSR_E_NS1_11comp_targetILNS1_3genE8ELNS1_11target_archE1030ELNS1_3gpuE2ELNS1_3repE0EEENS1_30default_config_static_selectorELNS0_4arch9wavefront6targetE0EEEvT1_.num_named_barrier, 0
	.set _ZN7rocprim17ROCPRIM_400000_NS6detail17trampoline_kernelINS0_14default_configENS1_20scan_config_selectorIfEEZZNS1_9scan_implILNS1_25lookback_scan_determinismE0ELb0ELb0ES3_PKfPffZZZN2at6native31launch_logcumsumexp_cuda_kernelERKNSB_10TensorBaseESF_lENKUlvE_clEvENKUlvE0_clEvEUlffE_fEEDaPvRmT3_T4_T5_mT6_P12ihipStream_tbENKUlT_T0_E_clISt17integral_constantIbLb0EESW_EEDaSR_SS_EUlSR_E_NS1_11comp_targetILNS1_3genE8ELNS1_11target_archE1030ELNS1_3gpuE2ELNS1_3repE0EEENS1_30default_config_static_selectorELNS0_4arch9wavefront6targetE0EEEvT1_.private_seg_size, 0
	.set _ZN7rocprim17ROCPRIM_400000_NS6detail17trampoline_kernelINS0_14default_configENS1_20scan_config_selectorIfEEZZNS1_9scan_implILNS1_25lookback_scan_determinismE0ELb0ELb0ES3_PKfPffZZZN2at6native31launch_logcumsumexp_cuda_kernelERKNSB_10TensorBaseESF_lENKUlvE_clEvENKUlvE0_clEvEUlffE_fEEDaPvRmT3_T4_T5_mT6_P12ihipStream_tbENKUlT_T0_E_clISt17integral_constantIbLb0EESW_EEDaSR_SS_EUlSR_E_NS1_11comp_targetILNS1_3genE8ELNS1_11target_archE1030ELNS1_3gpuE2ELNS1_3repE0EEENS1_30default_config_static_selectorELNS0_4arch9wavefront6targetE0EEEvT1_.uses_vcc, 1
	.set _ZN7rocprim17ROCPRIM_400000_NS6detail17trampoline_kernelINS0_14default_configENS1_20scan_config_selectorIfEEZZNS1_9scan_implILNS1_25lookback_scan_determinismE0ELb0ELb0ES3_PKfPffZZZN2at6native31launch_logcumsumexp_cuda_kernelERKNSB_10TensorBaseESF_lENKUlvE_clEvENKUlvE0_clEvEUlffE_fEEDaPvRmT3_T4_T5_mT6_P12ihipStream_tbENKUlT_T0_E_clISt17integral_constantIbLb0EESW_EEDaSR_SS_EUlSR_E_NS1_11comp_targetILNS1_3genE8ELNS1_11target_archE1030ELNS1_3gpuE2ELNS1_3repE0EEENS1_30default_config_static_selectorELNS0_4arch9wavefront6targetE0EEEvT1_.uses_flat_scratch, 0
	.set _ZN7rocprim17ROCPRIM_400000_NS6detail17trampoline_kernelINS0_14default_configENS1_20scan_config_selectorIfEEZZNS1_9scan_implILNS1_25lookback_scan_determinismE0ELb0ELb0ES3_PKfPffZZZN2at6native31launch_logcumsumexp_cuda_kernelERKNSB_10TensorBaseESF_lENKUlvE_clEvENKUlvE0_clEvEUlffE_fEEDaPvRmT3_T4_T5_mT6_P12ihipStream_tbENKUlT_T0_E_clISt17integral_constantIbLb0EESW_EEDaSR_SS_EUlSR_E_NS1_11comp_targetILNS1_3genE8ELNS1_11target_archE1030ELNS1_3gpuE2ELNS1_3repE0EEENS1_30default_config_static_selectorELNS0_4arch9wavefront6targetE0EEEvT1_.has_dyn_sized_stack, 0
	.set _ZN7rocprim17ROCPRIM_400000_NS6detail17trampoline_kernelINS0_14default_configENS1_20scan_config_selectorIfEEZZNS1_9scan_implILNS1_25lookback_scan_determinismE0ELb0ELb0ES3_PKfPffZZZN2at6native31launch_logcumsumexp_cuda_kernelERKNSB_10TensorBaseESF_lENKUlvE_clEvENKUlvE0_clEvEUlffE_fEEDaPvRmT3_T4_T5_mT6_P12ihipStream_tbENKUlT_T0_E_clISt17integral_constantIbLb0EESW_EEDaSR_SS_EUlSR_E_NS1_11comp_targetILNS1_3genE8ELNS1_11target_archE1030ELNS1_3gpuE2ELNS1_3repE0EEENS1_30default_config_static_selectorELNS0_4arch9wavefront6targetE0EEEvT1_.has_recursion, 0
	.set _ZN7rocprim17ROCPRIM_400000_NS6detail17trampoline_kernelINS0_14default_configENS1_20scan_config_selectorIfEEZZNS1_9scan_implILNS1_25lookback_scan_determinismE0ELb0ELb0ES3_PKfPffZZZN2at6native31launch_logcumsumexp_cuda_kernelERKNSB_10TensorBaseESF_lENKUlvE_clEvENKUlvE0_clEvEUlffE_fEEDaPvRmT3_T4_T5_mT6_P12ihipStream_tbENKUlT_T0_E_clISt17integral_constantIbLb0EESW_EEDaSR_SS_EUlSR_E_NS1_11comp_targetILNS1_3genE8ELNS1_11target_archE1030ELNS1_3gpuE2ELNS1_3repE0EEENS1_30default_config_static_selectorELNS0_4arch9wavefront6targetE0EEEvT1_.has_indirect_call, 0
	.section	.AMDGPU.csdata,"",@progbits
; Kernel info:
; codeLenInByte = 37104
; TotalNumSgprs: 32
; NumVgprs: 46
; ScratchSize: 0
; MemoryBound: 0
; FloatMode: 240
; IeeeMode: 1
; LDSByteSize: 1280 bytes/workgroup (compile time only)
; SGPRBlocks: 0
; VGPRBlocks: 5
; NumSGPRsForWavesPerEU: 32
; NumVGPRsForWavesPerEU: 46
; Occupancy: 16
; WaveLimiterHint : 1
; COMPUTE_PGM_RSRC2:SCRATCH_EN: 0
; COMPUTE_PGM_RSRC2:USER_SGPR: 6
; COMPUTE_PGM_RSRC2:TRAP_HANDLER: 0
; COMPUTE_PGM_RSRC2:TGID_X_EN: 1
; COMPUTE_PGM_RSRC2:TGID_Y_EN: 0
; COMPUTE_PGM_RSRC2:TGID_Z_EN: 0
; COMPUTE_PGM_RSRC2:TIDIG_COMP_CNT: 0
	.section	.text._ZN7rocprim17ROCPRIM_400000_NS6detail17trampoline_kernelINS0_14default_configENS1_25transform_config_selectorIfLb1EEEZNS1_14transform_implILb1ES3_S5_PfS7_NS0_8identityIfEEEE10hipError_tT2_T3_mT4_P12ihipStream_tbEUlT_E_NS1_11comp_targetILNS1_3genE0ELNS1_11target_archE4294967295ELNS1_3gpuE0ELNS1_3repE0EEENS1_30default_config_static_selectorELNS0_4arch9wavefront6targetE0EEEvT1_,"axG",@progbits,_ZN7rocprim17ROCPRIM_400000_NS6detail17trampoline_kernelINS0_14default_configENS1_25transform_config_selectorIfLb1EEEZNS1_14transform_implILb1ES3_S5_PfS7_NS0_8identityIfEEEE10hipError_tT2_T3_mT4_P12ihipStream_tbEUlT_E_NS1_11comp_targetILNS1_3genE0ELNS1_11target_archE4294967295ELNS1_3gpuE0ELNS1_3repE0EEENS1_30default_config_static_selectorELNS0_4arch9wavefront6targetE0EEEvT1_,comdat
	.protected	_ZN7rocprim17ROCPRIM_400000_NS6detail17trampoline_kernelINS0_14default_configENS1_25transform_config_selectorIfLb1EEEZNS1_14transform_implILb1ES3_S5_PfS7_NS0_8identityIfEEEE10hipError_tT2_T3_mT4_P12ihipStream_tbEUlT_E_NS1_11comp_targetILNS1_3genE0ELNS1_11target_archE4294967295ELNS1_3gpuE0ELNS1_3repE0EEENS1_30default_config_static_selectorELNS0_4arch9wavefront6targetE0EEEvT1_ ; -- Begin function _ZN7rocprim17ROCPRIM_400000_NS6detail17trampoline_kernelINS0_14default_configENS1_25transform_config_selectorIfLb1EEEZNS1_14transform_implILb1ES3_S5_PfS7_NS0_8identityIfEEEE10hipError_tT2_T3_mT4_P12ihipStream_tbEUlT_E_NS1_11comp_targetILNS1_3genE0ELNS1_11target_archE4294967295ELNS1_3gpuE0ELNS1_3repE0EEENS1_30default_config_static_selectorELNS0_4arch9wavefront6targetE0EEEvT1_
	.globl	_ZN7rocprim17ROCPRIM_400000_NS6detail17trampoline_kernelINS0_14default_configENS1_25transform_config_selectorIfLb1EEEZNS1_14transform_implILb1ES3_S5_PfS7_NS0_8identityIfEEEE10hipError_tT2_T3_mT4_P12ihipStream_tbEUlT_E_NS1_11comp_targetILNS1_3genE0ELNS1_11target_archE4294967295ELNS1_3gpuE0ELNS1_3repE0EEENS1_30default_config_static_selectorELNS0_4arch9wavefront6targetE0EEEvT1_
	.p2align	8
	.type	_ZN7rocprim17ROCPRIM_400000_NS6detail17trampoline_kernelINS0_14default_configENS1_25transform_config_selectorIfLb1EEEZNS1_14transform_implILb1ES3_S5_PfS7_NS0_8identityIfEEEE10hipError_tT2_T3_mT4_P12ihipStream_tbEUlT_E_NS1_11comp_targetILNS1_3genE0ELNS1_11target_archE4294967295ELNS1_3gpuE0ELNS1_3repE0EEENS1_30default_config_static_selectorELNS0_4arch9wavefront6targetE0EEEvT1_,@function
_ZN7rocprim17ROCPRIM_400000_NS6detail17trampoline_kernelINS0_14default_configENS1_25transform_config_selectorIfLb1EEEZNS1_14transform_implILb1ES3_S5_PfS7_NS0_8identityIfEEEE10hipError_tT2_T3_mT4_P12ihipStream_tbEUlT_E_NS1_11comp_targetILNS1_3genE0ELNS1_11target_archE4294967295ELNS1_3gpuE0ELNS1_3repE0EEENS1_30default_config_static_selectorELNS0_4arch9wavefront6targetE0EEEvT1_: ; @_ZN7rocprim17ROCPRIM_400000_NS6detail17trampoline_kernelINS0_14default_configENS1_25transform_config_selectorIfLb1EEEZNS1_14transform_implILb1ES3_S5_PfS7_NS0_8identityIfEEEE10hipError_tT2_T3_mT4_P12ihipStream_tbEUlT_E_NS1_11comp_targetILNS1_3genE0ELNS1_11target_archE4294967295ELNS1_3gpuE0ELNS1_3repE0EEENS1_30default_config_static_selectorELNS0_4arch9wavefront6targetE0EEEvT1_
; %bb.0:
	.section	.rodata,"a",@progbits
	.p2align	6, 0x0
	.amdhsa_kernel _ZN7rocprim17ROCPRIM_400000_NS6detail17trampoline_kernelINS0_14default_configENS1_25transform_config_selectorIfLb1EEEZNS1_14transform_implILb1ES3_S5_PfS7_NS0_8identityIfEEEE10hipError_tT2_T3_mT4_P12ihipStream_tbEUlT_E_NS1_11comp_targetILNS1_3genE0ELNS1_11target_archE4294967295ELNS1_3gpuE0ELNS1_3repE0EEENS1_30default_config_static_selectorELNS0_4arch9wavefront6targetE0EEEvT1_
		.amdhsa_group_segment_fixed_size 0
		.amdhsa_private_segment_fixed_size 0
		.amdhsa_kernarg_size 40
		.amdhsa_user_sgpr_count 6
		.amdhsa_user_sgpr_private_segment_buffer 1
		.amdhsa_user_sgpr_dispatch_ptr 0
		.amdhsa_user_sgpr_queue_ptr 0
		.amdhsa_user_sgpr_kernarg_segment_ptr 1
		.amdhsa_user_sgpr_dispatch_id 0
		.amdhsa_user_sgpr_flat_scratch_init 0
		.amdhsa_user_sgpr_private_segment_size 0
		.amdhsa_wavefront_size32 1
		.amdhsa_uses_dynamic_stack 0
		.amdhsa_system_sgpr_private_segment_wavefront_offset 0
		.amdhsa_system_sgpr_workgroup_id_x 1
		.amdhsa_system_sgpr_workgroup_id_y 0
		.amdhsa_system_sgpr_workgroup_id_z 0
		.amdhsa_system_sgpr_workgroup_info 0
		.amdhsa_system_vgpr_workitem_id 0
		.amdhsa_next_free_vgpr 1
		.amdhsa_next_free_sgpr 1
		.amdhsa_reserve_vcc 0
		.amdhsa_reserve_flat_scratch 0
		.amdhsa_float_round_mode_32 0
		.amdhsa_float_round_mode_16_64 0
		.amdhsa_float_denorm_mode_32 3
		.amdhsa_float_denorm_mode_16_64 3
		.amdhsa_dx10_clamp 1
		.amdhsa_ieee_mode 1
		.amdhsa_fp16_overflow 0
		.amdhsa_workgroup_processor_mode 1
		.amdhsa_memory_ordered 1
		.amdhsa_forward_progress 1
		.amdhsa_shared_vgpr_count 0
		.amdhsa_exception_fp_ieee_invalid_op 0
		.amdhsa_exception_fp_denorm_src 0
		.amdhsa_exception_fp_ieee_div_zero 0
		.amdhsa_exception_fp_ieee_overflow 0
		.amdhsa_exception_fp_ieee_underflow 0
		.amdhsa_exception_fp_ieee_inexact 0
		.amdhsa_exception_int_div_zero 0
	.end_amdhsa_kernel
	.section	.text._ZN7rocprim17ROCPRIM_400000_NS6detail17trampoline_kernelINS0_14default_configENS1_25transform_config_selectorIfLb1EEEZNS1_14transform_implILb1ES3_S5_PfS7_NS0_8identityIfEEEE10hipError_tT2_T3_mT4_P12ihipStream_tbEUlT_E_NS1_11comp_targetILNS1_3genE0ELNS1_11target_archE4294967295ELNS1_3gpuE0ELNS1_3repE0EEENS1_30default_config_static_selectorELNS0_4arch9wavefront6targetE0EEEvT1_,"axG",@progbits,_ZN7rocprim17ROCPRIM_400000_NS6detail17trampoline_kernelINS0_14default_configENS1_25transform_config_selectorIfLb1EEEZNS1_14transform_implILb1ES3_S5_PfS7_NS0_8identityIfEEEE10hipError_tT2_T3_mT4_P12ihipStream_tbEUlT_E_NS1_11comp_targetILNS1_3genE0ELNS1_11target_archE4294967295ELNS1_3gpuE0ELNS1_3repE0EEENS1_30default_config_static_selectorELNS0_4arch9wavefront6targetE0EEEvT1_,comdat
.Lfunc_end97:
	.size	_ZN7rocprim17ROCPRIM_400000_NS6detail17trampoline_kernelINS0_14default_configENS1_25transform_config_selectorIfLb1EEEZNS1_14transform_implILb1ES3_S5_PfS7_NS0_8identityIfEEEE10hipError_tT2_T3_mT4_P12ihipStream_tbEUlT_E_NS1_11comp_targetILNS1_3genE0ELNS1_11target_archE4294967295ELNS1_3gpuE0ELNS1_3repE0EEENS1_30default_config_static_selectorELNS0_4arch9wavefront6targetE0EEEvT1_, .Lfunc_end97-_ZN7rocprim17ROCPRIM_400000_NS6detail17trampoline_kernelINS0_14default_configENS1_25transform_config_selectorIfLb1EEEZNS1_14transform_implILb1ES3_S5_PfS7_NS0_8identityIfEEEE10hipError_tT2_T3_mT4_P12ihipStream_tbEUlT_E_NS1_11comp_targetILNS1_3genE0ELNS1_11target_archE4294967295ELNS1_3gpuE0ELNS1_3repE0EEENS1_30default_config_static_selectorELNS0_4arch9wavefront6targetE0EEEvT1_
                                        ; -- End function
	.set _ZN7rocprim17ROCPRIM_400000_NS6detail17trampoline_kernelINS0_14default_configENS1_25transform_config_selectorIfLb1EEEZNS1_14transform_implILb1ES3_S5_PfS7_NS0_8identityIfEEEE10hipError_tT2_T3_mT4_P12ihipStream_tbEUlT_E_NS1_11comp_targetILNS1_3genE0ELNS1_11target_archE4294967295ELNS1_3gpuE0ELNS1_3repE0EEENS1_30default_config_static_selectorELNS0_4arch9wavefront6targetE0EEEvT1_.num_vgpr, 0
	.set _ZN7rocprim17ROCPRIM_400000_NS6detail17trampoline_kernelINS0_14default_configENS1_25transform_config_selectorIfLb1EEEZNS1_14transform_implILb1ES3_S5_PfS7_NS0_8identityIfEEEE10hipError_tT2_T3_mT4_P12ihipStream_tbEUlT_E_NS1_11comp_targetILNS1_3genE0ELNS1_11target_archE4294967295ELNS1_3gpuE0ELNS1_3repE0EEENS1_30default_config_static_selectorELNS0_4arch9wavefront6targetE0EEEvT1_.num_agpr, 0
	.set _ZN7rocprim17ROCPRIM_400000_NS6detail17trampoline_kernelINS0_14default_configENS1_25transform_config_selectorIfLb1EEEZNS1_14transform_implILb1ES3_S5_PfS7_NS0_8identityIfEEEE10hipError_tT2_T3_mT4_P12ihipStream_tbEUlT_E_NS1_11comp_targetILNS1_3genE0ELNS1_11target_archE4294967295ELNS1_3gpuE0ELNS1_3repE0EEENS1_30default_config_static_selectorELNS0_4arch9wavefront6targetE0EEEvT1_.numbered_sgpr, 0
	.set _ZN7rocprim17ROCPRIM_400000_NS6detail17trampoline_kernelINS0_14default_configENS1_25transform_config_selectorIfLb1EEEZNS1_14transform_implILb1ES3_S5_PfS7_NS0_8identityIfEEEE10hipError_tT2_T3_mT4_P12ihipStream_tbEUlT_E_NS1_11comp_targetILNS1_3genE0ELNS1_11target_archE4294967295ELNS1_3gpuE0ELNS1_3repE0EEENS1_30default_config_static_selectorELNS0_4arch9wavefront6targetE0EEEvT1_.num_named_barrier, 0
	.set _ZN7rocprim17ROCPRIM_400000_NS6detail17trampoline_kernelINS0_14default_configENS1_25transform_config_selectorIfLb1EEEZNS1_14transform_implILb1ES3_S5_PfS7_NS0_8identityIfEEEE10hipError_tT2_T3_mT4_P12ihipStream_tbEUlT_E_NS1_11comp_targetILNS1_3genE0ELNS1_11target_archE4294967295ELNS1_3gpuE0ELNS1_3repE0EEENS1_30default_config_static_selectorELNS0_4arch9wavefront6targetE0EEEvT1_.private_seg_size, 0
	.set _ZN7rocprim17ROCPRIM_400000_NS6detail17trampoline_kernelINS0_14default_configENS1_25transform_config_selectorIfLb1EEEZNS1_14transform_implILb1ES3_S5_PfS7_NS0_8identityIfEEEE10hipError_tT2_T3_mT4_P12ihipStream_tbEUlT_E_NS1_11comp_targetILNS1_3genE0ELNS1_11target_archE4294967295ELNS1_3gpuE0ELNS1_3repE0EEENS1_30default_config_static_selectorELNS0_4arch9wavefront6targetE0EEEvT1_.uses_vcc, 0
	.set _ZN7rocprim17ROCPRIM_400000_NS6detail17trampoline_kernelINS0_14default_configENS1_25transform_config_selectorIfLb1EEEZNS1_14transform_implILb1ES3_S5_PfS7_NS0_8identityIfEEEE10hipError_tT2_T3_mT4_P12ihipStream_tbEUlT_E_NS1_11comp_targetILNS1_3genE0ELNS1_11target_archE4294967295ELNS1_3gpuE0ELNS1_3repE0EEENS1_30default_config_static_selectorELNS0_4arch9wavefront6targetE0EEEvT1_.uses_flat_scratch, 0
	.set _ZN7rocprim17ROCPRIM_400000_NS6detail17trampoline_kernelINS0_14default_configENS1_25transform_config_selectorIfLb1EEEZNS1_14transform_implILb1ES3_S5_PfS7_NS0_8identityIfEEEE10hipError_tT2_T3_mT4_P12ihipStream_tbEUlT_E_NS1_11comp_targetILNS1_3genE0ELNS1_11target_archE4294967295ELNS1_3gpuE0ELNS1_3repE0EEENS1_30default_config_static_selectorELNS0_4arch9wavefront6targetE0EEEvT1_.has_dyn_sized_stack, 0
	.set _ZN7rocprim17ROCPRIM_400000_NS6detail17trampoline_kernelINS0_14default_configENS1_25transform_config_selectorIfLb1EEEZNS1_14transform_implILb1ES3_S5_PfS7_NS0_8identityIfEEEE10hipError_tT2_T3_mT4_P12ihipStream_tbEUlT_E_NS1_11comp_targetILNS1_3genE0ELNS1_11target_archE4294967295ELNS1_3gpuE0ELNS1_3repE0EEENS1_30default_config_static_selectorELNS0_4arch9wavefront6targetE0EEEvT1_.has_recursion, 0
	.set _ZN7rocprim17ROCPRIM_400000_NS6detail17trampoline_kernelINS0_14default_configENS1_25transform_config_selectorIfLb1EEEZNS1_14transform_implILb1ES3_S5_PfS7_NS0_8identityIfEEEE10hipError_tT2_T3_mT4_P12ihipStream_tbEUlT_E_NS1_11comp_targetILNS1_3genE0ELNS1_11target_archE4294967295ELNS1_3gpuE0ELNS1_3repE0EEENS1_30default_config_static_selectorELNS0_4arch9wavefront6targetE0EEEvT1_.has_indirect_call, 0
	.section	.AMDGPU.csdata,"",@progbits
; Kernel info:
; codeLenInByte = 0
; TotalNumSgprs: 0
; NumVgprs: 0
; ScratchSize: 0
; MemoryBound: 0
; FloatMode: 240
; IeeeMode: 1
; LDSByteSize: 0 bytes/workgroup (compile time only)
; SGPRBlocks: 0
; VGPRBlocks: 0
; NumSGPRsForWavesPerEU: 1
; NumVGPRsForWavesPerEU: 1
; Occupancy: 16
; WaveLimiterHint : 0
; COMPUTE_PGM_RSRC2:SCRATCH_EN: 0
; COMPUTE_PGM_RSRC2:USER_SGPR: 6
; COMPUTE_PGM_RSRC2:TRAP_HANDLER: 0
; COMPUTE_PGM_RSRC2:TGID_X_EN: 1
; COMPUTE_PGM_RSRC2:TGID_Y_EN: 0
; COMPUTE_PGM_RSRC2:TGID_Z_EN: 0
; COMPUTE_PGM_RSRC2:TIDIG_COMP_CNT: 0
	.section	.text._ZN7rocprim17ROCPRIM_400000_NS6detail17trampoline_kernelINS0_14default_configENS1_25transform_config_selectorIfLb1EEEZNS1_14transform_implILb1ES3_S5_PfS7_NS0_8identityIfEEEE10hipError_tT2_T3_mT4_P12ihipStream_tbEUlT_E_NS1_11comp_targetILNS1_3genE10ELNS1_11target_archE1201ELNS1_3gpuE5ELNS1_3repE0EEENS1_30default_config_static_selectorELNS0_4arch9wavefront6targetE0EEEvT1_,"axG",@progbits,_ZN7rocprim17ROCPRIM_400000_NS6detail17trampoline_kernelINS0_14default_configENS1_25transform_config_selectorIfLb1EEEZNS1_14transform_implILb1ES3_S5_PfS7_NS0_8identityIfEEEE10hipError_tT2_T3_mT4_P12ihipStream_tbEUlT_E_NS1_11comp_targetILNS1_3genE10ELNS1_11target_archE1201ELNS1_3gpuE5ELNS1_3repE0EEENS1_30default_config_static_selectorELNS0_4arch9wavefront6targetE0EEEvT1_,comdat
	.protected	_ZN7rocprim17ROCPRIM_400000_NS6detail17trampoline_kernelINS0_14default_configENS1_25transform_config_selectorIfLb1EEEZNS1_14transform_implILb1ES3_S5_PfS7_NS0_8identityIfEEEE10hipError_tT2_T3_mT4_P12ihipStream_tbEUlT_E_NS1_11comp_targetILNS1_3genE10ELNS1_11target_archE1201ELNS1_3gpuE5ELNS1_3repE0EEENS1_30default_config_static_selectorELNS0_4arch9wavefront6targetE0EEEvT1_ ; -- Begin function _ZN7rocprim17ROCPRIM_400000_NS6detail17trampoline_kernelINS0_14default_configENS1_25transform_config_selectorIfLb1EEEZNS1_14transform_implILb1ES3_S5_PfS7_NS0_8identityIfEEEE10hipError_tT2_T3_mT4_P12ihipStream_tbEUlT_E_NS1_11comp_targetILNS1_3genE10ELNS1_11target_archE1201ELNS1_3gpuE5ELNS1_3repE0EEENS1_30default_config_static_selectorELNS0_4arch9wavefront6targetE0EEEvT1_
	.globl	_ZN7rocprim17ROCPRIM_400000_NS6detail17trampoline_kernelINS0_14default_configENS1_25transform_config_selectorIfLb1EEEZNS1_14transform_implILb1ES3_S5_PfS7_NS0_8identityIfEEEE10hipError_tT2_T3_mT4_P12ihipStream_tbEUlT_E_NS1_11comp_targetILNS1_3genE10ELNS1_11target_archE1201ELNS1_3gpuE5ELNS1_3repE0EEENS1_30default_config_static_selectorELNS0_4arch9wavefront6targetE0EEEvT1_
	.p2align	8
	.type	_ZN7rocprim17ROCPRIM_400000_NS6detail17trampoline_kernelINS0_14default_configENS1_25transform_config_selectorIfLb1EEEZNS1_14transform_implILb1ES3_S5_PfS7_NS0_8identityIfEEEE10hipError_tT2_T3_mT4_P12ihipStream_tbEUlT_E_NS1_11comp_targetILNS1_3genE10ELNS1_11target_archE1201ELNS1_3gpuE5ELNS1_3repE0EEENS1_30default_config_static_selectorELNS0_4arch9wavefront6targetE0EEEvT1_,@function
_ZN7rocprim17ROCPRIM_400000_NS6detail17trampoline_kernelINS0_14default_configENS1_25transform_config_selectorIfLb1EEEZNS1_14transform_implILb1ES3_S5_PfS7_NS0_8identityIfEEEE10hipError_tT2_T3_mT4_P12ihipStream_tbEUlT_E_NS1_11comp_targetILNS1_3genE10ELNS1_11target_archE1201ELNS1_3gpuE5ELNS1_3repE0EEENS1_30default_config_static_selectorELNS0_4arch9wavefront6targetE0EEEvT1_: ; @_ZN7rocprim17ROCPRIM_400000_NS6detail17trampoline_kernelINS0_14default_configENS1_25transform_config_selectorIfLb1EEEZNS1_14transform_implILb1ES3_S5_PfS7_NS0_8identityIfEEEE10hipError_tT2_T3_mT4_P12ihipStream_tbEUlT_E_NS1_11comp_targetILNS1_3genE10ELNS1_11target_archE1201ELNS1_3gpuE5ELNS1_3repE0EEENS1_30default_config_static_selectorELNS0_4arch9wavefront6targetE0EEEvT1_
; %bb.0:
	.section	.rodata,"a",@progbits
	.p2align	6, 0x0
	.amdhsa_kernel _ZN7rocprim17ROCPRIM_400000_NS6detail17trampoline_kernelINS0_14default_configENS1_25transform_config_selectorIfLb1EEEZNS1_14transform_implILb1ES3_S5_PfS7_NS0_8identityIfEEEE10hipError_tT2_T3_mT4_P12ihipStream_tbEUlT_E_NS1_11comp_targetILNS1_3genE10ELNS1_11target_archE1201ELNS1_3gpuE5ELNS1_3repE0EEENS1_30default_config_static_selectorELNS0_4arch9wavefront6targetE0EEEvT1_
		.amdhsa_group_segment_fixed_size 0
		.amdhsa_private_segment_fixed_size 0
		.amdhsa_kernarg_size 40
		.amdhsa_user_sgpr_count 6
		.amdhsa_user_sgpr_private_segment_buffer 1
		.amdhsa_user_sgpr_dispatch_ptr 0
		.amdhsa_user_sgpr_queue_ptr 0
		.amdhsa_user_sgpr_kernarg_segment_ptr 1
		.amdhsa_user_sgpr_dispatch_id 0
		.amdhsa_user_sgpr_flat_scratch_init 0
		.amdhsa_user_sgpr_private_segment_size 0
		.amdhsa_wavefront_size32 1
		.amdhsa_uses_dynamic_stack 0
		.amdhsa_system_sgpr_private_segment_wavefront_offset 0
		.amdhsa_system_sgpr_workgroup_id_x 1
		.amdhsa_system_sgpr_workgroup_id_y 0
		.amdhsa_system_sgpr_workgroup_id_z 0
		.amdhsa_system_sgpr_workgroup_info 0
		.amdhsa_system_vgpr_workitem_id 0
		.amdhsa_next_free_vgpr 1
		.amdhsa_next_free_sgpr 1
		.amdhsa_reserve_vcc 0
		.amdhsa_reserve_flat_scratch 0
		.amdhsa_float_round_mode_32 0
		.amdhsa_float_round_mode_16_64 0
		.amdhsa_float_denorm_mode_32 3
		.amdhsa_float_denorm_mode_16_64 3
		.amdhsa_dx10_clamp 1
		.amdhsa_ieee_mode 1
		.amdhsa_fp16_overflow 0
		.amdhsa_workgroup_processor_mode 1
		.amdhsa_memory_ordered 1
		.amdhsa_forward_progress 1
		.amdhsa_shared_vgpr_count 0
		.amdhsa_exception_fp_ieee_invalid_op 0
		.amdhsa_exception_fp_denorm_src 0
		.amdhsa_exception_fp_ieee_div_zero 0
		.amdhsa_exception_fp_ieee_overflow 0
		.amdhsa_exception_fp_ieee_underflow 0
		.amdhsa_exception_fp_ieee_inexact 0
		.amdhsa_exception_int_div_zero 0
	.end_amdhsa_kernel
	.section	.text._ZN7rocprim17ROCPRIM_400000_NS6detail17trampoline_kernelINS0_14default_configENS1_25transform_config_selectorIfLb1EEEZNS1_14transform_implILb1ES3_S5_PfS7_NS0_8identityIfEEEE10hipError_tT2_T3_mT4_P12ihipStream_tbEUlT_E_NS1_11comp_targetILNS1_3genE10ELNS1_11target_archE1201ELNS1_3gpuE5ELNS1_3repE0EEENS1_30default_config_static_selectorELNS0_4arch9wavefront6targetE0EEEvT1_,"axG",@progbits,_ZN7rocprim17ROCPRIM_400000_NS6detail17trampoline_kernelINS0_14default_configENS1_25transform_config_selectorIfLb1EEEZNS1_14transform_implILb1ES3_S5_PfS7_NS0_8identityIfEEEE10hipError_tT2_T3_mT4_P12ihipStream_tbEUlT_E_NS1_11comp_targetILNS1_3genE10ELNS1_11target_archE1201ELNS1_3gpuE5ELNS1_3repE0EEENS1_30default_config_static_selectorELNS0_4arch9wavefront6targetE0EEEvT1_,comdat
.Lfunc_end98:
	.size	_ZN7rocprim17ROCPRIM_400000_NS6detail17trampoline_kernelINS0_14default_configENS1_25transform_config_selectorIfLb1EEEZNS1_14transform_implILb1ES3_S5_PfS7_NS0_8identityIfEEEE10hipError_tT2_T3_mT4_P12ihipStream_tbEUlT_E_NS1_11comp_targetILNS1_3genE10ELNS1_11target_archE1201ELNS1_3gpuE5ELNS1_3repE0EEENS1_30default_config_static_selectorELNS0_4arch9wavefront6targetE0EEEvT1_, .Lfunc_end98-_ZN7rocprim17ROCPRIM_400000_NS6detail17trampoline_kernelINS0_14default_configENS1_25transform_config_selectorIfLb1EEEZNS1_14transform_implILb1ES3_S5_PfS7_NS0_8identityIfEEEE10hipError_tT2_T3_mT4_P12ihipStream_tbEUlT_E_NS1_11comp_targetILNS1_3genE10ELNS1_11target_archE1201ELNS1_3gpuE5ELNS1_3repE0EEENS1_30default_config_static_selectorELNS0_4arch9wavefront6targetE0EEEvT1_
                                        ; -- End function
	.set _ZN7rocprim17ROCPRIM_400000_NS6detail17trampoline_kernelINS0_14default_configENS1_25transform_config_selectorIfLb1EEEZNS1_14transform_implILb1ES3_S5_PfS7_NS0_8identityIfEEEE10hipError_tT2_T3_mT4_P12ihipStream_tbEUlT_E_NS1_11comp_targetILNS1_3genE10ELNS1_11target_archE1201ELNS1_3gpuE5ELNS1_3repE0EEENS1_30default_config_static_selectorELNS0_4arch9wavefront6targetE0EEEvT1_.num_vgpr, 0
	.set _ZN7rocprim17ROCPRIM_400000_NS6detail17trampoline_kernelINS0_14default_configENS1_25transform_config_selectorIfLb1EEEZNS1_14transform_implILb1ES3_S5_PfS7_NS0_8identityIfEEEE10hipError_tT2_T3_mT4_P12ihipStream_tbEUlT_E_NS1_11comp_targetILNS1_3genE10ELNS1_11target_archE1201ELNS1_3gpuE5ELNS1_3repE0EEENS1_30default_config_static_selectorELNS0_4arch9wavefront6targetE0EEEvT1_.num_agpr, 0
	.set _ZN7rocprim17ROCPRIM_400000_NS6detail17trampoline_kernelINS0_14default_configENS1_25transform_config_selectorIfLb1EEEZNS1_14transform_implILb1ES3_S5_PfS7_NS0_8identityIfEEEE10hipError_tT2_T3_mT4_P12ihipStream_tbEUlT_E_NS1_11comp_targetILNS1_3genE10ELNS1_11target_archE1201ELNS1_3gpuE5ELNS1_3repE0EEENS1_30default_config_static_selectorELNS0_4arch9wavefront6targetE0EEEvT1_.numbered_sgpr, 0
	.set _ZN7rocprim17ROCPRIM_400000_NS6detail17trampoline_kernelINS0_14default_configENS1_25transform_config_selectorIfLb1EEEZNS1_14transform_implILb1ES3_S5_PfS7_NS0_8identityIfEEEE10hipError_tT2_T3_mT4_P12ihipStream_tbEUlT_E_NS1_11comp_targetILNS1_3genE10ELNS1_11target_archE1201ELNS1_3gpuE5ELNS1_3repE0EEENS1_30default_config_static_selectorELNS0_4arch9wavefront6targetE0EEEvT1_.num_named_barrier, 0
	.set _ZN7rocprim17ROCPRIM_400000_NS6detail17trampoline_kernelINS0_14default_configENS1_25transform_config_selectorIfLb1EEEZNS1_14transform_implILb1ES3_S5_PfS7_NS0_8identityIfEEEE10hipError_tT2_T3_mT4_P12ihipStream_tbEUlT_E_NS1_11comp_targetILNS1_3genE10ELNS1_11target_archE1201ELNS1_3gpuE5ELNS1_3repE0EEENS1_30default_config_static_selectorELNS0_4arch9wavefront6targetE0EEEvT1_.private_seg_size, 0
	.set _ZN7rocprim17ROCPRIM_400000_NS6detail17trampoline_kernelINS0_14default_configENS1_25transform_config_selectorIfLb1EEEZNS1_14transform_implILb1ES3_S5_PfS7_NS0_8identityIfEEEE10hipError_tT2_T3_mT4_P12ihipStream_tbEUlT_E_NS1_11comp_targetILNS1_3genE10ELNS1_11target_archE1201ELNS1_3gpuE5ELNS1_3repE0EEENS1_30default_config_static_selectorELNS0_4arch9wavefront6targetE0EEEvT1_.uses_vcc, 0
	.set _ZN7rocprim17ROCPRIM_400000_NS6detail17trampoline_kernelINS0_14default_configENS1_25transform_config_selectorIfLb1EEEZNS1_14transform_implILb1ES3_S5_PfS7_NS0_8identityIfEEEE10hipError_tT2_T3_mT4_P12ihipStream_tbEUlT_E_NS1_11comp_targetILNS1_3genE10ELNS1_11target_archE1201ELNS1_3gpuE5ELNS1_3repE0EEENS1_30default_config_static_selectorELNS0_4arch9wavefront6targetE0EEEvT1_.uses_flat_scratch, 0
	.set _ZN7rocprim17ROCPRIM_400000_NS6detail17trampoline_kernelINS0_14default_configENS1_25transform_config_selectorIfLb1EEEZNS1_14transform_implILb1ES3_S5_PfS7_NS0_8identityIfEEEE10hipError_tT2_T3_mT4_P12ihipStream_tbEUlT_E_NS1_11comp_targetILNS1_3genE10ELNS1_11target_archE1201ELNS1_3gpuE5ELNS1_3repE0EEENS1_30default_config_static_selectorELNS0_4arch9wavefront6targetE0EEEvT1_.has_dyn_sized_stack, 0
	.set _ZN7rocprim17ROCPRIM_400000_NS6detail17trampoline_kernelINS0_14default_configENS1_25transform_config_selectorIfLb1EEEZNS1_14transform_implILb1ES3_S5_PfS7_NS0_8identityIfEEEE10hipError_tT2_T3_mT4_P12ihipStream_tbEUlT_E_NS1_11comp_targetILNS1_3genE10ELNS1_11target_archE1201ELNS1_3gpuE5ELNS1_3repE0EEENS1_30default_config_static_selectorELNS0_4arch9wavefront6targetE0EEEvT1_.has_recursion, 0
	.set _ZN7rocprim17ROCPRIM_400000_NS6detail17trampoline_kernelINS0_14default_configENS1_25transform_config_selectorIfLb1EEEZNS1_14transform_implILb1ES3_S5_PfS7_NS0_8identityIfEEEE10hipError_tT2_T3_mT4_P12ihipStream_tbEUlT_E_NS1_11comp_targetILNS1_3genE10ELNS1_11target_archE1201ELNS1_3gpuE5ELNS1_3repE0EEENS1_30default_config_static_selectorELNS0_4arch9wavefront6targetE0EEEvT1_.has_indirect_call, 0
	.section	.AMDGPU.csdata,"",@progbits
; Kernel info:
; codeLenInByte = 0
; TotalNumSgprs: 0
; NumVgprs: 0
; ScratchSize: 0
; MemoryBound: 0
; FloatMode: 240
; IeeeMode: 1
; LDSByteSize: 0 bytes/workgroup (compile time only)
; SGPRBlocks: 0
; VGPRBlocks: 0
; NumSGPRsForWavesPerEU: 1
; NumVGPRsForWavesPerEU: 1
; Occupancy: 16
; WaveLimiterHint : 0
; COMPUTE_PGM_RSRC2:SCRATCH_EN: 0
; COMPUTE_PGM_RSRC2:USER_SGPR: 6
; COMPUTE_PGM_RSRC2:TRAP_HANDLER: 0
; COMPUTE_PGM_RSRC2:TGID_X_EN: 1
; COMPUTE_PGM_RSRC2:TGID_Y_EN: 0
; COMPUTE_PGM_RSRC2:TGID_Z_EN: 0
; COMPUTE_PGM_RSRC2:TIDIG_COMP_CNT: 0
	.section	.text._ZN7rocprim17ROCPRIM_400000_NS6detail17trampoline_kernelINS0_14default_configENS1_25transform_config_selectorIfLb1EEEZNS1_14transform_implILb1ES3_S5_PfS7_NS0_8identityIfEEEE10hipError_tT2_T3_mT4_P12ihipStream_tbEUlT_E_NS1_11comp_targetILNS1_3genE5ELNS1_11target_archE942ELNS1_3gpuE9ELNS1_3repE0EEENS1_30default_config_static_selectorELNS0_4arch9wavefront6targetE0EEEvT1_,"axG",@progbits,_ZN7rocprim17ROCPRIM_400000_NS6detail17trampoline_kernelINS0_14default_configENS1_25transform_config_selectorIfLb1EEEZNS1_14transform_implILb1ES3_S5_PfS7_NS0_8identityIfEEEE10hipError_tT2_T3_mT4_P12ihipStream_tbEUlT_E_NS1_11comp_targetILNS1_3genE5ELNS1_11target_archE942ELNS1_3gpuE9ELNS1_3repE0EEENS1_30default_config_static_selectorELNS0_4arch9wavefront6targetE0EEEvT1_,comdat
	.protected	_ZN7rocprim17ROCPRIM_400000_NS6detail17trampoline_kernelINS0_14default_configENS1_25transform_config_selectorIfLb1EEEZNS1_14transform_implILb1ES3_S5_PfS7_NS0_8identityIfEEEE10hipError_tT2_T3_mT4_P12ihipStream_tbEUlT_E_NS1_11comp_targetILNS1_3genE5ELNS1_11target_archE942ELNS1_3gpuE9ELNS1_3repE0EEENS1_30default_config_static_selectorELNS0_4arch9wavefront6targetE0EEEvT1_ ; -- Begin function _ZN7rocprim17ROCPRIM_400000_NS6detail17trampoline_kernelINS0_14default_configENS1_25transform_config_selectorIfLb1EEEZNS1_14transform_implILb1ES3_S5_PfS7_NS0_8identityIfEEEE10hipError_tT2_T3_mT4_P12ihipStream_tbEUlT_E_NS1_11comp_targetILNS1_3genE5ELNS1_11target_archE942ELNS1_3gpuE9ELNS1_3repE0EEENS1_30default_config_static_selectorELNS0_4arch9wavefront6targetE0EEEvT1_
	.globl	_ZN7rocprim17ROCPRIM_400000_NS6detail17trampoline_kernelINS0_14default_configENS1_25transform_config_selectorIfLb1EEEZNS1_14transform_implILb1ES3_S5_PfS7_NS0_8identityIfEEEE10hipError_tT2_T3_mT4_P12ihipStream_tbEUlT_E_NS1_11comp_targetILNS1_3genE5ELNS1_11target_archE942ELNS1_3gpuE9ELNS1_3repE0EEENS1_30default_config_static_selectorELNS0_4arch9wavefront6targetE0EEEvT1_
	.p2align	8
	.type	_ZN7rocprim17ROCPRIM_400000_NS6detail17trampoline_kernelINS0_14default_configENS1_25transform_config_selectorIfLb1EEEZNS1_14transform_implILb1ES3_S5_PfS7_NS0_8identityIfEEEE10hipError_tT2_T3_mT4_P12ihipStream_tbEUlT_E_NS1_11comp_targetILNS1_3genE5ELNS1_11target_archE942ELNS1_3gpuE9ELNS1_3repE0EEENS1_30default_config_static_selectorELNS0_4arch9wavefront6targetE0EEEvT1_,@function
_ZN7rocprim17ROCPRIM_400000_NS6detail17trampoline_kernelINS0_14default_configENS1_25transform_config_selectorIfLb1EEEZNS1_14transform_implILb1ES3_S5_PfS7_NS0_8identityIfEEEE10hipError_tT2_T3_mT4_P12ihipStream_tbEUlT_E_NS1_11comp_targetILNS1_3genE5ELNS1_11target_archE942ELNS1_3gpuE9ELNS1_3repE0EEENS1_30default_config_static_selectorELNS0_4arch9wavefront6targetE0EEEvT1_: ; @_ZN7rocprim17ROCPRIM_400000_NS6detail17trampoline_kernelINS0_14default_configENS1_25transform_config_selectorIfLb1EEEZNS1_14transform_implILb1ES3_S5_PfS7_NS0_8identityIfEEEE10hipError_tT2_T3_mT4_P12ihipStream_tbEUlT_E_NS1_11comp_targetILNS1_3genE5ELNS1_11target_archE942ELNS1_3gpuE9ELNS1_3repE0EEENS1_30default_config_static_selectorELNS0_4arch9wavefront6targetE0EEEvT1_
; %bb.0:
	.section	.rodata,"a",@progbits
	.p2align	6, 0x0
	.amdhsa_kernel _ZN7rocprim17ROCPRIM_400000_NS6detail17trampoline_kernelINS0_14default_configENS1_25transform_config_selectorIfLb1EEEZNS1_14transform_implILb1ES3_S5_PfS7_NS0_8identityIfEEEE10hipError_tT2_T3_mT4_P12ihipStream_tbEUlT_E_NS1_11comp_targetILNS1_3genE5ELNS1_11target_archE942ELNS1_3gpuE9ELNS1_3repE0EEENS1_30default_config_static_selectorELNS0_4arch9wavefront6targetE0EEEvT1_
		.amdhsa_group_segment_fixed_size 0
		.amdhsa_private_segment_fixed_size 0
		.amdhsa_kernarg_size 40
		.amdhsa_user_sgpr_count 6
		.amdhsa_user_sgpr_private_segment_buffer 1
		.amdhsa_user_sgpr_dispatch_ptr 0
		.amdhsa_user_sgpr_queue_ptr 0
		.amdhsa_user_sgpr_kernarg_segment_ptr 1
		.amdhsa_user_sgpr_dispatch_id 0
		.amdhsa_user_sgpr_flat_scratch_init 0
		.amdhsa_user_sgpr_private_segment_size 0
		.amdhsa_wavefront_size32 1
		.amdhsa_uses_dynamic_stack 0
		.amdhsa_system_sgpr_private_segment_wavefront_offset 0
		.amdhsa_system_sgpr_workgroup_id_x 1
		.amdhsa_system_sgpr_workgroup_id_y 0
		.amdhsa_system_sgpr_workgroup_id_z 0
		.amdhsa_system_sgpr_workgroup_info 0
		.amdhsa_system_vgpr_workitem_id 0
		.amdhsa_next_free_vgpr 1
		.amdhsa_next_free_sgpr 1
		.amdhsa_reserve_vcc 0
		.amdhsa_reserve_flat_scratch 0
		.amdhsa_float_round_mode_32 0
		.amdhsa_float_round_mode_16_64 0
		.amdhsa_float_denorm_mode_32 3
		.amdhsa_float_denorm_mode_16_64 3
		.amdhsa_dx10_clamp 1
		.amdhsa_ieee_mode 1
		.amdhsa_fp16_overflow 0
		.amdhsa_workgroup_processor_mode 1
		.amdhsa_memory_ordered 1
		.amdhsa_forward_progress 1
		.amdhsa_shared_vgpr_count 0
		.amdhsa_exception_fp_ieee_invalid_op 0
		.amdhsa_exception_fp_denorm_src 0
		.amdhsa_exception_fp_ieee_div_zero 0
		.amdhsa_exception_fp_ieee_overflow 0
		.amdhsa_exception_fp_ieee_underflow 0
		.amdhsa_exception_fp_ieee_inexact 0
		.amdhsa_exception_int_div_zero 0
	.end_amdhsa_kernel
	.section	.text._ZN7rocprim17ROCPRIM_400000_NS6detail17trampoline_kernelINS0_14default_configENS1_25transform_config_selectorIfLb1EEEZNS1_14transform_implILb1ES3_S5_PfS7_NS0_8identityIfEEEE10hipError_tT2_T3_mT4_P12ihipStream_tbEUlT_E_NS1_11comp_targetILNS1_3genE5ELNS1_11target_archE942ELNS1_3gpuE9ELNS1_3repE0EEENS1_30default_config_static_selectorELNS0_4arch9wavefront6targetE0EEEvT1_,"axG",@progbits,_ZN7rocprim17ROCPRIM_400000_NS6detail17trampoline_kernelINS0_14default_configENS1_25transform_config_selectorIfLb1EEEZNS1_14transform_implILb1ES3_S5_PfS7_NS0_8identityIfEEEE10hipError_tT2_T3_mT4_P12ihipStream_tbEUlT_E_NS1_11comp_targetILNS1_3genE5ELNS1_11target_archE942ELNS1_3gpuE9ELNS1_3repE0EEENS1_30default_config_static_selectorELNS0_4arch9wavefront6targetE0EEEvT1_,comdat
.Lfunc_end99:
	.size	_ZN7rocprim17ROCPRIM_400000_NS6detail17trampoline_kernelINS0_14default_configENS1_25transform_config_selectorIfLb1EEEZNS1_14transform_implILb1ES3_S5_PfS7_NS0_8identityIfEEEE10hipError_tT2_T3_mT4_P12ihipStream_tbEUlT_E_NS1_11comp_targetILNS1_3genE5ELNS1_11target_archE942ELNS1_3gpuE9ELNS1_3repE0EEENS1_30default_config_static_selectorELNS0_4arch9wavefront6targetE0EEEvT1_, .Lfunc_end99-_ZN7rocprim17ROCPRIM_400000_NS6detail17trampoline_kernelINS0_14default_configENS1_25transform_config_selectorIfLb1EEEZNS1_14transform_implILb1ES3_S5_PfS7_NS0_8identityIfEEEE10hipError_tT2_T3_mT4_P12ihipStream_tbEUlT_E_NS1_11comp_targetILNS1_3genE5ELNS1_11target_archE942ELNS1_3gpuE9ELNS1_3repE0EEENS1_30default_config_static_selectorELNS0_4arch9wavefront6targetE0EEEvT1_
                                        ; -- End function
	.set _ZN7rocprim17ROCPRIM_400000_NS6detail17trampoline_kernelINS0_14default_configENS1_25transform_config_selectorIfLb1EEEZNS1_14transform_implILb1ES3_S5_PfS7_NS0_8identityIfEEEE10hipError_tT2_T3_mT4_P12ihipStream_tbEUlT_E_NS1_11comp_targetILNS1_3genE5ELNS1_11target_archE942ELNS1_3gpuE9ELNS1_3repE0EEENS1_30default_config_static_selectorELNS0_4arch9wavefront6targetE0EEEvT1_.num_vgpr, 0
	.set _ZN7rocprim17ROCPRIM_400000_NS6detail17trampoline_kernelINS0_14default_configENS1_25transform_config_selectorIfLb1EEEZNS1_14transform_implILb1ES3_S5_PfS7_NS0_8identityIfEEEE10hipError_tT2_T3_mT4_P12ihipStream_tbEUlT_E_NS1_11comp_targetILNS1_3genE5ELNS1_11target_archE942ELNS1_3gpuE9ELNS1_3repE0EEENS1_30default_config_static_selectorELNS0_4arch9wavefront6targetE0EEEvT1_.num_agpr, 0
	.set _ZN7rocprim17ROCPRIM_400000_NS6detail17trampoline_kernelINS0_14default_configENS1_25transform_config_selectorIfLb1EEEZNS1_14transform_implILb1ES3_S5_PfS7_NS0_8identityIfEEEE10hipError_tT2_T3_mT4_P12ihipStream_tbEUlT_E_NS1_11comp_targetILNS1_3genE5ELNS1_11target_archE942ELNS1_3gpuE9ELNS1_3repE0EEENS1_30default_config_static_selectorELNS0_4arch9wavefront6targetE0EEEvT1_.numbered_sgpr, 0
	.set _ZN7rocprim17ROCPRIM_400000_NS6detail17trampoline_kernelINS0_14default_configENS1_25transform_config_selectorIfLb1EEEZNS1_14transform_implILb1ES3_S5_PfS7_NS0_8identityIfEEEE10hipError_tT2_T3_mT4_P12ihipStream_tbEUlT_E_NS1_11comp_targetILNS1_3genE5ELNS1_11target_archE942ELNS1_3gpuE9ELNS1_3repE0EEENS1_30default_config_static_selectorELNS0_4arch9wavefront6targetE0EEEvT1_.num_named_barrier, 0
	.set _ZN7rocprim17ROCPRIM_400000_NS6detail17trampoline_kernelINS0_14default_configENS1_25transform_config_selectorIfLb1EEEZNS1_14transform_implILb1ES3_S5_PfS7_NS0_8identityIfEEEE10hipError_tT2_T3_mT4_P12ihipStream_tbEUlT_E_NS1_11comp_targetILNS1_3genE5ELNS1_11target_archE942ELNS1_3gpuE9ELNS1_3repE0EEENS1_30default_config_static_selectorELNS0_4arch9wavefront6targetE0EEEvT1_.private_seg_size, 0
	.set _ZN7rocprim17ROCPRIM_400000_NS6detail17trampoline_kernelINS0_14default_configENS1_25transform_config_selectorIfLb1EEEZNS1_14transform_implILb1ES3_S5_PfS7_NS0_8identityIfEEEE10hipError_tT2_T3_mT4_P12ihipStream_tbEUlT_E_NS1_11comp_targetILNS1_3genE5ELNS1_11target_archE942ELNS1_3gpuE9ELNS1_3repE0EEENS1_30default_config_static_selectorELNS0_4arch9wavefront6targetE0EEEvT1_.uses_vcc, 0
	.set _ZN7rocprim17ROCPRIM_400000_NS6detail17trampoline_kernelINS0_14default_configENS1_25transform_config_selectorIfLb1EEEZNS1_14transform_implILb1ES3_S5_PfS7_NS0_8identityIfEEEE10hipError_tT2_T3_mT4_P12ihipStream_tbEUlT_E_NS1_11comp_targetILNS1_3genE5ELNS1_11target_archE942ELNS1_3gpuE9ELNS1_3repE0EEENS1_30default_config_static_selectorELNS0_4arch9wavefront6targetE0EEEvT1_.uses_flat_scratch, 0
	.set _ZN7rocprim17ROCPRIM_400000_NS6detail17trampoline_kernelINS0_14default_configENS1_25transform_config_selectorIfLb1EEEZNS1_14transform_implILb1ES3_S5_PfS7_NS0_8identityIfEEEE10hipError_tT2_T3_mT4_P12ihipStream_tbEUlT_E_NS1_11comp_targetILNS1_3genE5ELNS1_11target_archE942ELNS1_3gpuE9ELNS1_3repE0EEENS1_30default_config_static_selectorELNS0_4arch9wavefront6targetE0EEEvT1_.has_dyn_sized_stack, 0
	.set _ZN7rocprim17ROCPRIM_400000_NS6detail17trampoline_kernelINS0_14default_configENS1_25transform_config_selectorIfLb1EEEZNS1_14transform_implILb1ES3_S5_PfS7_NS0_8identityIfEEEE10hipError_tT2_T3_mT4_P12ihipStream_tbEUlT_E_NS1_11comp_targetILNS1_3genE5ELNS1_11target_archE942ELNS1_3gpuE9ELNS1_3repE0EEENS1_30default_config_static_selectorELNS0_4arch9wavefront6targetE0EEEvT1_.has_recursion, 0
	.set _ZN7rocprim17ROCPRIM_400000_NS6detail17trampoline_kernelINS0_14default_configENS1_25transform_config_selectorIfLb1EEEZNS1_14transform_implILb1ES3_S5_PfS7_NS0_8identityIfEEEE10hipError_tT2_T3_mT4_P12ihipStream_tbEUlT_E_NS1_11comp_targetILNS1_3genE5ELNS1_11target_archE942ELNS1_3gpuE9ELNS1_3repE0EEENS1_30default_config_static_selectorELNS0_4arch9wavefront6targetE0EEEvT1_.has_indirect_call, 0
	.section	.AMDGPU.csdata,"",@progbits
; Kernel info:
; codeLenInByte = 0
; TotalNumSgprs: 0
; NumVgprs: 0
; ScratchSize: 0
; MemoryBound: 0
; FloatMode: 240
; IeeeMode: 1
; LDSByteSize: 0 bytes/workgroup (compile time only)
; SGPRBlocks: 0
; VGPRBlocks: 0
; NumSGPRsForWavesPerEU: 1
; NumVGPRsForWavesPerEU: 1
; Occupancy: 16
; WaveLimiterHint : 0
; COMPUTE_PGM_RSRC2:SCRATCH_EN: 0
; COMPUTE_PGM_RSRC2:USER_SGPR: 6
; COMPUTE_PGM_RSRC2:TRAP_HANDLER: 0
; COMPUTE_PGM_RSRC2:TGID_X_EN: 1
; COMPUTE_PGM_RSRC2:TGID_Y_EN: 0
; COMPUTE_PGM_RSRC2:TGID_Z_EN: 0
; COMPUTE_PGM_RSRC2:TIDIG_COMP_CNT: 0
	.section	.text._ZN7rocprim17ROCPRIM_400000_NS6detail17trampoline_kernelINS0_14default_configENS1_25transform_config_selectorIfLb1EEEZNS1_14transform_implILb1ES3_S5_PfS7_NS0_8identityIfEEEE10hipError_tT2_T3_mT4_P12ihipStream_tbEUlT_E_NS1_11comp_targetILNS1_3genE4ELNS1_11target_archE910ELNS1_3gpuE8ELNS1_3repE0EEENS1_30default_config_static_selectorELNS0_4arch9wavefront6targetE0EEEvT1_,"axG",@progbits,_ZN7rocprim17ROCPRIM_400000_NS6detail17trampoline_kernelINS0_14default_configENS1_25transform_config_selectorIfLb1EEEZNS1_14transform_implILb1ES3_S5_PfS7_NS0_8identityIfEEEE10hipError_tT2_T3_mT4_P12ihipStream_tbEUlT_E_NS1_11comp_targetILNS1_3genE4ELNS1_11target_archE910ELNS1_3gpuE8ELNS1_3repE0EEENS1_30default_config_static_selectorELNS0_4arch9wavefront6targetE0EEEvT1_,comdat
	.protected	_ZN7rocprim17ROCPRIM_400000_NS6detail17trampoline_kernelINS0_14default_configENS1_25transform_config_selectorIfLb1EEEZNS1_14transform_implILb1ES3_S5_PfS7_NS0_8identityIfEEEE10hipError_tT2_T3_mT4_P12ihipStream_tbEUlT_E_NS1_11comp_targetILNS1_3genE4ELNS1_11target_archE910ELNS1_3gpuE8ELNS1_3repE0EEENS1_30default_config_static_selectorELNS0_4arch9wavefront6targetE0EEEvT1_ ; -- Begin function _ZN7rocprim17ROCPRIM_400000_NS6detail17trampoline_kernelINS0_14default_configENS1_25transform_config_selectorIfLb1EEEZNS1_14transform_implILb1ES3_S5_PfS7_NS0_8identityIfEEEE10hipError_tT2_T3_mT4_P12ihipStream_tbEUlT_E_NS1_11comp_targetILNS1_3genE4ELNS1_11target_archE910ELNS1_3gpuE8ELNS1_3repE0EEENS1_30default_config_static_selectorELNS0_4arch9wavefront6targetE0EEEvT1_
	.globl	_ZN7rocprim17ROCPRIM_400000_NS6detail17trampoline_kernelINS0_14default_configENS1_25transform_config_selectorIfLb1EEEZNS1_14transform_implILb1ES3_S5_PfS7_NS0_8identityIfEEEE10hipError_tT2_T3_mT4_P12ihipStream_tbEUlT_E_NS1_11comp_targetILNS1_3genE4ELNS1_11target_archE910ELNS1_3gpuE8ELNS1_3repE0EEENS1_30default_config_static_selectorELNS0_4arch9wavefront6targetE0EEEvT1_
	.p2align	8
	.type	_ZN7rocprim17ROCPRIM_400000_NS6detail17trampoline_kernelINS0_14default_configENS1_25transform_config_selectorIfLb1EEEZNS1_14transform_implILb1ES3_S5_PfS7_NS0_8identityIfEEEE10hipError_tT2_T3_mT4_P12ihipStream_tbEUlT_E_NS1_11comp_targetILNS1_3genE4ELNS1_11target_archE910ELNS1_3gpuE8ELNS1_3repE0EEENS1_30default_config_static_selectorELNS0_4arch9wavefront6targetE0EEEvT1_,@function
_ZN7rocprim17ROCPRIM_400000_NS6detail17trampoline_kernelINS0_14default_configENS1_25transform_config_selectorIfLb1EEEZNS1_14transform_implILb1ES3_S5_PfS7_NS0_8identityIfEEEE10hipError_tT2_T3_mT4_P12ihipStream_tbEUlT_E_NS1_11comp_targetILNS1_3genE4ELNS1_11target_archE910ELNS1_3gpuE8ELNS1_3repE0EEENS1_30default_config_static_selectorELNS0_4arch9wavefront6targetE0EEEvT1_: ; @_ZN7rocprim17ROCPRIM_400000_NS6detail17trampoline_kernelINS0_14default_configENS1_25transform_config_selectorIfLb1EEEZNS1_14transform_implILb1ES3_S5_PfS7_NS0_8identityIfEEEE10hipError_tT2_T3_mT4_P12ihipStream_tbEUlT_E_NS1_11comp_targetILNS1_3genE4ELNS1_11target_archE910ELNS1_3gpuE8ELNS1_3repE0EEENS1_30default_config_static_selectorELNS0_4arch9wavefront6targetE0EEEvT1_
; %bb.0:
	.section	.rodata,"a",@progbits
	.p2align	6, 0x0
	.amdhsa_kernel _ZN7rocprim17ROCPRIM_400000_NS6detail17trampoline_kernelINS0_14default_configENS1_25transform_config_selectorIfLb1EEEZNS1_14transform_implILb1ES3_S5_PfS7_NS0_8identityIfEEEE10hipError_tT2_T3_mT4_P12ihipStream_tbEUlT_E_NS1_11comp_targetILNS1_3genE4ELNS1_11target_archE910ELNS1_3gpuE8ELNS1_3repE0EEENS1_30default_config_static_selectorELNS0_4arch9wavefront6targetE0EEEvT1_
		.amdhsa_group_segment_fixed_size 0
		.amdhsa_private_segment_fixed_size 0
		.amdhsa_kernarg_size 40
		.amdhsa_user_sgpr_count 6
		.amdhsa_user_sgpr_private_segment_buffer 1
		.amdhsa_user_sgpr_dispatch_ptr 0
		.amdhsa_user_sgpr_queue_ptr 0
		.amdhsa_user_sgpr_kernarg_segment_ptr 1
		.amdhsa_user_sgpr_dispatch_id 0
		.amdhsa_user_sgpr_flat_scratch_init 0
		.amdhsa_user_sgpr_private_segment_size 0
		.amdhsa_wavefront_size32 1
		.amdhsa_uses_dynamic_stack 0
		.amdhsa_system_sgpr_private_segment_wavefront_offset 0
		.amdhsa_system_sgpr_workgroup_id_x 1
		.amdhsa_system_sgpr_workgroup_id_y 0
		.amdhsa_system_sgpr_workgroup_id_z 0
		.amdhsa_system_sgpr_workgroup_info 0
		.amdhsa_system_vgpr_workitem_id 0
		.amdhsa_next_free_vgpr 1
		.amdhsa_next_free_sgpr 1
		.amdhsa_reserve_vcc 0
		.amdhsa_reserve_flat_scratch 0
		.amdhsa_float_round_mode_32 0
		.amdhsa_float_round_mode_16_64 0
		.amdhsa_float_denorm_mode_32 3
		.amdhsa_float_denorm_mode_16_64 3
		.amdhsa_dx10_clamp 1
		.amdhsa_ieee_mode 1
		.amdhsa_fp16_overflow 0
		.amdhsa_workgroup_processor_mode 1
		.amdhsa_memory_ordered 1
		.amdhsa_forward_progress 1
		.amdhsa_shared_vgpr_count 0
		.amdhsa_exception_fp_ieee_invalid_op 0
		.amdhsa_exception_fp_denorm_src 0
		.amdhsa_exception_fp_ieee_div_zero 0
		.amdhsa_exception_fp_ieee_overflow 0
		.amdhsa_exception_fp_ieee_underflow 0
		.amdhsa_exception_fp_ieee_inexact 0
		.amdhsa_exception_int_div_zero 0
	.end_amdhsa_kernel
	.section	.text._ZN7rocprim17ROCPRIM_400000_NS6detail17trampoline_kernelINS0_14default_configENS1_25transform_config_selectorIfLb1EEEZNS1_14transform_implILb1ES3_S5_PfS7_NS0_8identityIfEEEE10hipError_tT2_T3_mT4_P12ihipStream_tbEUlT_E_NS1_11comp_targetILNS1_3genE4ELNS1_11target_archE910ELNS1_3gpuE8ELNS1_3repE0EEENS1_30default_config_static_selectorELNS0_4arch9wavefront6targetE0EEEvT1_,"axG",@progbits,_ZN7rocprim17ROCPRIM_400000_NS6detail17trampoline_kernelINS0_14default_configENS1_25transform_config_selectorIfLb1EEEZNS1_14transform_implILb1ES3_S5_PfS7_NS0_8identityIfEEEE10hipError_tT2_T3_mT4_P12ihipStream_tbEUlT_E_NS1_11comp_targetILNS1_3genE4ELNS1_11target_archE910ELNS1_3gpuE8ELNS1_3repE0EEENS1_30default_config_static_selectorELNS0_4arch9wavefront6targetE0EEEvT1_,comdat
.Lfunc_end100:
	.size	_ZN7rocprim17ROCPRIM_400000_NS6detail17trampoline_kernelINS0_14default_configENS1_25transform_config_selectorIfLb1EEEZNS1_14transform_implILb1ES3_S5_PfS7_NS0_8identityIfEEEE10hipError_tT2_T3_mT4_P12ihipStream_tbEUlT_E_NS1_11comp_targetILNS1_3genE4ELNS1_11target_archE910ELNS1_3gpuE8ELNS1_3repE0EEENS1_30default_config_static_selectorELNS0_4arch9wavefront6targetE0EEEvT1_, .Lfunc_end100-_ZN7rocprim17ROCPRIM_400000_NS6detail17trampoline_kernelINS0_14default_configENS1_25transform_config_selectorIfLb1EEEZNS1_14transform_implILb1ES3_S5_PfS7_NS0_8identityIfEEEE10hipError_tT2_T3_mT4_P12ihipStream_tbEUlT_E_NS1_11comp_targetILNS1_3genE4ELNS1_11target_archE910ELNS1_3gpuE8ELNS1_3repE0EEENS1_30default_config_static_selectorELNS0_4arch9wavefront6targetE0EEEvT1_
                                        ; -- End function
	.set _ZN7rocprim17ROCPRIM_400000_NS6detail17trampoline_kernelINS0_14default_configENS1_25transform_config_selectorIfLb1EEEZNS1_14transform_implILb1ES3_S5_PfS7_NS0_8identityIfEEEE10hipError_tT2_T3_mT4_P12ihipStream_tbEUlT_E_NS1_11comp_targetILNS1_3genE4ELNS1_11target_archE910ELNS1_3gpuE8ELNS1_3repE0EEENS1_30default_config_static_selectorELNS0_4arch9wavefront6targetE0EEEvT1_.num_vgpr, 0
	.set _ZN7rocprim17ROCPRIM_400000_NS6detail17trampoline_kernelINS0_14default_configENS1_25transform_config_selectorIfLb1EEEZNS1_14transform_implILb1ES3_S5_PfS7_NS0_8identityIfEEEE10hipError_tT2_T3_mT4_P12ihipStream_tbEUlT_E_NS1_11comp_targetILNS1_3genE4ELNS1_11target_archE910ELNS1_3gpuE8ELNS1_3repE0EEENS1_30default_config_static_selectorELNS0_4arch9wavefront6targetE0EEEvT1_.num_agpr, 0
	.set _ZN7rocprim17ROCPRIM_400000_NS6detail17trampoline_kernelINS0_14default_configENS1_25transform_config_selectorIfLb1EEEZNS1_14transform_implILb1ES3_S5_PfS7_NS0_8identityIfEEEE10hipError_tT2_T3_mT4_P12ihipStream_tbEUlT_E_NS1_11comp_targetILNS1_3genE4ELNS1_11target_archE910ELNS1_3gpuE8ELNS1_3repE0EEENS1_30default_config_static_selectorELNS0_4arch9wavefront6targetE0EEEvT1_.numbered_sgpr, 0
	.set _ZN7rocprim17ROCPRIM_400000_NS6detail17trampoline_kernelINS0_14default_configENS1_25transform_config_selectorIfLb1EEEZNS1_14transform_implILb1ES3_S5_PfS7_NS0_8identityIfEEEE10hipError_tT2_T3_mT4_P12ihipStream_tbEUlT_E_NS1_11comp_targetILNS1_3genE4ELNS1_11target_archE910ELNS1_3gpuE8ELNS1_3repE0EEENS1_30default_config_static_selectorELNS0_4arch9wavefront6targetE0EEEvT1_.num_named_barrier, 0
	.set _ZN7rocprim17ROCPRIM_400000_NS6detail17trampoline_kernelINS0_14default_configENS1_25transform_config_selectorIfLb1EEEZNS1_14transform_implILb1ES3_S5_PfS7_NS0_8identityIfEEEE10hipError_tT2_T3_mT4_P12ihipStream_tbEUlT_E_NS1_11comp_targetILNS1_3genE4ELNS1_11target_archE910ELNS1_3gpuE8ELNS1_3repE0EEENS1_30default_config_static_selectorELNS0_4arch9wavefront6targetE0EEEvT1_.private_seg_size, 0
	.set _ZN7rocprim17ROCPRIM_400000_NS6detail17trampoline_kernelINS0_14default_configENS1_25transform_config_selectorIfLb1EEEZNS1_14transform_implILb1ES3_S5_PfS7_NS0_8identityIfEEEE10hipError_tT2_T3_mT4_P12ihipStream_tbEUlT_E_NS1_11comp_targetILNS1_3genE4ELNS1_11target_archE910ELNS1_3gpuE8ELNS1_3repE0EEENS1_30default_config_static_selectorELNS0_4arch9wavefront6targetE0EEEvT1_.uses_vcc, 0
	.set _ZN7rocprim17ROCPRIM_400000_NS6detail17trampoline_kernelINS0_14default_configENS1_25transform_config_selectorIfLb1EEEZNS1_14transform_implILb1ES3_S5_PfS7_NS0_8identityIfEEEE10hipError_tT2_T3_mT4_P12ihipStream_tbEUlT_E_NS1_11comp_targetILNS1_3genE4ELNS1_11target_archE910ELNS1_3gpuE8ELNS1_3repE0EEENS1_30default_config_static_selectorELNS0_4arch9wavefront6targetE0EEEvT1_.uses_flat_scratch, 0
	.set _ZN7rocprim17ROCPRIM_400000_NS6detail17trampoline_kernelINS0_14default_configENS1_25transform_config_selectorIfLb1EEEZNS1_14transform_implILb1ES3_S5_PfS7_NS0_8identityIfEEEE10hipError_tT2_T3_mT4_P12ihipStream_tbEUlT_E_NS1_11comp_targetILNS1_3genE4ELNS1_11target_archE910ELNS1_3gpuE8ELNS1_3repE0EEENS1_30default_config_static_selectorELNS0_4arch9wavefront6targetE0EEEvT1_.has_dyn_sized_stack, 0
	.set _ZN7rocprim17ROCPRIM_400000_NS6detail17trampoline_kernelINS0_14default_configENS1_25transform_config_selectorIfLb1EEEZNS1_14transform_implILb1ES3_S5_PfS7_NS0_8identityIfEEEE10hipError_tT2_T3_mT4_P12ihipStream_tbEUlT_E_NS1_11comp_targetILNS1_3genE4ELNS1_11target_archE910ELNS1_3gpuE8ELNS1_3repE0EEENS1_30default_config_static_selectorELNS0_4arch9wavefront6targetE0EEEvT1_.has_recursion, 0
	.set _ZN7rocprim17ROCPRIM_400000_NS6detail17trampoline_kernelINS0_14default_configENS1_25transform_config_selectorIfLb1EEEZNS1_14transform_implILb1ES3_S5_PfS7_NS0_8identityIfEEEE10hipError_tT2_T3_mT4_P12ihipStream_tbEUlT_E_NS1_11comp_targetILNS1_3genE4ELNS1_11target_archE910ELNS1_3gpuE8ELNS1_3repE0EEENS1_30default_config_static_selectorELNS0_4arch9wavefront6targetE0EEEvT1_.has_indirect_call, 0
	.section	.AMDGPU.csdata,"",@progbits
; Kernel info:
; codeLenInByte = 0
; TotalNumSgprs: 0
; NumVgprs: 0
; ScratchSize: 0
; MemoryBound: 0
; FloatMode: 240
; IeeeMode: 1
; LDSByteSize: 0 bytes/workgroup (compile time only)
; SGPRBlocks: 0
; VGPRBlocks: 0
; NumSGPRsForWavesPerEU: 1
; NumVGPRsForWavesPerEU: 1
; Occupancy: 16
; WaveLimiterHint : 0
; COMPUTE_PGM_RSRC2:SCRATCH_EN: 0
; COMPUTE_PGM_RSRC2:USER_SGPR: 6
; COMPUTE_PGM_RSRC2:TRAP_HANDLER: 0
; COMPUTE_PGM_RSRC2:TGID_X_EN: 1
; COMPUTE_PGM_RSRC2:TGID_Y_EN: 0
; COMPUTE_PGM_RSRC2:TGID_Z_EN: 0
; COMPUTE_PGM_RSRC2:TIDIG_COMP_CNT: 0
	.section	.text._ZN7rocprim17ROCPRIM_400000_NS6detail17trampoline_kernelINS0_14default_configENS1_25transform_config_selectorIfLb1EEEZNS1_14transform_implILb1ES3_S5_PfS7_NS0_8identityIfEEEE10hipError_tT2_T3_mT4_P12ihipStream_tbEUlT_E_NS1_11comp_targetILNS1_3genE3ELNS1_11target_archE908ELNS1_3gpuE7ELNS1_3repE0EEENS1_30default_config_static_selectorELNS0_4arch9wavefront6targetE0EEEvT1_,"axG",@progbits,_ZN7rocprim17ROCPRIM_400000_NS6detail17trampoline_kernelINS0_14default_configENS1_25transform_config_selectorIfLb1EEEZNS1_14transform_implILb1ES3_S5_PfS7_NS0_8identityIfEEEE10hipError_tT2_T3_mT4_P12ihipStream_tbEUlT_E_NS1_11comp_targetILNS1_3genE3ELNS1_11target_archE908ELNS1_3gpuE7ELNS1_3repE0EEENS1_30default_config_static_selectorELNS0_4arch9wavefront6targetE0EEEvT1_,comdat
	.protected	_ZN7rocprim17ROCPRIM_400000_NS6detail17trampoline_kernelINS0_14default_configENS1_25transform_config_selectorIfLb1EEEZNS1_14transform_implILb1ES3_S5_PfS7_NS0_8identityIfEEEE10hipError_tT2_T3_mT4_P12ihipStream_tbEUlT_E_NS1_11comp_targetILNS1_3genE3ELNS1_11target_archE908ELNS1_3gpuE7ELNS1_3repE0EEENS1_30default_config_static_selectorELNS0_4arch9wavefront6targetE0EEEvT1_ ; -- Begin function _ZN7rocprim17ROCPRIM_400000_NS6detail17trampoline_kernelINS0_14default_configENS1_25transform_config_selectorIfLb1EEEZNS1_14transform_implILb1ES3_S5_PfS7_NS0_8identityIfEEEE10hipError_tT2_T3_mT4_P12ihipStream_tbEUlT_E_NS1_11comp_targetILNS1_3genE3ELNS1_11target_archE908ELNS1_3gpuE7ELNS1_3repE0EEENS1_30default_config_static_selectorELNS0_4arch9wavefront6targetE0EEEvT1_
	.globl	_ZN7rocprim17ROCPRIM_400000_NS6detail17trampoline_kernelINS0_14default_configENS1_25transform_config_selectorIfLb1EEEZNS1_14transform_implILb1ES3_S5_PfS7_NS0_8identityIfEEEE10hipError_tT2_T3_mT4_P12ihipStream_tbEUlT_E_NS1_11comp_targetILNS1_3genE3ELNS1_11target_archE908ELNS1_3gpuE7ELNS1_3repE0EEENS1_30default_config_static_selectorELNS0_4arch9wavefront6targetE0EEEvT1_
	.p2align	8
	.type	_ZN7rocprim17ROCPRIM_400000_NS6detail17trampoline_kernelINS0_14default_configENS1_25transform_config_selectorIfLb1EEEZNS1_14transform_implILb1ES3_S5_PfS7_NS0_8identityIfEEEE10hipError_tT2_T3_mT4_P12ihipStream_tbEUlT_E_NS1_11comp_targetILNS1_3genE3ELNS1_11target_archE908ELNS1_3gpuE7ELNS1_3repE0EEENS1_30default_config_static_selectorELNS0_4arch9wavefront6targetE0EEEvT1_,@function
_ZN7rocprim17ROCPRIM_400000_NS6detail17trampoline_kernelINS0_14default_configENS1_25transform_config_selectorIfLb1EEEZNS1_14transform_implILb1ES3_S5_PfS7_NS0_8identityIfEEEE10hipError_tT2_T3_mT4_P12ihipStream_tbEUlT_E_NS1_11comp_targetILNS1_3genE3ELNS1_11target_archE908ELNS1_3gpuE7ELNS1_3repE0EEENS1_30default_config_static_selectorELNS0_4arch9wavefront6targetE0EEEvT1_: ; @_ZN7rocprim17ROCPRIM_400000_NS6detail17trampoline_kernelINS0_14default_configENS1_25transform_config_selectorIfLb1EEEZNS1_14transform_implILb1ES3_S5_PfS7_NS0_8identityIfEEEE10hipError_tT2_T3_mT4_P12ihipStream_tbEUlT_E_NS1_11comp_targetILNS1_3genE3ELNS1_11target_archE908ELNS1_3gpuE7ELNS1_3repE0EEENS1_30default_config_static_selectorELNS0_4arch9wavefront6targetE0EEEvT1_
; %bb.0:
	.section	.rodata,"a",@progbits
	.p2align	6, 0x0
	.amdhsa_kernel _ZN7rocprim17ROCPRIM_400000_NS6detail17trampoline_kernelINS0_14default_configENS1_25transform_config_selectorIfLb1EEEZNS1_14transform_implILb1ES3_S5_PfS7_NS0_8identityIfEEEE10hipError_tT2_T3_mT4_P12ihipStream_tbEUlT_E_NS1_11comp_targetILNS1_3genE3ELNS1_11target_archE908ELNS1_3gpuE7ELNS1_3repE0EEENS1_30default_config_static_selectorELNS0_4arch9wavefront6targetE0EEEvT1_
		.amdhsa_group_segment_fixed_size 0
		.amdhsa_private_segment_fixed_size 0
		.amdhsa_kernarg_size 40
		.amdhsa_user_sgpr_count 6
		.amdhsa_user_sgpr_private_segment_buffer 1
		.amdhsa_user_sgpr_dispatch_ptr 0
		.amdhsa_user_sgpr_queue_ptr 0
		.amdhsa_user_sgpr_kernarg_segment_ptr 1
		.amdhsa_user_sgpr_dispatch_id 0
		.amdhsa_user_sgpr_flat_scratch_init 0
		.amdhsa_user_sgpr_private_segment_size 0
		.amdhsa_wavefront_size32 1
		.amdhsa_uses_dynamic_stack 0
		.amdhsa_system_sgpr_private_segment_wavefront_offset 0
		.amdhsa_system_sgpr_workgroup_id_x 1
		.amdhsa_system_sgpr_workgroup_id_y 0
		.amdhsa_system_sgpr_workgroup_id_z 0
		.amdhsa_system_sgpr_workgroup_info 0
		.amdhsa_system_vgpr_workitem_id 0
		.amdhsa_next_free_vgpr 1
		.amdhsa_next_free_sgpr 1
		.amdhsa_reserve_vcc 0
		.amdhsa_reserve_flat_scratch 0
		.amdhsa_float_round_mode_32 0
		.amdhsa_float_round_mode_16_64 0
		.amdhsa_float_denorm_mode_32 3
		.amdhsa_float_denorm_mode_16_64 3
		.amdhsa_dx10_clamp 1
		.amdhsa_ieee_mode 1
		.amdhsa_fp16_overflow 0
		.amdhsa_workgroup_processor_mode 1
		.amdhsa_memory_ordered 1
		.amdhsa_forward_progress 1
		.amdhsa_shared_vgpr_count 0
		.amdhsa_exception_fp_ieee_invalid_op 0
		.amdhsa_exception_fp_denorm_src 0
		.amdhsa_exception_fp_ieee_div_zero 0
		.amdhsa_exception_fp_ieee_overflow 0
		.amdhsa_exception_fp_ieee_underflow 0
		.amdhsa_exception_fp_ieee_inexact 0
		.amdhsa_exception_int_div_zero 0
	.end_amdhsa_kernel
	.section	.text._ZN7rocprim17ROCPRIM_400000_NS6detail17trampoline_kernelINS0_14default_configENS1_25transform_config_selectorIfLb1EEEZNS1_14transform_implILb1ES3_S5_PfS7_NS0_8identityIfEEEE10hipError_tT2_T3_mT4_P12ihipStream_tbEUlT_E_NS1_11comp_targetILNS1_3genE3ELNS1_11target_archE908ELNS1_3gpuE7ELNS1_3repE0EEENS1_30default_config_static_selectorELNS0_4arch9wavefront6targetE0EEEvT1_,"axG",@progbits,_ZN7rocprim17ROCPRIM_400000_NS6detail17trampoline_kernelINS0_14default_configENS1_25transform_config_selectorIfLb1EEEZNS1_14transform_implILb1ES3_S5_PfS7_NS0_8identityIfEEEE10hipError_tT2_T3_mT4_P12ihipStream_tbEUlT_E_NS1_11comp_targetILNS1_3genE3ELNS1_11target_archE908ELNS1_3gpuE7ELNS1_3repE0EEENS1_30default_config_static_selectorELNS0_4arch9wavefront6targetE0EEEvT1_,comdat
.Lfunc_end101:
	.size	_ZN7rocprim17ROCPRIM_400000_NS6detail17trampoline_kernelINS0_14default_configENS1_25transform_config_selectorIfLb1EEEZNS1_14transform_implILb1ES3_S5_PfS7_NS0_8identityIfEEEE10hipError_tT2_T3_mT4_P12ihipStream_tbEUlT_E_NS1_11comp_targetILNS1_3genE3ELNS1_11target_archE908ELNS1_3gpuE7ELNS1_3repE0EEENS1_30default_config_static_selectorELNS0_4arch9wavefront6targetE0EEEvT1_, .Lfunc_end101-_ZN7rocprim17ROCPRIM_400000_NS6detail17trampoline_kernelINS0_14default_configENS1_25transform_config_selectorIfLb1EEEZNS1_14transform_implILb1ES3_S5_PfS7_NS0_8identityIfEEEE10hipError_tT2_T3_mT4_P12ihipStream_tbEUlT_E_NS1_11comp_targetILNS1_3genE3ELNS1_11target_archE908ELNS1_3gpuE7ELNS1_3repE0EEENS1_30default_config_static_selectorELNS0_4arch9wavefront6targetE0EEEvT1_
                                        ; -- End function
	.set _ZN7rocprim17ROCPRIM_400000_NS6detail17trampoline_kernelINS0_14default_configENS1_25transform_config_selectorIfLb1EEEZNS1_14transform_implILb1ES3_S5_PfS7_NS0_8identityIfEEEE10hipError_tT2_T3_mT4_P12ihipStream_tbEUlT_E_NS1_11comp_targetILNS1_3genE3ELNS1_11target_archE908ELNS1_3gpuE7ELNS1_3repE0EEENS1_30default_config_static_selectorELNS0_4arch9wavefront6targetE0EEEvT1_.num_vgpr, 0
	.set _ZN7rocprim17ROCPRIM_400000_NS6detail17trampoline_kernelINS0_14default_configENS1_25transform_config_selectorIfLb1EEEZNS1_14transform_implILb1ES3_S5_PfS7_NS0_8identityIfEEEE10hipError_tT2_T3_mT4_P12ihipStream_tbEUlT_E_NS1_11comp_targetILNS1_3genE3ELNS1_11target_archE908ELNS1_3gpuE7ELNS1_3repE0EEENS1_30default_config_static_selectorELNS0_4arch9wavefront6targetE0EEEvT1_.num_agpr, 0
	.set _ZN7rocprim17ROCPRIM_400000_NS6detail17trampoline_kernelINS0_14default_configENS1_25transform_config_selectorIfLb1EEEZNS1_14transform_implILb1ES3_S5_PfS7_NS0_8identityIfEEEE10hipError_tT2_T3_mT4_P12ihipStream_tbEUlT_E_NS1_11comp_targetILNS1_3genE3ELNS1_11target_archE908ELNS1_3gpuE7ELNS1_3repE0EEENS1_30default_config_static_selectorELNS0_4arch9wavefront6targetE0EEEvT1_.numbered_sgpr, 0
	.set _ZN7rocprim17ROCPRIM_400000_NS6detail17trampoline_kernelINS0_14default_configENS1_25transform_config_selectorIfLb1EEEZNS1_14transform_implILb1ES3_S5_PfS7_NS0_8identityIfEEEE10hipError_tT2_T3_mT4_P12ihipStream_tbEUlT_E_NS1_11comp_targetILNS1_3genE3ELNS1_11target_archE908ELNS1_3gpuE7ELNS1_3repE0EEENS1_30default_config_static_selectorELNS0_4arch9wavefront6targetE0EEEvT1_.num_named_barrier, 0
	.set _ZN7rocprim17ROCPRIM_400000_NS6detail17trampoline_kernelINS0_14default_configENS1_25transform_config_selectorIfLb1EEEZNS1_14transform_implILb1ES3_S5_PfS7_NS0_8identityIfEEEE10hipError_tT2_T3_mT4_P12ihipStream_tbEUlT_E_NS1_11comp_targetILNS1_3genE3ELNS1_11target_archE908ELNS1_3gpuE7ELNS1_3repE0EEENS1_30default_config_static_selectorELNS0_4arch9wavefront6targetE0EEEvT1_.private_seg_size, 0
	.set _ZN7rocprim17ROCPRIM_400000_NS6detail17trampoline_kernelINS0_14default_configENS1_25transform_config_selectorIfLb1EEEZNS1_14transform_implILb1ES3_S5_PfS7_NS0_8identityIfEEEE10hipError_tT2_T3_mT4_P12ihipStream_tbEUlT_E_NS1_11comp_targetILNS1_3genE3ELNS1_11target_archE908ELNS1_3gpuE7ELNS1_3repE0EEENS1_30default_config_static_selectorELNS0_4arch9wavefront6targetE0EEEvT1_.uses_vcc, 0
	.set _ZN7rocprim17ROCPRIM_400000_NS6detail17trampoline_kernelINS0_14default_configENS1_25transform_config_selectorIfLb1EEEZNS1_14transform_implILb1ES3_S5_PfS7_NS0_8identityIfEEEE10hipError_tT2_T3_mT4_P12ihipStream_tbEUlT_E_NS1_11comp_targetILNS1_3genE3ELNS1_11target_archE908ELNS1_3gpuE7ELNS1_3repE0EEENS1_30default_config_static_selectorELNS0_4arch9wavefront6targetE0EEEvT1_.uses_flat_scratch, 0
	.set _ZN7rocprim17ROCPRIM_400000_NS6detail17trampoline_kernelINS0_14default_configENS1_25transform_config_selectorIfLb1EEEZNS1_14transform_implILb1ES3_S5_PfS7_NS0_8identityIfEEEE10hipError_tT2_T3_mT4_P12ihipStream_tbEUlT_E_NS1_11comp_targetILNS1_3genE3ELNS1_11target_archE908ELNS1_3gpuE7ELNS1_3repE0EEENS1_30default_config_static_selectorELNS0_4arch9wavefront6targetE0EEEvT1_.has_dyn_sized_stack, 0
	.set _ZN7rocprim17ROCPRIM_400000_NS6detail17trampoline_kernelINS0_14default_configENS1_25transform_config_selectorIfLb1EEEZNS1_14transform_implILb1ES3_S5_PfS7_NS0_8identityIfEEEE10hipError_tT2_T3_mT4_P12ihipStream_tbEUlT_E_NS1_11comp_targetILNS1_3genE3ELNS1_11target_archE908ELNS1_3gpuE7ELNS1_3repE0EEENS1_30default_config_static_selectorELNS0_4arch9wavefront6targetE0EEEvT1_.has_recursion, 0
	.set _ZN7rocprim17ROCPRIM_400000_NS6detail17trampoline_kernelINS0_14default_configENS1_25transform_config_selectorIfLb1EEEZNS1_14transform_implILb1ES3_S5_PfS7_NS0_8identityIfEEEE10hipError_tT2_T3_mT4_P12ihipStream_tbEUlT_E_NS1_11comp_targetILNS1_3genE3ELNS1_11target_archE908ELNS1_3gpuE7ELNS1_3repE0EEENS1_30default_config_static_selectorELNS0_4arch9wavefront6targetE0EEEvT1_.has_indirect_call, 0
	.section	.AMDGPU.csdata,"",@progbits
; Kernel info:
; codeLenInByte = 0
; TotalNumSgprs: 0
; NumVgprs: 0
; ScratchSize: 0
; MemoryBound: 0
; FloatMode: 240
; IeeeMode: 1
; LDSByteSize: 0 bytes/workgroup (compile time only)
; SGPRBlocks: 0
; VGPRBlocks: 0
; NumSGPRsForWavesPerEU: 1
; NumVGPRsForWavesPerEU: 1
; Occupancy: 16
; WaveLimiterHint : 0
; COMPUTE_PGM_RSRC2:SCRATCH_EN: 0
; COMPUTE_PGM_RSRC2:USER_SGPR: 6
; COMPUTE_PGM_RSRC2:TRAP_HANDLER: 0
; COMPUTE_PGM_RSRC2:TGID_X_EN: 1
; COMPUTE_PGM_RSRC2:TGID_Y_EN: 0
; COMPUTE_PGM_RSRC2:TGID_Z_EN: 0
; COMPUTE_PGM_RSRC2:TIDIG_COMP_CNT: 0
	.section	.text._ZN7rocprim17ROCPRIM_400000_NS6detail17trampoline_kernelINS0_14default_configENS1_25transform_config_selectorIfLb1EEEZNS1_14transform_implILb1ES3_S5_PfS7_NS0_8identityIfEEEE10hipError_tT2_T3_mT4_P12ihipStream_tbEUlT_E_NS1_11comp_targetILNS1_3genE2ELNS1_11target_archE906ELNS1_3gpuE6ELNS1_3repE0EEENS1_30default_config_static_selectorELNS0_4arch9wavefront6targetE0EEEvT1_,"axG",@progbits,_ZN7rocprim17ROCPRIM_400000_NS6detail17trampoline_kernelINS0_14default_configENS1_25transform_config_selectorIfLb1EEEZNS1_14transform_implILb1ES3_S5_PfS7_NS0_8identityIfEEEE10hipError_tT2_T3_mT4_P12ihipStream_tbEUlT_E_NS1_11comp_targetILNS1_3genE2ELNS1_11target_archE906ELNS1_3gpuE6ELNS1_3repE0EEENS1_30default_config_static_selectorELNS0_4arch9wavefront6targetE0EEEvT1_,comdat
	.protected	_ZN7rocprim17ROCPRIM_400000_NS6detail17trampoline_kernelINS0_14default_configENS1_25transform_config_selectorIfLb1EEEZNS1_14transform_implILb1ES3_S5_PfS7_NS0_8identityIfEEEE10hipError_tT2_T3_mT4_P12ihipStream_tbEUlT_E_NS1_11comp_targetILNS1_3genE2ELNS1_11target_archE906ELNS1_3gpuE6ELNS1_3repE0EEENS1_30default_config_static_selectorELNS0_4arch9wavefront6targetE0EEEvT1_ ; -- Begin function _ZN7rocprim17ROCPRIM_400000_NS6detail17trampoline_kernelINS0_14default_configENS1_25transform_config_selectorIfLb1EEEZNS1_14transform_implILb1ES3_S5_PfS7_NS0_8identityIfEEEE10hipError_tT2_T3_mT4_P12ihipStream_tbEUlT_E_NS1_11comp_targetILNS1_3genE2ELNS1_11target_archE906ELNS1_3gpuE6ELNS1_3repE0EEENS1_30default_config_static_selectorELNS0_4arch9wavefront6targetE0EEEvT1_
	.globl	_ZN7rocprim17ROCPRIM_400000_NS6detail17trampoline_kernelINS0_14default_configENS1_25transform_config_selectorIfLb1EEEZNS1_14transform_implILb1ES3_S5_PfS7_NS0_8identityIfEEEE10hipError_tT2_T3_mT4_P12ihipStream_tbEUlT_E_NS1_11comp_targetILNS1_3genE2ELNS1_11target_archE906ELNS1_3gpuE6ELNS1_3repE0EEENS1_30default_config_static_selectorELNS0_4arch9wavefront6targetE0EEEvT1_
	.p2align	8
	.type	_ZN7rocprim17ROCPRIM_400000_NS6detail17trampoline_kernelINS0_14default_configENS1_25transform_config_selectorIfLb1EEEZNS1_14transform_implILb1ES3_S5_PfS7_NS0_8identityIfEEEE10hipError_tT2_T3_mT4_P12ihipStream_tbEUlT_E_NS1_11comp_targetILNS1_3genE2ELNS1_11target_archE906ELNS1_3gpuE6ELNS1_3repE0EEENS1_30default_config_static_selectorELNS0_4arch9wavefront6targetE0EEEvT1_,@function
_ZN7rocprim17ROCPRIM_400000_NS6detail17trampoline_kernelINS0_14default_configENS1_25transform_config_selectorIfLb1EEEZNS1_14transform_implILb1ES3_S5_PfS7_NS0_8identityIfEEEE10hipError_tT2_T3_mT4_P12ihipStream_tbEUlT_E_NS1_11comp_targetILNS1_3genE2ELNS1_11target_archE906ELNS1_3gpuE6ELNS1_3repE0EEENS1_30default_config_static_selectorELNS0_4arch9wavefront6targetE0EEEvT1_: ; @_ZN7rocprim17ROCPRIM_400000_NS6detail17trampoline_kernelINS0_14default_configENS1_25transform_config_selectorIfLb1EEEZNS1_14transform_implILb1ES3_S5_PfS7_NS0_8identityIfEEEE10hipError_tT2_T3_mT4_P12ihipStream_tbEUlT_E_NS1_11comp_targetILNS1_3genE2ELNS1_11target_archE906ELNS1_3gpuE6ELNS1_3repE0EEENS1_30default_config_static_selectorELNS0_4arch9wavefront6targetE0EEEvT1_
; %bb.0:
	.section	.rodata,"a",@progbits
	.p2align	6, 0x0
	.amdhsa_kernel _ZN7rocprim17ROCPRIM_400000_NS6detail17trampoline_kernelINS0_14default_configENS1_25transform_config_selectorIfLb1EEEZNS1_14transform_implILb1ES3_S5_PfS7_NS0_8identityIfEEEE10hipError_tT2_T3_mT4_P12ihipStream_tbEUlT_E_NS1_11comp_targetILNS1_3genE2ELNS1_11target_archE906ELNS1_3gpuE6ELNS1_3repE0EEENS1_30default_config_static_selectorELNS0_4arch9wavefront6targetE0EEEvT1_
		.amdhsa_group_segment_fixed_size 0
		.amdhsa_private_segment_fixed_size 0
		.amdhsa_kernarg_size 40
		.amdhsa_user_sgpr_count 6
		.amdhsa_user_sgpr_private_segment_buffer 1
		.amdhsa_user_sgpr_dispatch_ptr 0
		.amdhsa_user_sgpr_queue_ptr 0
		.amdhsa_user_sgpr_kernarg_segment_ptr 1
		.amdhsa_user_sgpr_dispatch_id 0
		.amdhsa_user_sgpr_flat_scratch_init 0
		.amdhsa_user_sgpr_private_segment_size 0
		.amdhsa_wavefront_size32 1
		.amdhsa_uses_dynamic_stack 0
		.amdhsa_system_sgpr_private_segment_wavefront_offset 0
		.amdhsa_system_sgpr_workgroup_id_x 1
		.amdhsa_system_sgpr_workgroup_id_y 0
		.amdhsa_system_sgpr_workgroup_id_z 0
		.amdhsa_system_sgpr_workgroup_info 0
		.amdhsa_system_vgpr_workitem_id 0
		.amdhsa_next_free_vgpr 1
		.amdhsa_next_free_sgpr 1
		.amdhsa_reserve_vcc 0
		.amdhsa_reserve_flat_scratch 0
		.amdhsa_float_round_mode_32 0
		.amdhsa_float_round_mode_16_64 0
		.amdhsa_float_denorm_mode_32 3
		.amdhsa_float_denorm_mode_16_64 3
		.amdhsa_dx10_clamp 1
		.amdhsa_ieee_mode 1
		.amdhsa_fp16_overflow 0
		.amdhsa_workgroup_processor_mode 1
		.amdhsa_memory_ordered 1
		.amdhsa_forward_progress 1
		.amdhsa_shared_vgpr_count 0
		.amdhsa_exception_fp_ieee_invalid_op 0
		.amdhsa_exception_fp_denorm_src 0
		.amdhsa_exception_fp_ieee_div_zero 0
		.amdhsa_exception_fp_ieee_overflow 0
		.amdhsa_exception_fp_ieee_underflow 0
		.amdhsa_exception_fp_ieee_inexact 0
		.amdhsa_exception_int_div_zero 0
	.end_amdhsa_kernel
	.section	.text._ZN7rocprim17ROCPRIM_400000_NS6detail17trampoline_kernelINS0_14default_configENS1_25transform_config_selectorIfLb1EEEZNS1_14transform_implILb1ES3_S5_PfS7_NS0_8identityIfEEEE10hipError_tT2_T3_mT4_P12ihipStream_tbEUlT_E_NS1_11comp_targetILNS1_3genE2ELNS1_11target_archE906ELNS1_3gpuE6ELNS1_3repE0EEENS1_30default_config_static_selectorELNS0_4arch9wavefront6targetE0EEEvT1_,"axG",@progbits,_ZN7rocprim17ROCPRIM_400000_NS6detail17trampoline_kernelINS0_14default_configENS1_25transform_config_selectorIfLb1EEEZNS1_14transform_implILb1ES3_S5_PfS7_NS0_8identityIfEEEE10hipError_tT2_T3_mT4_P12ihipStream_tbEUlT_E_NS1_11comp_targetILNS1_3genE2ELNS1_11target_archE906ELNS1_3gpuE6ELNS1_3repE0EEENS1_30default_config_static_selectorELNS0_4arch9wavefront6targetE0EEEvT1_,comdat
.Lfunc_end102:
	.size	_ZN7rocprim17ROCPRIM_400000_NS6detail17trampoline_kernelINS0_14default_configENS1_25transform_config_selectorIfLb1EEEZNS1_14transform_implILb1ES3_S5_PfS7_NS0_8identityIfEEEE10hipError_tT2_T3_mT4_P12ihipStream_tbEUlT_E_NS1_11comp_targetILNS1_3genE2ELNS1_11target_archE906ELNS1_3gpuE6ELNS1_3repE0EEENS1_30default_config_static_selectorELNS0_4arch9wavefront6targetE0EEEvT1_, .Lfunc_end102-_ZN7rocprim17ROCPRIM_400000_NS6detail17trampoline_kernelINS0_14default_configENS1_25transform_config_selectorIfLb1EEEZNS1_14transform_implILb1ES3_S5_PfS7_NS0_8identityIfEEEE10hipError_tT2_T3_mT4_P12ihipStream_tbEUlT_E_NS1_11comp_targetILNS1_3genE2ELNS1_11target_archE906ELNS1_3gpuE6ELNS1_3repE0EEENS1_30default_config_static_selectorELNS0_4arch9wavefront6targetE0EEEvT1_
                                        ; -- End function
	.set _ZN7rocprim17ROCPRIM_400000_NS6detail17trampoline_kernelINS0_14default_configENS1_25transform_config_selectorIfLb1EEEZNS1_14transform_implILb1ES3_S5_PfS7_NS0_8identityIfEEEE10hipError_tT2_T3_mT4_P12ihipStream_tbEUlT_E_NS1_11comp_targetILNS1_3genE2ELNS1_11target_archE906ELNS1_3gpuE6ELNS1_3repE0EEENS1_30default_config_static_selectorELNS0_4arch9wavefront6targetE0EEEvT1_.num_vgpr, 0
	.set _ZN7rocprim17ROCPRIM_400000_NS6detail17trampoline_kernelINS0_14default_configENS1_25transform_config_selectorIfLb1EEEZNS1_14transform_implILb1ES3_S5_PfS7_NS0_8identityIfEEEE10hipError_tT2_T3_mT4_P12ihipStream_tbEUlT_E_NS1_11comp_targetILNS1_3genE2ELNS1_11target_archE906ELNS1_3gpuE6ELNS1_3repE0EEENS1_30default_config_static_selectorELNS0_4arch9wavefront6targetE0EEEvT1_.num_agpr, 0
	.set _ZN7rocprim17ROCPRIM_400000_NS6detail17trampoline_kernelINS0_14default_configENS1_25transform_config_selectorIfLb1EEEZNS1_14transform_implILb1ES3_S5_PfS7_NS0_8identityIfEEEE10hipError_tT2_T3_mT4_P12ihipStream_tbEUlT_E_NS1_11comp_targetILNS1_3genE2ELNS1_11target_archE906ELNS1_3gpuE6ELNS1_3repE0EEENS1_30default_config_static_selectorELNS0_4arch9wavefront6targetE0EEEvT1_.numbered_sgpr, 0
	.set _ZN7rocprim17ROCPRIM_400000_NS6detail17trampoline_kernelINS0_14default_configENS1_25transform_config_selectorIfLb1EEEZNS1_14transform_implILb1ES3_S5_PfS7_NS0_8identityIfEEEE10hipError_tT2_T3_mT4_P12ihipStream_tbEUlT_E_NS1_11comp_targetILNS1_3genE2ELNS1_11target_archE906ELNS1_3gpuE6ELNS1_3repE0EEENS1_30default_config_static_selectorELNS0_4arch9wavefront6targetE0EEEvT1_.num_named_barrier, 0
	.set _ZN7rocprim17ROCPRIM_400000_NS6detail17trampoline_kernelINS0_14default_configENS1_25transform_config_selectorIfLb1EEEZNS1_14transform_implILb1ES3_S5_PfS7_NS0_8identityIfEEEE10hipError_tT2_T3_mT4_P12ihipStream_tbEUlT_E_NS1_11comp_targetILNS1_3genE2ELNS1_11target_archE906ELNS1_3gpuE6ELNS1_3repE0EEENS1_30default_config_static_selectorELNS0_4arch9wavefront6targetE0EEEvT1_.private_seg_size, 0
	.set _ZN7rocprim17ROCPRIM_400000_NS6detail17trampoline_kernelINS0_14default_configENS1_25transform_config_selectorIfLb1EEEZNS1_14transform_implILb1ES3_S5_PfS7_NS0_8identityIfEEEE10hipError_tT2_T3_mT4_P12ihipStream_tbEUlT_E_NS1_11comp_targetILNS1_3genE2ELNS1_11target_archE906ELNS1_3gpuE6ELNS1_3repE0EEENS1_30default_config_static_selectorELNS0_4arch9wavefront6targetE0EEEvT1_.uses_vcc, 0
	.set _ZN7rocprim17ROCPRIM_400000_NS6detail17trampoline_kernelINS0_14default_configENS1_25transform_config_selectorIfLb1EEEZNS1_14transform_implILb1ES3_S5_PfS7_NS0_8identityIfEEEE10hipError_tT2_T3_mT4_P12ihipStream_tbEUlT_E_NS1_11comp_targetILNS1_3genE2ELNS1_11target_archE906ELNS1_3gpuE6ELNS1_3repE0EEENS1_30default_config_static_selectorELNS0_4arch9wavefront6targetE0EEEvT1_.uses_flat_scratch, 0
	.set _ZN7rocprim17ROCPRIM_400000_NS6detail17trampoline_kernelINS0_14default_configENS1_25transform_config_selectorIfLb1EEEZNS1_14transform_implILb1ES3_S5_PfS7_NS0_8identityIfEEEE10hipError_tT2_T3_mT4_P12ihipStream_tbEUlT_E_NS1_11comp_targetILNS1_3genE2ELNS1_11target_archE906ELNS1_3gpuE6ELNS1_3repE0EEENS1_30default_config_static_selectorELNS0_4arch9wavefront6targetE0EEEvT1_.has_dyn_sized_stack, 0
	.set _ZN7rocprim17ROCPRIM_400000_NS6detail17trampoline_kernelINS0_14default_configENS1_25transform_config_selectorIfLb1EEEZNS1_14transform_implILb1ES3_S5_PfS7_NS0_8identityIfEEEE10hipError_tT2_T3_mT4_P12ihipStream_tbEUlT_E_NS1_11comp_targetILNS1_3genE2ELNS1_11target_archE906ELNS1_3gpuE6ELNS1_3repE0EEENS1_30default_config_static_selectorELNS0_4arch9wavefront6targetE0EEEvT1_.has_recursion, 0
	.set _ZN7rocprim17ROCPRIM_400000_NS6detail17trampoline_kernelINS0_14default_configENS1_25transform_config_selectorIfLb1EEEZNS1_14transform_implILb1ES3_S5_PfS7_NS0_8identityIfEEEE10hipError_tT2_T3_mT4_P12ihipStream_tbEUlT_E_NS1_11comp_targetILNS1_3genE2ELNS1_11target_archE906ELNS1_3gpuE6ELNS1_3repE0EEENS1_30default_config_static_selectorELNS0_4arch9wavefront6targetE0EEEvT1_.has_indirect_call, 0
	.section	.AMDGPU.csdata,"",@progbits
; Kernel info:
; codeLenInByte = 0
; TotalNumSgprs: 0
; NumVgprs: 0
; ScratchSize: 0
; MemoryBound: 0
; FloatMode: 240
; IeeeMode: 1
; LDSByteSize: 0 bytes/workgroup (compile time only)
; SGPRBlocks: 0
; VGPRBlocks: 0
; NumSGPRsForWavesPerEU: 1
; NumVGPRsForWavesPerEU: 1
; Occupancy: 16
; WaveLimiterHint : 0
; COMPUTE_PGM_RSRC2:SCRATCH_EN: 0
; COMPUTE_PGM_RSRC2:USER_SGPR: 6
; COMPUTE_PGM_RSRC2:TRAP_HANDLER: 0
; COMPUTE_PGM_RSRC2:TGID_X_EN: 1
; COMPUTE_PGM_RSRC2:TGID_Y_EN: 0
; COMPUTE_PGM_RSRC2:TGID_Z_EN: 0
; COMPUTE_PGM_RSRC2:TIDIG_COMP_CNT: 0
	.section	.text._ZN7rocprim17ROCPRIM_400000_NS6detail17trampoline_kernelINS0_14default_configENS1_25transform_config_selectorIfLb1EEEZNS1_14transform_implILb1ES3_S5_PfS7_NS0_8identityIfEEEE10hipError_tT2_T3_mT4_P12ihipStream_tbEUlT_E_NS1_11comp_targetILNS1_3genE9ELNS1_11target_archE1100ELNS1_3gpuE3ELNS1_3repE0EEENS1_30default_config_static_selectorELNS0_4arch9wavefront6targetE0EEEvT1_,"axG",@progbits,_ZN7rocprim17ROCPRIM_400000_NS6detail17trampoline_kernelINS0_14default_configENS1_25transform_config_selectorIfLb1EEEZNS1_14transform_implILb1ES3_S5_PfS7_NS0_8identityIfEEEE10hipError_tT2_T3_mT4_P12ihipStream_tbEUlT_E_NS1_11comp_targetILNS1_3genE9ELNS1_11target_archE1100ELNS1_3gpuE3ELNS1_3repE0EEENS1_30default_config_static_selectorELNS0_4arch9wavefront6targetE0EEEvT1_,comdat
	.protected	_ZN7rocprim17ROCPRIM_400000_NS6detail17trampoline_kernelINS0_14default_configENS1_25transform_config_selectorIfLb1EEEZNS1_14transform_implILb1ES3_S5_PfS7_NS0_8identityIfEEEE10hipError_tT2_T3_mT4_P12ihipStream_tbEUlT_E_NS1_11comp_targetILNS1_3genE9ELNS1_11target_archE1100ELNS1_3gpuE3ELNS1_3repE0EEENS1_30default_config_static_selectorELNS0_4arch9wavefront6targetE0EEEvT1_ ; -- Begin function _ZN7rocprim17ROCPRIM_400000_NS6detail17trampoline_kernelINS0_14default_configENS1_25transform_config_selectorIfLb1EEEZNS1_14transform_implILb1ES3_S5_PfS7_NS0_8identityIfEEEE10hipError_tT2_T3_mT4_P12ihipStream_tbEUlT_E_NS1_11comp_targetILNS1_3genE9ELNS1_11target_archE1100ELNS1_3gpuE3ELNS1_3repE0EEENS1_30default_config_static_selectorELNS0_4arch9wavefront6targetE0EEEvT1_
	.globl	_ZN7rocprim17ROCPRIM_400000_NS6detail17trampoline_kernelINS0_14default_configENS1_25transform_config_selectorIfLb1EEEZNS1_14transform_implILb1ES3_S5_PfS7_NS0_8identityIfEEEE10hipError_tT2_T3_mT4_P12ihipStream_tbEUlT_E_NS1_11comp_targetILNS1_3genE9ELNS1_11target_archE1100ELNS1_3gpuE3ELNS1_3repE0EEENS1_30default_config_static_selectorELNS0_4arch9wavefront6targetE0EEEvT1_
	.p2align	8
	.type	_ZN7rocprim17ROCPRIM_400000_NS6detail17trampoline_kernelINS0_14default_configENS1_25transform_config_selectorIfLb1EEEZNS1_14transform_implILb1ES3_S5_PfS7_NS0_8identityIfEEEE10hipError_tT2_T3_mT4_P12ihipStream_tbEUlT_E_NS1_11comp_targetILNS1_3genE9ELNS1_11target_archE1100ELNS1_3gpuE3ELNS1_3repE0EEENS1_30default_config_static_selectorELNS0_4arch9wavefront6targetE0EEEvT1_,@function
_ZN7rocprim17ROCPRIM_400000_NS6detail17trampoline_kernelINS0_14default_configENS1_25transform_config_selectorIfLb1EEEZNS1_14transform_implILb1ES3_S5_PfS7_NS0_8identityIfEEEE10hipError_tT2_T3_mT4_P12ihipStream_tbEUlT_E_NS1_11comp_targetILNS1_3genE9ELNS1_11target_archE1100ELNS1_3gpuE3ELNS1_3repE0EEENS1_30default_config_static_selectorELNS0_4arch9wavefront6targetE0EEEvT1_: ; @_ZN7rocprim17ROCPRIM_400000_NS6detail17trampoline_kernelINS0_14default_configENS1_25transform_config_selectorIfLb1EEEZNS1_14transform_implILb1ES3_S5_PfS7_NS0_8identityIfEEEE10hipError_tT2_T3_mT4_P12ihipStream_tbEUlT_E_NS1_11comp_targetILNS1_3genE9ELNS1_11target_archE1100ELNS1_3gpuE3ELNS1_3repE0EEENS1_30default_config_static_selectorELNS0_4arch9wavefront6targetE0EEEvT1_
; %bb.0:
	.section	.rodata,"a",@progbits
	.p2align	6, 0x0
	.amdhsa_kernel _ZN7rocprim17ROCPRIM_400000_NS6detail17trampoline_kernelINS0_14default_configENS1_25transform_config_selectorIfLb1EEEZNS1_14transform_implILb1ES3_S5_PfS7_NS0_8identityIfEEEE10hipError_tT2_T3_mT4_P12ihipStream_tbEUlT_E_NS1_11comp_targetILNS1_3genE9ELNS1_11target_archE1100ELNS1_3gpuE3ELNS1_3repE0EEENS1_30default_config_static_selectorELNS0_4arch9wavefront6targetE0EEEvT1_
		.amdhsa_group_segment_fixed_size 0
		.amdhsa_private_segment_fixed_size 0
		.amdhsa_kernarg_size 40
		.amdhsa_user_sgpr_count 6
		.amdhsa_user_sgpr_private_segment_buffer 1
		.amdhsa_user_sgpr_dispatch_ptr 0
		.amdhsa_user_sgpr_queue_ptr 0
		.amdhsa_user_sgpr_kernarg_segment_ptr 1
		.amdhsa_user_sgpr_dispatch_id 0
		.amdhsa_user_sgpr_flat_scratch_init 0
		.amdhsa_user_sgpr_private_segment_size 0
		.amdhsa_wavefront_size32 1
		.amdhsa_uses_dynamic_stack 0
		.amdhsa_system_sgpr_private_segment_wavefront_offset 0
		.amdhsa_system_sgpr_workgroup_id_x 1
		.amdhsa_system_sgpr_workgroup_id_y 0
		.amdhsa_system_sgpr_workgroup_id_z 0
		.amdhsa_system_sgpr_workgroup_info 0
		.amdhsa_system_vgpr_workitem_id 0
		.amdhsa_next_free_vgpr 1
		.amdhsa_next_free_sgpr 1
		.amdhsa_reserve_vcc 0
		.amdhsa_reserve_flat_scratch 0
		.amdhsa_float_round_mode_32 0
		.amdhsa_float_round_mode_16_64 0
		.amdhsa_float_denorm_mode_32 3
		.amdhsa_float_denorm_mode_16_64 3
		.amdhsa_dx10_clamp 1
		.amdhsa_ieee_mode 1
		.amdhsa_fp16_overflow 0
		.amdhsa_workgroup_processor_mode 1
		.amdhsa_memory_ordered 1
		.amdhsa_forward_progress 1
		.amdhsa_shared_vgpr_count 0
		.amdhsa_exception_fp_ieee_invalid_op 0
		.amdhsa_exception_fp_denorm_src 0
		.amdhsa_exception_fp_ieee_div_zero 0
		.amdhsa_exception_fp_ieee_overflow 0
		.amdhsa_exception_fp_ieee_underflow 0
		.amdhsa_exception_fp_ieee_inexact 0
		.amdhsa_exception_int_div_zero 0
	.end_amdhsa_kernel
	.section	.text._ZN7rocprim17ROCPRIM_400000_NS6detail17trampoline_kernelINS0_14default_configENS1_25transform_config_selectorIfLb1EEEZNS1_14transform_implILb1ES3_S5_PfS7_NS0_8identityIfEEEE10hipError_tT2_T3_mT4_P12ihipStream_tbEUlT_E_NS1_11comp_targetILNS1_3genE9ELNS1_11target_archE1100ELNS1_3gpuE3ELNS1_3repE0EEENS1_30default_config_static_selectorELNS0_4arch9wavefront6targetE0EEEvT1_,"axG",@progbits,_ZN7rocprim17ROCPRIM_400000_NS6detail17trampoline_kernelINS0_14default_configENS1_25transform_config_selectorIfLb1EEEZNS1_14transform_implILb1ES3_S5_PfS7_NS0_8identityIfEEEE10hipError_tT2_T3_mT4_P12ihipStream_tbEUlT_E_NS1_11comp_targetILNS1_3genE9ELNS1_11target_archE1100ELNS1_3gpuE3ELNS1_3repE0EEENS1_30default_config_static_selectorELNS0_4arch9wavefront6targetE0EEEvT1_,comdat
.Lfunc_end103:
	.size	_ZN7rocprim17ROCPRIM_400000_NS6detail17trampoline_kernelINS0_14default_configENS1_25transform_config_selectorIfLb1EEEZNS1_14transform_implILb1ES3_S5_PfS7_NS0_8identityIfEEEE10hipError_tT2_T3_mT4_P12ihipStream_tbEUlT_E_NS1_11comp_targetILNS1_3genE9ELNS1_11target_archE1100ELNS1_3gpuE3ELNS1_3repE0EEENS1_30default_config_static_selectorELNS0_4arch9wavefront6targetE0EEEvT1_, .Lfunc_end103-_ZN7rocprim17ROCPRIM_400000_NS6detail17trampoline_kernelINS0_14default_configENS1_25transform_config_selectorIfLb1EEEZNS1_14transform_implILb1ES3_S5_PfS7_NS0_8identityIfEEEE10hipError_tT2_T3_mT4_P12ihipStream_tbEUlT_E_NS1_11comp_targetILNS1_3genE9ELNS1_11target_archE1100ELNS1_3gpuE3ELNS1_3repE0EEENS1_30default_config_static_selectorELNS0_4arch9wavefront6targetE0EEEvT1_
                                        ; -- End function
	.set _ZN7rocprim17ROCPRIM_400000_NS6detail17trampoline_kernelINS0_14default_configENS1_25transform_config_selectorIfLb1EEEZNS1_14transform_implILb1ES3_S5_PfS7_NS0_8identityIfEEEE10hipError_tT2_T3_mT4_P12ihipStream_tbEUlT_E_NS1_11comp_targetILNS1_3genE9ELNS1_11target_archE1100ELNS1_3gpuE3ELNS1_3repE0EEENS1_30default_config_static_selectorELNS0_4arch9wavefront6targetE0EEEvT1_.num_vgpr, 0
	.set _ZN7rocprim17ROCPRIM_400000_NS6detail17trampoline_kernelINS0_14default_configENS1_25transform_config_selectorIfLb1EEEZNS1_14transform_implILb1ES3_S5_PfS7_NS0_8identityIfEEEE10hipError_tT2_T3_mT4_P12ihipStream_tbEUlT_E_NS1_11comp_targetILNS1_3genE9ELNS1_11target_archE1100ELNS1_3gpuE3ELNS1_3repE0EEENS1_30default_config_static_selectorELNS0_4arch9wavefront6targetE0EEEvT1_.num_agpr, 0
	.set _ZN7rocprim17ROCPRIM_400000_NS6detail17trampoline_kernelINS0_14default_configENS1_25transform_config_selectorIfLb1EEEZNS1_14transform_implILb1ES3_S5_PfS7_NS0_8identityIfEEEE10hipError_tT2_T3_mT4_P12ihipStream_tbEUlT_E_NS1_11comp_targetILNS1_3genE9ELNS1_11target_archE1100ELNS1_3gpuE3ELNS1_3repE0EEENS1_30default_config_static_selectorELNS0_4arch9wavefront6targetE0EEEvT1_.numbered_sgpr, 0
	.set _ZN7rocprim17ROCPRIM_400000_NS6detail17trampoline_kernelINS0_14default_configENS1_25transform_config_selectorIfLb1EEEZNS1_14transform_implILb1ES3_S5_PfS7_NS0_8identityIfEEEE10hipError_tT2_T3_mT4_P12ihipStream_tbEUlT_E_NS1_11comp_targetILNS1_3genE9ELNS1_11target_archE1100ELNS1_3gpuE3ELNS1_3repE0EEENS1_30default_config_static_selectorELNS0_4arch9wavefront6targetE0EEEvT1_.num_named_barrier, 0
	.set _ZN7rocprim17ROCPRIM_400000_NS6detail17trampoline_kernelINS0_14default_configENS1_25transform_config_selectorIfLb1EEEZNS1_14transform_implILb1ES3_S5_PfS7_NS0_8identityIfEEEE10hipError_tT2_T3_mT4_P12ihipStream_tbEUlT_E_NS1_11comp_targetILNS1_3genE9ELNS1_11target_archE1100ELNS1_3gpuE3ELNS1_3repE0EEENS1_30default_config_static_selectorELNS0_4arch9wavefront6targetE0EEEvT1_.private_seg_size, 0
	.set _ZN7rocprim17ROCPRIM_400000_NS6detail17trampoline_kernelINS0_14default_configENS1_25transform_config_selectorIfLb1EEEZNS1_14transform_implILb1ES3_S5_PfS7_NS0_8identityIfEEEE10hipError_tT2_T3_mT4_P12ihipStream_tbEUlT_E_NS1_11comp_targetILNS1_3genE9ELNS1_11target_archE1100ELNS1_3gpuE3ELNS1_3repE0EEENS1_30default_config_static_selectorELNS0_4arch9wavefront6targetE0EEEvT1_.uses_vcc, 0
	.set _ZN7rocprim17ROCPRIM_400000_NS6detail17trampoline_kernelINS0_14default_configENS1_25transform_config_selectorIfLb1EEEZNS1_14transform_implILb1ES3_S5_PfS7_NS0_8identityIfEEEE10hipError_tT2_T3_mT4_P12ihipStream_tbEUlT_E_NS1_11comp_targetILNS1_3genE9ELNS1_11target_archE1100ELNS1_3gpuE3ELNS1_3repE0EEENS1_30default_config_static_selectorELNS0_4arch9wavefront6targetE0EEEvT1_.uses_flat_scratch, 0
	.set _ZN7rocprim17ROCPRIM_400000_NS6detail17trampoline_kernelINS0_14default_configENS1_25transform_config_selectorIfLb1EEEZNS1_14transform_implILb1ES3_S5_PfS7_NS0_8identityIfEEEE10hipError_tT2_T3_mT4_P12ihipStream_tbEUlT_E_NS1_11comp_targetILNS1_3genE9ELNS1_11target_archE1100ELNS1_3gpuE3ELNS1_3repE0EEENS1_30default_config_static_selectorELNS0_4arch9wavefront6targetE0EEEvT1_.has_dyn_sized_stack, 0
	.set _ZN7rocprim17ROCPRIM_400000_NS6detail17trampoline_kernelINS0_14default_configENS1_25transform_config_selectorIfLb1EEEZNS1_14transform_implILb1ES3_S5_PfS7_NS0_8identityIfEEEE10hipError_tT2_T3_mT4_P12ihipStream_tbEUlT_E_NS1_11comp_targetILNS1_3genE9ELNS1_11target_archE1100ELNS1_3gpuE3ELNS1_3repE0EEENS1_30default_config_static_selectorELNS0_4arch9wavefront6targetE0EEEvT1_.has_recursion, 0
	.set _ZN7rocprim17ROCPRIM_400000_NS6detail17trampoline_kernelINS0_14default_configENS1_25transform_config_selectorIfLb1EEEZNS1_14transform_implILb1ES3_S5_PfS7_NS0_8identityIfEEEE10hipError_tT2_T3_mT4_P12ihipStream_tbEUlT_E_NS1_11comp_targetILNS1_3genE9ELNS1_11target_archE1100ELNS1_3gpuE3ELNS1_3repE0EEENS1_30default_config_static_selectorELNS0_4arch9wavefront6targetE0EEEvT1_.has_indirect_call, 0
	.section	.AMDGPU.csdata,"",@progbits
; Kernel info:
; codeLenInByte = 0
; TotalNumSgprs: 0
; NumVgprs: 0
; ScratchSize: 0
; MemoryBound: 0
; FloatMode: 240
; IeeeMode: 1
; LDSByteSize: 0 bytes/workgroup (compile time only)
; SGPRBlocks: 0
; VGPRBlocks: 0
; NumSGPRsForWavesPerEU: 1
; NumVGPRsForWavesPerEU: 1
; Occupancy: 16
; WaveLimiterHint : 0
; COMPUTE_PGM_RSRC2:SCRATCH_EN: 0
; COMPUTE_PGM_RSRC2:USER_SGPR: 6
; COMPUTE_PGM_RSRC2:TRAP_HANDLER: 0
; COMPUTE_PGM_RSRC2:TGID_X_EN: 1
; COMPUTE_PGM_RSRC2:TGID_Y_EN: 0
; COMPUTE_PGM_RSRC2:TGID_Z_EN: 0
; COMPUTE_PGM_RSRC2:TIDIG_COMP_CNT: 0
	.section	.text._ZN7rocprim17ROCPRIM_400000_NS6detail17trampoline_kernelINS0_14default_configENS1_25transform_config_selectorIfLb1EEEZNS1_14transform_implILb1ES3_S5_PfS7_NS0_8identityIfEEEE10hipError_tT2_T3_mT4_P12ihipStream_tbEUlT_E_NS1_11comp_targetILNS1_3genE8ELNS1_11target_archE1030ELNS1_3gpuE2ELNS1_3repE0EEENS1_30default_config_static_selectorELNS0_4arch9wavefront6targetE0EEEvT1_,"axG",@progbits,_ZN7rocprim17ROCPRIM_400000_NS6detail17trampoline_kernelINS0_14default_configENS1_25transform_config_selectorIfLb1EEEZNS1_14transform_implILb1ES3_S5_PfS7_NS0_8identityIfEEEE10hipError_tT2_T3_mT4_P12ihipStream_tbEUlT_E_NS1_11comp_targetILNS1_3genE8ELNS1_11target_archE1030ELNS1_3gpuE2ELNS1_3repE0EEENS1_30default_config_static_selectorELNS0_4arch9wavefront6targetE0EEEvT1_,comdat
	.protected	_ZN7rocprim17ROCPRIM_400000_NS6detail17trampoline_kernelINS0_14default_configENS1_25transform_config_selectorIfLb1EEEZNS1_14transform_implILb1ES3_S5_PfS7_NS0_8identityIfEEEE10hipError_tT2_T3_mT4_P12ihipStream_tbEUlT_E_NS1_11comp_targetILNS1_3genE8ELNS1_11target_archE1030ELNS1_3gpuE2ELNS1_3repE0EEENS1_30default_config_static_selectorELNS0_4arch9wavefront6targetE0EEEvT1_ ; -- Begin function _ZN7rocprim17ROCPRIM_400000_NS6detail17trampoline_kernelINS0_14default_configENS1_25transform_config_selectorIfLb1EEEZNS1_14transform_implILb1ES3_S5_PfS7_NS0_8identityIfEEEE10hipError_tT2_T3_mT4_P12ihipStream_tbEUlT_E_NS1_11comp_targetILNS1_3genE8ELNS1_11target_archE1030ELNS1_3gpuE2ELNS1_3repE0EEENS1_30default_config_static_selectorELNS0_4arch9wavefront6targetE0EEEvT1_
	.globl	_ZN7rocprim17ROCPRIM_400000_NS6detail17trampoline_kernelINS0_14default_configENS1_25transform_config_selectorIfLb1EEEZNS1_14transform_implILb1ES3_S5_PfS7_NS0_8identityIfEEEE10hipError_tT2_T3_mT4_P12ihipStream_tbEUlT_E_NS1_11comp_targetILNS1_3genE8ELNS1_11target_archE1030ELNS1_3gpuE2ELNS1_3repE0EEENS1_30default_config_static_selectorELNS0_4arch9wavefront6targetE0EEEvT1_
	.p2align	8
	.type	_ZN7rocprim17ROCPRIM_400000_NS6detail17trampoline_kernelINS0_14default_configENS1_25transform_config_selectorIfLb1EEEZNS1_14transform_implILb1ES3_S5_PfS7_NS0_8identityIfEEEE10hipError_tT2_T3_mT4_P12ihipStream_tbEUlT_E_NS1_11comp_targetILNS1_3genE8ELNS1_11target_archE1030ELNS1_3gpuE2ELNS1_3repE0EEENS1_30default_config_static_selectorELNS0_4arch9wavefront6targetE0EEEvT1_,@function
_ZN7rocprim17ROCPRIM_400000_NS6detail17trampoline_kernelINS0_14default_configENS1_25transform_config_selectorIfLb1EEEZNS1_14transform_implILb1ES3_S5_PfS7_NS0_8identityIfEEEE10hipError_tT2_T3_mT4_P12ihipStream_tbEUlT_E_NS1_11comp_targetILNS1_3genE8ELNS1_11target_archE1030ELNS1_3gpuE2ELNS1_3repE0EEENS1_30default_config_static_selectorELNS0_4arch9wavefront6targetE0EEEvT1_: ; @_ZN7rocprim17ROCPRIM_400000_NS6detail17trampoline_kernelINS0_14default_configENS1_25transform_config_selectorIfLb1EEEZNS1_14transform_implILb1ES3_S5_PfS7_NS0_8identityIfEEEE10hipError_tT2_T3_mT4_P12ihipStream_tbEUlT_E_NS1_11comp_targetILNS1_3genE8ELNS1_11target_archE1030ELNS1_3gpuE2ELNS1_3repE0EEENS1_30default_config_static_selectorELNS0_4arch9wavefront6targetE0EEEvT1_
; %bb.0:
	s_clause 0x1
	s_load_dword s0, s[4:5], 0x28
	s_load_dword s1, s[4:5], 0x10
	s_waitcnt lgkmcnt(0)
	s_add_i32 s2, s0, -1
	s_lshl_b32 s0, s6, 10
	s_cmp_lg_u32 s6, s2
	s_cselect_b32 s2, -1, 0
	s_sub_i32 s1, s1, s0
	v_cmp_gt_u32_e32 vcc_lo, s1, v0
	s_or_b32 s1, vcc_lo, s2
	s_and_saveexec_b32 s2, s1
	s_cbranch_execz .LBB104_2
; %bb.1:
	s_clause 0x1
	s_load_dwordx4 s[8:11], s[4:5], 0x0
	s_load_dwordx2 s[2:3], s[4:5], 0x18
	s_mov_b32 s1, 0
	v_lshlrev_b32_e32 v0, 2, v0
	s_waitcnt lgkmcnt(0)
	s_lshl_b64 s[4:5], s[10:11], 2
	s_add_u32 s6, s8, s4
	s_addc_u32 s7, s9, s5
	s_lshl_b64 s[0:1], s[0:1], 2
	s_add_u32 s6, s6, s0
	s_addc_u32 s7, s7, s1
	s_add_u32 s2, s2, s4
	global_load_dword v1, v0, s[6:7]
	s_addc_u32 s3, s3, s5
	s_add_u32 s0, s2, s0
	s_addc_u32 s1, s3, s1
	s_waitcnt vmcnt(0)
	global_store_dword v0, v1, s[0:1]
.LBB104_2:
	s_endpgm
	.section	.rodata,"a",@progbits
	.p2align	6, 0x0
	.amdhsa_kernel _ZN7rocprim17ROCPRIM_400000_NS6detail17trampoline_kernelINS0_14default_configENS1_25transform_config_selectorIfLb1EEEZNS1_14transform_implILb1ES3_S5_PfS7_NS0_8identityIfEEEE10hipError_tT2_T3_mT4_P12ihipStream_tbEUlT_E_NS1_11comp_targetILNS1_3genE8ELNS1_11target_archE1030ELNS1_3gpuE2ELNS1_3repE0EEENS1_30default_config_static_selectorELNS0_4arch9wavefront6targetE0EEEvT1_
		.amdhsa_group_segment_fixed_size 0
		.amdhsa_private_segment_fixed_size 0
		.amdhsa_kernarg_size 296
		.amdhsa_user_sgpr_count 6
		.amdhsa_user_sgpr_private_segment_buffer 1
		.amdhsa_user_sgpr_dispatch_ptr 0
		.amdhsa_user_sgpr_queue_ptr 0
		.amdhsa_user_sgpr_kernarg_segment_ptr 1
		.amdhsa_user_sgpr_dispatch_id 0
		.amdhsa_user_sgpr_flat_scratch_init 0
		.amdhsa_user_sgpr_private_segment_size 0
		.amdhsa_wavefront_size32 1
		.amdhsa_uses_dynamic_stack 0
		.amdhsa_system_sgpr_private_segment_wavefront_offset 0
		.amdhsa_system_sgpr_workgroup_id_x 1
		.amdhsa_system_sgpr_workgroup_id_y 0
		.amdhsa_system_sgpr_workgroup_id_z 0
		.amdhsa_system_sgpr_workgroup_info 0
		.amdhsa_system_vgpr_workitem_id 0
		.amdhsa_next_free_vgpr 2
		.amdhsa_next_free_sgpr 12
		.amdhsa_reserve_vcc 1
		.amdhsa_reserve_flat_scratch 0
		.amdhsa_float_round_mode_32 0
		.amdhsa_float_round_mode_16_64 0
		.amdhsa_float_denorm_mode_32 3
		.amdhsa_float_denorm_mode_16_64 3
		.amdhsa_dx10_clamp 1
		.amdhsa_ieee_mode 1
		.amdhsa_fp16_overflow 0
		.amdhsa_workgroup_processor_mode 1
		.amdhsa_memory_ordered 1
		.amdhsa_forward_progress 1
		.amdhsa_shared_vgpr_count 0
		.amdhsa_exception_fp_ieee_invalid_op 0
		.amdhsa_exception_fp_denorm_src 0
		.amdhsa_exception_fp_ieee_div_zero 0
		.amdhsa_exception_fp_ieee_overflow 0
		.amdhsa_exception_fp_ieee_underflow 0
		.amdhsa_exception_fp_ieee_inexact 0
		.amdhsa_exception_int_div_zero 0
	.end_amdhsa_kernel
	.section	.text._ZN7rocprim17ROCPRIM_400000_NS6detail17trampoline_kernelINS0_14default_configENS1_25transform_config_selectorIfLb1EEEZNS1_14transform_implILb1ES3_S5_PfS7_NS0_8identityIfEEEE10hipError_tT2_T3_mT4_P12ihipStream_tbEUlT_E_NS1_11comp_targetILNS1_3genE8ELNS1_11target_archE1030ELNS1_3gpuE2ELNS1_3repE0EEENS1_30default_config_static_selectorELNS0_4arch9wavefront6targetE0EEEvT1_,"axG",@progbits,_ZN7rocprim17ROCPRIM_400000_NS6detail17trampoline_kernelINS0_14default_configENS1_25transform_config_selectorIfLb1EEEZNS1_14transform_implILb1ES3_S5_PfS7_NS0_8identityIfEEEE10hipError_tT2_T3_mT4_P12ihipStream_tbEUlT_E_NS1_11comp_targetILNS1_3genE8ELNS1_11target_archE1030ELNS1_3gpuE2ELNS1_3repE0EEENS1_30default_config_static_selectorELNS0_4arch9wavefront6targetE0EEEvT1_,comdat
.Lfunc_end104:
	.size	_ZN7rocprim17ROCPRIM_400000_NS6detail17trampoline_kernelINS0_14default_configENS1_25transform_config_selectorIfLb1EEEZNS1_14transform_implILb1ES3_S5_PfS7_NS0_8identityIfEEEE10hipError_tT2_T3_mT4_P12ihipStream_tbEUlT_E_NS1_11comp_targetILNS1_3genE8ELNS1_11target_archE1030ELNS1_3gpuE2ELNS1_3repE0EEENS1_30default_config_static_selectorELNS0_4arch9wavefront6targetE0EEEvT1_, .Lfunc_end104-_ZN7rocprim17ROCPRIM_400000_NS6detail17trampoline_kernelINS0_14default_configENS1_25transform_config_selectorIfLb1EEEZNS1_14transform_implILb1ES3_S5_PfS7_NS0_8identityIfEEEE10hipError_tT2_T3_mT4_P12ihipStream_tbEUlT_E_NS1_11comp_targetILNS1_3genE8ELNS1_11target_archE1030ELNS1_3gpuE2ELNS1_3repE0EEENS1_30default_config_static_selectorELNS0_4arch9wavefront6targetE0EEEvT1_
                                        ; -- End function
	.set _ZN7rocprim17ROCPRIM_400000_NS6detail17trampoline_kernelINS0_14default_configENS1_25transform_config_selectorIfLb1EEEZNS1_14transform_implILb1ES3_S5_PfS7_NS0_8identityIfEEEE10hipError_tT2_T3_mT4_P12ihipStream_tbEUlT_E_NS1_11comp_targetILNS1_3genE8ELNS1_11target_archE1030ELNS1_3gpuE2ELNS1_3repE0EEENS1_30default_config_static_selectorELNS0_4arch9wavefront6targetE0EEEvT1_.num_vgpr, 2
	.set _ZN7rocprim17ROCPRIM_400000_NS6detail17trampoline_kernelINS0_14default_configENS1_25transform_config_selectorIfLb1EEEZNS1_14transform_implILb1ES3_S5_PfS7_NS0_8identityIfEEEE10hipError_tT2_T3_mT4_P12ihipStream_tbEUlT_E_NS1_11comp_targetILNS1_3genE8ELNS1_11target_archE1030ELNS1_3gpuE2ELNS1_3repE0EEENS1_30default_config_static_selectorELNS0_4arch9wavefront6targetE0EEEvT1_.num_agpr, 0
	.set _ZN7rocprim17ROCPRIM_400000_NS6detail17trampoline_kernelINS0_14default_configENS1_25transform_config_selectorIfLb1EEEZNS1_14transform_implILb1ES3_S5_PfS7_NS0_8identityIfEEEE10hipError_tT2_T3_mT4_P12ihipStream_tbEUlT_E_NS1_11comp_targetILNS1_3genE8ELNS1_11target_archE1030ELNS1_3gpuE2ELNS1_3repE0EEENS1_30default_config_static_selectorELNS0_4arch9wavefront6targetE0EEEvT1_.numbered_sgpr, 12
	.set _ZN7rocprim17ROCPRIM_400000_NS6detail17trampoline_kernelINS0_14default_configENS1_25transform_config_selectorIfLb1EEEZNS1_14transform_implILb1ES3_S5_PfS7_NS0_8identityIfEEEE10hipError_tT2_T3_mT4_P12ihipStream_tbEUlT_E_NS1_11comp_targetILNS1_3genE8ELNS1_11target_archE1030ELNS1_3gpuE2ELNS1_3repE0EEENS1_30default_config_static_selectorELNS0_4arch9wavefront6targetE0EEEvT1_.num_named_barrier, 0
	.set _ZN7rocprim17ROCPRIM_400000_NS6detail17trampoline_kernelINS0_14default_configENS1_25transform_config_selectorIfLb1EEEZNS1_14transform_implILb1ES3_S5_PfS7_NS0_8identityIfEEEE10hipError_tT2_T3_mT4_P12ihipStream_tbEUlT_E_NS1_11comp_targetILNS1_3genE8ELNS1_11target_archE1030ELNS1_3gpuE2ELNS1_3repE0EEENS1_30default_config_static_selectorELNS0_4arch9wavefront6targetE0EEEvT1_.private_seg_size, 0
	.set _ZN7rocprim17ROCPRIM_400000_NS6detail17trampoline_kernelINS0_14default_configENS1_25transform_config_selectorIfLb1EEEZNS1_14transform_implILb1ES3_S5_PfS7_NS0_8identityIfEEEE10hipError_tT2_T3_mT4_P12ihipStream_tbEUlT_E_NS1_11comp_targetILNS1_3genE8ELNS1_11target_archE1030ELNS1_3gpuE2ELNS1_3repE0EEENS1_30default_config_static_selectorELNS0_4arch9wavefront6targetE0EEEvT1_.uses_vcc, 1
	.set _ZN7rocprim17ROCPRIM_400000_NS6detail17trampoline_kernelINS0_14default_configENS1_25transform_config_selectorIfLb1EEEZNS1_14transform_implILb1ES3_S5_PfS7_NS0_8identityIfEEEE10hipError_tT2_T3_mT4_P12ihipStream_tbEUlT_E_NS1_11comp_targetILNS1_3genE8ELNS1_11target_archE1030ELNS1_3gpuE2ELNS1_3repE0EEENS1_30default_config_static_selectorELNS0_4arch9wavefront6targetE0EEEvT1_.uses_flat_scratch, 0
	.set _ZN7rocprim17ROCPRIM_400000_NS6detail17trampoline_kernelINS0_14default_configENS1_25transform_config_selectorIfLb1EEEZNS1_14transform_implILb1ES3_S5_PfS7_NS0_8identityIfEEEE10hipError_tT2_T3_mT4_P12ihipStream_tbEUlT_E_NS1_11comp_targetILNS1_3genE8ELNS1_11target_archE1030ELNS1_3gpuE2ELNS1_3repE0EEENS1_30default_config_static_selectorELNS0_4arch9wavefront6targetE0EEEvT1_.has_dyn_sized_stack, 0
	.set _ZN7rocprim17ROCPRIM_400000_NS6detail17trampoline_kernelINS0_14default_configENS1_25transform_config_selectorIfLb1EEEZNS1_14transform_implILb1ES3_S5_PfS7_NS0_8identityIfEEEE10hipError_tT2_T3_mT4_P12ihipStream_tbEUlT_E_NS1_11comp_targetILNS1_3genE8ELNS1_11target_archE1030ELNS1_3gpuE2ELNS1_3repE0EEENS1_30default_config_static_selectorELNS0_4arch9wavefront6targetE0EEEvT1_.has_recursion, 0
	.set _ZN7rocprim17ROCPRIM_400000_NS6detail17trampoline_kernelINS0_14default_configENS1_25transform_config_selectorIfLb1EEEZNS1_14transform_implILb1ES3_S5_PfS7_NS0_8identityIfEEEE10hipError_tT2_T3_mT4_P12ihipStream_tbEUlT_E_NS1_11comp_targetILNS1_3genE8ELNS1_11target_archE1030ELNS1_3gpuE2ELNS1_3repE0EEENS1_30default_config_static_selectorELNS0_4arch9wavefront6targetE0EEEvT1_.has_indirect_call, 0
	.section	.AMDGPU.csdata,"",@progbits
; Kernel info:
; codeLenInByte = 156
; TotalNumSgprs: 14
; NumVgprs: 2
; ScratchSize: 0
; MemoryBound: 0
; FloatMode: 240
; IeeeMode: 1
; LDSByteSize: 0 bytes/workgroup (compile time only)
; SGPRBlocks: 0
; VGPRBlocks: 0
; NumSGPRsForWavesPerEU: 14
; NumVGPRsForWavesPerEU: 2
; Occupancy: 16
; WaveLimiterHint : 0
; COMPUTE_PGM_RSRC2:SCRATCH_EN: 0
; COMPUTE_PGM_RSRC2:USER_SGPR: 6
; COMPUTE_PGM_RSRC2:TRAP_HANDLER: 0
; COMPUTE_PGM_RSRC2:TGID_X_EN: 1
; COMPUTE_PGM_RSRC2:TGID_Y_EN: 0
; COMPUTE_PGM_RSRC2:TGID_Z_EN: 0
; COMPUTE_PGM_RSRC2:TIDIG_COMP_CNT: 0
	.section	.text._ZN7rocprim17ROCPRIM_400000_NS6detail17trampoline_kernelINS0_14default_configENS1_20scan_config_selectorIfEEZZNS1_9scan_implILNS1_25lookback_scan_determinismE0ELb0ELb0ES3_PKfPffZZZN2at6native31launch_logcumsumexp_cuda_kernelERKNSB_10TensorBaseESF_lENKUlvE_clEvENKUlvE0_clEvEUlffE_fEEDaPvRmT3_T4_T5_mT6_P12ihipStream_tbENKUlT_T0_E_clISt17integral_constantIbLb0EESW_EEDaSR_SS_EUlSR_E0_NS1_11comp_targetILNS1_3genE0ELNS1_11target_archE4294967295ELNS1_3gpuE0ELNS1_3repE0EEENS1_30default_config_static_selectorELNS0_4arch9wavefront6targetE0EEEvT1_,"axG",@progbits,_ZN7rocprim17ROCPRIM_400000_NS6detail17trampoline_kernelINS0_14default_configENS1_20scan_config_selectorIfEEZZNS1_9scan_implILNS1_25lookback_scan_determinismE0ELb0ELb0ES3_PKfPffZZZN2at6native31launch_logcumsumexp_cuda_kernelERKNSB_10TensorBaseESF_lENKUlvE_clEvENKUlvE0_clEvEUlffE_fEEDaPvRmT3_T4_T5_mT6_P12ihipStream_tbENKUlT_T0_E_clISt17integral_constantIbLb0EESW_EEDaSR_SS_EUlSR_E0_NS1_11comp_targetILNS1_3genE0ELNS1_11target_archE4294967295ELNS1_3gpuE0ELNS1_3repE0EEENS1_30default_config_static_selectorELNS0_4arch9wavefront6targetE0EEEvT1_,comdat
	.globl	_ZN7rocprim17ROCPRIM_400000_NS6detail17trampoline_kernelINS0_14default_configENS1_20scan_config_selectorIfEEZZNS1_9scan_implILNS1_25lookback_scan_determinismE0ELb0ELb0ES3_PKfPffZZZN2at6native31launch_logcumsumexp_cuda_kernelERKNSB_10TensorBaseESF_lENKUlvE_clEvENKUlvE0_clEvEUlffE_fEEDaPvRmT3_T4_T5_mT6_P12ihipStream_tbENKUlT_T0_E_clISt17integral_constantIbLb0EESW_EEDaSR_SS_EUlSR_E0_NS1_11comp_targetILNS1_3genE0ELNS1_11target_archE4294967295ELNS1_3gpuE0ELNS1_3repE0EEENS1_30default_config_static_selectorELNS0_4arch9wavefront6targetE0EEEvT1_ ; -- Begin function _ZN7rocprim17ROCPRIM_400000_NS6detail17trampoline_kernelINS0_14default_configENS1_20scan_config_selectorIfEEZZNS1_9scan_implILNS1_25lookback_scan_determinismE0ELb0ELb0ES3_PKfPffZZZN2at6native31launch_logcumsumexp_cuda_kernelERKNSB_10TensorBaseESF_lENKUlvE_clEvENKUlvE0_clEvEUlffE_fEEDaPvRmT3_T4_T5_mT6_P12ihipStream_tbENKUlT_T0_E_clISt17integral_constantIbLb0EESW_EEDaSR_SS_EUlSR_E0_NS1_11comp_targetILNS1_3genE0ELNS1_11target_archE4294967295ELNS1_3gpuE0ELNS1_3repE0EEENS1_30default_config_static_selectorELNS0_4arch9wavefront6targetE0EEEvT1_
	.p2align	8
	.type	_ZN7rocprim17ROCPRIM_400000_NS6detail17trampoline_kernelINS0_14default_configENS1_20scan_config_selectorIfEEZZNS1_9scan_implILNS1_25lookback_scan_determinismE0ELb0ELb0ES3_PKfPffZZZN2at6native31launch_logcumsumexp_cuda_kernelERKNSB_10TensorBaseESF_lENKUlvE_clEvENKUlvE0_clEvEUlffE_fEEDaPvRmT3_T4_T5_mT6_P12ihipStream_tbENKUlT_T0_E_clISt17integral_constantIbLb0EESW_EEDaSR_SS_EUlSR_E0_NS1_11comp_targetILNS1_3genE0ELNS1_11target_archE4294967295ELNS1_3gpuE0ELNS1_3repE0EEENS1_30default_config_static_selectorELNS0_4arch9wavefront6targetE0EEEvT1_,@function
_ZN7rocprim17ROCPRIM_400000_NS6detail17trampoline_kernelINS0_14default_configENS1_20scan_config_selectorIfEEZZNS1_9scan_implILNS1_25lookback_scan_determinismE0ELb0ELb0ES3_PKfPffZZZN2at6native31launch_logcumsumexp_cuda_kernelERKNSB_10TensorBaseESF_lENKUlvE_clEvENKUlvE0_clEvEUlffE_fEEDaPvRmT3_T4_T5_mT6_P12ihipStream_tbENKUlT_T0_E_clISt17integral_constantIbLb0EESW_EEDaSR_SS_EUlSR_E0_NS1_11comp_targetILNS1_3genE0ELNS1_11target_archE4294967295ELNS1_3gpuE0ELNS1_3repE0EEENS1_30default_config_static_selectorELNS0_4arch9wavefront6targetE0EEEvT1_: ; @_ZN7rocprim17ROCPRIM_400000_NS6detail17trampoline_kernelINS0_14default_configENS1_20scan_config_selectorIfEEZZNS1_9scan_implILNS1_25lookback_scan_determinismE0ELb0ELb0ES3_PKfPffZZZN2at6native31launch_logcumsumexp_cuda_kernelERKNSB_10TensorBaseESF_lENKUlvE_clEvENKUlvE0_clEvEUlffE_fEEDaPvRmT3_T4_T5_mT6_P12ihipStream_tbENKUlT_T0_E_clISt17integral_constantIbLb0EESW_EEDaSR_SS_EUlSR_E0_NS1_11comp_targetILNS1_3genE0ELNS1_11target_archE4294967295ELNS1_3gpuE0ELNS1_3repE0EEENS1_30default_config_static_selectorELNS0_4arch9wavefront6targetE0EEEvT1_
; %bb.0:
	.section	.rodata,"a",@progbits
	.p2align	6, 0x0
	.amdhsa_kernel _ZN7rocprim17ROCPRIM_400000_NS6detail17trampoline_kernelINS0_14default_configENS1_20scan_config_selectorIfEEZZNS1_9scan_implILNS1_25lookback_scan_determinismE0ELb0ELb0ES3_PKfPffZZZN2at6native31launch_logcumsumexp_cuda_kernelERKNSB_10TensorBaseESF_lENKUlvE_clEvENKUlvE0_clEvEUlffE_fEEDaPvRmT3_T4_T5_mT6_P12ihipStream_tbENKUlT_T0_E_clISt17integral_constantIbLb0EESW_EEDaSR_SS_EUlSR_E0_NS1_11comp_targetILNS1_3genE0ELNS1_11target_archE4294967295ELNS1_3gpuE0ELNS1_3repE0EEENS1_30default_config_static_selectorELNS0_4arch9wavefront6targetE0EEEvT1_
		.amdhsa_group_segment_fixed_size 0
		.amdhsa_private_segment_fixed_size 0
		.amdhsa_kernarg_size 32
		.amdhsa_user_sgpr_count 6
		.amdhsa_user_sgpr_private_segment_buffer 1
		.amdhsa_user_sgpr_dispatch_ptr 0
		.amdhsa_user_sgpr_queue_ptr 0
		.amdhsa_user_sgpr_kernarg_segment_ptr 1
		.amdhsa_user_sgpr_dispatch_id 0
		.amdhsa_user_sgpr_flat_scratch_init 0
		.amdhsa_user_sgpr_private_segment_size 0
		.amdhsa_wavefront_size32 1
		.amdhsa_uses_dynamic_stack 0
		.amdhsa_system_sgpr_private_segment_wavefront_offset 0
		.amdhsa_system_sgpr_workgroup_id_x 1
		.amdhsa_system_sgpr_workgroup_id_y 0
		.amdhsa_system_sgpr_workgroup_id_z 0
		.amdhsa_system_sgpr_workgroup_info 0
		.amdhsa_system_vgpr_workitem_id 0
		.amdhsa_next_free_vgpr 1
		.amdhsa_next_free_sgpr 1
		.amdhsa_reserve_vcc 0
		.amdhsa_reserve_flat_scratch 0
		.amdhsa_float_round_mode_32 0
		.amdhsa_float_round_mode_16_64 0
		.amdhsa_float_denorm_mode_32 3
		.amdhsa_float_denorm_mode_16_64 3
		.amdhsa_dx10_clamp 1
		.amdhsa_ieee_mode 1
		.amdhsa_fp16_overflow 0
		.amdhsa_workgroup_processor_mode 1
		.amdhsa_memory_ordered 1
		.amdhsa_forward_progress 1
		.amdhsa_shared_vgpr_count 0
		.amdhsa_exception_fp_ieee_invalid_op 0
		.amdhsa_exception_fp_denorm_src 0
		.amdhsa_exception_fp_ieee_div_zero 0
		.amdhsa_exception_fp_ieee_overflow 0
		.amdhsa_exception_fp_ieee_underflow 0
		.amdhsa_exception_fp_ieee_inexact 0
		.amdhsa_exception_int_div_zero 0
	.end_amdhsa_kernel
	.section	.text._ZN7rocprim17ROCPRIM_400000_NS6detail17trampoline_kernelINS0_14default_configENS1_20scan_config_selectorIfEEZZNS1_9scan_implILNS1_25lookback_scan_determinismE0ELb0ELb0ES3_PKfPffZZZN2at6native31launch_logcumsumexp_cuda_kernelERKNSB_10TensorBaseESF_lENKUlvE_clEvENKUlvE0_clEvEUlffE_fEEDaPvRmT3_T4_T5_mT6_P12ihipStream_tbENKUlT_T0_E_clISt17integral_constantIbLb0EESW_EEDaSR_SS_EUlSR_E0_NS1_11comp_targetILNS1_3genE0ELNS1_11target_archE4294967295ELNS1_3gpuE0ELNS1_3repE0EEENS1_30default_config_static_selectorELNS0_4arch9wavefront6targetE0EEEvT1_,"axG",@progbits,_ZN7rocprim17ROCPRIM_400000_NS6detail17trampoline_kernelINS0_14default_configENS1_20scan_config_selectorIfEEZZNS1_9scan_implILNS1_25lookback_scan_determinismE0ELb0ELb0ES3_PKfPffZZZN2at6native31launch_logcumsumexp_cuda_kernelERKNSB_10TensorBaseESF_lENKUlvE_clEvENKUlvE0_clEvEUlffE_fEEDaPvRmT3_T4_T5_mT6_P12ihipStream_tbENKUlT_T0_E_clISt17integral_constantIbLb0EESW_EEDaSR_SS_EUlSR_E0_NS1_11comp_targetILNS1_3genE0ELNS1_11target_archE4294967295ELNS1_3gpuE0ELNS1_3repE0EEENS1_30default_config_static_selectorELNS0_4arch9wavefront6targetE0EEEvT1_,comdat
.Lfunc_end105:
	.size	_ZN7rocprim17ROCPRIM_400000_NS6detail17trampoline_kernelINS0_14default_configENS1_20scan_config_selectorIfEEZZNS1_9scan_implILNS1_25lookback_scan_determinismE0ELb0ELb0ES3_PKfPffZZZN2at6native31launch_logcumsumexp_cuda_kernelERKNSB_10TensorBaseESF_lENKUlvE_clEvENKUlvE0_clEvEUlffE_fEEDaPvRmT3_T4_T5_mT6_P12ihipStream_tbENKUlT_T0_E_clISt17integral_constantIbLb0EESW_EEDaSR_SS_EUlSR_E0_NS1_11comp_targetILNS1_3genE0ELNS1_11target_archE4294967295ELNS1_3gpuE0ELNS1_3repE0EEENS1_30default_config_static_selectorELNS0_4arch9wavefront6targetE0EEEvT1_, .Lfunc_end105-_ZN7rocprim17ROCPRIM_400000_NS6detail17trampoline_kernelINS0_14default_configENS1_20scan_config_selectorIfEEZZNS1_9scan_implILNS1_25lookback_scan_determinismE0ELb0ELb0ES3_PKfPffZZZN2at6native31launch_logcumsumexp_cuda_kernelERKNSB_10TensorBaseESF_lENKUlvE_clEvENKUlvE0_clEvEUlffE_fEEDaPvRmT3_T4_T5_mT6_P12ihipStream_tbENKUlT_T0_E_clISt17integral_constantIbLb0EESW_EEDaSR_SS_EUlSR_E0_NS1_11comp_targetILNS1_3genE0ELNS1_11target_archE4294967295ELNS1_3gpuE0ELNS1_3repE0EEENS1_30default_config_static_selectorELNS0_4arch9wavefront6targetE0EEEvT1_
                                        ; -- End function
	.set _ZN7rocprim17ROCPRIM_400000_NS6detail17trampoline_kernelINS0_14default_configENS1_20scan_config_selectorIfEEZZNS1_9scan_implILNS1_25lookback_scan_determinismE0ELb0ELb0ES3_PKfPffZZZN2at6native31launch_logcumsumexp_cuda_kernelERKNSB_10TensorBaseESF_lENKUlvE_clEvENKUlvE0_clEvEUlffE_fEEDaPvRmT3_T4_T5_mT6_P12ihipStream_tbENKUlT_T0_E_clISt17integral_constantIbLb0EESW_EEDaSR_SS_EUlSR_E0_NS1_11comp_targetILNS1_3genE0ELNS1_11target_archE4294967295ELNS1_3gpuE0ELNS1_3repE0EEENS1_30default_config_static_selectorELNS0_4arch9wavefront6targetE0EEEvT1_.num_vgpr, 0
	.set _ZN7rocprim17ROCPRIM_400000_NS6detail17trampoline_kernelINS0_14default_configENS1_20scan_config_selectorIfEEZZNS1_9scan_implILNS1_25lookback_scan_determinismE0ELb0ELb0ES3_PKfPffZZZN2at6native31launch_logcumsumexp_cuda_kernelERKNSB_10TensorBaseESF_lENKUlvE_clEvENKUlvE0_clEvEUlffE_fEEDaPvRmT3_T4_T5_mT6_P12ihipStream_tbENKUlT_T0_E_clISt17integral_constantIbLb0EESW_EEDaSR_SS_EUlSR_E0_NS1_11comp_targetILNS1_3genE0ELNS1_11target_archE4294967295ELNS1_3gpuE0ELNS1_3repE0EEENS1_30default_config_static_selectorELNS0_4arch9wavefront6targetE0EEEvT1_.num_agpr, 0
	.set _ZN7rocprim17ROCPRIM_400000_NS6detail17trampoline_kernelINS0_14default_configENS1_20scan_config_selectorIfEEZZNS1_9scan_implILNS1_25lookback_scan_determinismE0ELb0ELb0ES3_PKfPffZZZN2at6native31launch_logcumsumexp_cuda_kernelERKNSB_10TensorBaseESF_lENKUlvE_clEvENKUlvE0_clEvEUlffE_fEEDaPvRmT3_T4_T5_mT6_P12ihipStream_tbENKUlT_T0_E_clISt17integral_constantIbLb0EESW_EEDaSR_SS_EUlSR_E0_NS1_11comp_targetILNS1_3genE0ELNS1_11target_archE4294967295ELNS1_3gpuE0ELNS1_3repE0EEENS1_30default_config_static_selectorELNS0_4arch9wavefront6targetE0EEEvT1_.numbered_sgpr, 0
	.set _ZN7rocprim17ROCPRIM_400000_NS6detail17trampoline_kernelINS0_14default_configENS1_20scan_config_selectorIfEEZZNS1_9scan_implILNS1_25lookback_scan_determinismE0ELb0ELb0ES3_PKfPffZZZN2at6native31launch_logcumsumexp_cuda_kernelERKNSB_10TensorBaseESF_lENKUlvE_clEvENKUlvE0_clEvEUlffE_fEEDaPvRmT3_T4_T5_mT6_P12ihipStream_tbENKUlT_T0_E_clISt17integral_constantIbLb0EESW_EEDaSR_SS_EUlSR_E0_NS1_11comp_targetILNS1_3genE0ELNS1_11target_archE4294967295ELNS1_3gpuE0ELNS1_3repE0EEENS1_30default_config_static_selectorELNS0_4arch9wavefront6targetE0EEEvT1_.num_named_barrier, 0
	.set _ZN7rocprim17ROCPRIM_400000_NS6detail17trampoline_kernelINS0_14default_configENS1_20scan_config_selectorIfEEZZNS1_9scan_implILNS1_25lookback_scan_determinismE0ELb0ELb0ES3_PKfPffZZZN2at6native31launch_logcumsumexp_cuda_kernelERKNSB_10TensorBaseESF_lENKUlvE_clEvENKUlvE0_clEvEUlffE_fEEDaPvRmT3_T4_T5_mT6_P12ihipStream_tbENKUlT_T0_E_clISt17integral_constantIbLb0EESW_EEDaSR_SS_EUlSR_E0_NS1_11comp_targetILNS1_3genE0ELNS1_11target_archE4294967295ELNS1_3gpuE0ELNS1_3repE0EEENS1_30default_config_static_selectorELNS0_4arch9wavefront6targetE0EEEvT1_.private_seg_size, 0
	.set _ZN7rocprim17ROCPRIM_400000_NS6detail17trampoline_kernelINS0_14default_configENS1_20scan_config_selectorIfEEZZNS1_9scan_implILNS1_25lookback_scan_determinismE0ELb0ELb0ES3_PKfPffZZZN2at6native31launch_logcumsumexp_cuda_kernelERKNSB_10TensorBaseESF_lENKUlvE_clEvENKUlvE0_clEvEUlffE_fEEDaPvRmT3_T4_T5_mT6_P12ihipStream_tbENKUlT_T0_E_clISt17integral_constantIbLb0EESW_EEDaSR_SS_EUlSR_E0_NS1_11comp_targetILNS1_3genE0ELNS1_11target_archE4294967295ELNS1_3gpuE0ELNS1_3repE0EEENS1_30default_config_static_selectorELNS0_4arch9wavefront6targetE0EEEvT1_.uses_vcc, 0
	.set _ZN7rocprim17ROCPRIM_400000_NS6detail17trampoline_kernelINS0_14default_configENS1_20scan_config_selectorIfEEZZNS1_9scan_implILNS1_25lookback_scan_determinismE0ELb0ELb0ES3_PKfPffZZZN2at6native31launch_logcumsumexp_cuda_kernelERKNSB_10TensorBaseESF_lENKUlvE_clEvENKUlvE0_clEvEUlffE_fEEDaPvRmT3_T4_T5_mT6_P12ihipStream_tbENKUlT_T0_E_clISt17integral_constantIbLb0EESW_EEDaSR_SS_EUlSR_E0_NS1_11comp_targetILNS1_3genE0ELNS1_11target_archE4294967295ELNS1_3gpuE0ELNS1_3repE0EEENS1_30default_config_static_selectorELNS0_4arch9wavefront6targetE0EEEvT1_.uses_flat_scratch, 0
	.set _ZN7rocprim17ROCPRIM_400000_NS6detail17trampoline_kernelINS0_14default_configENS1_20scan_config_selectorIfEEZZNS1_9scan_implILNS1_25lookback_scan_determinismE0ELb0ELb0ES3_PKfPffZZZN2at6native31launch_logcumsumexp_cuda_kernelERKNSB_10TensorBaseESF_lENKUlvE_clEvENKUlvE0_clEvEUlffE_fEEDaPvRmT3_T4_T5_mT6_P12ihipStream_tbENKUlT_T0_E_clISt17integral_constantIbLb0EESW_EEDaSR_SS_EUlSR_E0_NS1_11comp_targetILNS1_3genE0ELNS1_11target_archE4294967295ELNS1_3gpuE0ELNS1_3repE0EEENS1_30default_config_static_selectorELNS0_4arch9wavefront6targetE0EEEvT1_.has_dyn_sized_stack, 0
	.set _ZN7rocprim17ROCPRIM_400000_NS6detail17trampoline_kernelINS0_14default_configENS1_20scan_config_selectorIfEEZZNS1_9scan_implILNS1_25lookback_scan_determinismE0ELb0ELb0ES3_PKfPffZZZN2at6native31launch_logcumsumexp_cuda_kernelERKNSB_10TensorBaseESF_lENKUlvE_clEvENKUlvE0_clEvEUlffE_fEEDaPvRmT3_T4_T5_mT6_P12ihipStream_tbENKUlT_T0_E_clISt17integral_constantIbLb0EESW_EEDaSR_SS_EUlSR_E0_NS1_11comp_targetILNS1_3genE0ELNS1_11target_archE4294967295ELNS1_3gpuE0ELNS1_3repE0EEENS1_30default_config_static_selectorELNS0_4arch9wavefront6targetE0EEEvT1_.has_recursion, 0
	.set _ZN7rocprim17ROCPRIM_400000_NS6detail17trampoline_kernelINS0_14default_configENS1_20scan_config_selectorIfEEZZNS1_9scan_implILNS1_25lookback_scan_determinismE0ELb0ELb0ES3_PKfPffZZZN2at6native31launch_logcumsumexp_cuda_kernelERKNSB_10TensorBaseESF_lENKUlvE_clEvENKUlvE0_clEvEUlffE_fEEDaPvRmT3_T4_T5_mT6_P12ihipStream_tbENKUlT_T0_E_clISt17integral_constantIbLb0EESW_EEDaSR_SS_EUlSR_E0_NS1_11comp_targetILNS1_3genE0ELNS1_11target_archE4294967295ELNS1_3gpuE0ELNS1_3repE0EEENS1_30default_config_static_selectorELNS0_4arch9wavefront6targetE0EEEvT1_.has_indirect_call, 0
	.section	.AMDGPU.csdata,"",@progbits
; Kernel info:
; codeLenInByte = 0
; TotalNumSgprs: 0
; NumVgprs: 0
; ScratchSize: 0
; MemoryBound: 0
; FloatMode: 240
; IeeeMode: 1
; LDSByteSize: 0 bytes/workgroup (compile time only)
; SGPRBlocks: 0
; VGPRBlocks: 0
; NumSGPRsForWavesPerEU: 1
; NumVGPRsForWavesPerEU: 1
; Occupancy: 16
; WaveLimiterHint : 0
; COMPUTE_PGM_RSRC2:SCRATCH_EN: 0
; COMPUTE_PGM_RSRC2:USER_SGPR: 6
; COMPUTE_PGM_RSRC2:TRAP_HANDLER: 0
; COMPUTE_PGM_RSRC2:TGID_X_EN: 1
; COMPUTE_PGM_RSRC2:TGID_Y_EN: 0
; COMPUTE_PGM_RSRC2:TGID_Z_EN: 0
; COMPUTE_PGM_RSRC2:TIDIG_COMP_CNT: 0
	.section	.text._ZN7rocprim17ROCPRIM_400000_NS6detail17trampoline_kernelINS0_14default_configENS1_20scan_config_selectorIfEEZZNS1_9scan_implILNS1_25lookback_scan_determinismE0ELb0ELb0ES3_PKfPffZZZN2at6native31launch_logcumsumexp_cuda_kernelERKNSB_10TensorBaseESF_lENKUlvE_clEvENKUlvE0_clEvEUlffE_fEEDaPvRmT3_T4_T5_mT6_P12ihipStream_tbENKUlT_T0_E_clISt17integral_constantIbLb0EESW_EEDaSR_SS_EUlSR_E0_NS1_11comp_targetILNS1_3genE5ELNS1_11target_archE942ELNS1_3gpuE9ELNS1_3repE0EEENS1_30default_config_static_selectorELNS0_4arch9wavefront6targetE0EEEvT1_,"axG",@progbits,_ZN7rocprim17ROCPRIM_400000_NS6detail17trampoline_kernelINS0_14default_configENS1_20scan_config_selectorIfEEZZNS1_9scan_implILNS1_25lookback_scan_determinismE0ELb0ELb0ES3_PKfPffZZZN2at6native31launch_logcumsumexp_cuda_kernelERKNSB_10TensorBaseESF_lENKUlvE_clEvENKUlvE0_clEvEUlffE_fEEDaPvRmT3_T4_T5_mT6_P12ihipStream_tbENKUlT_T0_E_clISt17integral_constantIbLb0EESW_EEDaSR_SS_EUlSR_E0_NS1_11comp_targetILNS1_3genE5ELNS1_11target_archE942ELNS1_3gpuE9ELNS1_3repE0EEENS1_30default_config_static_selectorELNS0_4arch9wavefront6targetE0EEEvT1_,comdat
	.globl	_ZN7rocprim17ROCPRIM_400000_NS6detail17trampoline_kernelINS0_14default_configENS1_20scan_config_selectorIfEEZZNS1_9scan_implILNS1_25lookback_scan_determinismE0ELb0ELb0ES3_PKfPffZZZN2at6native31launch_logcumsumexp_cuda_kernelERKNSB_10TensorBaseESF_lENKUlvE_clEvENKUlvE0_clEvEUlffE_fEEDaPvRmT3_T4_T5_mT6_P12ihipStream_tbENKUlT_T0_E_clISt17integral_constantIbLb0EESW_EEDaSR_SS_EUlSR_E0_NS1_11comp_targetILNS1_3genE5ELNS1_11target_archE942ELNS1_3gpuE9ELNS1_3repE0EEENS1_30default_config_static_selectorELNS0_4arch9wavefront6targetE0EEEvT1_ ; -- Begin function _ZN7rocprim17ROCPRIM_400000_NS6detail17trampoline_kernelINS0_14default_configENS1_20scan_config_selectorIfEEZZNS1_9scan_implILNS1_25lookback_scan_determinismE0ELb0ELb0ES3_PKfPffZZZN2at6native31launch_logcumsumexp_cuda_kernelERKNSB_10TensorBaseESF_lENKUlvE_clEvENKUlvE0_clEvEUlffE_fEEDaPvRmT3_T4_T5_mT6_P12ihipStream_tbENKUlT_T0_E_clISt17integral_constantIbLb0EESW_EEDaSR_SS_EUlSR_E0_NS1_11comp_targetILNS1_3genE5ELNS1_11target_archE942ELNS1_3gpuE9ELNS1_3repE0EEENS1_30default_config_static_selectorELNS0_4arch9wavefront6targetE0EEEvT1_
	.p2align	8
	.type	_ZN7rocprim17ROCPRIM_400000_NS6detail17trampoline_kernelINS0_14default_configENS1_20scan_config_selectorIfEEZZNS1_9scan_implILNS1_25lookback_scan_determinismE0ELb0ELb0ES3_PKfPffZZZN2at6native31launch_logcumsumexp_cuda_kernelERKNSB_10TensorBaseESF_lENKUlvE_clEvENKUlvE0_clEvEUlffE_fEEDaPvRmT3_T4_T5_mT6_P12ihipStream_tbENKUlT_T0_E_clISt17integral_constantIbLb0EESW_EEDaSR_SS_EUlSR_E0_NS1_11comp_targetILNS1_3genE5ELNS1_11target_archE942ELNS1_3gpuE9ELNS1_3repE0EEENS1_30default_config_static_selectorELNS0_4arch9wavefront6targetE0EEEvT1_,@function
_ZN7rocprim17ROCPRIM_400000_NS6detail17trampoline_kernelINS0_14default_configENS1_20scan_config_selectorIfEEZZNS1_9scan_implILNS1_25lookback_scan_determinismE0ELb0ELb0ES3_PKfPffZZZN2at6native31launch_logcumsumexp_cuda_kernelERKNSB_10TensorBaseESF_lENKUlvE_clEvENKUlvE0_clEvEUlffE_fEEDaPvRmT3_T4_T5_mT6_P12ihipStream_tbENKUlT_T0_E_clISt17integral_constantIbLb0EESW_EEDaSR_SS_EUlSR_E0_NS1_11comp_targetILNS1_3genE5ELNS1_11target_archE942ELNS1_3gpuE9ELNS1_3repE0EEENS1_30default_config_static_selectorELNS0_4arch9wavefront6targetE0EEEvT1_: ; @_ZN7rocprim17ROCPRIM_400000_NS6detail17trampoline_kernelINS0_14default_configENS1_20scan_config_selectorIfEEZZNS1_9scan_implILNS1_25lookback_scan_determinismE0ELb0ELb0ES3_PKfPffZZZN2at6native31launch_logcumsumexp_cuda_kernelERKNSB_10TensorBaseESF_lENKUlvE_clEvENKUlvE0_clEvEUlffE_fEEDaPvRmT3_T4_T5_mT6_P12ihipStream_tbENKUlT_T0_E_clISt17integral_constantIbLb0EESW_EEDaSR_SS_EUlSR_E0_NS1_11comp_targetILNS1_3genE5ELNS1_11target_archE942ELNS1_3gpuE9ELNS1_3repE0EEENS1_30default_config_static_selectorELNS0_4arch9wavefront6targetE0EEEvT1_
; %bb.0:
	.section	.rodata,"a",@progbits
	.p2align	6, 0x0
	.amdhsa_kernel _ZN7rocprim17ROCPRIM_400000_NS6detail17trampoline_kernelINS0_14default_configENS1_20scan_config_selectorIfEEZZNS1_9scan_implILNS1_25lookback_scan_determinismE0ELb0ELb0ES3_PKfPffZZZN2at6native31launch_logcumsumexp_cuda_kernelERKNSB_10TensorBaseESF_lENKUlvE_clEvENKUlvE0_clEvEUlffE_fEEDaPvRmT3_T4_T5_mT6_P12ihipStream_tbENKUlT_T0_E_clISt17integral_constantIbLb0EESW_EEDaSR_SS_EUlSR_E0_NS1_11comp_targetILNS1_3genE5ELNS1_11target_archE942ELNS1_3gpuE9ELNS1_3repE0EEENS1_30default_config_static_selectorELNS0_4arch9wavefront6targetE0EEEvT1_
		.amdhsa_group_segment_fixed_size 0
		.amdhsa_private_segment_fixed_size 0
		.amdhsa_kernarg_size 32
		.amdhsa_user_sgpr_count 6
		.amdhsa_user_sgpr_private_segment_buffer 1
		.amdhsa_user_sgpr_dispatch_ptr 0
		.amdhsa_user_sgpr_queue_ptr 0
		.amdhsa_user_sgpr_kernarg_segment_ptr 1
		.amdhsa_user_sgpr_dispatch_id 0
		.amdhsa_user_sgpr_flat_scratch_init 0
		.amdhsa_user_sgpr_private_segment_size 0
		.amdhsa_wavefront_size32 1
		.amdhsa_uses_dynamic_stack 0
		.amdhsa_system_sgpr_private_segment_wavefront_offset 0
		.amdhsa_system_sgpr_workgroup_id_x 1
		.amdhsa_system_sgpr_workgroup_id_y 0
		.amdhsa_system_sgpr_workgroup_id_z 0
		.amdhsa_system_sgpr_workgroup_info 0
		.amdhsa_system_vgpr_workitem_id 0
		.amdhsa_next_free_vgpr 1
		.amdhsa_next_free_sgpr 1
		.amdhsa_reserve_vcc 0
		.amdhsa_reserve_flat_scratch 0
		.amdhsa_float_round_mode_32 0
		.amdhsa_float_round_mode_16_64 0
		.amdhsa_float_denorm_mode_32 3
		.amdhsa_float_denorm_mode_16_64 3
		.amdhsa_dx10_clamp 1
		.amdhsa_ieee_mode 1
		.amdhsa_fp16_overflow 0
		.amdhsa_workgroup_processor_mode 1
		.amdhsa_memory_ordered 1
		.amdhsa_forward_progress 1
		.amdhsa_shared_vgpr_count 0
		.amdhsa_exception_fp_ieee_invalid_op 0
		.amdhsa_exception_fp_denorm_src 0
		.amdhsa_exception_fp_ieee_div_zero 0
		.amdhsa_exception_fp_ieee_overflow 0
		.amdhsa_exception_fp_ieee_underflow 0
		.amdhsa_exception_fp_ieee_inexact 0
		.amdhsa_exception_int_div_zero 0
	.end_amdhsa_kernel
	.section	.text._ZN7rocprim17ROCPRIM_400000_NS6detail17trampoline_kernelINS0_14default_configENS1_20scan_config_selectorIfEEZZNS1_9scan_implILNS1_25lookback_scan_determinismE0ELb0ELb0ES3_PKfPffZZZN2at6native31launch_logcumsumexp_cuda_kernelERKNSB_10TensorBaseESF_lENKUlvE_clEvENKUlvE0_clEvEUlffE_fEEDaPvRmT3_T4_T5_mT6_P12ihipStream_tbENKUlT_T0_E_clISt17integral_constantIbLb0EESW_EEDaSR_SS_EUlSR_E0_NS1_11comp_targetILNS1_3genE5ELNS1_11target_archE942ELNS1_3gpuE9ELNS1_3repE0EEENS1_30default_config_static_selectorELNS0_4arch9wavefront6targetE0EEEvT1_,"axG",@progbits,_ZN7rocprim17ROCPRIM_400000_NS6detail17trampoline_kernelINS0_14default_configENS1_20scan_config_selectorIfEEZZNS1_9scan_implILNS1_25lookback_scan_determinismE0ELb0ELb0ES3_PKfPffZZZN2at6native31launch_logcumsumexp_cuda_kernelERKNSB_10TensorBaseESF_lENKUlvE_clEvENKUlvE0_clEvEUlffE_fEEDaPvRmT3_T4_T5_mT6_P12ihipStream_tbENKUlT_T0_E_clISt17integral_constantIbLb0EESW_EEDaSR_SS_EUlSR_E0_NS1_11comp_targetILNS1_3genE5ELNS1_11target_archE942ELNS1_3gpuE9ELNS1_3repE0EEENS1_30default_config_static_selectorELNS0_4arch9wavefront6targetE0EEEvT1_,comdat
.Lfunc_end106:
	.size	_ZN7rocprim17ROCPRIM_400000_NS6detail17trampoline_kernelINS0_14default_configENS1_20scan_config_selectorIfEEZZNS1_9scan_implILNS1_25lookback_scan_determinismE0ELb0ELb0ES3_PKfPffZZZN2at6native31launch_logcumsumexp_cuda_kernelERKNSB_10TensorBaseESF_lENKUlvE_clEvENKUlvE0_clEvEUlffE_fEEDaPvRmT3_T4_T5_mT6_P12ihipStream_tbENKUlT_T0_E_clISt17integral_constantIbLb0EESW_EEDaSR_SS_EUlSR_E0_NS1_11comp_targetILNS1_3genE5ELNS1_11target_archE942ELNS1_3gpuE9ELNS1_3repE0EEENS1_30default_config_static_selectorELNS0_4arch9wavefront6targetE0EEEvT1_, .Lfunc_end106-_ZN7rocprim17ROCPRIM_400000_NS6detail17trampoline_kernelINS0_14default_configENS1_20scan_config_selectorIfEEZZNS1_9scan_implILNS1_25lookback_scan_determinismE0ELb0ELb0ES3_PKfPffZZZN2at6native31launch_logcumsumexp_cuda_kernelERKNSB_10TensorBaseESF_lENKUlvE_clEvENKUlvE0_clEvEUlffE_fEEDaPvRmT3_T4_T5_mT6_P12ihipStream_tbENKUlT_T0_E_clISt17integral_constantIbLb0EESW_EEDaSR_SS_EUlSR_E0_NS1_11comp_targetILNS1_3genE5ELNS1_11target_archE942ELNS1_3gpuE9ELNS1_3repE0EEENS1_30default_config_static_selectorELNS0_4arch9wavefront6targetE0EEEvT1_
                                        ; -- End function
	.set _ZN7rocprim17ROCPRIM_400000_NS6detail17trampoline_kernelINS0_14default_configENS1_20scan_config_selectorIfEEZZNS1_9scan_implILNS1_25lookback_scan_determinismE0ELb0ELb0ES3_PKfPffZZZN2at6native31launch_logcumsumexp_cuda_kernelERKNSB_10TensorBaseESF_lENKUlvE_clEvENKUlvE0_clEvEUlffE_fEEDaPvRmT3_T4_T5_mT6_P12ihipStream_tbENKUlT_T0_E_clISt17integral_constantIbLb0EESW_EEDaSR_SS_EUlSR_E0_NS1_11comp_targetILNS1_3genE5ELNS1_11target_archE942ELNS1_3gpuE9ELNS1_3repE0EEENS1_30default_config_static_selectorELNS0_4arch9wavefront6targetE0EEEvT1_.num_vgpr, 0
	.set _ZN7rocprim17ROCPRIM_400000_NS6detail17trampoline_kernelINS0_14default_configENS1_20scan_config_selectorIfEEZZNS1_9scan_implILNS1_25lookback_scan_determinismE0ELb0ELb0ES3_PKfPffZZZN2at6native31launch_logcumsumexp_cuda_kernelERKNSB_10TensorBaseESF_lENKUlvE_clEvENKUlvE0_clEvEUlffE_fEEDaPvRmT3_T4_T5_mT6_P12ihipStream_tbENKUlT_T0_E_clISt17integral_constantIbLb0EESW_EEDaSR_SS_EUlSR_E0_NS1_11comp_targetILNS1_3genE5ELNS1_11target_archE942ELNS1_3gpuE9ELNS1_3repE0EEENS1_30default_config_static_selectorELNS0_4arch9wavefront6targetE0EEEvT1_.num_agpr, 0
	.set _ZN7rocprim17ROCPRIM_400000_NS6detail17trampoline_kernelINS0_14default_configENS1_20scan_config_selectorIfEEZZNS1_9scan_implILNS1_25lookback_scan_determinismE0ELb0ELb0ES3_PKfPffZZZN2at6native31launch_logcumsumexp_cuda_kernelERKNSB_10TensorBaseESF_lENKUlvE_clEvENKUlvE0_clEvEUlffE_fEEDaPvRmT3_T4_T5_mT6_P12ihipStream_tbENKUlT_T0_E_clISt17integral_constantIbLb0EESW_EEDaSR_SS_EUlSR_E0_NS1_11comp_targetILNS1_3genE5ELNS1_11target_archE942ELNS1_3gpuE9ELNS1_3repE0EEENS1_30default_config_static_selectorELNS0_4arch9wavefront6targetE0EEEvT1_.numbered_sgpr, 0
	.set _ZN7rocprim17ROCPRIM_400000_NS6detail17trampoline_kernelINS0_14default_configENS1_20scan_config_selectorIfEEZZNS1_9scan_implILNS1_25lookback_scan_determinismE0ELb0ELb0ES3_PKfPffZZZN2at6native31launch_logcumsumexp_cuda_kernelERKNSB_10TensorBaseESF_lENKUlvE_clEvENKUlvE0_clEvEUlffE_fEEDaPvRmT3_T4_T5_mT6_P12ihipStream_tbENKUlT_T0_E_clISt17integral_constantIbLb0EESW_EEDaSR_SS_EUlSR_E0_NS1_11comp_targetILNS1_3genE5ELNS1_11target_archE942ELNS1_3gpuE9ELNS1_3repE0EEENS1_30default_config_static_selectorELNS0_4arch9wavefront6targetE0EEEvT1_.num_named_barrier, 0
	.set _ZN7rocprim17ROCPRIM_400000_NS6detail17trampoline_kernelINS0_14default_configENS1_20scan_config_selectorIfEEZZNS1_9scan_implILNS1_25lookback_scan_determinismE0ELb0ELb0ES3_PKfPffZZZN2at6native31launch_logcumsumexp_cuda_kernelERKNSB_10TensorBaseESF_lENKUlvE_clEvENKUlvE0_clEvEUlffE_fEEDaPvRmT3_T4_T5_mT6_P12ihipStream_tbENKUlT_T0_E_clISt17integral_constantIbLb0EESW_EEDaSR_SS_EUlSR_E0_NS1_11comp_targetILNS1_3genE5ELNS1_11target_archE942ELNS1_3gpuE9ELNS1_3repE0EEENS1_30default_config_static_selectorELNS0_4arch9wavefront6targetE0EEEvT1_.private_seg_size, 0
	.set _ZN7rocprim17ROCPRIM_400000_NS6detail17trampoline_kernelINS0_14default_configENS1_20scan_config_selectorIfEEZZNS1_9scan_implILNS1_25lookback_scan_determinismE0ELb0ELb0ES3_PKfPffZZZN2at6native31launch_logcumsumexp_cuda_kernelERKNSB_10TensorBaseESF_lENKUlvE_clEvENKUlvE0_clEvEUlffE_fEEDaPvRmT3_T4_T5_mT6_P12ihipStream_tbENKUlT_T0_E_clISt17integral_constantIbLb0EESW_EEDaSR_SS_EUlSR_E0_NS1_11comp_targetILNS1_3genE5ELNS1_11target_archE942ELNS1_3gpuE9ELNS1_3repE0EEENS1_30default_config_static_selectorELNS0_4arch9wavefront6targetE0EEEvT1_.uses_vcc, 0
	.set _ZN7rocprim17ROCPRIM_400000_NS6detail17trampoline_kernelINS0_14default_configENS1_20scan_config_selectorIfEEZZNS1_9scan_implILNS1_25lookback_scan_determinismE0ELb0ELb0ES3_PKfPffZZZN2at6native31launch_logcumsumexp_cuda_kernelERKNSB_10TensorBaseESF_lENKUlvE_clEvENKUlvE0_clEvEUlffE_fEEDaPvRmT3_T4_T5_mT6_P12ihipStream_tbENKUlT_T0_E_clISt17integral_constantIbLb0EESW_EEDaSR_SS_EUlSR_E0_NS1_11comp_targetILNS1_3genE5ELNS1_11target_archE942ELNS1_3gpuE9ELNS1_3repE0EEENS1_30default_config_static_selectorELNS0_4arch9wavefront6targetE0EEEvT1_.uses_flat_scratch, 0
	.set _ZN7rocprim17ROCPRIM_400000_NS6detail17trampoline_kernelINS0_14default_configENS1_20scan_config_selectorIfEEZZNS1_9scan_implILNS1_25lookback_scan_determinismE0ELb0ELb0ES3_PKfPffZZZN2at6native31launch_logcumsumexp_cuda_kernelERKNSB_10TensorBaseESF_lENKUlvE_clEvENKUlvE0_clEvEUlffE_fEEDaPvRmT3_T4_T5_mT6_P12ihipStream_tbENKUlT_T0_E_clISt17integral_constantIbLb0EESW_EEDaSR_SS_EUlSR_E0_NS1_11comp_targetILNS1_3genE5ELNS1_11target_archE942ELNS1_3gpuE9ELNS1_3repE0EEENS1_30default_config_static_selectorELNS0_4arch9wavefront6targetE0EEEvT1_.has_dyn_sized_stack, 0
	.set _ZN7rocprim17ROCPRIM_400000_NS6detail17trampoline_kernelINS0_14default_configENS1_20scan_config_selectorIfEEZZNS1_9scan_implILNS1_25lookback_scan_determinismE0ELb0ELb0ES3_PKfPffZZZN2at6native31launch_logcumsumexp_cuda_kernelERKNSB_10TensorBaseESF_lENKUlvE_clEvENKUlvE0_clEvEUlffE_fEEDaPvRmT3_T4_T5_mT6_P12ihipStream_tbENKUlT_T0_E_clISt17integral_constantIbLb0EESW_EEDaSR_SS_EUlSR_E0_NS1_11comp_targetILNS1_3genE5ELNS1_11target_archE942ELNS1_3gpuE9ELNS1_3repE0EEENS1_30default_config_static_selectorELNS0_4arch9wavefront6targetE0EEEvT1_.has_recursion, 0
	.set _ZN7rocprim17ROCPRIM_400000_NS6detail17trampoline_kernelINS0_14default_configENS1_20scan_config_selectorIfEEZZNS1_9scan_implILNS1_25lookback_scan_determinismE0ELb0ELb0ES3_PKfPffZZZN2at6native31launch_logcumsumexp_cuda_kernelERKNSB_10TensorBaseESF_lENKUlvE_clEvENKUlvE0_clEvEUlffE_fEEDaPvRmT3_T4_T5_mT6_P12ihipStream_tbENKUlT_T0_E_clISt17integral_constantIbLb0EESW_EEDaSR_SS_EUlSR_E0_NS1_11comp_targetILNS1_3genE5ELNS1_11target_archE942ELNS1_3gpuE9ELNS1_3repE0EEENS1_30default_config_static_selectorELNS0_4arch9wavefront6targetE0EEEvT1_.has_indirect_call, 0
	.section	.AMDGPU.csdata,"",@progbits
; Kernel info:
; codeLenInByte = 0
; TotalNumSgprs: 0
; NumVgprs: 0
; ScratchSize: 0
; MemoryBound: 0
; FloatMode: 240
; IeeeMode: 1
; LDSByteSize: 0 bytes/workgroup (compile time only)
; SGPRBlocks: 0
; VGPRBlocks: 0
; NumSGPRsForWavesPerEU: 1
; NumVGPRsForWavesPerEU: 1
; Occupancy: 16
; WaveLimiterHint : 0
; COMPUTE_PGM_RSRC2:SCRATCH_EN: 0
; COMPUTE_PGM_RSRC2:USER_SGPR: 6
; COMPUTE_PGM_RSRC2:TRAP_HANDLER: 0
; COMPUTE_PGM_RSRC2:TGID_X_EN: 1
; COMPUTE_PGM_RSRC2:TGID_Y_EN: 0
; COMPUTE_PGM_RSRC2:TGID_Z_EN: 0
; COMPUTE_PGM_RSRC2:TIDIG_COMP_CNT: 0
	.section	.text._ZN7rocprim17ROCPRIM_400000_NS6detail17trampoline_kernelINS0_14default_configENS1_20scan_config_selectorIfEEZZNS1_9scan_implILNS1_25lookback_scan_determinismE0ELb0ELb0ES3_PKfPffZZZN2at6native31launch_logcumsumexp_cuda_kernelERKNSB_10TensorBaseESF_lENKUlvE_clEvENKUlvE0_clEvEUlffE_fEEDaPvRmT3_T4_T5_mT6_P12ihipStream_tbENKUlT_T0_E_clISt17integral_constantIbLb0EESW_EEDaSR_SS_EUlSR_E0_NS1_11comp_targetILNS1_3genE4ELNS1_11target_archE910ELNS1_3gpuE8ELNS1_3repE0EEENS1_30default_config_static_selectorELNS0_4arch9wavefront6targetE0EEEvT1_,"axG",@progbits,_ZN7rocprim17ROCPRIM_400000_NS6detail17trampoline_kernelINS0_14default_configENS1_20scan_config_selectorIfEEZZNS1_9scan_implILNS1_25lookback_scan_determinismE0ELb0ELb0ES3_PKfPffZZZN2at6native31launch_logcumsumexp_cuda_kernelERKNSB_10TensorBaseESF_lENKUlvE_clEvENKUlvE0_clEvEUlffE_fEEDaPvRmT3_T4_T5_mT6_P12ihipStream_tbENKUlT_T0_E_clISt17integral_constantIbLb0EESW_EEDaSR_SS_EUlSR_E0_NS1_11comp_targetILNS1_3genE4ELNS1_11target_archE910ELNS1_3gpuE8ELNS1_3repE0EEENS1_30default_config_static_selectorELNS0_4arch9wavefront6targetE0EEEvT1_,comdat
	.globl	_ZN7rocprim17ROCPRIM_400000_NS6detail17trampoline_kernelINS0_14default_configENS1_20scan_config_selectorIfEEZZNS1_9scan_implILNS1_25lookback_scan_determinismE0ELb0ELb0ES3_PKfPffZZZN2at6native31launch_logcumsumexp_cuda_kernelERKNSB_10TensorBaseESF_lENKUlvE_clEvENKUlvE0_clEvEUlffE_fEEDaPvRmT3_T4_T5_mT6_P12ihipStream_tbENKUlT_T0_E_clISt17integral_constantIbLb0EESW_EEDaSR_SS_EUlSR_E0_NS1_11comp_targetILNS1_3genE4ELNS1_11target_archE910ELNS1_3gpuE8ELNS1_3repE0EEENS1_30default_config_static_selectorELNS0_4arch9wavefront6targetE0EEEvT1_ ; -- Begin function _ZN7rocprim17ROCPRIM_400000_NS6detail17trampoline_kernelINS0_14default_configENS1_20scan_config_selectorIfEEZZNS1_9scan_implILNS1_25lookback_scan_determinismE0ELb0ELb0ES3_PKfPffZZZN2at6native31launch_logcumsumexp_cuda_kernelERKNSB_10TensorBaseESF_lENKUlvE_clEvENKUlvE0_clEvEUlffE_fEEDaPvRmT3_T4_T5_mT6_P12ihipStream_tbENKUlT_T0_E_clISt17integral_constantIbLb0EESW_EEDaSR_SS_EUlSR_E0_NS1_11comp_targetILNS1_3genE4ELNS1_11target_archE910ELNS1_3gpuE8ELNS1_3repE0EEENS1_30default_config_static_selectorELNS0_4arch9wavefront6targetE0EEEvT1_
	.p2align	8
	.type	_ZN7rocprim17ROCPRIM_400000_NS6detail17trampoline_kernelINS0_14default_configENS1_20scan_config_selectorIfEEZZNS1_9scan_implILNS1_25lookback_scan_determinismE0ELb0ELb0ES3_PKfPffZZZN2at6native31launch_logcumsumexp_cuda_kernelERKNSB_10TensorBaseESF_lENKUlvE_clEvENKUlvE0_clEvEUlffE_fEEDaPvRmT3_T4_T5_mT6_P12ihipStream_tbENKUlT_T0_E_clISt17integral_constantIbLb0EESW_EEDaSR_SS_EUlSR_E0_NS1_11comp_targetILNS1_3genE4ELNS1_11target_archE910ELNS1_3gpuE8ELNS1_3repE0EEENS1_30default_config_static_selectorELNS0_4arch9wavefront6targetE0EEEvT1_,@function
_ZN7rocprim17ROCPRIM_400000_NS6detail17trampoline_kernelINS0_14default_configENS1_20scan_config_selectorIfEEZZNS1_9scan_implILNS1_25lookback_scan_determinismE0ELb0ELb0ES3_PKfPffZZZN2at6native31launch_logcumsumexp_cuda_kernelERKNSB_10TensorBaseESF_lENKUlvE_clEvENKUlvE0_clEvEUlffE_fEEDaPvRmT3_T4_T5_mT6_P12ihipStream_tbENKUlT_T0_E_clISt17integral_constantIbLb0EESW_EEDaSR_SS_EUlSR_E0_NS1_11comp_targetILNS1_3genE4ELNS1_11target_archE910ELNS1_3gpuE8ELNS1_3repE0EEENS1_30default_config_static_selectorELNS0_4arch9wavefront6targetE0EEEvT1_: ; @_ZN7rocprim17ROCPRIM_400000_NS6detail17trampoline_kernelINS0_14default_configENS1_20scan_config_selectorIfEEZZNS1_9scan_implILNS1_25lookback_scan_determinismE0ELb0ELb0ES3_PKfPffZZZN2at6native31launch_logcumsumexp_cuda_kernelERKNSB_10TensorBaseESF_lENKUlvE_clEvENKUlvE0_clEvEUlffE_fEEDaPvRmT3_T4_T5_mT6_P12ihipStream_tbENKUlT_T0_E_clISt17integral_constantIbLb0EESW_EEDaSR_SS_EUlSR_E0_NS1_11comp_targetILNS1_3genE4ELNS1_11target_archE910ELNS1_3gpuE8ELNS1_3repE0EEENS1_30default_config_static_selectorELNS0_4arch9wavefront6targetE0EEEvT1_
; %bb.0:
	.section	.rodata,"a",@progbits
	.p2align	6, 0x0
	.amdhsa_kernel _ZN7rocprim17ROCPRIM_400000_NS6detail17trampoline_kernelINS0_14default_configENS1_20scan_config_selectorIfEEZZNS1_9scan_implILNS1_25lookback_scan_determinismE0ELb0ELb0ES3_PKfPffZZZN2at6native31launch_logcumsumexp_cuda_kernelERKNSB_10TensorBaseESF_lENKUlvE_clEvENKUlvE0_clEvEUlffE_fEEDaPvRmT3_T4_T5_mT6_P12ihipStream_tbENKUlT_T0_E_clISt17integral_constantIbLb0EESW_EEDaSR_SS_EUlSR_E0_NS1_11comp_targetILNS1_3genE4ELNS1_11target_archE910ELNS1_3gpuE8ELNS1_3repE0EEENS1_30default_config_static_selectorELNS0_4arch9wavefront6targetE0EEEvT1_
		.amdhsa_group_segment_fixed_size 0
		.amdhsa_private_segment_fixed_size 0
		.amdhsa_kernarg_size 32
		.amdhsa_user_sgpr_count 6
		.amdhsa_user_sgpr_private_segment_buffer 1
		.amdhsa_user_sgpr_dispatch_ptr 0
		.amdhsa_user_sgpr_queue_ptr 0
		.amdhsa_user_sgpr_kernarg_segment_ptr 1
		.amdhsa_user_sgpr_dispatch_id 0
		.amdhsa_user_sgpr_flat_scratch_init 0
		.amdhsa_user_sgpr_private_segment_size 0
		.amdhsa_wavefront_size32 1
		.amdhsa_uses_dynamic_stack 0
		.amdhsa_system_sgpr_private_segment_wavefront_offset 0
		.amdhsa_system_sgpr_workgroup_id_x 1
		.amdhsa_system_sgpr_workgroup_id_y 0
		.amdhsa_system_sgpr_workgroup_id_z 0
		.amdhsa_system_sgpr_workgroup_info 0
		.amdhsa_system_vgpr_workitem_id 0
		.amdhsa_next_free_vgpr 1
		.amdhsa_next_free_sgpr 1
		.amdhsa_reserve_vcc 0
		.amdhsa_reserve_flat_scratch 0
		.amdhsa_float_round_mode_32 0
		.amdhsa_float_round_mode_16_64 0
		.amdhsa_float_denorm_mode_32 3
		.amdhsa_float_denorm_mode_16_64 3
		.amdhsa_dx10_clamp 1
		.amdhsa_ieee_mode 1
		.amdhsa_fp16_overflow 0
		.amdhsa_workgroup_processor_mode 1
		.amdhsa_memory_ordered 1
		.amdhsa_forward_progress 1
		.amdhsa_shared_vgpr_count 0
		.amdhsa_exception_fp_ieee_invalid_op 0
		.amdhsa_exception_fp_denorm_src 0
		.amdhsa_exception_fp_ieee_div_zero 0
		.amdhsa_exception_fp_ieee_overflow 0
		.amdhsa_exception_fp_ieee_underflow 0
		.amdhsa_exception_fp_ieee_inexact 0
		.amdhsa_exception_int_div_zero 0
	.end_amdhsa_kernel
	.section	.text._ZN7rocprim17ROCPRIM_400000_NS6detail17trampoline_kernelINS0_14default_configENS1_20scan_config_selectorIfEEZZNS1_9scan_implILNS1_25lookback_scan_determinismE0ELb0ELb0ES3_PKfPffZZZN2at6native31launch_logcumsumexp_cuda_kernelERKNSB_10TensorBaseESF_lENKUlvE_clEvENKUlvE0_clEvEUlffE_fEEDaPvRmT3_T4_T5_mT6_P12ihipStream_tbENKUlT_T0_E_clISt17integral_constantIbLb0EESW_EEDaSR_SS_EUlSR_E0_NS1_11comp_targetILNS1_3genE4ELNS1_11target_archE910ELNS1_3gpuE8ELNS1_3repE0EEENS1_30default_config_static_selectorELNS0_4arch9wavefront6targetE0EEEvT1_,"axG",@progbits,_ZN7rocprim17ROCPRIM_400000_NS6detail17trampoline_kernelINS0_14default_configENS1_20scan_config_selectorIfEEZZNS1_9scan_implILNS1_25lookback_scan_determinismE0ELb0ELb0ES3_PKfPffZZZN2at6native31launch_logcumsumexp_cuda_kernelERKNSB_10TensorBaseESF_lENKUlvE_clEvENKUlvE0_clEvEUlffE_fEEDaPvRmT3_T4_T5_mT6_P12ihipStream_tbENKUlT_T0_E_clISt17integral_constantIbLb0EESW_EEDaSR_SS_EUlSR_E0_NS1_11comp_targetILNS1_3genE4ELNS1_11target_archE910ELNS1_3gpuE8ELNS1_3repE0EEENS1_30default_config_static_selectorELNS0_4arch9wavefront6targetE0EEEvT1_,comdat
.Lfunc_end107:
	.size	_ZN7rocprim17ROCPRIM_400000_NS6detail17trampoline_kernelINS0_14default_configENS1_20scan_config_selectorIfEEZZNS1_9scan_implILNS1_25lookback_scan_determinismE0ELb0ELb0ES3_PKfPffZZZN2at6native31launch_logcumsumexp_cuda_kernelERKNSB_10TensorBaseESF_lENKUlvE_clEvENKUlvE0_clEvEUlffE_fEEDaPvRmT3_T4_T5_mT6_P12ihipStream_tbENKUlT_T0_E_clISt17integral_constantIbLb0EESW_EEDaSR_SS_EUlSR_E0_NS1_11comp_targetILNS1_3genE4ELNS1_11target_archE910ELNS1_3gpuE8ELNS1_3repE0EEENS1_30default_config_static_selectorELNS0_4arch9wavefront6targetE0EEEvT1_, .Lfunc_end107-_ZN7rocprim17ROCPRIM_400000_NS6detail17trampoline_kernelINS0_14default_configENS1_20scan_config_selectorIfEEZZNS1_9scan_implILNS1_25lookback_scan_determinismE0ELb0ELb0ES3_PKfPffZZZN2at6native31launch_logcumsumexp_cuda_kernelERKNSB_10TensorBaseESF_lENKUlvE_clEvENKUlvE0_clEvEUlffE_fEEDaPvRmT3_T4_T5_mT6_P12ihipStream_tbENKUlT_T0_E_clISt17integral_constantIbLb0EESW_EEDaSR_SS_EUlSR_E0_NS1_11comp_targetILNS1_3genE4ELNS1_11target_archE910ELNS1_3gpuE8ELNS1_3repE0EEENS1_30default_config_static_selectorELNS0_4arch9wavefront6targetE0EEEvT1_
                                        ; -- End function
	.set _ZN7rocprim17ROCPRIM_400000_NS6detail17trampoline_kernelINS0_14default_configENS1_20scan_config_selectorIfEEZZNS1_9scan_implILNS1_25lookback_scan_determinismE0ELb0ELb0ES3_PKfPffZZZN2at6native31launch_logcumsumexp_cuda_kernelERKNSB_10TensorBaseESF_lENKUlvE_clEvENKUlvE0_clEvEUlffE_fEEDaPvRmT3_T4_T5_mT6_P12ihipStream_tbENKUlT_T0_E_clISt17integral_constantIbLb0EESW_EEDaSR_SS_EUlSR_E0_NS1_11comp_targetILNS1_3genE4ELNS1_11target_archE910ELNS1_3gpuE8ELNS1_3repE0EEENS1_30default_config_static_selectorELNS0_4arch9wavefront6targetE0EEEvT1_.num_vgpr, 0
	.set _ZN7rocprim17ROCPRIM_400000_NS6detail17trampoline_kernelINS0_14default_configENS1_20scan_config_selectorIfEEZZNS1_9scan_implILNS1_25lookback_scan_determinismE0ELb0ELb0ES3_PKfPffZZZN2at6native31launch_logcumsumexp_cuda_kernelERKNSB_10TensorBaseESF_lENKUlvE_clEvENKUlvE0_clEvEUlffE_fEEDaPvRmT3_T4_T5_mT6_P12ihipStream_tbENKUlT_T0_E_clISt17integral_constantIbLb0EESW_EEDaSR_SS_EUlSR_E0_NS1_11comp_targetILNS1_3genE4ELNS1_11target_archE910ELNS1_3gpuE8ELNS1_3repE0EEENS1_30default_config_static_selectorELNS0_4arch9wavefront6targetE0EEEvT1_.num_agpr, 0
	.set _ZN7rocprim17ROCPRIM_400000_NS6detail17trampoline_kernelINS0_14default_configENS1_20scan_config_selectorIfEEZZNS1_9scan_implILNS1_25lookback_scan_determinismE0ELb0ELb0ES3_PKfPffZZZN2at6native31launch_logcumsumexp_cuda_kernelERKNSB_10TensorBaseESF_lENKUlvE_clEvENKUlvE0_clEvEUlffE_fEEDaPvRmT3_T4_T5_mT6_P12ihipStream_tbENKUlT_T0_E_clISt17integral_constantIbLb0EESW_EEDaSR_SS_EUlSR_E0_NS1_11comp_targetILNS1_3genE4ELNS1_11target_archE910ELNS1_3gpuE8ELNS1_3repE0EEENS1_30default_config_static_selectorELNS0_4arch9wavefront6targetE0EEEvT1_.numbered_sgpr, 0
	.set _ZN7rocprim17ROCPRIM_400000_NS6detail17trampoline_kernelINS0_14default_configENS1_20scan_config_selectorIfEEZZNS1_9scan_implILNS1_25lookback_scan_determinismE0ELb0ELb0ES3_PKfPffZZZN2at6native31launch_logcumsumexp_cuda_kernelERKNSB_10TensorBaseESF_lENKUlvE_clEvENKUlvE0_clEvEUlffE_fEEDaPvRmT3_T4_T5_mT6_P12ihipStream_tbENKUlT_T0_E_clISt17integral_constantIbLb0EESW_EEDaSR_SS_EUlSR_E0_NS1_11comp_targetILNS1_3genE4ELNS1_11target_archE910ELNS1_3gpuE8ELNS1_3repE0EEENS1_30default_config_static_selectorELNS0_4arch9wavefront6targetE0EEEvT1_.num_named_barrier, 0
	.set _ZN7rocprim17ROCPRIM_400000_NS6detail17trampoline_kernelINS0_14default_configENS1_20scan_config_selectorIfEEZZNS1_9scan_implILNS1_25lookback_scan_determinismE0ELb0ELb0ES3_PKfPffZZZN2at6native31launch_logcumsumexp_cuda_kernelERKNSB_10TensorBaseESF_lENKUlvE_clEvENKUlvE0_clEvEUlffE_fEEDaPvRmT3_T4_T5_mT6_P12ihipStream_tbENKUlT_T0_E_clISt17integral_constantIbLb0EESW_EEDaSR_SS_EUlSR_E0_NS1_11comp_targetILNS1_3genE4ELNS1_11target_archE910ELNS1_3gpuE8ELNS1_3repE0EEENS1_30default_config_static_selectorELNS0_4arch9wavefront6targetE0EEEvT1_.private_seg_size, 0
	.set _ZN7rocprim17ROCPRIM_400000_NS6detail17trampoline_kernelINS0_14default_configENS1_20scan_config_selectorIfEEZZNS1_9scan_implILNS1_25lookback_scan_determinismE0ELb0ELb0ES3_PKfPffZZZN2at6native31launch_logcumsumexp_cuda_kernelERKNSB_10TensorBaseESF_lENKUlvE_clEvENKUlvE0_clEvEUlffE_fEEDaPvRmT3_T4_T5_mT6_P12ihipStream_tbENKUlT_T0_E_clISt17integral_constantIbLb0EESW_EEDaSR_SS_EUlSR_E0_NS1_11comp_targetILNS1_3genE4ELNS1_11target_archE910ELNS1_3gpuE8ELNS1_3repE0EEENS1_30default_config_static_selectorELNS0_4arch9wavefront6targetE0EEEvT1_.uses_vcc, 0
	.set _ZN7rocprim17ROCPRIM_400000_NS6detail17trampoline_kernelINS0_14default_configENS1_20scan_config_selectorIfEEZZNS1_9scan_implILNS1_25lookback_scan_determinismE0ELb0ELb0ES3_PKfPffZZZN2at6native31launch_logcumsumexp_cuda_kernelERKNSB_10TensorBaseESF_lENKUlvE_clEvENKUlvE0_clEvEUlffE_fEEDaPvRmT3_T4_T5_mT6_P12ihipStream_tbENKUlT_T0_E_clISt17integral_constantIbLb0EESW_EEDaSR_SS_EUlSR_E0_NS1_11comp_targetILNS1_3genE4ELNS1_11target_archE910ELNS1_3gpuE8ELNS1_3repE0EEENS1_30default_config_static_selectorELNS0_4arch9wavefront6targetE0EEEvT1_.uses_flat_scratch, 0
	.set _ZN7rocprim17ROCPRIM_400000_NS6detail17trampoline_kernelINS0_14default_configENS1_20scan_config_selectorIfEEZZNS1_9scan_implILNS1_25lookback_scan_determinismE0ELb0ELb0ES3_PKfPffZZZN2at6native31launch_logcumsumexp_cuda_kernelERKNSB_10TensorBaseESF_lENKUlvE_clEvENKUlvE0_clEvEUlffE_fEEDaPvRmT3_T4_T5_mT6_P12ihipStream_tbENKUlT_T0_E_clISt17integral_constantIbLb0EESW_EEDaSR_SS_EUlSR_E0_NS1_11comp_targetILNS1_3genE4ELNS1_11target_archE910ELNS1_3gpuE8ELNS1_3repE0EEENS1_30default_config_static_selectorELNS0_4arch9wavefront6targetE0EEEvT1_.has_dyn_sized_stack, 0
	.set _ZN7rocprim17ROCPRIM_400000_NS6detail17trampoline_kernelINS0_14default_configENS1_20scan_config_selectorIfEEZZNS1_9scan_implILNS1_25lookback_scan_determinismE0ELb0ELb0ES3_PKfPffZZZN2at6native31launch_logcumsumexp_cuda_kernelERKNSB_10TensorBaseESF_lENKUlvE_clEvENKUlvE0_clEvEUlffE_fEEDaPvRmT3_T4_T5_mT6_P12ihipStream_tbENKUlT_T0_E_clISt17integral_constantIbLb0EESW_EEDaSR_SS_EUlSR_E0_NS1_11comp_targetILNS1_3genE4ELNS1_11target_archE910ELNS1_3gpuE8ELNS1_3repE0EEENS1_30default_config_static_selectorELNS0_4arch9wavefront6targetE0EEEvT1_.has_recursion, 0
	.set _ZN7rocprim17ROCPRIM_400000_NS6detail17trampoline_kernelINS0_14default_configENS1_20scan_config_selectorIfEEZZNS1_9scan_implILNS1_25lookback_scan_determinismE0ELb0ELb0ES3_PKfPffZZZN2at6native31launch_logcumsumexp_cuda_kernelERKNSB_10TensorBaseESF_lENKUlvE_clEvENKUlvE0_clEvEUlffE_fEEDaPvRmT3_T4_T5_mT6_P12ihipStream_tbENKUlT_T0_E_clISt17integral_constantIbLb0EESW_EEDaSR_SS_EUlSR_E0_NS1_11comp_targetILNS1_3genE4ELNS1_11target_archE910ELNS1_3gpuE8ELNS1_3repE0EEENS1_30default_config_static_selectorELNS0_4arch9wavefront6targetE0EEEvT1_.has_indirect_call, 0
	.section	.AMDGPU.csdata,"",@progbits
; Kernel info:
; codeLenInByte = 0
; TotalNumSgprs: 0
; NumVgprs: 0
; ScratchSize: 0
; MemoryBound: 0
; FloatMode: 240
; IeeeMode: 1
; LDSByteSize: 0 bytes/workgroup (compile time only)
; SGPRBlocks: 0
; VGPRBlocks: 0
; NumSGPRsForWavesPerEU: 1
; NumVGPRsForWavesPerEU: 1
; Occupancy: 16
; WaveLimiterHint : 0
; COMPUTE_PGM_RSRC2:SCRATCH_EN: 0
; COMPUTE_PGM_RSRC2:USER_SGPR: 6
; COMPUTE_PGM_RSRC2:TRAP_HANDLER: 0
; COMPUTE_PGM_RSRC2:TGID_X_EN: 1
; COMPUTE_PGM_RSRC2:TGID_Y_EN: 0
; COMPUTE_PGM_RSRC2:TGID_Z_EN: 0
; COMPUTE_PGM_RSRC2:TIDIG_COMP_CNT: 0
	.section	.text._ZN7rocprim17ROCPRIM_400000_NS6detail17trampoline_kernelINS0_14default_configENS1_20scan_config_selectorIfEEZZNS1_9scan_implILNS1_25lookback_scan_determinismE0ELb0ELb0ES3_PKfPffZZZN2at6native31launch_logcumsumexp_cuda_kernelERKNSB_10TensorBaseESF_lENKUlvE_clEvENKUlvE0_clEvEUlffE_fEEDaPvRmT3_T4_T5_mT6_P12ihipStream_tbENKUlT_T0_E_clISt17integral_constantIbLb0EESW_EEDaSR_SS_EUlSR_E0_NS1_11comp_targetILNS1_3genE3ELNS1_11target_archE908ELNS1_3gpuE7ELNS1_3repE0EEENS1_30default_config_static_selectorELNS0_4arch9wavefront6targetE0EEEvT1_,"axG",@progbits,_ZN7rocprim17ROCPRIM_400000_NS6detail17trampoline_kernelINS0_14default_configENS1_20scan_config_selectorIfEEZZNS1_9scan_implILNS1_25lookback_scan_determinismE0ELb0ELb0ES3_PKfPffZZZN2at6native31launch_logcumsumexp_cuda_kernelERKNSB_10TensorBaseESF_lENKUlvE_clEvENKUlvE0_clEvEUlffE_fEEDaPvRmT3_T4_T5_mT6_P12ihipStream_tbENKUlT_T0_E_clISt17integral_constantIbLb0EESW_EEDaSR_SS_EUlSR_E0_NS1_11comp_targetILNS1_3genE3ELNS1_11target_archE908ELNS1_3gpuE7ELNS1_3repE0EEENS1_30default_config_static_selectorELNS0_4arch9wavefront6targetE0EEEvT1_,comdat
	.globl	_ZN7rocprim17ROCPRIM_400000_NS6detail17trampoline_kernelINS0_14default_configENS1_20scan_config_selectorIfEEZZNS1_9scan_implILNS1_25lookback_scan_determinismE0ELb0ELb0ES3_PKfPffZZZN2at6native31launch_logcumsumexp_cuda_kernelERKNSB_10TensorBaseESF_lENKUlvE_clEvENKUlvE0_clEvEUlffE_fEEDaPvRmT3_T4_T5_mT6_P12ihipStream_tbENKUlT_T0_E_clISt17integral_constantIbLb0EESW_EEDaSR_SS_EUlSR_E0_NS1_11comp_targetILNS1_3genE3ELNS1_11target_archE908ELNS1_3gpuE7ELNS1_3repE0EEENS1_30default_config_static_selectorELNS0_4arch9wavefront6targetE0EEEvT1_ ; -- Begin function _ZN7rocprim17ROCPRIM_400000_NS6detail17trampoline_kernelINS0_14default_configENS1_20scan_config_selectorIfEEZZNS1_9scan_implILNS1_25lookback_scan_determinismE0ELb0ELb0ES3_PKfPffZZZN2at6native31launch_logcumsumexp_cuda_kernelERKNSB_10TensorBaseESF_lENKUlvE_clEvENKUlvE0_clEvEUlffE_fEEDaPvRmT3_T4_T5_mT6_P12ihipStream_tbENKUlT_T0_E_clISt17integral_constantIbLb0EESW_EEDaSR_SS_EUlSR_E0_NS1_11comp_targetILNS1_3genE3ELNS1_11target_archE908ELNS1_3gpuE7ELNS1_3repE0EEENS1_30default_config_static_selectorELNS0_4arch9wavefront6targetE0EEEvT1_
	.p2align	8
	.type	_ZN7rocprim17ROCPRIM_400000_NS6detail17trampoline_kernelINS0_14default_configENS1_20scan_config_selectorIfEEZZNS1_9scan_implILNS1_25lookback_scan_determinismE0ELb0ELb0ES3_PKfPffZZZN2at6native31launch_logcumsumexp_cuda_kernelERKNSB_10TensorBaseESF_lENKUlvE_clEvENKUlvE0_clEvEUlffE_fEEDaPvRmT3_T4_T5_mT6_P12ihipStream_tbENKUlT_T0_E_clISt17integral_constantIbLb0EESW_EEDaSR_SS_EUlSR_E0_NS1_11comp_targetILNS1_3genE3ELNS1_11target_archE908ELNS1_3gpuE7ELNS1_3repE0EEENS1_30default_config_static_selectorELNS0_4arch9wavefront6targetE0EEEvT1_,@function
_ZN7rocprim17ROCPRIM_400000_NS6detail17trampoline_kernelINS0_14default_configENS1_20scan_config_selectorIfEEZZNS1_9scan_implILNS1_25lookback_scan_determinismE0ELb0ELb0ES3_PKfPffZZZN2at6native31launch_logcumsumexp_cuda_kernelERKNSB_10TensorBaseESF_lENKUlvE_clEvENKUlvE0_clEvEUlffE_fEEDaPvRmT3_T4_T5_mT6_P12ihipStream_tbENKUlT_T0_E_clISt17integral_constantIbLb0EESW_EEDaSR_SS_EUlSR_E0_NS1_11comp_targetILNS1_3genE3ELNS1_11target_archE908ELNS1_3gpuE7ELNS1_3repE0EEENS1_30default_config_static_selectorELNS0_4arch9wavefront6targetE0EEEvT1_: ; @_ZN7rocprim17ROCPRIM_400000_NS6detail17trampoline_kernelINS0_14default_configENS1_20scan_config_selectorIfEEZZNS1_9scan_implILNS1_25lookback_scan_determinismE0ELb0ELb0ES3_PKfPffZZZN2at6native31launch_logcumsumexp_cuda_kernelERKNSB_10TensorBaseESF_lENKUlvE_clEvENKUlvE0_clEvEUlffE_fEEDaPvRmT3_T4_T5_mT6_P12ihipStream_tbENKUlT_T0_E_clISt17integral_constantIbLb0EESW_EEDaSR_SS_EUlSR_E0_NS1_11comp_targetILNS1_3genE3ELNS1_11target_archE908ELNS1_3gpuE7ELNS1_3repE0EEENS1_30default_config_static_selectorELNS0_4arch9wavefront6targetE0EEEvT1_
; %bb.0:
	.section	.rodata,"a",@progbits
	.p2align	6, 0x0
	.amdhsa_kernel _ZN7rocprim17ROCPRIM_400000_NS6detail17trampoline_kernelINS0_14default_configENS1_20scan_config_selectorIfEEZZNS1_9scan_implILNS1_25lookback_scan_determinismE0ELb0ELb0ES3_PKfPffZZZN2at6native31launch_logcumsumexp_cuda_kernelERKNSB_10TensorBaseESF_lENKUlvE_clEvENKUlvE0_clEvEUlffE_fEEDaPvRmT3_T4_T5_mT6_P12ihipStream_tbENKUlT_T0_E_clISt17integral_constantIbLb0EESW_EEDaSR_SS_EUlSR_E0_NS1_11comp_targetILNS1_3genE3ELNS1_11target_archE908ELNS1_3gpuE7ELNS1_3repE0EEENS1_30default_config_static_selectorELNS0_4arch9wavefront6targetE0EEEvT1_
		.amdhsa_group_segment_fixed_size 0
		.amdhsa_private_segment_fixed_size 0
		.amdhsa_kernarg_size 32
		.amdhsa_user_sgpr_count 6
		.amdhsa_user_sgpr_private_segment_buffer 1
		.amdhsa_user_sgpr_dispatch_ptr 0
		.amdhsa_user_sgpr_queue_ptr 0
		.amdhsa_user_sgpr_kernarg_segment_ptr 1
		.amdhsa_user_sgpr_dispatch_id 0
		.amdhsa_user_sgpr_flat_scratch_init 0
		.amdhsa_user_sgpr_private_segment_size 0
		.amdhsa_wavefront_size32 1
		.amdhsa_uses_dynamic_stack 0
		.amdhsa_system_sgpr_private_segment_wavefront_offset 0
		.amdhsa_system_sgpr_workgroup_id_x 1
		.amdhsa_system_sgpr_workgroup_id_y 0
		.amdhsa_system_sgpr_workgroup_id_z 0
		.amdhsa_system_sgpr_workgroup_info 0
		.amdhsa_system_vgpr_workitem_id 0
		.amdhsa_next_free_vgpr 1
		.amdhsa_next_free_sgpr 1
		.amdhsa_reserve_vcc 0
		.amdhsa_reserve_flat_scratch 0
		.amdhsa_float_round_mode_32 0
		.amdhsa_float_round_mode_16_64 0
		.amdhsa_float_denorm_mode_32 3
		.amdhsa_float_denorm_mode_16_64 3
		.amdhsa_dx10_clamp 1
		.amdhsa_ieee_mode 1
		.amdhsa_fp16_overflow 0
		.amdhsa_workgroup_processor_mode 1
		.amdhsa_memory_ordered 1
		.amdhsa_forward_progress 1
		.amdhsa_shared_vgpr_count 0
		.amdhsa_exception_fp_ieee_invalid_op 0
		.amdhsa_exception_fp_denorm_src 0
		.amdhsa_exception_fp_ieee_div_zero 0
		.amdhsa_exception_fp_ieee_overflow 0
		.amdhsa_exception_fp_ieee_underflow 0
		.amdhsa_exception_fp_ieee_inexact 0
		.amdhsa_exception_int_div_zero 0
	.end_amdhsa_kernel
	.section	.text._ZN7rocprim17ROCPRIM_400000_NS6detail17trampoline_kernelINS0_14default_configENS1_20scan_config_selectorIfEEZZNS1_9scan_implILNS1_25lookback_scan_determinismE0ELb0ELb0ES3_PKfPffZZZN2at6native31launch_logcumsumexp_cuda_kernelERKNSB_10TensorBaseESF_lENKUlvE_clEvENKUlvE0_clEvEUlffE_fEEDaPvRmT3_T4_T5_mT6_P12ihipStream_tbENKUlT_T0_E_clISt17integral_constantIbLb0EESW_EEDaSR_SS_EUlSR_E0_NS1_11comp_targetILNS1_3genE3ELNS1_11target_archE908ELNS1_3gpuE7ELNS1_3repE0EEENS1_30default_config_static_selectorELNS0_4arch9wavefront6targetE0EEEvT1_,"axG",@progbits,_ZN7rocprim17ROCPRIM_400000_NS6detail17trampoline_kernelINS0_14default_configENS1_20scan_config_selectorIfEEZZNS1_9scan_implILNS1_25lookback_scan_determinismE0ELb0ELb0ES3_PKfPffZZZN2at6native31launch_logcumsumexp_cuda_kernelERKNSB_10TensorBaseESF_lENKUlvE_clEvENKUlvE0_clEvEUlffE_fEEDaPvRmT3_T4_T5_mT6_P12ihipStream_tbENKUlT_T0_E_clISt17integral_constantIbLb0EESW_EEDaSR_SS_EUlSR_E0_NS1_11comp_targetILNS1_3genE3ELNS1_11target_archE908ELNS1_3gpuE7ELNS1_3repE0EEENS1_30default_config_static_selectorELNS0_4arch9wavefront6targetE0EEEvT1_,comdat
.Lfunc_end108:
	.size	_ZN7rocprim17ROCPRIM_400000_NS6detail17trampoline_kernelINS0_14default_configENS1_20scan_config_selectorIfEEZZNS1_9scan_implILNS1_25lookback_scan_determinismE0ELb0ELb0ES3_PKfPffZZZN2at6native31launch_logcumsumexp_cuda_kernelERKNSB_10TensorBaseESF_lENKUlvE_clEvENKUlvE0_clEvEUlffE_fEEDaPvRmT3_T4_T5_mT6_P12ihipStream_tbENKUlT_T0_E_clISt17integral_constantIbLb0EESW_EEDaSR_SS_EUlSR_E0_NS1_11comp_targetILNS1_3genE3ELNS1_11target_archE908ELNS1_3gpuE7ELNS1_3repE0EEENS1_30default_config_static_selectorELNS0_4arch9wavefront6targetE0EEEvT1_, .Lfunc_end108-_ZN7rocprim17ROCPRIM_400000_NS6detail17trampoline_kernelINS0_14default_configENS1_20scan_config_selectorIfEEZZNS1_9scan_implILNS1_25lookback_scan_determinismE0ELb0ELb0ES3_PKfPffZZZN2at6native31launch_logcumsumexp_cuda_kernelERKNSB_10TensorBaseESF_lENKUlvE_clEvENKUlvE0_clEvEUlffE_fEEDaPvRmT3_T4_T5_mT6_P12ihipStream_tbENKUlT_T0_E_clISt17integral_constantIbLb0EESW_EEDaSR_SS_EUlSR_E0_NS1_11comp_targetILNS1_3genE3ELNS1_11target_archE908ELNS1_3gpuE7ELNS1_3repE0EEENS1_30default_config_static_selectorELNS0_4arch9wavefront6targetE0EEEvT1_
                                        ; -- End function
	.set _ZN7rocprim17ROCPRIM_400000_NS6detail17trampoline_kernelINS0_14default_configENS1_20scan_config_selectorIfEEZZNS1_9scan_implILNS1_25lookback_scan_determinismE0ELb0ELb0ES3_PKfPffZZZN2at6native31launch_logcumsumexp_cuda_kernelERKNSB_10TensorBaseESF_lENKUlvE_clEvENKUlvE0_clEvEUlffE_fEEDaPvRmT3_T4_T5_mT6_P12ihipStream_tbENKUlT_T0_E_clISt17integral_constantIbLb0EESW_EEDaSR_SS_EUlSR_E0_NS1_11comp_targetILNS1_3genE3ELNS1_11target_archE908ELNS1_3gpuE7ELNS1_3repE0EEENS1_30default_config_static_selectorELNS0_4arch9wavefront6targetE0EEEvT1_.num_vgpr, 0
	.set _ZN7rocprim17ROCPRIM_400000_NS6detail17trampoline_kernelINS0_14default_configENS1_20scan_config_selectorIfEEZZNS1_9scan_implILNS1_25lookback_scan_determinismE0ELb0ELb0ES3_PKfPffZZZN2at6native31launch_logcumsumexp_cuda_kernelERKNSB_10TensorBaseESF_lENKUlvE_clEvENKUlvE0_clEvEUlffE_fEEDaPvRmT3_T4_T5_mT6_P12ihipStream_tbENKUlT_T0_E_clISt17integral_constantIbLb0EESW_EEDaSR_SS_EUlSR_E0_NS1_11comp_targetILNS1_3genE3ELNS1_11target_archE908ELNS1_3gpuE7ELNS1_3repE0EEENS1_30default_config_static_selectorELNS0_4arch9wavefront6targetE0EEEvT1_.num_agpr, 0
	.set _ZN7rocprim17ROCPRIM_400000_NS6detail17trampoline_kernelINS0_14default_configENS1_20scan_config_selectorIfEEZZNS1_9scan_implILNS1_25lookback_scan_determinismE0ELb0ELb0ES3_PKfPffZZZN2at6native31launch_logcumsumexp_cuda_kernelERKNSB_10TensorBaseESF_lENKUlvE_clEvENKUlvE0_clEvEUlffE_fEEDaPvRmT3_T4_T5_mT6_P12ihipStream_tbENKUlT_T0_E_clISt17integral_constantIbLb0EESW_EEDaSR_SS_EUlSR_E0_NS1_11comp_targetILNS1_3genE3ELNS1_11target_archE908ELNS1_3gpuE7ELNS1_3repE0EEENS1_30default_config_static_selectorELNS0_4arch9wavefront6targetE0EEEvT1_.numbered_sgpr, 0
	.set _ZN7rocprim17ROCPRIM_400000_NS6detail17trampoline_kernelINS0_14default_configENS1_20scan_config_selectorIfEEZZNS1_9scan_implILNS1_25lookback_scan_determinismE0ELb0ELb0ES3_PKfPffZZZN2at6native31launch_logcumsumexp_cuda_kernelERKNSB_10TensorBaseESF_lENKUlvE_clEvENKUlvE0_clEvEUlffE_fEEDaPvRmT3_T4_T5_mT6_P12ihipStream_tbENKUlT_T0_E_clISt17integral_constantIbLb0EESW_EEDaSR_SS_EUlSR_E0_NS1_11comp_targetILNS1_3genE3ELNS1_11target_archE908ELNS1_3gpuE7ELNS1_3repE0EEENS1_30default_config_static_selectorELNS0_4arch9wavefront6targetE0EEEvT1_.num_named_barrier, 0
	.set _ZN7rocprim17ROCPRIM_400000_NS6detail17trampoline_kernelINS0_14default_configENS1_20scan_config_selectorIfEEZZNS1_9scan_implILNS1_25lookback_scan_determinismE0ELb0ELb0ES3_PKfPffZZZN2at6native31launch_logcumsumexp_cuda_kernelERKNSB_10TensorBaseESF_lENKUlvE_clEvENKUlvE0_clEvEUlffE_fEEDaPvRmT3_T4_T5_mT6_P12ihipStream_tbENKUlT_T0_E_clISt17integral_constantIbLb0EESW_EEDaSR_SS_EUlSR_E0_NS1_11comp_targetILNS1_3genE3ELNS1_11target_archE908ELNS1_3gpuE7ELNS1_3repE0EEENS1_30default_config_static_selectorELNS0_4arch9wavefront6targetE0EEEvT1_.private_seg_size, 0
	.set _ZN7rocprim17ROCPRIM_400000_NS6detail17trampoline_kernelINS0_14default_configENS1_20scan_config_selectorIfEEZZNS1_9scan_implILNS1_25lookback_scan_determinismE0ELb0ELb0ES3_PKfPffZZZN2at6native31launch_logcumsumexp_cuda_kernelERKNSB_10TensorBaseESF_lENKUlvE_clEvENKUlvE0_clEvEUlffE_fEEDaPvRmT3_T4_T5_mT6_P12ihipStream_tbENKUlT_T0_E_clISt17integral_constantIbLb0EESW_EEDaSR_SS_EUlSR_E0_NS1_11comp_targetILNS1_3genE3ELNS1_11target_archE908ELNS1_3gpuE7ELNS1_3repE0EEENS1_30default_config_static_selectorELNS0_4arch9wavefront6targetE0EEEvT1_.uses_vcc, 0
	.set _ZN7rocprim17ROCPRIM_400000_NS6detail17trampoline_kernelINS0_14default_configENS1_20scan_config_selectorIfEEZZNS1_9scan_implILNS1_25lookback_scan_determinismE0ELb0ELb0ES3_PKfPffZZZN2at6native31launch_logcumsumexp_cuda_kernelERKNSB_10TensorBaseESF_lENKUlvE_clEvENKUlvE0_clEvEUlffE_fEEDaPvRmT3_T4_T5_mT6_P12ihipStream_tbENKUlT_T0_E_clISt17integral_constantIbLb0EESW_EEDaSR_SS_EUlSR_E0_NS1_11comp_targetILNS1_3genE3ELNS1_11target_archE908ELNS1_3gpuE7ELNS1_3repE0EEENS1_30default_config_static_selectorELNS0_4arch9wavefront6targetE0EEEvT1_.uses_flat_scratch, 0
	.set _ZN7rocprim17ROCPRIM_400000_NS6detail17trampoline_kernelINS0_14default_configENS1_20scan_config_selectorIfEEZZNS1_9scan_implILNS1_25lookback_scan_determinismE0ELb0ELb0ES3_PKfPffZZZN2at6native31launch_logcumsumexp_cuda_kernelERKNSB_10TensorBaseESF_lENKUlvE_clEvENKUlvE0_clEvEUlffE_fEEDaPvRmT3_T4_T5_mT6_P12ihipStream_tbENKUlT_T0_E_clISt17integral_constantIbLb0EESW_EEDaSR_SS_EUlSR_E0_NS1_11comp_targetILNS1_3genE3ELNS1_11target_archE908ELNS1_3gpuE7ELNS1_3repE0EEENS1_30default_config_static_selectorELNS0_4arch9wavefront6targetE0EEEvT1_.has_dyn_sized_stack, 0
	.set _ZN7rocprim17ROCPRIM_400000_NS6detail17trampoline_kernelINS0_14default_configENS1_20scan_config_selectorIfEEZZNS1_9scan_implILNS1_25lookback_scan_determinismE0ELb0ELb0ES3_PKfPffZZZN2at6native31launch_logcumsumexp_cuda_kernelERKNSB_10TensorBaseESF_lENKUlvE_clEvENKUlvE0_clEvEUlffE_fEEDaPvRmT3_T4_T5_mT6_P12ihipStream_tbENKUlT_T0_E_clISt17integral_constantIbLb0EESW_EEDaSR_SS_EUlSR_E0_NS1_11comp_targetILNS1_3genE3ELNS1_11target_archE908ELNS1_3gpuE7ELNS1_3repE0EEENS1_30default_config_static_selectorELNS0_4arch9wavefront6targetE0EEEvT1_.has_recursion, 0
	.set _ZN7rocprim17ROCPRIM_400000_NS6detail17trampoline_kernelINS0_14default_configENS1_20scan_config_selectorIfEEZZNS1_9scan_implILNS1_25lookback_scan_determinismE0ELb0ELb0ES3_PKfPffZZZN2at6native31launch_logcumsumexp_cuda_kernelERKNSB_10TensorBaseESF_lENKUlvE_clEvENKUlvE0_clEvEUlffE_fEEDaPvRmT3_T4_T5_mT6_P12ihipStream_tbENKUlT_T0_E_clISt17integral_constantIbLb0EESW_EEDaSR_SS_EUlSR_E0_NS1_11comp_targetILNS1_3genE3ELNS1_11target_archE908ELNS1_3gpuE7ELNS1_3repE0EEENS1_30default_config_static_selectorELNS0_4arch9wavefront6targetE0EEEvT1_.has_indirect_call, 0
	.section	.AMDGPU.csdata,"",@progbits
; Kernel info:
; codeLenInByte = 0
; TotalNumSgprs: 0
; NumVgprs: 0
; ScratchSize: 0
; MemoryBound: 0
; FloatMode: 240
; IeeeMode: 1
; LDSByteSize: 0 bytes/workgroup (compile time only)
; SGPRBlocks: 0
; VGPRBlocks: 0
; NumSGPRsForWavesPerEU: 1
; NumVGPRsForWavesPerEU: 1
; Occupancy: 16
; WaveLimiterHint : 0
; COMPUTE_PGM_RSRC2:SCRATCH_EN: 0
; COMPUTE_PGM_RSRC2:USER_SGPR: 6
; COMPUTE_PGM_RSRC2:TRAP_HANDLER: 0
; COMPUTE_PGM_RSRC2:TGID_X_EN: 1
; COMPUTE_PGM_RSRC2:TGID_Y_EN: 0
; COMPUTE_PGM_RSRC2:TGID_Z_EN: 0
; COMPUTE_PGM_RSRC2:TIDIG_COMP_CNT: 0
	.section	.text._ZN7rocprim17ROCPRIM_400000_NS6detail17trampoline_kernelINS0_14default_configENS1_20scan_config_selectorIfEEZZNS1_9scan_implILNS1_25lookback_scan_determinismE0ELb0ELb0ES3_PKfPffZZZN2at6native31launch_logcumsumexp_cuda_kernelERKNSB_10TensorBaseESF_lENKUlvE_clEvENKUlvE0_clEvEUlffE_fEEDaPvRmT3_T4_T5_mT6_P12ihipStream_tbENKUlT_T0_E_clISt17integral_constantIbLb0EESW_EEDaSR_SS_EUlSR_E0_NS1_11comp_targetILNS1_3genE2ELNS1_11target_archE906ELNS1_3gpuE6ELNS1_3repE0EEENS1_30default_config_static_selectorELNS0_4arch9wavefront6targetE0EEEvT1_,"axG",@progbits,_ZN7rocprim17ROCPRIM_400000_NS6detail17trampoline_kernelINS0_14default_configENS1_20scan_config_selectorIfEEZZNS1_9scan_implILNS1_25lookback_scan_determinismE0ELb0ELb0ES3_PKfPffZZZN2at6native31launch_logcumsumexp_cuda_kernelERKNSB_10TensorBaseESF_lENKUlvE_clEvENKUlvE0_clEvEUlffE_fEEDaPvRmT3_T4_T5_mT6_P12ihipStream_tbENKUlT_T0_E_clISt17integral_constantIbLb0EESW_EEDaSR_SS_EUlSR_E0_NS1_11comp_targetILNS1_3genE2ELNS1_11target_archE906ELNS1_3gpuE6ELNS1_3repE0EEENS1_30default_config_static_selectorELNS0_4arch9wavefront6targetE0EEEvT1_,comdat
	.globl	_ZN7rocprim17ROCPRIM_400000_NS6detail17trampoline_kernelINS0_14default_configENS1_20scan_config_selectorIfEEZZNS1_9scan_implILNS1_25lookback_scan_determinismE0ELb0ELb0ES3_PKfPffZZZN2at6native31launch_logcumsumexp_cuda_kernelERKNSB_10TensorBaseESF_lENKUlvE_clEvENKUlvE0_clEvEUlffE_fEEDaPvRmT3_T4_T5_mT6_P12ihipStream_tbENKUlT_T0_E_clISt17integral_constantIbLb0EESW_EEDaSR_SS_EUlSR_E0_NS1_11comp_targetILNS1_3genE2ELNS1_11target_archE906ELNS1_3gpuE6ELNS1_3repE0EEENS1_30default_config_static_selectorELNS0_4arch9wavefront6targetE0EEEvT1_ ; -- Begin function _ZN7rocprim17ROCPRIM_400000_NS6detail17trampoline_kernelINS0_14default_configENS1_20scan_config_selectorIfEEZZNS1_9scan_implILNS1_25lookback_scan_determinismE0ELb0ELb0ES3_PKfPffZZZN2at6native31launch_logcumsumexp_cuda_kernelERKNSB_10TensorBaseESF_lENKUlvE_clEvENKUlvE0_clEvEUlffE_fEEDaPvRmT3_T4_T5_mT6_P12ihipStream_tbENKUlT_T0_E_clISt17integral_constantIbLb0EESW_EEDaSR_SS_EUlSR_E0_NS1_11comp_targetILNS1_3genE2ELNS1_11target_archE906ELNS1_3gpuE6ELNS1_3repE0EEENS1_30default_config_static_selectorELNS0_4arch9wavefront6targetE0EEEvT1_
	.p2align	8
	.type	_ZN7rocprim17ROCPRIM_400000_NS6detail17trampoline_kernelINS0_14default_configENS1_20scan_config_selectorIfEEZZNS1_9scan_implILNS1_25lookback_scan_determinismE0ELb0ELb0ES3_PKfPffZZZN2at6native31launch_logcumsumexp_cuda_kernelERKNSB_10TensorBaseESF_lENKUlvE_clEvENKUlvE0_clEvEUlffE_fEEDaPvRmT3_T4_T5_mT6_P12ihipStream_tbENKUlT_T0_E_clISt17integral_constantIbLb0EESW_EEDaSR_SS_EUlSR_E0_NS1_11comp_targetILNS1_3genE2ELNS1_11target_archE906ELNS1_3gpuE6ELNS1_3repE0EEENS1_30default_config_static_selectorELNS0_4arch9wavefront6targetE0EEEvT1_,@function
_ZN7rocprim17ROCPRIM_400000_NS6detail17trampoline_kernelINS0_14default_configENS1_20scan_config_selectorIfEEZZNS1_9scan_implILNS1_25lookback_scan_determinismE0ELb0ELb0ES3_PKfPffZZZN2at6native31launch_logcumsumexp_cuda_kernelERKNSB_10TensorBaseESF_lENKUlvE_clEvENKUlvE0_clEvEUlffE_fEEDaPvRmT3_T4_T5_mT6_P12ihipStream_tbENKUlT_T0_E_clISt17integral_constantIbLb0EESW_EEDaSR_SS_EUlSR_E0_NS1_11comp_targetILNS1_3genE2ELNS1_11target_archE906ELNS1_3gpuE6ELNS1_3repE0EEENS1_30default_config_static_selectorELNS0_4arch9wavefront6targetE0EEEvT1_: ; @_ZN7rocprim17ROCPRIM_400000_NS6detail17trampoline_kernelINS0_14default_configENS1_20scan_config_selectorIfEEZZNS1_9scan_implILNS1_25lookback_scan_determinismE0ELb0ELb0ES3_PKfPffZZZN2at6native31launch_logcumsumexp_cuda_kernelERKNSB_10TensorBaseESF_lENKUlvE_clEvENKUlvE0_clEvEUlffE_fEEDaPvRmT3_T4_T5_mT6_P12ihipStream_tbENKUlT_T0_E_clISt17integral_constantIbLb0EESW_EEDaSR_SS_EUlSR_E0_NS1_11comp_targetILNS1_3genE2ELNS1_11target_archE906ELNS1_3gpuE6ELNS1_3repE0EEENS1_30default_config_static_selectorELNS0_4arch9wavefront6targetE0EEEvT1_
; %bb.0:
	.section	.rodata,"a",@progbits
	.p2align	6, 0x0
	.amdhsa_kernel _ZN7rocprim17ROCPRIM_400000_NS6detail17trampoline_kernelINS0_14default_configENS1_20scan_config_selectorIfEEZZNS1_9scan_implILNS1_25lookback_scan_determinismE0ELb0ELb0ES3_PKfPffZZZN2at6native31launch_logcumsumexp_cuda_kernelERKNSB_10TensorBaseESF_lENKUlvE_clEvENKUlvE0_clEvEUlffE_fEEDaPvRmT3_T4_T5_mT6_P12ihipStream_tbENKUlT_T0_E_clISt17integral_constantIbLb0EESW_EEDaSR_SS_EUlSR_E0_NS1_11comp_targetILNS1_3genE2ELNS1_11target_archE906ELNS1_3gpuE6ELNS1_3repE0EEENS1_30default_config_static_selectorELNS0_4arch9wavefront6targetE0EEEvT1_
		.amdhsa_group_segment_fixed_size 0
		.amdhsa_private_segment_fixed_size 0
		.amdhsa_kernarg_size 32
		.amdhsa_user_sgpr_count 6
		.amdhsa_user_sgpr_private_segment_buffer 1
		.amdhsa_user_sgpr_dispatch_ptr 0
		.amdhsa_user_sgpr_queue_ptr 0
		.amdhsa_user_sgpr_kernarg_segment_ptr 1
		.amdhsa_user_sgpr_dispatch_id 0
		.amdhsa_user_sgpr_flat_scratch_init 0
		.amdhsa_user_sgpr_private_segment_size 0
		.amdhsa_wavefront_size32 1
		.amdhsa_uses_dynamic_stack 0
		.amdhsa_system_sgpr_private_segment_wavefront_offset 0
		.amdhsa_system_sgpr_workgroup_id_x 1
		.amdhsa_system_sgpr_workgroup_id_y 0
		.amdhsa_system_sgpr_workgroup_id_z 0
		.amdhsa_system_sgpr_workgroup_info 0
		.amdhsa_system_vgpr_workitem_id 0
		.amdhsa_next_free_vgpr 1
		.amdhsa_next_free_sgpr 1
		.amdhsa_reserve_vcc 0
		.amdhsa_reserve_flat_scratch 0
		.amdhsa_float_round_mode_32 0
		.amdhsa_float_round_mode_16_64 0
		.amdhsa_float_denorm_mode_32 3
		.amdhsa_float_denorm_mode_16_64 3
		.amdhsa_dx10_clamp 1
		.amdhsa_ieee_mode 1
		.amdhsa_fp16_overflow 0
		.amdhsa_workgroup_processor_mode 1
		.amdhsa_memory_ordered 1
		.amdhsa_forward_progress 1
		.amdhsa_shared_vgpr_count 0
		.amdhsa_exception_fp_ieee_invalid_op 0
		.amdhsa_exception_fp_denorm_src 0
		.amdhsa_exception_fp_ieee_div_zero 0
		.amdhsa_exception_fp_ieee_overflow 0
		.amdhsa_exception_fp_ieee_underflow 0
		.amdhsa_exception_fp_ieee_inexact 0
		.amdhsa_exception_int_div_zero 0
	.end_amdhsa_kernel
	.section	.text._ZN7rocprim17ROCPRIM_400000_NS6detail17trampoline_kernelINS0_14default_configENS1_20scan_config_selectorIfEEZZNS1_9scan_implILNS1_25lookback_scan_determinismE0ELb0ELb0ES3_PKfPffZZZN2at6native31launch_logcumsumexp_cuda_kernelERKNSB_10TensorBaseESF_lENKUlvE_clEvENKUlvE0_clEvEUlffE_fEEDaPvRmT3_T4_T5_mT6_P12ihipStream_tbENKUlT_T0_E_clISt17integral_constantIbLb0EESW_EEDaSR_SS_EUlSR_E0_NS1_11comp_targetILNS1_3genE2ELNS1_11target_archE906ELNS1_3gpuE6ELNS1_3repE0EEENS1_30default_config_static_selectorELNS0_4arch9wavefront6targetE0EEEvT1_,"axG",@progbits,_ZN7rocprim17ROCPRIM_400000_NS6detail17trampoline_kernelINS0_14default_configENS1_20scan_config_selectorIfEEZZNS1_9scan_implILNS1_25lookback_scan_determinismE0ELb0ELb0ES3_PKfPffZZZN2at6native31launch_logcumsumexp_cuda_kernelERKNSB_10TensorBaseESF_lENKUlvE_clEvENKUlvE0_clEvEUlffE_fEEDaPvRmT3_T4_T5_mT6_P12ihipStream_tbENKUlT_T0_E_clISt17integral_constantIbLb0EESW_EEDaSR_SS_EUlSR_E0_NS1_11comp_targetILNS1_3genE2ELNS1_11target_archE906ELNS1_3gpuE6ELNS1_3repE0EEENS1_30default_config_static_selectorELNS0_4arch9wavefront6targetE0EEEvT1_,comdat
.Lfunc_end109:
	.size	_ZN7rocprim17ROCPRIM_400000_NS6detail17trampoline_kernelINS0_14default_configENS1_20scan_config_selectorIfEEZZNS1_9scan_implILNS1_25lookback_scan_determinismE0ELb0ELb0ES3_PKfPffZZZN2at6native31launch_logcumsumexp_cuda_kernelERKNSB_10TensorBaseESF_lENKUlvE_clEvENKUlvE0_clEvEUlffE_fEEDaPvRmT3_T4_T5_mT6_P12ihipStream_tbENKUlT_T0_E_clISt17integral_constantIbLb0EESW_EEDaSR_SS_EUlSR_E0_NS1_11comp_targetILNS1_3genE2ELNS1_11target_archE906ELNS1_3gpuE6ELNS1_3repE0EEENS1_30default_config_static_selectorELNS0_4arch9wavefront6targetE0EEEvT1_, .Lfunc_end109-_ZN7rocprim17ROCPRIM_400000_NS6detail17trampoline_kernelINS0_14default_configENS1_20scan_config_selectorIfEEZZNS1_9scan_implILNS1_25lookback_scan_determinismE0ELb0ELb0ES3_PKfPffZZZN2at6native31launch_logcumsumexp_cuda_kernelERKNSB_10TensorBaseESF_lENKUlvE_clEvENKUlvE0_clEvEUlffE_fEEDaPvRmT3_T4_T5_mT6_P12ihipStream_tbENKUlT_T0_E_clISt17integral_constantIbLb0EESW_EEDaSR_SS_EUlSR_E0_NS1_11comp_targetILNS1_3genE2ELNS1_11target_archE906ELNS1_3gpuE6ELNS1_3repE0EEENS1_30default_config_static_selectorELNS0_4arch9wavefront6targetE0EEEvT1_
                                        ; -- End function
	.set _ZN7rocprim17ROCPRIM_400000_NS6detail17trampoline_kernelINS0_14default_configENS1_20scan_config_selectorIfEEZZNS1_9scan_implILNS1_25lookback_scan_determinismE0ELb0ELb0ES3_PKfPffZZZN2at6native31launch_logcumsumexp_cuda_kernelERKNSB_10TensorBaseESF_lENKUlvE_clEvENKUlvE0_clEvEUlffE_fEEDaPvRmT3_T4_T5_mT6_P12ihipStream_tbENKUlT_T0_E_clISt17integral_constantIbLb0EESW_EEDaSR_SS_EUlSR_E0_NS1_11comp_targetILNS1_3genE2ELNS1_11target_archE906ELNS1_3gpuE6ELNS1_3repE0EEENS1_30default_config_static_selectorELNS0_4arch9wavefront6targetE0EEEvT1_.num_vgpr, 0
	.set _ZN7rocprim17ROCPRIM_400000_NS6detail17trampoline_kernelINS0_14default_configENS1_20scan_config_selectorIfEEZZNS1_9scan_implILNS1_25lookback_scan_determinismE0ELb0ELb0ES3_PKfPffZZZN2at6native31launch_logcumsumexp_cuda_kernelERKNSB_10TensorBaseESF_lENKUlvE_clEvENKUlvE0_clEvEUlffE_fEEDaPvRmT3_T4_T5_mT6_P12ihipStream_tbENKUlT_T0_E_clISt17integral_constantIbLb0EESW_EEDaSR_SS_EUlSR_E0_NS1_11comp_targetILNS1_3genE2ELNS1_11target_archE906ELNS1_3gpuE6ELNS1_3repE0EEENS1_30default_config_static_selectorELNS0_4arch9wavefront6targetE0EEEvT1_.num_agpr, 0
	.set _ZN7rocprim17ROCPRIM_400000_NS6detail17trampoline_kernelINS0_14default_configENS1_20scan_config_selectorIfEEZZNS1_9scan_implILNS1_25lookback_scan_determinismE0ELb0ELb0ES3_PKfPffZZZN2at6native31launch_logcumsumexp_cuda_kernelERKNSB_10TensorBaseESF_lENKUlvE_clEvENKUlvE0_clEvEUlffE_fEEDaPvRmT3_T4_T5_mT6_P12ihipStream_tbENKUlT_T0_E_clISt17integral_constantIbLb0EESW_EEDaSR_SS_EUlSR_E0_NS1_11comp_targetILNS1_3genE2ELNS1_11target_archE906ELNS1_3gpuE6ELNS1_3repE0EEENS1_30default_config_static_selectorELNS0_4arch9wavefront6targetE0EEEvT1_.numbered_sgpr, 0
	.set _ZN7rocprim17ROCPRIM_400000_NS6detail17trampoline_kernelINS0_14default_configENS1_20scan_config_selectorIfEEZZNS1_9scan_implILNS1_25lookback_scan_determinismE0ELb0ELb0ES3_PKfPffZZZN2at6native31launch_logcumsumexp_cuda_kernelERKNSB_10TensorBaseESF_lENKUlvE_clEvENKUlvE0_clEvEUlffE_fEEDaPvRmT3_T4_T5_mT6_P12ihipStream_tbENKUlT_T0_E_clISt17integral_constantIbLb0EESW_EEDaSR_SS_EUlSR_E0_NS1_11comp_targetILNS1_3genE2ELNS1_11target_archE906ELNS1_3gpuE6ELNS1_3repE0EEENS1_30default_config_static_selectorELNS0_4arch9wavefront6targetE0EEEvT1_.num_named_barrier, 0
	.set _ZN7rocprim17ROCPRIM_400000_NS6detail17trampoline_kernelINS0_14default_configENS1_20scan_config_selectorIfEEZZNS1_9scan_implILNS1_25lookback_scan_determinismE0ELb0ELb0ES3_PKfPffZZZN2at6native31launch_logcumsumexp_cuda_kernelERKNSB_10TensorBaseESF_lENKUlvE_clEvENKUlvE0_clEvEUlffE_fEEDaPvRmT3_T4_T5_mT6_P12ihipStream_tbENKUlT_T0_E_clISt17integral_constantIbLb0EESW_EEDaSR_SS_EUlSR_E0_NS1_11comp_targetILNS1_3genE2ELNS1_11target_archE906ELNS1_3gpuE6ELNS1_3repE0EEENS1_30default_config_static_selectorELNS0_4arch9wavefront6targetE0EEEvT1_.private_seg_size, 0
	.set _ZN7rocprim17ROCPRIM_400000_NS6detail17trampoline_kernelINS0_14default_configENS1_20scan_config_selectorIfEEZZNS1_9scan_implILNS1_25lookback_scan_determinismE0ELb0ELb0ES3_PKfPffZZZN2at6native31launch_logcumsumexp_cuda_kernelERKNSB_10TensorBaseESF_lENKUlvE_clEvENKUlvE0_clEvEUlffE_fEEDaPvRmT3_T4_T5_mT6_P12ihipStream_tbENKUlT_T0_E_clISt17integral_constantIbLb0EESW_EEDaSR_SS_EUlSR_E0_NS1_11comp_targetILNS1_3genE2ELNS1_11target_archE906ELNS1_3gpuE6ELNS1_3repE0EEENS1_30default_config_static_selectorELNS0_4arch9wavefront6targetE0EEEvT1_.uses_vcc, 0
	.set _ZN7rocprim17ROCPRIM_400000_NS6detail17trampoline_kernelINS0_14default_configENS1_20scan_config_selectorIfEEZZNS1_9scan_implILNS1_25lookback_scan_determinismE0ELb0ELb0ES3_PKfPffZZZN2at6native31launch_logcumsumexp_cuda_kernelERKNSB_10TensorBaseESF_lENKUlvE_clEvENKUlvE0_clEvEUlffE_fEEDaPvRmT3_T4_T5_mT6_P12ihipStream_tbENKUlT_T0_E_clISt17integral_constantIbLb0EESW_EEDaSR_SS_EUlSR_E0_NS1_11comp_targetILNS1_3genE2ELNS1_11target_archE906ELNS1_3gpuE6ELNS1_3repE0EEENS1_30default_config_static_selectorELNS0_4arch9wavefront6targetE0EEEvT1_.uses_flat_scratch, 0
	.set _ZN7rocprim17ROCPRIM_400000_NS6detail17trampoline_kernelINS0_14default_configENS1_20scan_config_selectorIfEEZZNS1_9scan_implILNS1_25lookback_scan_determinismE0ELb0ELb0ES3_PKfPffZZZN2at6native31launch_logcumsumexp_cuda_kernelERKNSB_10TensorBaseESF_lENKUlvE_clEvENKUlvE0_clEvEUlffE_fEEDaPvRmT3_T4_T5_mT6_P12ihipStream_tbENKUlT_T0_E_clISt17integral_constantIbLb0EESW_EEDaSR_SS_EUlSR_E0_NS1_11comp_targetILNS1_3genE2ELNS1_11target_archE906ELNS1_3gpuE6ELNS1_3repE0EEENS1_30default_config_static_selectorELNS0_4arch9wavefront6targetE0EEEvT1_.has_dyn_sized_stack, 0
	.set _ZN7rocprim17ROCPRIM_400000_NS6detail17trampoline_kernelINS0_14default_configENS1_20scan_config_selectorIfEEZZNS1_9scan_implILNS1_25lookback_scan_determinismE0ELb0ELb0ES3_PKfPffZZZN2at6native31launch_logcumsumexp_cuda_kernelERKNSB_10TensorBaseESF_lENKUlvE_clEvENKUlvE0_clEvEUlffE_fEEDaPvRmT3_T4_T5_mT6_P12ihipStream_tbENKUlT_T0_E_clISt17integral_constantIbLb0EESW_EEDaSR_SS_EUlSR_E0_NS1_11comp_targetILNS1_3genE2ELNS1_11target_archE906ELNS1_3gpuE6ELNS1_3repE0EEENS1_30default_config_static_selectorELNS0_4arch9wavefront6targetE0EEEvT1_.has_recursion, 0
	.set _ZN7rocprim17ROCPRIM_400000_NS6detail17trampoline_kernelINS0_14default_configENS1_20scan_config_selectorIfEEZZNS1_9scan_implILNS1_25lookback_scan_determinismE0ELb0ELb0ES3_PKfPffZZZN2at6native31launch_logcumsumexp_cuda_kernelERKNSB_10TensorBaseESF_lENKUlvE_clEvENKUlvE0_clEvEUlffE_fEEDaPvRmT3_T4_T5_mT6_P12ihipStream_tbENKUlT_T0_E_clISt17integral_constantIbLb0EESW_EEDaSR_SS_EUlSR_E0_NS1_11comp_targetILNS1_3genE2ELNS1_11target_archE906ELNS1_3gpuE6ELNS1_3repE0EEENS1_30default_config_static_selectorELNS0_4arch9wavefront6targetE0EEEvT1_.has_indirect_call, 0
	.section	.AMDGPU.csdata,"",@progbits
; Kernel info:
; codeLenInByte = 0
; TotalNumSgprs: 0
; NumVgprs: 0
; ScratchSize: 0
; MemoryBound: 0
; FloatMode: 240
; IeeeMode: 1
; LDSByteSize: 0 bytes/workgroup (compile time only)
; SGPRBlocks: 0
; VGPRBlocks: 0
; NumSGPRsForWavesPerEU: 1
; NumVGPRsForWavesPerEU: 1
; Occupancy: 16
; WaveLimiterHint : 0
; COMPUTE_PGM_RSRC2:SCRATCH_EN: 0
; COMPUTE_PGM_RSRC2:USER_SGPR: 6
; COMPUTE_PGM_RSRC2:TRAP_HANDLER: 0
; COMPUTE_PGM_RSRC2:TGID_X_EN: 1
; COMPUTE_PGM_RSRC2:TGID_Y_EN: 0
; COMPUTE_PGM_RSRC2:TGID_Z_EN: 0
; COMPUTE_PGM_RSRC2:TIDIG_COMP_CNT: 0
	.section	.text._ZN7rocprim17ROCPRIM_400000_NS6detail17trampoline_kernelINS0_14default_configENS1_20scan_config_selectorIfEEZZNS1_9scan_implILNS1_25lookback_scan_determinismE0ELb0ELb0ES3_PKfPffZZZN2at6native31launch_logcumsumexp_cuda_kernelERKNSB_10TensorBaseESF_lENKUlvE_clEvENKUlvE0_clEvEUlffE_fEEDaPvRmT3_T4_T5_mT6_P12ihipStream_tbENKUlT_T0_E_clISt17integral_constantIbLb0EESW_EEDaSR_SS_EUlSR_E0_NS1_11comp_targetILNS1_3genE10ELNS1_11target_archE1201ELNS1_3gpuE5ELNS1_3repE0EEENS1_30default_config_static_selectorELNS0_4arch9wavefront6targetE0EEEvT1_,"axG",@progbits,_ZN7rocprim17ROCPRIM_400000_NS6detail17trampoline_kernelINS0_14default_configENS1_20scan_config_selectorIfEEZZNS1_9scan_implILNS1_25lookback_scan_determinismE0ELb0ELb0ES3_PKfPffZZZN2at6native31launch_logcumsumexp_cuda_kernelERKNSB_10TensorBaseESF_lENKUlvE_clEvENKUlvE0_clEvEUlffE_fEEDaPvRmT3_T4_T5_mT6_P12ihipStream_tbENKUlT_T0_E_clISt17integral_constantIbLb0EESW_EEDaSR_SS_EUlSR_E0_NS1_11comp_targetILNS1_3genE10ELNS1_11target_archE1201ELNS1_3gpuE5ELNS1_3repE0EEENS1_30default_config_static_selectorELNS0_4arch9wavefront6targetE0EEEvT1_,comdat
	.globl	_ZN7rocprim17ROCPRIM_400000_NS6detail17trampoline_kernelINS0_14default_configENS1_20scan_config_selectorIfEEZZNS1_9scan_implILNS1_25lookback_scan_determinismE0ELb0ELb0ES3_PKfPffZZZN2at6native31launch_logcumsumexp_cuda_kernelERKNSB_10TensorBaseESF_lENKUlvE_clEvENKUlvE0_clEvEUlffE_fEEDaPvRmT3_T4_T5_mT6_P12ihipStream_tbENKUlT_T0_E_clISt17integral_constantIbLb0EESW_EEDaSR_SS_EUlSR_E0_NS1_11comp_targetILNS1_3genE10ELNS1_11target_archE1201ELNS1_3gpuE5ELNS1_3repE0EEENS1_30default_config_static_selectorELNS0_4arch9wavefront6targetE0EEEvT1_ ; -- Begin function _ZN7rocprim17ROCPRIM_400000_NS6detail17trampoline_kernelINS0_14default_configENS1_20scan_config_selectorIfEEZZNS1_9scan_implILNS1_25lookback_scan_determinismE0ELb0ELb0ES3_PKfPffZZZN2at6native31launch_logcumsumexp_cuda_kernelERKNSB_10TensorBaseESF_lENKUlvE_clEvENKUlvE0_clEvEUlffE_fEEDaPvRmT3_T4_T5_mT6_P12ihipStream_tbENKUlT_T0_E_clISt17integral_constantIbLb0EESW_EEDaSR_SS_EUlSR_E0_NS1_11comp_targetILNS1_3genE10ELNS1_11target_archE1201ELNS1_3gpuE5ELNS1_3repE0EEENS1_30default_config_static_selectorELNS0_4arch9wavefront6targetE0EEEvT1_
	.p2align	8
	.type	_ZN7rocprim17ROCPRIM_400000_NS6detail17trampoline_kernelINS0_14default_configENS1_20scan_config_selectorIfEEZZNS1_9scan_implILNS1_25lookback_scan_determinismE0ELb0ELb0ES3_PKfPffZZZN2at6native31launch_logcumsumexp_cuda_kernelERKNSB_10TensorBaseESF_lENKUlvE_clEvENKUlvE0_clEvEUlffE_fEEDaPvRmT3_T4_T5_mT6_P12ihipStream_tbENKUlT_T0_E_clISt17integral_constantIbLb0EESW_EEDaSR_SS_EUlSR_E0_NS1_11comp_targetILNS1_3genE10ELNS1_11target_archE1201ELNS1_3gpuE5ELNS1_3repE0EEENS1_30default_config_static_selectorELNS0_4arch9wavefront6targetE0EEEvT1_,@function
_ZN7rocprim17ROCPRIM_400000_NS6detail17trampoline_kernelINS0_14default_configENS1_20scan_config_selectorIfEEZZNS1_9scan_implILNS1_25lookback_scan_determinismE0ELb0ELb0ES3_PKfPffZZZN2at6native31launch_logcumsumexp_cuda_kernelERKNSB_10TensorBaseESF_lENKUlvE_clEvENKUlvE0_clEvEUlffE_fEEDaPvRmT3_T4_T5_mT6_P12ihipStream_tbENKUlT_T0_E_clISt17integral_constantIbLb0EESW_EEDaSR_SS_EUlSR_E0_NS1_11comp_targetILNS1_3genE10ELNS1_11target_archE1201ELNS1_3gpuE5ELNS1_3repE0EEENS1_30default_config_static_selectorELNS0_4arch9wavefront6targetE0EEEvT1_: ; @_ZN7rocprim17ROCPRIM_400000_NS6detail17trampoline_kernelINS0_14default_configENS1_20scan_config_selectorIfEEZZNS1_9scan_implILNS1_25lookback_scan_determinismE0ELb0ELb0ES3_PKfPffZZZN2at6native31launch_logcumsumexp_cuda_kernelERKNSB_10TensorBaseESF_lENKUlvE_clEvENKUlvE0_clEvEUlffE_fEEDaPvRmT3_T4_T5_mT6_P12ihipStream_tbENKUlT_T0_E_clISt17integral_constantIbLb0EESW_EEDaSR_SS_EUlSR_E0_NS1_11comp_targetILNS1_3genE10ELNS1_11target_archE1201ELNS1_3gpuE5ELNS1_3repE0EEENS1_30default_config_static_selectorELNS0_4arch9wavefront6targetE0EEEvT1_
; %bb.0:
	.section	.rodata,"a",@progbits
	.p2align	6, 0x0
	.amdhsa_kernel _ZN7rocprim17ROCPRIM_400000_NS6detail17trampoline_kernelINS0_14default_configENS1_20scan_config_selectorIfEEZZNS1_9scan_implILNS1_25lookback_scan_determinismE0ELb0ELb0ES3_PKfPffZZZN2at6native31launch_logcumsumexp_cuda_kernelERKNSB_10TensorBaseESF_lENKUlvE_clEvENKUlvE0_clEvEUlffE_fEEDaPvRmT3_T4_T5_mT6_P12ihipStream_tbENKUlT_T0_E_clISt17integral_constantIbLb0EESW_EEDaSR_SS_EUlSR_E0_NS1_11comp_targetILNS1_3genE10ELNS1_11target_archE1201ELNS1_3gpuE5ELNS1_3repE0EEENS1_30default_config_static_selectorELNS0_4arch9wavefront6targetE0EEEvT1_
		.amdhsa_group_segment_fixed_size 0
		.amdhsa_private_segment_fixed_size 0
		.amdhsa_kernarg_size 32
		.amdhsa_user_sgpr_count 6
		.amdhsa_user_sgpr_private_segment_buffer 1
		.amdhsa_user_sgpr_dispatch_ptr 0
		.amdhsa_user_sgpr_queue_ptr 0
		.amdhsa_user_sgpr_kernarg_segment_ptr 1
		.amdhsa_user_sgpr_dispatch_id 0
		.amdhsa_user_sgpr_flat_scratch_init 0
		.amdhsa_user_sgpr_private_segment_size 0
		.amdhsa_wavefront_size32 1
		.amdhsa_uses_dynamic_stack 0
		.amdhsa_system_sgpr_private_segment_wavefront_offset 0
		.amdhsa_system_sgpr_workgroup_id_x 1
		.amdhsa_system_sgpr_workgroup_id_y 0
		.amdhsa_system_sgpr_workgroup_id_z 0
		.amdhsa_system_sgpr_workgroup_info 0
		.amdhsa_system_vgpr_workitem_id 0
		.amdhsa_next_free_vgpr 1
		.amdhsa_next_free_sgpr 1
		.amdhsa_reserve_vcc 0
		.amdhsa_reserve_flat_scratch 0
		.amdhsa_float_round_mode_32 0
		.amdhsa_float_round_mode_16_64 0
		.amdhsa_float_denorm_mode_32 3
		.amdhsa_float_denorm_mode_16_64 3
		.amdhsa_dx10_clamp 1
		.amdhsa_ieee_mode 1
		.amdhsa_fp16_overflow 0
		.amdhsa_workgroup_processor_mode 1
		.amdhsa_memory_ordered 1
		.amdhsa_forward_progress 1
		.amdhsa_shared_vgpr_count 0
		.amdhsa_exception_fp_ieee_invalid_op 0
		.amdhsa_exception_fp_denorm_src 0
		.amdhsa_exception_fp_ieee_div_zero 0
		.amdhsa_exception_fp_ieee_overflow 0
		.amdhsa_exception_fp_ieee_underflow 0
		.amdhsa_exception_fp_ieee_inexact 0
		.amdhsa_exception_int_div_zero 0
	.end_amdhsa_kernel
	.section	.text._ZN7rocprim17ROCPRIM_400000_NS6detail17trampoline_kernelINS0_14default_configENS1_20scan_config_selectorIfEEZZNS1_9scan_implILNS1_25lookback_scan_determinismE0ELb0ELb0ES3_PKfPffZZZN2at6native31launch_logcumsumexp_cuda_kernelERKNSB_10TensorBaseESF_lENKUlvE_clEvENKUlvE0_clEvEUlffE_fEEDaPvRmT3_T4_T5_mT6_P12ihipStream_tbENKUlT_T0_E_clISt17integral_constantIbLb0EESW_EEDaSR_SS_EUlSR_E0_NS1_11comp_targetILNS1_3genE10ELNS1_11target_archE1201ELNS1_3gpuE5ELNS1_3repE0EEENS1_30default_config_static_selectorELNS0_4arch9wavefront6targetE0EEEvT1_,"axG",@progbits,_ZN7rocprim17ROCPRIM_400000_NS6detail17trampoline_kernelINS0_14default_configENS1_20scan_config_selectorIfEEZZNS1_9scan_implILNS1_25lookback_scan_determinismE0ELb0ELb0ES3_PKfPffZZZN2at6native31launch_logcumsumexp_cuda_kernelERKNSB_10TensorBaseESF_lENKUlvE_clEvENKUlvE0_clEvEUlffE_fEEDaPvRmT3_T4_T5_mT6_P12ihipStream_tbENKUlT_T0_E_clISt17integral_constantIbLb0EESW_EEDaSR_SS_EUlSR_E0_NS1_11comp_targetILNS1_3genE10ELNS1_11target_archE1201ELNS1_3gpuE5ELNS1_3repE0EEENS1_30default_config_static_selectorELNS0_4arch9wavefront6targetE0EEEvT1_,comdat
.Lfunc_end110:
	.size	_ZN7rocprim17ROCPRIM_400000_NS6detail17trampoline_kernelINS0_14default_configENS1_20scan_config_selectorIfEEZZNS1_9scan_implILNS1_25lookback_scan_determinismE0ELb0ELb0ES3_PKfPffZZZN2at6native31launch_logcumsumexp_cuda_kernelERKNSB_10TensorBaseESF_lENKUlvE_clEvENKUlvE0_clEvEUlffE_fEEDaPvRmT3_T4_T5_mT6_P12ihipStream_tbENKUlT_T0_E_clISt17integral_constantIbLb0EESW_EEDaSR_SS_EUlSR_E0_NS1_11comp_targetILNS1_3genE10ELNS1_11target_archE1201ELNS1_3gpuE5ELNS1_3repE0EEENS1_30default_config_static_selectorELNS0_4arch9wavefront6targetE0EEEvT1_, .Lfunc_end110-_ZN7rocprim17ROCPRIM_400000_NS6detail17trampoline_kernelINS0_14default_configENS1_20scan_config_selectorIfEEZZNS1_9scan_implILNS1_25lookback_scan_determinismE0ELb0ELb0ES3_PKfPffZZZN2at6native31launch_logcumsumexp_cuda_kernelERKNSB_10TensorBaseESF_lENKUlvE_clEvENKUlvE0_clEvEUlffE_fEEDaPvRmT3_T4_T5_mT6_P12ihipStream_tbENKUlT_T0_E_clISt17integral_constantIbLb0EESW_EEDaSR_SS_EUlSR_E0_NS1_11comp_targetILNS1_3genE10ELNS1_11target_archE1201ELNS1_3gpuE5ELNS1_3repE0EEENS1_30default_config_static_selectorELNS0_4arch9wavefront6targetE0EEEvT1_
                                        ; -- End function
	.set _ZN7rocprim17ROCPRIM_400000_NS6detail17trampoline_kernelINS0_14default_configENS1_20scan_config_selectorIfEEZZNS1_9scan_implILNS1_25lookback_scan_determinismE0ELb0ELb0ES3_PKfPffZZZN2at6native31launch_logcumsumexp_cuda_kernelERKNSB_10TensorBaseESF_lENKUlvE_clEvENKUlvE0_clEvEUlffE_fEEDaPvRmT3_T4_T5_mT6_P12ihipStream_tbENKUlT_T0_E_clISt17integral_constantIbLb0EESW_EEDaSR_SS_EUlSR_E0_NS1_11comp_targetILNS1_3genE10ELNS1_11target_archE1201ELNS1_3gpuE5ELNS1_3repE0EEENS1_30default_config_static_selectorELNS0_4arch9wavefront6targetE0EEEvT1_.num_vgpr, 0
	.set _ZN7rocprim17ROCPRIM_400000_NS6detail17trampoline_kernelINS0_14default_configENS1_20scan_config_selectorIfEEZZNS1_9scan_implILNS1_25lookback_scan_determinismE0ELb0ELb0ES3_PKfPffZZZN2at6native31launch_logcumsumexp_cuda_kernelERKNSB_10TensorBaseESF_lENKUlvE_clEvENKUlvE0_clEvEUlffE_fEEDaPvRmT3_T4_T5_mT6_P12ihipStream_tbENKUlT_T0_E_clISt17integral_constantIbLb0EESW_EEDaSR_SS_EUlSR_E0_NS1_11comp_targetILNS1_3genE10ELNS1_11target_archE1201ELNS1_3gpuE5ELNS1_3repE0EEENS1_30default_config_static_selectorELNS0_4arch9wavefront6targetE0EEEvT1_.num_agpr, 0
	.set _ZN7rocprim17ROCPRIM_400000_NS6detail17trampoline_kernelINS0_14default_configENS1_20scan_config_selectorIfEEZZNS1_9scan_implILNS1_25lookback_scan_determinismE0ELb0ELb0ES3_PKfPffZZZN2at6native31launch_logcumsumexp_cuda_kernelERKNSB_10TensorBaseESF_lENKUlvE_clEvENKUlvE0_clEvEUlffE_fEEDaPvRmT3_T4_T5_mT6_P12ihipStream_tbENKUlT_T0_E_clISt17integral_constantIbLb0EESW_EEDaSR_SS_EUlSR_E0_NS1_11comp_targetILNS1_3genE10ELNS1_11target_archE1201ELNS1_3gpuE5ELNS1_3repE0EEENS1_30default_config_static_selectorELNS0_4arch9wavefront6targetE0EEEvT1_.numbered_sgpr, 0
	.set _ZN7rocprim17ROCPRIM_400000_NS6detail17trampoline_kernelINS0_14default_configENS1_20scan_config_selectorIfEEZZNS1_9scan_implILNS1_25lookback_scan_determinismE0ELb0ELb0ES3_PKfPffZZZN2at6native31launch_logcumsumexp_cuda_kernelERKNSB_10TensorBaseESF_lENKUlvE_clEvENKUlvE0_clEvEUlffE_fEEDaPvRmT3_T4_T5_mT6_P12ihipStream_tbENKUlT_T0_E_clISt17integral_constantIbLb0EESW_EEDaSR_SS_EUlSR_E0_NS1_11comp_targetILNS1_3genE10ELNS1_11target_archE1201ELNS1_3gpuE5ELNS1_3repE0EEENS1_30default_config_static_selectorELNS0_4arch9wavefront6targetE0EEEvT1_.num_named_barrier, 0
	.set _ZN7rocprim17ROCPRIM_400000_NS6detail17trampoline_kernelINS0_14default_configENS1_20scan_config_selectorIfEEZZNS1_9scan_implILNS1_25lookback_scan_determinismE0ELb0ELb0ES3_PKfPffZZZN2at6native31launch_logcumsumexp_cuda_kernelERKNSB_10TensorBaseESF_lENKUlvE_clEvENKUlvE0_clEvEUlffE_fEEDaPvRmT3_T4_T5_mT6_P12ihipStream_tbENKUlT_T0_E_clISt17integral_constantIbLb0EESW_EEDaSR_SS_EUlSR_E0_NS1_11comp_targetILNS1_3genE10ELNS1_11target_archE1201ELNS1_3gpuE5ELNS1_3repE0EEENS1_30default_config_static_selectorELNS0_4arch9wavefront6targetE0EEEvT1_.private_seg_size, 0
	.set _ZN7rocprim17ROCPRIM_400000_NS6detail17trampoline_kernelINS0_14default_configENS1_20scan_config_selectorIfEEZZNS1_9scan_implILNS1_25lookback_scan_determinismE0ELb0ELb0ES3_PKfPffZZZN2at6native31launch_logcumsumexp_cuda_kernelERKNSB_10TensorBaseESF_lENKUlvE_clEvENKUlvE0_clEvEUlffE_fEEDaPvRmT3_T4_T5_mT6_P12ihipStream_tbENKUlT_T0_E_clISt17integral_constantIbLb0EESW_EEDaSR_SS_EUlSR_E0_NS1_11comp_targetILNS1_3genE10ELNS1_11target_archE1201ELNS1_3gpuE5ELNS1_3repE0EEENS1_30default_config_static_selectorELNS0_4arch9wavefront6targetE0EEEvT1_.uses_vcc, 0
	.set _ZN7rocprim17ROCPRIM_400000_NS6detail17trampoline_kernelINS0_14default_configENS1_20scan_config_selectorIfEEZZNS1_9scan_implILNS1_25lookback_scan_determinismE0ELb0ELb0ES3_PKfPffZZZN2at6native31launch_logcumsumexp_cuda_kernelERKNSB_10TensorBaseESF_lENKUlvE_clEvENKUlvE0_clEvEUlffE_fEEDaPvRmT3_T4_T5_mT6_P12ihipStream_tbENKUlT_T0_E_clISt17integral_constantIbLb0EESW_EEDaSR_SS_EUlSR_E0_NS1_11comp_targetILNS1_3genE10ELNS1_11target_archE1201ELNS1_3gpuE5ELNS1_3repE0EEENS1_30default_config_static_selectorELNS0_4arch9wavefront6targetE0EEEvT1_.uses_flat_scratch, 0
	.set _ZN7rocprim17ROCPRIM_400000_NS6detail17trampoline_kernelINS0_14default_configENS1_20scan_config_selectorIfEEZZNS1_9scan_implILNS1_25lookback_scan_determinismE0ELb0ELb0ES3_PKfPffZZZN2at6native31launch_logcumsumexp_cuda_kernelERKNSB_10TensorBaseESF_lENKUlvE_clEvENKUlvE0_clEvEUlffE_fEEDaPvRmT3_T4_T5_mT6_P12ihipStream_tbENKUlT_T0_E_clISt17integral_constantIbLb0EESW_EEDaSR_SS_EUlSR_E0_NS1_11comp_targetILNS1_3genE10ELNS1_11target_archE1201ELNS1_3gpuE5ELNS1_3repE0EEENS1_30default_config_static_selectorELNS0_4arch9wavefront6targetE0EEEvT1_.has_dyn_sized_stack, 0
	.set _ZN7rocprim17ROCPRIM_400000_NS6detail17trampoline_kernelINS0_14default_configENS1_20scan_config_selectorIfEEZZNS1_9scan_implILNS1_25lookback_scan_determinismE0ELb0ELb0ES3_PKfPffZZZN2at6native31launch_logcumsumexp_cuda_kernelERKNSB_10TensorBaseESF_lENKUlvE_clEvENKUlvE0_clEvEUlffE_fEEDaPvRmT3_T4_T5_mT6_P12ihipStream_tbENKUlT_T0_E_clISt17integral_constantIbLb0EESW_EEDaSR_SS_EUlSR_E0_NS1_11comp_targetILNS1_3genE10ELNS1_11target_archE1201ELNS1_3gpuE5ELNS1_3repE0EEENS1_30default_config_static_selectorELNS0_4arch9wavefront6targetE0EEEvT1_.has_recursion, 0
	.set _ZN7rocprim17ROCPRIM_400000_NS6detail17trampoline_kernelINS0_14default_configENS1_20scan_config_selectorIfEEZZNS1_9scan_implILNS1_25lookback_scan_determinismE0ELb0ELb0ES3_PKfPffZZZN2at6native31launch_logcumsumexp_cuda_kernelERKNSB_10TensorBaseESF_lENKUlvE_clEvENKUlvE0_clEvEUlffE_fEEDaPvRmT3_T4_T5_mT6_P12ihipStream_tbENKUlT_T0_E_clISt17integral_constantIbLb0EESW_EEDaSR_SS_EUlSR_E0_NS1_11comp_targetILNS1_3genE10ELNS1_11target_archE1201ELNS1_3gpuE5ELNS1_3repE0EEENS1_30default_config_static_selectorELNS0_4arch9wavefront6targetE0EEEvT1_.has_indirect_call, 0
	.section	.AMDGPU.csdata,"",@progbits
; Kernel info:
; codeLenInByte = 0
; TotalNumSgprs: 0
; NumVgprs: 0
; ScratchSize: 0
; MemoryBound: 0
; FloatMode: 240
; IeeeMode: 1
; LDSByteSize: 0 bytes/workgroup (compile time only)
; SGPRBlocks: 0
; VGPRBlocks: 0
; NumSGPRsForWavesPerEU: 1
; NumVGPRsForWavesPerEU: 1
; Occupancy: 16
; WaveLimiterHint : 0
; COMPUTE_PGM_RSRC2:SCRATCH_EN: 0
; COMPUTE_PGM_RSRC2:USER_SGPR: 6
; COMPUTE_PGM_RSRC2:TRAP_HANDLER: 0
; COMPUTE_PGM_RSRC2:TGID_X_EN: 1
; COMPUTE_PGM_RSRC2:TGID_Y_EN: 0
; COMPUTE_PGM_RSRC2:TGID_Z_EN: 0
; COMPUTE_PGM_RSRC2:TIDIG_COMP_CNT: 0
	.section	.text._ZN7rocprim17ROCPRIM_400000_NS6detail17trampoline_kernelINS0_14default_configENS1_20scan_config_selectorIfEEZZNS1_9scan_implILNS1_25lookback_scan_determinismE0ELb0ELb0ES3_PKfPffZZZN2at6native31launch_logcumsumexp_cuda_kernelERKNSB_10TensorBaseESF_lENKUlvE_clEvENKUlvE0_clEvEUlffE_fEEDaPvRmT3_T4_T5_mT6_P12ihipStream_tbENKUlT_T0_E_clISt17integral_constantIbLb0EESW_EEDaSR_SS_EUlSR_E0_NS1_11comp_targetILNS1_3genE10ELNS1_11target_archE1200ELNS1_3gpuE4ELNS1_3repE0EEENS1_30default_config_static_selectorELNS0_4arch9wavefront6targetE0EEEvT1_,"axG",@progbits,_ZN7rocprim17ROCPRIM_400000_NS6detail17trampoline_kernelINS0_14default_configENS1_20scan_config_selectorIfEEZZNS1_9scan_implILNS1_25lookback_scan_determinismE0ELb0ELb0ES3_PKfPffZZZN2at6native31launch_logcumsumexp_cuda_kernelERKNSB_10TensorBaseESF_lENKUlvE_clEvENKUlvE0_clEvEUlffE_fEEDaPvRmT3_T4_T5_mT6_P12ihipStream_tbENKUlT_T0_E_clISt17integral_constantIbLb0EESW_EEDaSR_SS_EUlSR_E0_NS1_11comp_targetILNS1_3genE10ELNS1_11target_archE1200ELNS1_3gpuE4ELNS1_3repE0EEENS1_30default_config_static_selectorELNS0_4arch9wavefront6targetE0EEEvT1_,comdat
	.globl	_ZN7rocprim17ROCPRIM_400000_NS6detail17trampoline_kernelINS0_14default_configENS1_20scan_config_selectorIfEEZZNS1_9scan_implILNS1_25lookback_scan_determinismE0ELb0ELb0ES3_PKfPffZZZN2at6native31launch_logcumsumexp_cuda_kernelERKNSB_10TensorBaseESF_lENKUlvE_clEvENKUlvE0_clEvEUlffE_fEEDaPvRmT3_T4_T5_mT6_P12ihipStream_tbENKUlT_T0_E_clISt17integral_constantIbLb0EESW_EEDaSR_SS_EUlSR_E0_NS1_11comp_targetILNS1_3genE10ELNS1_11target_archE1200ELNS1_3gpuE4ELNS1_3repE0EEENS1_30default_config_static_selectorELNS0_4arch9wavefront6targetE0EEEvT1_ ; -- Begin function _ZN7rocprim17ROCPRIM_400000_NS6detail17trampoline_kernelINS0_14default_configENS1_20scan_config_selectorIfEEZZNS1_9scan_implILNS1_25lookback_scan_determinismE0ELb0ELb0ES3_PKfPffZZZN2at6native31launch_logcumsumexp_cuda_kernelERKNSB_10TensorBaseESF_lENKUlvE_clEvENKUlvE0_clEvEUlffE_fEEDaPvRmT3_T4_T5_mT6_P12ihipStream_tbENKUlT_T0_E_clISt17integral_constantIbLb0EESW_EEDaSR_SS_EUlSR_E0_NS1_11comp_targetILNS1_3genE10ELNS1_11target_archE1200ELNS1_3gpuE4ELNS1_3repE0EEENS1_30default_config_static_selectorELNS0_4arch9wavefront6targetE0EEEvT1_
	.p2align	8
	.type	_ZN7rocprim17ROCPRIM_400000_NS6detail17trampoline_kernelINS0_14default_configENS1_20scan_config_selectorIfEEZZNS1_9scan_implILNS1_25lookback_scan_determinismE0ELb0ELb0ES3_PKfPffZZZN2at6native31launch_logcumsumexp_cuda_kernelERKNSB_10TensorBaseESF_lENKUlvE_clEvENKUlvE0_clEvEUlffE_fEEDaPvRmT3_T4_T5_mT6_P12ihipStream_tbENKUlT_T0_E_clISt17integral_constantIbLb0EESW_EEDaSR_SS_EUlSR_E0_NS1_11comp_targetILNS1_3genE10ELNS1_11target_archE1200ELNS1_3gpuE4ELNS1_3repE0EEENS1_30default_config_static_selectorELNS0_4arch9wavefront6targetE0EEEvT1_,@function
_ZN7rocprim17ROCPRIM_400000_NS6detail17trampoline_kernelINS0_14default_configENS1_20scan_config_selectorIfEEZZNS1_9scan_implILNS1_25lookback_scan_determinismE0ELb0ELb0ES3_PKfPffZZZN2at6native31launch_logcumsumexp_cuda_kernelERKNSB_10TensorBaseESF_lENKUlvE_clEvENKUlvE0_clEvEUlffE_fEEDaPvRmT3_T4_T5_mT6_P12ihipStream_tbENKUlT_T0_E_clISt17integral_constantIbLb0EESW_EEDaSR_SS_EUlSR_E0_NS1_11comp_targetILNS1_3genE10ELNS1_11target_archE1200ELNS1_3gpuE4ELNS1_3repE0EEENS1_30default_config_static_selectorELNS0_4arch9wavefront6targetE0EEEvT1_: ; @_ZN7rocprim17ROCPRIM_400000_NS6detail17trampoline_kernelINS0_14default_configENS1_20scan_config_selectorIfEEZZNS1_9scan_implILNS1_25lookback_scan_determinismE0ELb0ELb0ES3_PKfPffZZZN2at6native31launch_logcumsumexp_cuda_kernelERKNSB_10TensorBaseESF_lENKUlvE_clEvENKUlvE0_clEvEUlffE_fEEDaPvRmT3_T4_T5_mT6_P12ihipStream_tbENKUlT_T0_E_clISt17integral_constantIbLb0EESW_EEDaSR_SS_EUlSR_E0_NS1_11comp_targetILNS1_3genE10ELNS1_11target_archE1200ELNS1_3gpuE4ELNS1_3repE0EEENS1_30default_config_static_selectorELNS0_4arch9wavefront6targetE0EEEvT1_
; %bb.0:
	.section	.rodata,"a",@progbits
	.p2align	6, 0x0
	.amdhsa_kernel _ZN7rocprim17ROCPRIM_400000_NS6detail17trampoline_kernelINS0_14default_configENS1_20scan_config_selectorIfEEZZNS1_9scan_implILNS1_25lookback_scan_determinismE0ELb0ELb0ES3_PKfPffZZZN2at6native31launch_logcumsumexp_cuda_kernelERKNSB_10TensorBaseESF_lENKUlvE_clEvENKUlvE0_clEvEUlffE_fEEDaPvRmT3_T4_T5_mT6_P12ihipStream_tbENKUlT_T0_E_clISt17integral_constantIbLb0EESW_EEDaSR_SS_EUlSR_E0_NS1_11comp_targetILNS1_3genE10ELNS1_11target_archE1200ELNS1_3gpuE4ELNS1_3repE0EEENS1_30default_config_static_selectorELNS0_4arch9wavefront6targetE0EEEvT1_
		.amdhsa_group_segment_fixed_size 0
		.amdhsa_private_segment_fixed_size 0
		.amdhsa_kernarg_size 32
		.amdhsa_user_sgpr_count 6
		.amdhsa_user_sgpr_private_segment_buffer 1
		.amdhsa_user_sgpr_dispatch_ptr 0
		.amdhsa_user_sgpr_queue_ptr 0
		.amdhsa_user_sgpr_kernarg_segment_ptr 1
		.amdhsa_user_sgpr_dispatch_id 0
		.amdhsa_user_sgpr_flat_scratch_init 0
		.amdhsa_user_sgpr_private_segment_size 0
		.amdhsa_wavefront_size32 1
		.amdhsa_uses_dynamic_stack 0
		.amdhsa_system_sgpr_private_segment_wavefront_offset 0
		.amdhsa_system_sgpr_workgroup_id_x 1
		.amdhsa_system_sgpr_workgroup_id_y 0
		.amdhsa_system_sgpr_workgroup_id_z 0
		.amdhsa_system_sgpr_workgroup_info 0
		.amdhsa_system_vgpr_workitem_id 0
		.amdhsa_next_free_vgpr 1
		.amdhsa_next_free_sgpr 1
		.amdhsa_reserve_vcc 0
		.amdhsa_reserve_flat_scratch 0
		.amdhsa_float_round_mode_32 0
		.amdhsa_float_round_mode_16_64 0
		.amdhsa_float_denorm_mode_32 3
		.amdhsa_float_denorm_mode_16_64 3
		.amdhsa_dx10_clamp 1
		.amdhsa_ieee_mode 1
		.amdhsa_fp16_overflow 0
		.amdhsa_workgroup_processor_mode 1
		.amdhsa_memory_ordered 1
		.amdhsa_forward_progress 1
		.amdhsa_shared_vgpr_count 0
		.amdhsa_exception_fp_ieee_invalid_op 0
		.amdhsa_exception_fp_denorm_src 0
		.amdhsa_exception_fp_ieee_div_zero 0
		.amdhsa_exception_fp_ieee_overflow 0
		.amdhsa_exception_fp_ieee_underflow 0
		.amdhsa_exception_fp_ieee_inexact 0
		.amdhsa_exception_int_div_zero 0
	.end_amdhsa_kernel
	.section	.text._ZN7rocprim17ROCPRIM_400000_NS6detail17trampoline_kernelINS0_14default_configENS1_20scan_config_selectorIfEEZZNS1_9scan_implILNS1_25lookback_scan_determinismE0ELb0ELb0ES3_PKfPffZZZN2at6native31launch_logcumsumexp_cuda_kernelERKNSB_10TensorBaseESF_lENKUlvE_clEvENKUlvE0_clEvEUlffE_fEEDaPvRmT3_T4_T5_mT6_P12ihipStream_tbENKUlT_T0_E_clISt17integral_constantIbLb0EESW_EEDaSR_SS_EUlSR_E0_NS1_11comp_targetILNS1_3genE10ELNS1_11target_archE1200ELNS1_3gpuE4ELNS1_3repE0EEENS1_30default_config_static_selectorELNS0_4arch9wavefront6targetE0EEEvT1_,"axG",@progbits,_ZN7rocprim17ROCPRIM_400000_NS6detail17trampoline_kernelINS0_14default_configENS1_20scan_config_selectorIfEEZZNS1_9scan_implILNS1_25lookback_scan_determinismE0ELb0ELb0ES3_PKfPffZZZN2at6native31launch_logcumsumexp_cuda_kernelERKNSB_10TensorBaseESF_lENKUlvE_clEvENKUlvE0_clEvEUlffE_fEEDaPvRmT3_T4_T5_mT6_P12ihipStream_tbENKUlT_T0_E_clISt17integral_constantIbLb0EESW_EEDaSR_SS_EUlSR_E0_NS1_11comp_targetILNS1_3genE10ELNS1_11target_archE1200ELNS1_3gpuE4ELNS1_3repE0EEENS1_30default_config_static_selectorELNS0_4arch9wavefront6targetE0EEEvT1_,comdat
.Lfunc_end111:
	.size	_ZN7rocprim17ROCPRIM_400000_NS6detail17trampoline_kernelINS0_14default_configENS1_20scan_config_selectorIfEEZZNS1_9scan_implILNS1_25lookback_scan_determinismE0ELb0ELb0ES3_PKfPffZZZN2at6native31launch_logcumsumexp_cuda_kernelERKNSB_10TensorBaseESF_lENKUlvE_clEvENKUlvE0_clEvEUlffE_fEEDaPvRmT3_T4_T5_mT6_P12ihipStream_tbENKUlT_T0_E_clISt17integral_constantIbLb0EESW_EEDaSR_SS_EUlSR_E0_NS1_11comp_targetILNS1_3genE10ELNS1_11target_archE1200ELNS1_3gpuE4ELNS1_3repE0EEENS1_30default_config_static_selectorELNS0_4arch9wavefront6targetE0EEEvT1_, .Lfunc_end111-_ZN7rocprim17ROCPRIM_400000_NS6detail17trampoline_kernelINS0_14default_configENS1_20scan_config_selectorIfEEZZNS1_9scan_implILNS1_25lookback_scan_determinismE0ELb0ELb0ES3_PKfPffZZZN2at6native31launch_logcumsumexp_cuda_kernelERKNSB_10TensorBaseESF_lENKUlvE_clEvENKUlvE0_clEvEUlffE_fEEDaPvRmT3_T4_T5_mT6_P12ihipStream_tbENKUlT_T0_E_clISt17integral_constantIbLb0EESW_EEDaSR_SS_EUlSR_E0_NS1_11comp_targetILNS1_3genE10ELNS1_11target_archE1200ELNS1_3gpuE4ELNS1_3repE0EEENS1_30default_config_static_selectorELNS0_4arch9wavefront6targetE0EEEvT1_
                                        ; -- End function
	.set _ZN7rocprim17ROCPRIM_400000_NS6detail17trampoline_kernelINS0_14default_configENS1_20scan_config_selectorIfEEZZNS1_9scan_implILNS1_25lookback_scan_determinismE0ELb0ELb0ES3_PKfPffZZZN2at6native31launch_logcumsumexp_cuda_kernelERKNSB_10TensorBaseESF_lENKUlvE_clEvENKUlvE0_clEvEUlffE_fEEDaPvRmT3_T4_T5_mT6_P12ihipStream_tbENKUlT_T0_E_clISt17integral_constantIbLb0EESW_EEDaSR_SS_EUlSR_E0_NS1_11comp_targetILNS1_3genE10ELNS1_11target_archE1200ELNS1_3gpuE4ELNS1_3repE0EEENS1_30default_config_static_selectorELNS0_4arch9wavefront6targetE0EEEvT1_.num_vgpr, 0
	.set _ZN7rocprim17ROCPRIM_400000_NS6detail17trampoline_kernelINS0_14default_configENS1_20scan_config_selectorIfEEZZNS1_9scan_implILNS1_25lookback_scan_determinismE0ELb0ELb0ES3_PKfPffZZZN2at6native31launch_logcumsumexp_cuda_kernelERKNSB_10TensorBaseESF_lENKUlvE_clEvENKUlvE0_clEvEUlffE_fEEDaPvRmT3_T4_T5_mT6_P12ihipStream_tbENKUlT_T0_E_clISt17integral_constantIbLb0EESW_EEDaSR_SS_EUlSR_E0_NS1_11comp_targetILNS1_3genE10ELNS1_11target_archE1200ELNS1_3gpuE4ELNS1_3repE0EEENS1_30default_config_static_selectorELNS0_4arch9wavefront6targetE0EEEvT1_.num_agpr, 0
	.set _ZN7rocprim17ROCPRIM_400000_NS6detail17trampoline_kernelINS0_14default_configENS1_20scan_config_selectorIfEEZZNS1_9scan_implILNS1_25lookback_scan_determinismE0ELb0ELb0ES3_PKfPffZZZN2at6native31launch_logcumsumexp_cuda_kernelERKNSB_10TensorBaseESF_lENKUlvE_clEvENKUlvE0_clEvEUlffE_fEEDaPvRmT3_T4_T5_mT6_P12ihipStream_tbENKUlT_T0_E_clISt17integral_constantIbLb0EESW_EEDaSR_SS_EUlSR_E0_NS1_11comp_targetILNS1_3genE10ELNS1_11target_archE1200ELNS1_3gpuE4ELNS1_3repE0EEENS1_30default_config_static_selectorELNS0_4arch9wavefront6targetE0EEEvT1_.numbered_sgpr, 0
	.set _ZN7rocprim17ROCPRIM_400000_NS6detail17trampoline_kernelINS0_14default_configENS1_20scan_config_selectorIfEEZZNS1_9scan_implILNS1_25lookback_scan_determinismE0ELb0ELb0ES3_PKfPffZZZN2at6native31launch_logcumsumexp_cuda_kernelERKNSB_10TensorBaseESF_lENKUlvE_clEvENKUlvE0_clEvEUlffE_fEEDaPvRmT3_T4_T5_mT6_P12ihipStream_tbENKUlT_T0_E_clISt17integral_constantIbLb0EESW_EEDaSR_SS_EUlSR_E0_NS1_11comp_targetILNS1_3genE10ELNS1_11target_archE1200ELNS1_3gpuE4ELNS1_3repE0EEENS1_30default_config_static_selectorELNS0_4arch9wavefront6targetE0EEEvT1_.num_named_barrier, 0
	.set _ZN7rocprim17ROCPRIM_400000_NS6detail17trampoline_kernelINS0_14default_configENS1_20scan_config_selectorIfEEZZNS1_9scan_implILNS1_25lookback_scan_determinismE0ELb0ELb0ES3_PKfPffZZZN2at6native31launch_logcumsumexp_cuda_kernelERKNSB_10TensorBaseESF_lENKUlvE_clEvENKUlvE0_clEvEUlffE_fEEDaPvRmT3_T4_T5_mT6_P12ihipStream_tbENKUlT_T0_E_clISt17integral_constantIbLb0EESW_EEDaSR_SS_EUlSR_E0_NS1_11comp_targetILNS1_3genE10ELNS1_11target_archE1200ELNS1_3gpuE4ELNS1_3repE0EEENS1_30default_config_static_selectorELNS0_4arch9wavefront6targetE0EEEvT1_.private_seg_size, 0
	.set _ZN7rocprim17ROCPRIM_400000_NS6detail17trampoline_kernelINS0_14default_configENS1_20scan_config_selectorIfEEZZNS1_9scan_implILNS1_25lookback_scan_determinismE0ELb0ELb0ES3_PKfPffZZZN2at6native31launch_logcumsumexp_cuda_kernelERKNSB_10TensorBaseESF_lENKUlvE_clEvENKUlvE0_clEvEUlffE_fEEDaPvRmT3_T4_T5_mT6_P12ihipStream_tbENKUlT_T0_E_clISt17integral_constantIbLb0EESW_EEDaSR_SS_EUlSR_E0_NS1_11comp_targetILNS1_3genE10ELNS1_11target_archE1200ELNS1_3gpuE4ELNS1_3repE0EEENS1_30default_config_static_selectorELNS0_4arch9wavefront6targetE0EEEvT1_.uses_vcc, 0
	.set _ZN7rocprim17ROCPRIM_400000_NS6detail17trampoline_kernelINS0_14default_configENS1_20scan_config_selectorIfEEZZNS1_9scan_implILNS1_25lookback_scan_determinismE0ELb0ELb0ES3_PKfPffZZZN2at6native31launch_logcumsumexp_cuda_kernelERKNSB_10TensorBaseESF_lENKUlvE_clEvENKUlvE0_clEvEUlffE_fEEDaPvRmT3_T4_T5_mT6_P12ihipStream_tbENKUlT_T0_E_clISt17integral_constantIbLb0EESW_EEDaSR_SS_EUlSR_E0_NS1_11comp_targetILNS1_3genE10ELNS1_11target_archE1200ELNS1_3gpuE4ELNS1_3repE0EEENS1_30default_config_static_selectorELNS0_4arch9wavefront6targetE0EEEvT1_.uses_flat_scratch, 0
	.set _ZN7rocprim17ROCPRIM_400000_NS6detail17trampoline_kernelINS0_14default_configENS1_20scan_config_selectorIfEEZZNS1_9scan_implILNS1_25lookback_scan_determinismE0ELb0ELb0ES3_PKfPffZZZN2at6native31launch_logcumsumexp_cuda_kernelERKNSB_10TensorBaseESF_lENKUlvE_clEvENKUlvE0_clEvEUlffE_fEEDaPvRmT3_T4_T5_mT6_P12ihipStream_tbENKUlT_T0_E_clISt17integral_constantIbLb0EESW_EEDaSR_SS_EUlSR_E0_NS1_11comp_targetILNS1_3genE10ELNS1_11target_archE1200ELNS1_3gpuE4ELNS1_3repE0EEENS1_30default_config_static_selectorELNS0_4arch9wavefront6targetE0EEEvT1_.has_dyn_sized_stack, 0
	.set _ZN7rocprim17ROCPRIM_400000_NS6detail17trampoline_kernelINS0_14default_configENS1_20scan_config_selectorIfEEZZNS1_9scan_implILNS1_25lookback_scan_determinismE0ELb0ELb0ES3_PKfPffZZZN2at6native31launch_logcumsumexp_cuda_kernelERKNSB_10TensorBaseESF_lENKUlvE_clEvENKUlvE0_clEvEUlffE_fEEDaPvRmT3_T4_T5_mT6_P12ihipStream_tbENKUlT_T0_E_clISt17integral_constantIbLb0EESW_EEDaSR_SS_EUlSR_E0_NS1_11comp_targetILNS1_3genE10ELNS1_11target_archE1200ELNS1_3gpuE4ELNS1_3repE0EEENS1_30default_config_static_selectorELNS0_4arch9wavefront6targetE0EEEvT1_.has_recursion, 0
	.set _ZN7rocprim17ROCPRIM_400000_NS6detail17trampoline_kernelINS0_14default_configENS1_20scan_config_selectorIfEEZZNS1_9scan_implILNS1_25lookback_scan_determinismE0ELb0ELb0ES3_PKfPffZZZN2at6native31launch_logcumsumexp_cuda_kernelERKNSB_10TensorBaseESF_lENKUlvE_clEvENKUlvE0_clEvEUlffE_fEEDaPvRmT3_T4_T5_mT6_P12ihipStream_tbENKUlT_T0_E_clISt17integral_constantIbLb0EESW_EEDaSR_SS_EUlSR_E0_NS1_11comp_targetILNS1_3genE10ELNS1_11target_archE1200ELNS1_3gpuE4ELNS1_3repE0EEENS1_30default_config_static_selectorELNS0_4arch9wavefront6targetE0EEEvT1_.has_indirect_call, 0
	.section	.AMDGPU.csdata,"",@progbits
; Kernel info:
; codeLenInByte = 0
; TotalNumSgprs: 0
; NumVgprs: 0
; ScratchSize: 0
; MemoryBound: 0
; FloatMode: 240
; IeeeMode: 1
; LDSByteSize: 0 bytes/workgroup (compile time only)
; SGPRBlocks: 0
; VGPRBlocks: 0
; NumSGPRsForWavesPerEU: 1
; NumVGPRsForWavesPerEU: 1
; Occupancy: 16
; WaveLimiterHint : 0
; COMPUTE_PGM_RSRC2:SCRATCH_EN: 0
; COMPUTE_PGM_RSRC2:USER_SGPR: 6
; COMPUTE_PGM_RSRC2:TRAP_HANDLER: 0
; COMPUTE_PGM_RSRC2:TGID_X_EN: 1
; COMPUTE_PGM_RSRC2:TGID_Y_EN: 0
; COMPUTE_PGM_RSRC2:TGID_Z_EN: 0
; COMPUTE_PGM_RSRC2:TIDIG_COMP_CNT: 0
	.section	.text._ZN7rocprim17ROCPRIM_400000_NS6detail17trampoline_kernelINS0_14default_configENS1_20scan_config_selectorIfEEZZNS1_9scan_implILNS1_25lookback_scan_determinismE0ELb0ELb0ES3_PKfPffZZZN2at6native31launch_logcumsumexp_cuda_kernelERKNSB_10TensorBaseESF_lENKUlvE_clEvENKUlvE0_clEvEUlffE_fEEDaPvRmT3_T4_T5_mT6_P12ihipStream_tbENKUlT_T0_E_clISt17integral_constantIbLb0EESW_EEDaSR_SS_EUlSR_E0_NS1_11comp_targetILNS1_3genE9ELNS1_11target_archE1100ELNS1_3gpuE3ELNS1_3repE0EEENS1_30default_config_static_selectorELNS0_4arch9wavefront6targetE0EEEvT1_,"axG",@progbits,_ZN7rocprim17ROCPRIM_400000_NS6detail17trampoline_kernelINS0_14default_configENS1_20scan_config_selectorIfEEZZNS1_9scan_implILNS1_25lookback_scan_determinismE0ELb0ELb0ES3_PKfPffZZZN2at6native31launch_logcumsumexp_cuda_kernelERKNSB_10TensorBaseESF_lENKUlvE_clEvENKUlvE0_clEvEUlffE_fEEDaPvRmT3_T4_T5_mT6_P12ihipStream_tbENKUlT_T0_E_clISt17integral_constantIbLb0EESW_EEDaSR_SS_EUlSR_E0_NS1_11comp_targetILNS1_3genE9ELNS1_11target_archE1100ELNS1_3gpuE3ELNS1_3repE0EEENS1_30default_config_static_selectorELNS0_4arch9wavefront6targetE0EEEvT1_,comdat
	.globl	_ZN7rocprim17ROCPRIM_400000_NS6detail17trampoline_kernelINS0_14default_configENS1_20scan_config_selectorIfEEZZNS1_9scan_implILNS1_25lookback_scan_determinismE0ELb0ELb0ES3_PKfPffZZZN2at6native31launch_logcumsumexp_cuda_kernelERKNSB_10TensorBaseESF_lENKUlvE_clEvENKUlvE0_clEvEUlffE_fEEDaPvRmT3_T4_T5_mT6_P12ihipStream_tbENKUlT_T0_E_clISt17integral_constantIbLb0EESW_EEDaSR_SS_EUlSR_E0_NS1_11comp_targetILNS1_3genE9ELNS1_11target_archE1100ELNS1_3gpuE3ELNS1_3repE0EEENS1_30default_config_static_selectorELNS0_4arch9wavefront6targetE0EEEvT1_ ; -- Begin function _ZN7rocprim17ROCPRIM_400000_NS6detail17trampoline_kernelINS0_14default_configENS1_20scan_config_selectorIfEEZZNS1_9scan_implILNS1_25lookback_scan_determinismE0ELb0ELb0ES3_PKfPffZZZN2at6native31launch_logcumsumexp_cuda_kernelERKNSB_10TensorBaseESF_lENKUlvE_clEvENKUlvE0_clEvEUlffE_fEEDaPvRmT3_T4_T5_mT6_P12ihipStream_tbENKUlT_T0_E_clISt17integral_constantIbLb0EESW_EEDaSR_SS_EUlSR_E0_NS1_11comp_targetILNS1_3genE9ELNS1_11target_archE1100ELNS1_3gpuE3ELNS1_3repE0EEENS1_30default_config_static_selectorELNS0_4arch9wavefront6targetE0EEEvT1_
	.p2align	8
	.type	_ZN7rocprim17ROCPRIM_400000_NS6detail17trampoline_kernelINS0_14default_configENS1_20scan_config_selectorIfEEZZNS1_9scan_implILNS1_25lookback_scan_determinismE0ELb0ELb0ES3_PKfPffZZZN2at6native31launch_logcumsumexp_cuda_kernelERKNSB_10TensorBaseESF_lENKUlvE_clEvENKUlvE0_clEvEUlffE_fEEDaPvRmT3_T4_T5_mT6_P12ihipStream_tbENKUlT_T0_E_clISt17integral_constantIbLb0EESW_EEDaSR_SS_EUlSR_E0_NS1_11comp_targetILNS1_3genE9ELNS1_11target_archE1100ELNS1_3gpuE3ELNS1_3repE0EEENS1_30default_config_static_selectorELNS0_4arch9wavefront6targetE0EEEvT1_,@function
_ZN7rocprim17ROCPRIM_400000_NS6detail17trampoline_kernelINS0_14default_configENS1_20scan_config_selectorIfEEZZNS1_9scan_implILNS1_25lookback_scan_determinismE0ELb0ELb0ES3_PKfPffZZZN2at6native31launch_logcumsumexp_cuda_kernelERKNSB_10TensorBaseESF_lENKUlvE_clEvENKUlvE0_clEvEUlffE_fEEDaPvRmT3_T4_T5_mT6_P12ihipStream_tbENKUlT_T0_E_clISt17integral_constantIbLb0EESW_EEDaSR_SS_EUlSR_E0_NS1_11comp_targetILNS1_3genE9ELNS1_11target_archE1100ELNS1_3gpuE3ELNS1_3repE0EEENS1_30default_config_static_selectorELNS0_4arch9wavefront6targetE0EEEvT1_: ; @_ZN7rocprim17ROCPRIM_400000_NS6detail17trampoline_kernelINS0_14default_configENS1_20scan_config_selectorIfEEZZNS1_9scan_implILNS1_25lookback_scan_determinismE0ELb0ELb0ES3_PKfPffZZZN2at6native31launch_logcumsumexp_cuda_kernelERKNSB_10TensorBaseESF_lENKUlvE_clEvENKUlvE0_clEvEUlffE_fEEDaPvRmT3_T4_T5_mT6_P12ihipStream_tbENKUlT_T0_E_clISt17integral_constantIbLb0EESW_EEDaSR_SS_EUlSR_E0_NS1_11comp_targetILNS1_3genE9ELNS1_11target_archE1100ELNS1_3gpuE3ELNS1_3repE0EEENS1_30default_config_static_selectorELNS0_4arch9wavefront6targetE0EEEvT1_
; %bb.0:
	.section	.rodata,"a",@progbits
	.p2align	6, 0x0
	.amdhsa_kernel _ZN7rocprim17ROCPRIM_400000_NS6detail17trampoline_kernelINS0_14default_configENS1_20scan_config_selectorIfEEZZNS1_9scan_implILNS1_25lookback_scan_determinismE0ELb0ELb0ES3_PKfPffZZZN2at6native31launch_logcumsumexp_cuda_kernelERKNSB_10TensorBaseESF_lENKUlvE_clEvENKUlvE0_clEvEUlffE_fEEDaPvRmT3_T4_T5_mT6_P12ihipStream_tbENKUlT_T0_E_clISt17integral_constantIbLb0EESW_EEDaSR_SS_EUlSR_E0_NS1_11comp_targetILNS1_3genE9ELNS1_11target_archE1100ELNS1_3gpuE3ELNS1_3repE0EEENS1_30default_config_static_selectorELNS0_4arch9wavefront6targetE0EEEvT1_
		.amdhsa_group_segment_fixed_size 0
		.amdhsa_private_segment_fixed_size 0
		.amdhsa_kernarg_size 32
		.amdhsa_user_sgpr_count 6
		.amdhsa_user_sgpr_private_segment_buffer 1
		.amdhsa_user_sgpr_dispatch_ptr 0
		.amdhsa_user_sgpr_queue_ptr 0
		.amdhsa_user_sgpr_kernarg_segment_ptr 1
		.amdhsa_user_sgpr_dispatch_id 0
		.amdhsa_user_sgpr_flat_scratch_init 0
		.amdhsa_user_sgpr_private_segment_size 0
		.amdhsa_wavefront_size32 1
		.amdhsa_uses_dynamic_stack 0
		.amdhsa_system_sgpr_private_segment_wavefront_offset 0
		.amdhsa_system_sgpr_workgroup_id_x 1
		.amdhsa_system_sgpr_workgroup_id_y 0
		.amdhsa_system_sgpr_workgroup_id_z 0
		.amdhsa_system_sgpr_workgroup_info 0
		.amdhsa_system_vgpr_workitem_id 0
		.amdhsa_next_free_vgpr 1
		.amdhsa_next_free_sgpr 1
		.amdhsa_reserve_vcc 0
		.amdhsa_reserve_flat_scratch 0
		.amdhsa_float_round_mode_32 0
		.amdhsa_float_round_mode_16_64 0
		.amdhsa_float_denorm_mode_32 3
		.amdhsa_float_denorm_mode_16_64 3
		.amdhsa_dx10_clamp 1
		.amdhsa_ieee_mode 1
		.amdhsa_fp16_overflow 0
		.amdhsa_workgroup_processor_mode 1
		.amdhsa_memory_ordered 1
		.amdhsa_forward_progress 1
		.amdhsa_shared_vgpr_count 0
		.amdhsa_exception_fp_ieee_invalid_op 0
		.amdhsa_exception_fp_denorm_src 0
		.amdhsa_exception_fp_ieee_div_zero 0
		.amdhsa_exception_fp_ieee_overflow 0
		.amdhsa_exception_fp_ieee_underflow 0
		.amdhsa_exception_fp_ieee_inexact 0
		.amdhsa_exception_int_div_zero 0
	.end_amdhsa_kernel
	.section	.text._ZN7rocprim17ROCPRIM_400000_NS6detail17trampoline_kernelINS0_14default_configENS1_20scan_config_selectorIfEEZZNS1_9scan_implILNS1_25lookback_scan_determinismE0ELb0ELb0ES3_PKfPffZZZN2at6native31launch_logcumsumexp_cuda_kernelERKNSB_10TensorBaseESF_lENKUlvE_clEvENKUlvE0_clEvEUlffE_fEEDaPvRmT3_T4_T5_mT6_P12ihipStream_tbENKUlT_T0_E_clISt17integral_constantIbLb0EESW_EEDaSR_SS_EUlSR_E0_NS1_11comp_targetILNS1_3genE9ELNS1_11target_archE1100ELNS1_3gpuE3ELNS1_3repE0EEENS1_30default_config_static_selectorELNS0_4arch9wavefront6targetE0EEEvT1_,"axG",@progbits,_ZN7rocprim17ROCPRIM_400000_NS6detail17trampoline_kernelINS0_14default_configENS1_20scan_config_selectorIfEEZZNS1_9scan_implILNS1_25lookback_scan_determinismE0ELb0ELb0ES3_PKfPffZZZN2at6native31launch_logcumsumexp_cuda_kernelERKNSB_10TensorBaseESF_lENKUlvE_clEvENKUlvE0_clEvEUlffE_fEEDaPvRmT3_T4_T5_mT6_P12ihipStream_tbENKUlT_T0_E_clISt17integral_constantIbLb0EESW_EEDaSR_SS_EUlSR_E0_NS1_11comp_targetILNS1_3genE9ELNS1_11target_archE1100ELNS1_3gpuE3ELNS1_3repE0EEENS1_30default_config_static_selectorELNS0_4arch9wavefront6targetE0EEEvT1_,comdat
.Lfunc_end112:
	.size	_ZN7rocprim17ROCPRIM_400000_NS6detail17trampoline_kernelINS0_14default_configENS1_20scan_config_selectorIfEEZZNS1_9scan_implILNS1_25lookback_scan_determinismE0ELb0ELb0ES3_PKfPffZZZN2at6native31launch_logcumsumexp_cuda_kernelERKNSB_10TensorBaseESF_lENKUlvE_clEvENKUlvE0_clEvEUlffE_fEEDaPvRmT3_T4_T5_mT6_P12ihipStream_tbENKUlT_T0_E_clISt17integral_constantIbLb0EESW_EEDaSR_SS_EUlSR_E0_NS1_11comp_targetILNS1_3genE9ELNS1_11target_archE1100ELNS1_3gpuE3ELNS1_3repE0EEENS1_30default_config_static_selectorELNS0_4arch9wavefront6targetE0EEEvT1_, .Lfunc_end112-_ZN7rocprim17ROCPRIM_400000_NS6detail17trampoline_kernelINS0_14default_configENS1_20scan_config_selectorIfEEZZNS1_9scan_implILNS1_25lookback_scan_determinismE0ELb0ELb0ES3_PKfPffZZZN2at6native31launch_logcumsumexp_cuda_kernelERKNSB_10TensorBaseESF_lENKUlvE_clEvENKUlvE0_clEvEUlffE_fEEDaPvRmT3_T4_T5_mT6_P12ihipStream_tbENKUlT_T0_E_clISt17integral_constantIbLb0EESW_EEDaSR_SS_EUlSR_E0_NS1_11comp_targetILNS1_3genE9ELNS1_11target_archE1100ELNS1_3gpuE3ELNS1_3repE0EEENS1_30default_config_static_selectorELNS0_4arch9wavefront6targetE0EEEvT1_
                                        ; -- End function
	.set _ZN7rocprim17ROCPRIM_400000_NS6detail17trampoline_kernelINS0_14default_configENS1_20scan_config_selectorIfEEZZNS1_9scan_implILNS1_25lookback_scan_determinismE0ELb0ELb0ES3_PKfPffZZZN2at6native31launch_logcumsumexp_cuda_kernelERKNSB_10TensorBaseESF_lENKUlvE_clEvENKUlvE0_clEvEUlffE_fEEDaPvRmT3_T4_T5_mT6_P12ihipStream_tbENKUlT_T0_E_clISt17integral_constantIbLb0EESW_EEDaSR_SS_EUlSR_E0_NS1_11comp_targetILNS1_3genE9ELNS1_11target_archE1100ELNS1_3gpuE3ELNS1_3repE0EEENS1_30default_config_static_selectorELNS0_4arch9wavefront6targetE0EEEvT1_.num_vgpr, 0
	.set _ZN7rocprim17ROCPRIM_400000_NS6detail17trampoline_kernelINS0_14default_configENS1_20scan_config_selectorIfEEZZNS1_9scan_implILNS1_25lookback_scan_determinismE0ELb0ELb0ES3_PKfPffZZZN2at6native31launch_logcumsumexp_cuda_kernelERKNSB_10TensorBaseESF_lENKUlvE_clEvENKUlvE0_clEvEUlffE_fEEDaPvRmT3_T4_T5_mT6_P12ihipStream_tbENKUlT_T0_E_clISt17integral_constantIbLb0EESW_EEDaSR_SS_EUlSR_E0_NS1_11comp_targetILNS1_3genE9ELNS1_11target_archE1100ELNS1_3gpuE3ELNS1_3repE0EEENS1_30default_config_static_selectorELNS0_4arch9wavefront6targetE0EEEvT1_.num_agpr, 0
	.set _ZN7rocprim17ROCPRIM_400000_NS6detail17trampoline_kernelINS0_14default_configENS1_20scan_config_selectorIfEEZZNS1_9scan_implILNS1_25lookback_scan_determinismE0ELb0ELb0ES3_PKfPffZZZN2at6native31launch_logcumsumexp_cuda_kernelERKNSB_10TensorBaseESF_lENKUlvE_clEvENKUlvE0_clEvEUlffE_fEEDaPvRmT3_T4_T5_mT6_P12ihipStream_tbENKUlT_T0_E_clISt17integral_constantIbLb0EESW_EEDaSR_SS_EUlSR_E0_NS1_11comp_targetILNS1_3genE9ELNS1_11target_archE1100ELNS1_3gpuE3ELNS1_3repE0EEENS1_30default_config_static_selectorELNS0_4arch9wavefront6targetE0EEEvT1_.numbered_sgpr, 0
	.set _ZN7rocprim17ROCPRIM_400000_NS6detail17trampoline_kernelINS0_14default_configENS1_20scan_config_selectorIfEEZZNS1_9scan_implILNS1_25lookback_scan_determinismE0ELb0ELb0ES3_PKfPffZZZN2at6native31launch_logcumsumexp_cuda_kernelERKNSB_10TensorBaseESF_lENKUlvE_clEvENKUlvE0_clEvEUlffE_fEEDaPvRmT3_T4_T5_mT6_P12ihipStream_tbENKUlT_T0_E_clISt17integral_constantIbLb0EESW_EEDaSR_SS_EUlSR_E0_NS1_11comp_targetILNS1_3genE9ELNS1_11target_archE1100ELNS1_3gpuE3ELNS1_3repE0EEENS1_30default_config_static_selectorELNS0_4arch9wavefront6targetE0EEEvT1_.num_named_barrier, 0
	.set _ZN7rocprim17ROCPRIM_400000_NS6detail17trampoline_kernelINS0_14default_configENS1_20scan_config_selectorIfEEZZNS1_9scan_implILNS1_25lookback_scan_determinismE0ELb0ELb0ES3_PKfPffZZZN2at6native31launch_logcumsumexp_cuda_kernelERKNSB_10TensorBaseESF_lENKUlvE_clEvENKUlvE0_clEvEUlffE_fEEDaPvRmT3_T4_T5_mT6_P12ihipStream_tbENKUlT_T0_E_clISt17integral_constantIbLb0EESW_EEDaSR_SS_EUlSR_E0_NS1_11comp_targetILNS1_3genE9ELNS1_11target_archE1100ELNS1_3gpuE3ELNS1_3repE0EEENS1_30default_config_static_selectorELNS0_4arch9wavefront6targetE0EEEvT1_.private_seg_size, 0
	.set _ZN7rocprim17ROCPRIM_400000_NS6detail17trampoline_kernelINS0_14default_configENS1_20scan_config_selectorIfEEZZNS1_9scan_implILNS1_25lookback_scan_determinismE0ELb0ELb0ES3_PKfPffZZZN2at6native31launch_logcumsumexp_cuda_kernelERKNSB_10TensorBaseESF_lENKUlvE_clEvENKUlvE0_clEvEUlffE_fEEDaPvRmT3_T4_T5_mT6_P12ihipStream_tbENKUlT_T0_E_clISt17integral_constantIbLb0EESW_EEDaSR_SS_EUlSR_E0_NS1_11comp_targetILNS1_3genE9ELNS1_11target_archE1100ELNS1_3gpuE3ELNS1_3repE0EEENS1_30default_config_static_selectorELNS0_4arch9wavefront6targetE0EEEvT1_.uses_vcc, 0
	.set _ZN7rocprim17ROCPRIM_400000_NS6detail17trampoline_kernelINS0_14default_configENS1_20scan_config_selectorIfEEZZNS1_9scan_implILNS1_25lookback_scan_determinismE0ELb0ELb0ES3_PKfPffZZZN2at6native31launch_logcumsumexp_cuda_kernelERKNSB_10TensorBaseESF_lENKUlvE_clEvENKUlvE0_clEvEUlffE_fEEDaPvRmT3_T4_T5_mT6_P12ihipStream_tbENKUlT_T0_E_clISt17integral_constantIbLb0EESW_EEDaSR_SS_EUlSR_E0_NS1_11comp_targetILNS1_3genE9ELNS1_11target_archE1100ELNS1_3gpuE3ELNS1_3repE0EEENS1_30default_config_static_selectorELNS0_4arch9wavefront6targetE0EEEvT1_.uses_flat_scratch, 0
	.set _ZN7rocprim17ROCPRIM_400000_NS6detail17trampoline_kernelINS0_14default_configENS1_20scan_config_selectorIfEEZZNS1_9scan_implILNS1_25lookback_scan_determinismE0ELb0ELb0ES3_PKfPffZZZN2at6native31launch_logcumsumexp_cuda_kernelERKNSB_10TensorBaseESF_lENKUlvE_clEvENKUlvE0_clEvEUlffE_fEEDaPvRmT3_T4_T5_mT6_P12ihipStream_tbENKUlT_T0_E_clISt17integral_constantIbLb0EESW_EEDaSR_SS_EUlSR_E0_NS1_11comp_targetILNS1_3genE9ELNS1_11target_archE1100ELNS1_3gpuE3ELNS1_3repE0EEENS1_30default_config_static_selectorELNS0_4arch9wavefront6targetE0EEEvT1_.has_dyn_sized_stack, 0
	.set _ZN7rocprim17ROCPRIM_400000_NS6detail17trampoline_kernelINS0_14default_configENS1_20scan_config_selectorIfEEZZNS1_9scan_implILNS1_25lookback_scan_determinismE0ELb0ELb0ES3_PKfPffZZZN2at6native31launch_logcumsumexp_cuda_kernelERKNSB_10TensorBaseESF_lENKUlvE_clEvENKUlvE0_clEvEUlffE_fEEDaPvRmT3_T4_T5_mT6_P12ihipStream_tbENKUlT_T0_E_clISt17integral_constantIbLb0EESW_EEDaSR_SS_EUlSR_E0_NS1_11comp_targetILNS1_3genE9ELNS1_11target_archE1100ELNS1_3gpuE3ELNS1_3repE0EEENS1_30default_config_static_selectorELNS0_4arch9wavefront6targetE0EEEvT1_.has_recursion, 0
	.set _ZN7rocprim17ROCPRIM_400000_NS6detail17trampoline_kernelINS0_14default_configENS1_20scan_config_selectorIfEEZZNS1_9scan_implILNS1_25lookback_scan_determinismE0ELb0ELb0ES3_PKfPffZZZN2at6native31launch_logcumsumexp_cuda_kernelERKNSB_10TensorBaseESF_lENKUlvE_clEvENKUlvE0_clEvEUlffE_fEEDaPvRmT3_T4_T5_mT6_P12ihipStream_tbENKUlT_T0_E_clISt17integral_constantIbLb0EESW_EEDaSR_SS_EUlSR_E0_NS1_11comp_targetILNS1_3genE9ELNS1_11target_archE1100ELNS1_3gpuE3ELNS1_3repE0EEENS1_30default_config_static_selectorELNS0_4arch9wavefront6targetE0EEEvT1_.has_indirect_call, 0
	.section	.AMDGPU.csdata,"",@progbits
; Kernel info:
; codeLenInByte = 0
; TotalNumSgprs: 0
; NumVgprs: 0
; ScratchSize: 0
; MemoryBound: 0
; FloatMode: 240
; IeeeMode: 1
; LDSByteSize: 0 bytes/workgroup (compile time only)
; SGPRBlocks: 0
; VGPRBlocks: 0
; NumSGPRsForWavesPerEU: 1
; NumVGPRsForWavesPerEU: 1
; Occupancy: 16
; WaveLimiterHint : 0
; COMPUTE_PGM_RSRC2:SCRATCH_EN: 0
; COMPUTE_PGM_RSRC2:USER_SGPR: 6
; COMPUTE_PGM_RSRC2:TRAP_HANDLER: 0
; COMPUTE_PGM_RSRC2:TGID_X_EN: 1
; COMPUTE_PGM_RSRC2:TGID_Y_EN: 0
; COMPUTE_PGM_RSRC2:TGID_Z_EN: 0
; COMPUTE_PGM_RSRC2:TIDIG_COMP_CNT: 0
	.section	.text._ZN7rocprim17ROCPRIM_400000_NS6detail17trampoline_kernelINS0_14default_configENS1_20scan_config_selectorIfEEZZNS1_9scan_implILNS1_25lookback_scan_determinismE0ELb0ELb0ES3_PKfPffZZZN2at6native31launch_logcumsumexp_cuda_kernelERKNSB_10TensorBaseESF_lENKUlvE_clEvENKUlvE0_clEvEUlffE_fEEDaPvRmT3_T4_T5_mT6_P12ihipStream_tbENKUlT_T0_E_clISt17integral_constantIbLb0EESW_EEDaSR_SS_EUlSR_E0_NS1_11comp_targetILNS1_3genE8ELNS1_11target_archE1030ELNS1_3gpuE2ELNS1_3repE0EEENS1_30default_config_static_selectorELNS0_4arch9wavefront6targetE0EEEvT1_,"axG",@progbits,_ZN7rocprim17ROCPRIM_400000_NS6detail17trampoline_kernelINS0_14default_configENS1_20scan_config_selectorIfEEZZNS1_9scan_implILNS1_25lookback_scan_determinismE0ELb0ELb0ES3_PKfPffZZZN2at6native31launch_logcumsumexp_cuda_kernelERKNSB_10TensorBaseESF_lENKUlvE_clEvENKUlvE0_clEvEUlffE_fEEDaPvRmT3_T4_T5_mT6_P12ihipStream_tbENKUlT_T0_E_clISt17integral_constantIbLb0EESW_EEDaSR_SS_EUlSR_E0_NS1_11comp_targetILNS1_3genE8ELNS1_11target_archE1030ELNS1_3gpuE2ELNS1_3repE0EEENS1_30default_config_static_selectorELNS0_4arch9wavefront6targetE0EEEvT1_,comdat
	.globl	_ZN7rocprim17ROCPRIM_400000_NS6detail17trampoline_kernelINS0_14default_configENS1_20scan_config_selectorIfEEZZNS1_9scan_implILNS1_25lookback_scan_determinismE0ELb0ELb0ES3_PKfPffZZZN2at6native31launch_logcumsumexp_cuda_kernelERKNSB_10TensorBaseESF_lENKUlvE_clEvENKUlvE0_clEvEUlffE_fEEDaPvRmT3_T4_T5_mT6_P12ihipStream_tbENKUlT_T0_E_clISt17integral_constantIbLb0EESW_EEDaSR_SS_EUlSR_E0_NS1_11comp_targetILNS1_3genE8ELNS1_11target_archE1030ELNS1_3gpuE2ELNS1_3repE0EEENS1_30default_config_static_selectorELNS0_4arch9wavefront6targetE0EEEvT1_ ; -- Begin function _ZN7rocprim17ROCPRIM_400000_NS6detail17trampoline_kernelINS0_14default_configENS1_20scan_config_selectorIfEEZZNS1_9scan_implILNS1_25lookback_scan_determinismE0ELb0ELb0ES3_PKfPffZZZN2at6native31launch_logcumsumexp_cuda_kernelERKNSB_10TensorBaseESF_lENKUlvE_clEvENKUlvE0_clEvEUlffE_fEEDaPvRmT3_T4_T5_mT6_P12ihipStream_tbENKUlT_T0_E_clISt17integral_constantIbLb0EESW_EEDaSR_SS_EUlSR_E0_NS1_11comp_targetILNS1_3genE8ELNS1_11target_archE1030ELNS1_3gpuE2ELNS1_3repE0EEENS1_30default_config_static_selectorELNS0_4arch9wavefront6targetE0EEEvT1_
	.p2align	8
	.type	_ZN7rocprim17ROCPRIM_400000_NS6detail17trampoline_kernelINS0_14default_configENS1_20scan_config_selectorIfEEZZNS1_9scan_implILNS1_25lookback_scan_determinismE0ELb0ELb0ES3_PKfPffZZZN2at6native31launch_logcumsumexp_cuda_kernelERKNSB_10TensorBaseESF_lENKUlvE_clEvENKUlvE0_clEvEUlffE_fEEDaPvRmT3_T4_T5_mT6_P12ihipStream_tbENKUlT_T0_E_clISt17integral_constantIbLb0EESW_EEDaSR_SS_EUlSR_E0_NS1_11comp_targetILNS1_3genE8ELNS1_11target_archE1030ELNS1_3gpuE2ELNS1_3repE0EEENS1_30default_config_static_selectorELNS0_4arch9wavefront6targetE0EEEvT1_,@function
_ZN7rocprim17ROCPRIM_400000_NS6detail17trampoline_kernelINS0_14default_configENS1_20scan_config_selectorIfEEZZNS1_9scan_implILNS1_25lookback_scan_determinismE0ELb0ELb0ES3_PKfPffZZZN2at6native31launch_logcumsumexp_cuda_kernelERKNSB_10TensorBaseESF_lENKUlvE_clEvENKUlvE0_clEvEUlffE_fEEDaPvRmT3_T4_T5_mT6_P12ihipStream_tbENKUlT_T0_E_clISt17integral_constantIbLb0EESW_EEDaSR_SS_EUlSR_E0_NS1_11comp_targetILNS1_3genE8ELNS1_11target_archE1030ELNS1_3gpuE2ELNS1_3repE0EEENS1_30default_config_static_selectorELNS0_4arch9wavefront6targetE0EEEvT1_: ; @_ZN7rocprim17ROCPRIM_400000_NS6detail17trampoline_kernelINS0_14default_configENS1_20scan_config_selectorIfEEZZNS1_9scan_implILNS1_25lookback_scan_determinismE0ELb0ELb0ES3_PKfPffZZZN2at6native31launch_logcumsumexp_cuda_kernelERKNSB_10TensorBaseESF_lENKUlvE_clEvENKUlvE0_clEvEUlffE_fEEDaPvRmT3_T4_T5_mT6_P12ihipStream_tbENKUlT_T0_E_clISt17integral_constantIbLb0EESW_EEDaSR_SS_EUlSR_E0_NS1_11comp_targetILNS1_3genE8ELNS1_11target_archE1030ELNS1_3gpuE2ELNS1_3repE0EEENS1_30default_config_static_selectorELNS0_4arch9wavefront6targetE0EEEvT1_
; %bb.0:
	s_load_dwordx4 s[16:19], s[4:5], 0x0
	v_lshlrev_b32_e32 v7, 2, v0
	s_waitcnt lgkmcnt(0)
	s_load_dword s8, s[16:17], 0x0
	v_cmp_gt_u32_e32 vcc_lo, s18, v0
	s_waitcnt lgkmcnt(0)
	s_mov_b32 s9, s8
	s_mov_b32 s10, s8
	;; [unrolled: 1-line block ×4, first 2 shown]
	v_mov_b32_e32 v1, s8
	v_mov_b32_e32 v6, s8
	;; [unrolled: 1-line block ×6, first 2 shown]
	s_and_saveexec_b32 s0, vcc_lo
	s_cbranch_execz .LBB113_2
; %bb.1:
	global_load_dword v6, v7, s[16:17]
	v_mov_b32_e32 v1, s8
	v_mov_b32_e32 v2, s9
	;; [unrolled: 1-line block ×5, first 2 shown]
.LBB113_2:
	s_or_b32 exec_lo, exec_lo, s0
	v_or_b32_e32 v1, 64, v0
	v_cmp_gt_u32_e64 s0, s18, v1
	s_and_saveexec_b32 s1, s0
	s_cbranch_execz .LBB113_4
; %bb.3:
	global_load_dword v2, v7, s[16:17] offset:256
.LBB113_4:
	s_or_b32 exec_lo, exec_lo, s1
	v_or_b32_e32 v1, 0x80, v0
	v_cmp_gt_u32_e64 s1, s18, v1
	s_and_saveexec_b32 s2, s1
	s_cbranch_execz .LBB113_6
; %bb.5:
	global_load_dword v3, v7, s[16:17] offset:512
.LBB113_6:
	;; [unrolled: 8-line block ×3, first 2 shown]
	s_or_b32 exec_lo, exec_lo, s3
	v_or_b32_e32 v1, 0x100, v0
	v_cmp_gt_u32_e64 s3, s18, v1
	v_cmp_le_u32_e64 s6, s18, v1
	s_and_saveexec_b32 s7, s6
	s_xor_b32 s6, exec_lo, s7
	s_andn2_saveexec_b32 s6, s6
	s_cbranch_execz .LBB113_10
; %bb.9:
	v_lshlrev_b32_e32 v1, 2, v0
	global_load_dword v5, v1, s[16:17] offset:1024
.LBB113_10:
	s_or_b32 exec_lo, exec_lo, s6
	v_lshlrev_b32_e32 v1, 4, v0
	s_waitcnt vmcnt(0)
	ds_write2st64_b32 v7, v6, v2 offset1:1
	ds_write2st64_b32 v7, v3, v4 offset0:2 offset1:3
	ds_write_b32 v7, v5 offset:1024
	s_waitcnt lgkmcnt(0)
	s_barrier
	v_add_nc_u32_e32 v8, v7, v1
	buffer_gl0_inv
	ds_read2_b32 v[1:2], v8 offset1:1
	ds_read2_b32 v[3:4], v8 offset0:2 offset1:3
	ds_read_b32 v9, v8 offset:16
	s_waitcnt lgkmcnt(0)
	s_barrier
	buffer_gl0_inv
	v_max_f32_e32 v13, v2, v2
	v_max_f32_e32 v15, v1, v1
	v_cmp_u_f32_e64 s10, v1, v1
	v_cmp_u_f32_e64 s6, v2, v2
	v_mov_b32_e32 v18, v1
	v_min_f32_e32 v14, v15, v13
	v_max_f32_e32 v16, v15, v13
	v_cndmask_b32_e64 v5, v14, v1, s10
	v_cndmask_b32_e64 v10, v16, v1, s10
	;; [unrolled: 1-line block ×4, first 2 shown]
	v_cmp_class_f32_e64 s8, v6, 0x1f8
	v_cmp_neq_f32_e64 s7, v6, v5
	s_or_b32 s7, s7, s8
	s_and_saveexec_b32 s8, s7
	s_cbranch_execz .LBB113_12
; %bb.11:
	v_sub_f32_e32 v6, v6, v5
	v_mul_f32_e32 v10, 0x3fb8aa3b, v6
	v_cmp_ngt_f32_e64 s7, 0xc2ce8ed0, v6
	v_fma_f32 v11, 0x3fb8aa3b, v6, -v10
	v_rndne_f32_e32 v12, v10
	v_fmamk_f32 v11, v6, 0x32a5705f, v11
	v_sub_f32_e32 v10, v10, v12
	v_add_f32_e32 v10, v10, v11
	v_cvt_i32_f32_e32 v11, v12
	v_exp_f32_e32 v10, v10
	v_ldexp_f32 v10, v10, v11
	v_cndmask_b32_e64 v10, 0, v10, s7
	v_cmp_nlt_f32_e64 s7, 0x42b17218, v6
	v_cndmask_b32_e64 v6, 0x7f800000, v10, s7
	v_add_f32_e32 v12, 1.0, v6
	v_cvt_f64_f32_e32 v[10:11], v12
	v_frexp_exp_i32_f64_e32 v10, v[10:11]
	v_frexp_mant_f32_e32 v11, v12
	v_cmp_gt_f32_e64 s7, 0x3f2aaaab, v11
	v_add_f32_e32 v11, -1.0, v12
	v_sub_f32_e32 v18, v11, v12
	v_sub_f32_e32 v11, v6, v11
	v_add_f32_e32 v18, 1.0, v18
	v_add_f32_e32 v11, v11, v18
	v_subrev_co_ci_u32_e64 v10, null, 0, v10, s7
	s_mov_b32 s7, 0x3e9b6dac
	v_sub_nc_u32_e32 v17, 0, v10
	v_cvt_f32_i32_e32 v10, v10
	v_ldexp_f32 v12, v12, v17
	v_ldexp_f32 v11, v11, v17
	v_add_f32_e32 v19, 1.0, v12
	v_add_f32_e32 v17, -1.0, v12
	v_add_f32_e32 v18, -1.0, v19
	v_add_f32_e32 v20, 1.0, v17
	v_sub_f32_e32 v18, v12, v18
	v_sub_f32_e32 v12, v12, v20
	v_add_f32_e32 v18, v11, v18
	v_add_f32_e32 v11, v11, v12
	;; [unrolled: 1-line block ×4, first 2 shown]
	v_rcp_f32_e32 v12, v20
	v_sub_f32_e32 v19, v19, v20
	v_sub_f32_e32 v17, v17, v21
	v_add_f32_e32 v18, v18, v19
	v_add_f32_e32 v11, v11, v17
	v_mul_f32_e32 v22, v21, v12
	v_mul_f32_e32 v23, v20, v22
	v_fma_f32 v19, v22, v20, -v23
	v_fmac_f32_e32 v19, v22, v18
	v_add_f32_e32 v24, v23, v19
	v_sub_f32_e32 v25, v21, v24
	v_sub_f32_e32 v17, v24, v23
	;; [unrolled: 1-line block ×5, first 2 shown]
	v_add_f32_e32 v11, v11, v21
	v_add_f32_e32 v11, v17, v11
	;; [unrolled: 1-line block ×3, first 2 shown]
	v_mul_f32_e32 v19, v12, v17
	v_sub_f32_e32 v24, v25, v17
	v_mul_f32_e32 v21, v20, v19
	v_add_f32_e32 v11, v11, v24
	v_fma_f32 v20, v19, v20, -v21
	v_fmac_f32_e32 v20, v19, v18
	v_add_f32_e32 v18, v21, v20
	v_sub_f32_e32 v23, v17, v18
	v_sub_f32_e32 v21, v18, v21
	;; [unrolled: 1-line block ×5, first 2 shown]
	v_add_f32_e32 v11, v11, v17
	v_add_f32_e32 v17, v22, v19
	v_add_f32_e32 v11, v18, v11
	v_sub_f32_e32 v18, v17, v22
	v_add_f32_e32 v11, v23, v11
	v_sub_f32_e32 v18, v19, v18
	v_mul_f32_e32 v11, v12, v11
	v_add_f32_e32 v11, v18, v11
	v_add_f32_e32 v12, v17, v11
	v_mul_f32_e32 v18, v12, v12
	v_fmaak_f32 v19, s7, v18, 0x3ecc95a3
	v_mul_f32_e32 v20, v12, v18
	v_cmp_neq_f32_e64 s7, 0x7f800000, v6
	v_fmaak_f32 v18, v18, v19, 0x3f2aaada
	v_ldexp_f32 v19, v12, 1
	v_sub_f32_e32 v12, v12, v17
	v_mul_f32_e32 v18, v20, v18
	v_mul_f32_e32 v20, 0x3f317218, v10
	v_sub_f32_e32 v11, v11, v12
	v_add_f32_e32 v17, v19, v18
	v_ldexp_f32 v11, v11, 1
	v_sub_f32_e32 v12, v17, v19
	v_fma_f32 v19, 0x3f317218, v10, -v20
	v_sub_f32_e32 v12, v18, v12
	v_fmamk_f32 v10, v10, 0xb102e308, v19
	v_add_f32_e32 v11, v11, v12
	v_add_f32_e32 v12, v20, v10
	;; [unrolled: 1-line block ×3, first 2 shown]
	v_sub_f32_e32 v20, v12, v20
	v_add_f32_e32 v19, v12, v18
	v_sub_f32_e32 v17, v18, v17
	v_sub_f32_e32 v10, v10, v20
	;; [unrolled: 1-line block ×6, first 2 shown]
	v_add_f32_e32 v18, v10, v11
	v_sub_f32_e32 v12, v12, v22
	v_add_f32_e32 v12, v17, v12
	v_sub_f32_e32 v17, v18, v10
	;; [unrolled: 2-line block ×3, first 2 shown]
	v_sub_f32_e32 v11, v11, v17
	v_add_f32_e32 v20, v19, v12
	v_sub_f32_e32 v10, v10, v18
	v_sub_f32_e32 v17, v20, v19
	v_add_f32_e32 v10, v11, v10
	v_sub_f32_e32 v11, v12, v17
	v_add_f32_e32 v10, v10, v11
	v_add_f32_e32 v10, v20, v10
	v_cndmask_b32_e64 v10, 0x7f800000, v10, s7
	v_cmp_gt_f32_e64 s7, 0x33800000, |v6|
	v_cndmask_b32_e64 v6, v10, v6, s7
	v_add_f32_e32 v18, v5, v6
.LBB113_12:
	s_or_b32 exec_lo, exec_lo, s8
	v_max_f32_e32 v5, v18, v18
	v_max_f32_e32 v10, v3, v3
	v_cmp_u_f32_e64 s7, v18, v18
	v_min_f32_e32 v6, v5, v10
	v_max_f32_e32 v5, v5, v10
	v_cndmask_b32_e64 v6, v6, v18, s7
	v_cndmask_b32_e64 v5, v5, v18, s7
	v_cmp_u_f32_e64 s7, v3, v3
	v_cndmask_b32_e64 v6, v6, v3, s7
	v_cndmask_b32_e64 v5, v5, v3, s7
	v_cmp_class_f32_e64 s9, v6, 0x1f8
	v_cmp_neq_f32_e64 s8, v6, v5
	s_or_b32 s8, s8, s9
	s_and_saveexec_b32 s9, s8
	s_cbranch_execz .LBB113_14
; %bb.13:
	v_sub_f32_e32 v6, v6, v5
	v_mul_f32_e32 v11, 0x3fb8aa3b, v6
	v_cmp_ngt_f32_e64 s8, 0xc2ce8ed0, v6
	v_fma_f32 v12, 0x3fb8aa3b, v6, -v11
	v_rndne_f32_e32 v17, v11
	v_fmamk_f32 v12, v6, 0x32a5705f, v12
	v_sub_f32_e32 v11, v11, v17
	v_add_f32_e32 v11, v11, v12
	v_cvt_i32_f32_e32 v12, v17
	v_exp_f32_e32 v11, v11
	v_ldexp_f32 v11, v11, v12
	v_cndmask_b32_e64 v11, 0, v11, s8
	v_cmp_nlt_f32_e64 s8, 0x42b17218, v6
	v_cndmask_b32_e64 v6, 0x7f800000, v11, s8
	v_add_f32_e32 v17, 1.0, v6
	v_cvt_f64_f32_e32 v[11:12], v17
	v_frexp_exp_i32_f64_e32 v11, v[11:12]
	v_frexp_mant_f32_e32 v12, v17
	v_cmp_gt_f32_e64 s8, 0x3f2aaaab, v12
	v_add_f32_e32 v12, -1.0, v17
	v_sub_f32_e32 v19, v12, v17
	v_sub_f32_e32 v12, v6, v12
	v_add_f32_e32 v19, 1.0, v19
	v_add_f32_e32 v12, v12, v19
	v_subrev_co_ci_u32_e64 v11, null, 0, v11, s8
	s_mov_b32 s8, 0x3e9b6dac
	v_sub_nc_u32_e32 v18, 0, v11
	v_cvt_f32_i32_e32 v11, v11
	v_ldexp_f32 v17, v17, v18
	v_ldexp_f32 v12, v12, v18
	v_add_f32_e32 v20, 1.0, v17
	v_add_f32_e32 v18, -1.0, v17
	v_add_f32_e32 v19, -1.0, v20
	v_add_f32_e32 v21, 1.0, v18
	v_sub_f32_e32 v19, v17, v19
	v_sub_f32_e32 v17, v17, v21
	v_add_f32_e32 v19, v12, v19
	v_add_f32_e32 v12, v12, v17
	;; [unrolled: 1-line block ×4, first 2 shown]
	v_rcp_f32_e32 v17, v21
	v_sub_f32_e32 v20, v20, v21
	v_sub_f32_e32 v18, v18, v22
	v_add_f32_e32 v19, v19, v20
	v_add_f32_e32 v12, v12, v18
	v_mul_f32_e32 v23, v22, v17
	v_mul_f32_e32 v24, v21, v23
	v_fma_f32 v20, v23, v21, -v24
	v_fmac_f32_e32 v20, v23, v19
	v_add_f32_e32 v25, v24, v20
	v_sub_f32_e32 v26, v22, v25
	v_sub_f32_e32 v18, v25, v24
	;; [unrolled: 1-line block ×5, first 2 shown]
	v_add_f32_e32 v12, v12, v22
	v_add_f32_e32 v12, v18, v12
	;; [unrolled: 1-line block ×3, first 2 shown]
	v_mul_f32_e32 v20, v17, v18
	v_sub_f32_e32 v25, v26, v18
	v_mul_f32_e32 v22, v21, v20
	v_add_f32_e32 v12, v12, v25
	v_fma_f32 v21, v20, v21, -v22
	v_fmac_f32_e32 v21, v20, v19
	v_add_f32_e32 v19, v22, v21
	v_sub_f32_e32 v24, v18, v19
	v_sub_f32_e32 v22, v19, v22
	;; [unrolled: 1-line block ×5, first 2 shown]
	v_add_f32_e32 v12, v12, v18
	v_add_f32_e32 v18, v23, v20
	;; [unrolled: 1-line block ×3, first 2 shown]
	v_sub_f32_e32 v19, v18, v23
	v_add_f32_e32 v12, v24, v12
	v_sub_f32_e32 v19, v20, v19
	v_mul_f32_e32 v12, v17, v12
	v_add_f32_e32 v12, v19, v12
	v_add_f32_e32 v17, v18, v12
	v_mul_f32_e32 v19, v17, v17
	v_fmaak_f32 v20, s8, v19, 0x3ecc95a3
	v_mul_f32_e32 v21, v17, v19
	v_cmp_neq_f32_e64 s8, 0x7f800000, v6
	v_fmaak_f32 v19, v19, v20, 0x3f2aaada
	v_ldexp_f32 v20, v17, 1
	v_sub_f32_e32 v17, v17, v18
	v_mul_f32_e32 v19, v21, v19
	v_mul_f32_e32 v21, 0x3f317218, v11
	v_sub_f32_e32 v12, v12, v17
	v_add_f32_e32 v18, v20, v19
	v_ldexp_f32 v12, v12, 1
	v_sub_f32_e32 v17, v18, v20
	v_fma_f32 v20, 0x3f317218, v11, -v21
	v_sub_f32_e32 v17, v19, v17
	v_fmamk_f32 v11, v11, 0xb102e308, v20
	v_add_f32_e32 v12, v12, v17
	v_add_f32_e32 v17, v21, v11
	;; [unrolled: 1-line block ×3, first 2 shown]
	v_sub_f32_e32 v21, v17, v21
	v_add_f32_e32 v20, v17, v19
	v_sub_f32_e32 v18, v19, v18
	v_sub_f32_e32 v11, v11, v21
	;; [unrolled: 1-line block ×6, first 2 shown]
	v_add_f32_e32 v19, v11, v12
	v_sub_f32_e32 v17, v17, v23
	v_add_f32_e32 v17, v18, v17
	v_sub_f32_e32 v18, v19, v11
	;; [unrolled: 2-line block ×3, first 2 shown]
	v_sub_f32_e32 v12, v12, v18
	v_add_f32_e32 v21, v20, v17
	v_sub_f32_e32 v11, v11, v19
	v_sub_f32_e32 v18, v21, v20
	v_add_f32_e32 v11, v12, v11
	v_sub_f32_e32 v12, v17, v18
	v_add_f32_e32 v11, v11, v12
	v_add_f32_e32 v11, v21, v11
	v_cndmask_b32_e64 v11, 0x7f800000, v11, s8
	v_cmp_gt_f32_e64 s8, 0x33800000, |v6|
	v_cndmask_b32_e64 v6, v11, v6, s8
	v_add_f32_e32 v18, v5, v6
.LBB113_14:
	s_or_b32 exec_lo, exec_lo, s9
	v_max_f32_e32 v5, v18, v18
	v_max_f32_e32 v11, v4, v4
	v_cmp_u_f32_e64 s8, v18, v18
	v_min_f32_e32 v6, v5, v11
	v_max_f32_e32 v5, v5, v11
	v_cndmask_b32_e64 v6, v6, v18, s8
	v_cndmask_b32_e64 v5, v5, v18, s8
	v_cmp_u_f32_e64 s8, v4, v4
	v_cndmask_b32_e64 v6, v6, v4, s8
	v_cndmask_b32_e64 v5, v5, v4, s8
	v_cmp_class_f32_e64 s11, v6, 0x1f8
	v_cmp_neq_f32_e64 s9, v6, v5
	s_or_b32 s9, s9, s11
	s_and_saveexec_b32 s11, s9
	s_cbranch_execz .LBB113_16
; %bb.15:
	v_sub_f32_e32 v6, v6, v5
	v_mul_f32_e32 v12, 0x3fb8aa3b, v6
	v_cmp_ngt_f32_e64 s9, 0xc2ce8ed0, v6
	v_fma_f32 v17, 0x3fb8aa3b, v6, -v12
	v_rndne_f32_e32 v18, v12
	v_fmamk_f32 v17, v6, 0x32a5705f, v17
	v_sub_f32_e32 v12, v12, v18
	v_add_f32_e32 v12, v12, v17
	v_cvt_i32_f32_e32 v17, v18
	v_exp_f32_e32 v12, v12
	v_ldexp_f32 v12, v12, v17
	v_cndmask_b32_e64 v12, 0, v12, s9
	v_cmp_nlt_f32_e64 s9, 0x42b17218, v6
	v_cndmask_b32_e64 v6, 0x7f800000, v12, s9
	v_add_f32_e32 v12, 1.0, v6
	v_cvt_f64_f32_e32 v[17:18], v12
	v_frexp_exp_i32_f64_e32 v17, v[17:18]
	v_frexp_mant_f32_e32 v18, v12
	v_cmp_gt_f32_e64 s9, 0x3f2aaaab, v18
	v_add_f32_e32 v18, -1.0, v12
	v_sub_f32_e32 v20, v18, v12
	v_sub_f32_e32 v18, v6, v18
	v_add_f32_e32 v20, 1.0, v20
	v_add_f32_e32 v18, v18, v20
	v_subrev_co_ci_u32_e64 v17, null, 0, v17, s9
	s_mov_b32 s9, 0x3e9b6dac
	v_sub_nc_u32_e32 v19, 0, v17
	v_cvt_f32_i32_e32 v17, v17
	v_ldexp_f32 v12, v12, v19
	v_ldexp_f32 v18, v18, v19
	v_add_f32_e32 v21, 1.0, v12
	v_add_f32_e32 v19, -1.0, v12
	v_add_f32_e32 v20, -1.0, v21
	v_add_f32_e32 v22, 1.0, v19
	v_sub_f32_e32 v20, v12, v20
	v_sub_f32_e32 v12, v12, v22
	v_add_f32_e32 v20, v18, v20
	v_add_f32_e32 v12, v18, v12
	;; [unrolled: 1-line block ×4, first 2 shown]
	v_rcp_f32_e32 v18, v22
	v_sub_f32_e32 v21, v21, v22
	v_sub_f32_e32 v19, v19, v23
	v_add_f32_e32 v20, v20, v21
	v_add_f32_e32 v12, v12, v19
	v_mul_f32_e32 v24, v23, v18
	v_mul_f32_e32 v25, v22, v24
	v_fma_f32 v21, v24, v22, -v25
	v_fmac_f32_e32 v21, v24, v20
	v_add_f32_e32 v26, v25, v21
	v_sub_f32_e32 v27, v23, v26
	v_sub_f32_e32 v19, v26, v25
	;; [unrolled: 1-line block ×5, first 2 shown]
	v_add_f32_e32 v12, v12, v23
	v_add_f32_e32 v12, v19, v12
	;; [unrolled: 1-line block ×3, first 2 shown]
	v_mul_f32_e32 v21, v18, v19
	v_sub_f32_e32 v26, v27, v19
	v_mul_f32_e32 v23, v22, v21
	v_add_f32_e32 v12, v12, v26
	v_fma_f32 v22, v21, v22, -v23
	v_fmac_f32_e32 v22, v21, v20
	v_add_f32_e32 v20, v23, v22
	v_sub_f32_e32 v25, v19, v20
	v_sub_f32_e32 v23, v20, v23
	;; [unrolled: 1-line block ×5, first 2 shown]
	v_add_f32_e32 v12, v12, v19
	v_add_f32_e32 v19, v24, v21
	;; [unrolled: 1-line block ×3, first 2 shown]
	v_sub_f32_e32 v20, v19, v24
	v_add_f32_e32 v12, v25, v12
	v_sub_f32_e32 v20, v21, v20
	v_mul_f32_e32 v12, v18, v12
	v_add_f32_e32 v12, v20, v12
	v_add_f32_e32 v18, v19, v12
	v_mul_f32_e32 v20, v18, v18
	v_fmaak_f32 v21, s9, v20, 0x3ecc95a3
	v_mul_f32_e32 v22, v18, v20
	v_cmp_neq_f32_e64 s9, 0x7f800000, v6
	v_fmaak_f32 v20, v20, v21, 0x3f2aaada
	v_ldexp_f32 v21, v18, 1
	v_sub_f32_e32 v18, v18, v19
	v_mul_f32_e32 v20, v22, v20
	v_mul_f32_e32 v22, 0x3f317218, v17
	v_sub_f32_e32 v12, v12, v18
	v_add_f32_e32 v19, v21, v20
	v_ldexp_f32 v12, v12, 1
	v_sub_f32_e32 v18, v19, v21
	v_fma_f32 v21, 0x3f317218, v17, -v22
	v_sub_f32_e32 v18, v20, v18
	v_fmamk_f32 v17, v17, 0xb102e308, v21
	v_add_f32_e32 v12, v12, v18
	v_add_f32_e32 v18, v22, v17
	;; [unrolled: 1-line block ×3, first 2 shown]
	v_sub_f32_e32 v22, v18, v22
	v_add_f32_e32 v21, v18, v20
	v_sub_f32_e32 v19, v20, v19
	v_sub_f32_e32 v17, v17, v22
	;; [unrolled: 1-line block ×6, first 2 shown]
	v_add_f32_e32 v20, v17, v12
	v_sub_f32_e32 v18, v18, v24
	v_add_f32_e32 v18, v19, v18
	v_sub_f32_e32 v19, v20, v17
	;; [unrolled: 2-line block ×3, first 2 shown]
	v_sub_f32_e32 v12, v12, v19
	v_add_f32_e32 v22, v21, v18
	v_sub_f32_e32 v17, v17, v20
	v_sub_f32_e32 v19, v22, v21
	v_add_f32_e32 v12, v12, v17
	v_sub_f32_e32 v17, v18, v19
	v_add_f32_e32 v12, v12, v17
	v_add_f32_e32 v12, v22, v12
	v_cndmask_b32_e64 v12, 0x7f800000, v12, s9
	v_cmp_gt_f32_e64 s9, 0x33800000, |v6|
	v_cndmask_b32_e64 v6, v12, v6, s9
	v_add_f32_e32 v18, v5, v6
.LBB113_16:
	s_or_b32 exec_lo, exec_lo, s11
	v_max_f32_e32 v12, v9, v9
	v_max_f32_e32 v5, v18, v18
	v_cmp_u_f32_e64 s9, v18, v18
	v_min_f32_e32 v6, v5, v12
	v_max_f32_e32 v5, v5, v12
	v_cndmask_b32_e64 v6, v6, v18, s9
	v_cndmask_b32_e64 v5, v5, v18, s9
	v_cmp_u_f32_e64 s9, v9, v9
	v_cndmask_b32_e64 v6, v6, v9, s9
	v_cndmask_b32_e64 v5, v5, v9, s9
	v_cmp_class_f32_e64 s12, v6, 0x1f8
	v_cmp_neq_f32_e64 s11, v6, v5
	s_or_b32 s11, s11, s12
	s_and_saveexec_b32 s12, s11
	s_cbranch_execz .LBB113_18
; %bb.17:
	v_sub_f32_e32 v6, v6, v5
	v_mul_f32_e32 v17, 0x3fb8aa3b, v6
	v_cmp_ngt_f32_e64 s11, 0xc2ce8ed0, v6
	v_fma_f32 v18, 0x3fb8aa3b, v6, -v17
	v_rndne_f32_e32 v19, v17
	v_fmamk_f32 v18, v6, 0x32a5705f, v18
	v_sub_f32_e32 v17, v17, v19
	v_add_f32_e32 v17, v17, v18
	v_cvt_i32_f32_e32 v18, v19
	v_exp_f32_e32 v17, v17
	v_ldexp_f32 v17, v17, v18
	v_cndmask_b32_e64 v17, 0, v17, s11
	v_cmp_nlt_f32_e64 s11, 0x42b17218, v6
	v_cndmask_b32_e64 v6, 0x7f800000, v17, s11
	v_add_f32_e32 v19, 1.0, v6
	v_cvt_f64_f32_e32 v[17:18], v19
	v_frexp_exp_i32_f64_e32 v17, v[17:18]
	v_frexp_mant_f32_e32 v18, v19
	v_cmp_gt_f32_e64 s11, 0x3f2aaaab, v18
	v_add_f32_e32 v18, -1.0, v19
	v_sub_f32_e32 v21, v18, v19
	v_sub_f32_e32 v18, v6, v18
	v_add_f32_e32 v21, 1.0, v21
	v_add_f32_e32 v18, v18, v21
	v_subrev_co_ci_u32_e64 v17, null, 0, v17, s11
	s_mov_b32 s11, 0x3e9b6dac
	v_sub_nc_u32_e32 v20, 0, v17
	v_cvt_f32_i32_e32 v17, v17
	v_ldexp_f32 v19, v19, v20
	v_ldexp_f32 v18, v18, v20
	v_add_f32_e32 v22, 1.0, v19
	v_add_f32_e32 v20, -1.0, v19
	v_add_f32_e32 v21, -1.0, v22
	v_add_f32_e32 v23, 1.0, v20
	v_sub_f32_e32 v21, v19, v21
	v_sub_f32_e32 v19, v19, v23
	v_add_f32_e32 v21, v18, v21
	v_add_f32_e32 v18, v18, v19
	;; [unrolled: 1-line block ×4, first 2 shown]
	v_rcp_f32_e32 v19, v23
	v_sub_f32_e32 v22, v22, v23
	v_sub_f32_e32 v20, v20, v24
	v_add_f32_e32 v21, v21, v22
	v_add_f32_e32 v18, v18, v20
	v_mul_f32_e32 v25, v24, v19
	v_mul_f32_e32 v26, v23, v25
	v_fma_f32 v22, v25, v23, -v26
	v_fmac_f32_e32 v22, v25, v21
	v_add_f32_e32 v27, v26, v22
	v_sub_f32_e32 v28, v24, v27
	v_sub_f32_e32 v20, v27, v26
	;; [unrolled: 1-line block ×5, first 2 shown]
	v_add_f32_e32 v18, v18, v24
	v_add_f32_e32 v18, v20, v18
	;; [unrolled: 1-line block ×3, first 2 shown]
	v_mul_f32_e32 v22, v19, v20
	v_sub_f32_e32 v27, v28, v20
	v_mul_f32_e32 v24, v23, v22
	v_add_f32_e32 v18, v18, v27
	v_fma_f32 v23, v22, v23, -v24
	v_fmac_f32_e32 v23, v22, v21
	v_add_f32_e32 v21, v24, v23
	v_sub_f32_e32 v26, v20, v21
	v_sub_f32_e32 v24, v21, v24
	;; [unrolled: 1-line block ×5, first 2 shown]
	v_add_f32_e32 v18, v18, v20
	v_add_f32_e32 v20, v25, v22
	;; [unrolled: 1-line block ×3, first 2 shown]
	v_sub_f32_e32 v21, v20, v25
	v_add_f32_e32 v18, v26, v18
	v_sub_f32_e32 v21, v22, v21
	v_mul_f32_e32 v18, v19, v18
	v_add_f32_e32 v18, v21, v18
	v_add_f32_e32 v19, v20, v18
	v_mul_f32_e32 v21, v19, v19
	v_fmaak_f32 v22, s11, v21, 0x3ecc95a3
	v_mul_f32_e32 v23, v19, v21
	v_cmp_neq_f32_e64 s11, 0x7f800000, v6
	v_fmaak_f32 v21, v21, v22, 0x3f2aaada
	v_ldexp_f32 v22, v19, 1
	v_sub_f32_e32 v19, v19, v20
	v_mul_f32_e32 v21, v23, v21
	v_mul_f32_e32 v23, 0x3f317218, v17
	v_sub_f32_e32 v18, v18, v19
	v_add_f32_e32 v20, v22, v21
	v_ldexp_f32 v18, v18, 1
	v_sub_f32_e32 v19, v20, v22
	v_fma_f32 v22, 0x3f317218, v17, -v23
	v_sub_f32_e32 v19, v21, v19
	v_fmamk_f32 v17, v17, 0xb102e308, v22
	v_add_f32_e32 v18, v18, v19
	v_add_f32_e32 v19, v23, v17
	;; [unrolled: 1-line block ×3, first 2 shown]
	v_sub_f32_e32 v23, v19, v23
	v_add_f32_e32 v22, v19, v21
	v_sub_f32_e32 v20, v21, v20
	v_sub_f32_e32 v17, v17, v23
	v_sub_f32_e32 v24, v22, v19
	v_sub_f32_e32 v18, v18, v20
	v_sub_f32_e32 v25, v22, v24
	v_sub_f32_e32 v20, v21, v24
	v_add_f32_e32 v21, v17, v18
	v_sub_f32_e32 v19, v19, v25
	v_add_f32_e32 v19, v20, v19
	v_sub_f32_e32 v20, v21, v17
	;; [unrolled: 2-line block ×3, first 2 shown]
	v_sub_f32_e32 v18, v18, v20
	v_add_f32_e32 v23, v22, v19
	v_sub_f32_e32 v17, v17, v21
	v_sub_f32_e32 v20, v23, v22
	v_add_f32_e32 v17, v18, v17
	v_sub_f32_e32 v18, v19, v20
	v_add_f32_e32 v17, v17, v18
	v_add_f32_e32 v17, v23, v17
	v_cndmask_b32_e64 v17, 0x7f800000, v17, s11
	v_cmp_gt_f32_e64 s11, 0x33800000, |v6|
	v_cndmask_b32_e64 v6, v17, v6, s11
	v_add_f32_e32 v18, v5, v6
.LBB113_18:
	s_or_b32 exec_lo, exec_lo, s12
	s_load_dwordx2 s[12:13], s[4:5], 0x18
	v_lshrrev_b32_e32 v5, 3, v0
	s_mov_b32 s11, exec_lo
	v_and_b32_e32 v5, 4, v5
	v_lshl_add_u32 v5, v0, 2, v5
	ds_write_b32 v5, v18
	s_waitcnt lgkmcnt(0)
	s_barrier
	buffer_gl0_inv
	v_cmpx_gt_u32_e32 32, v0
	s_cbranch_execz .LBB113_46
; %bb.19:
	v_lshrrev_b32_e32 v5, 2, v0
	v_lshlrev_b32_e32 v6, 3, v0
	v_and_b32_e32 v5, 12, v5
	v_add_nc_u32_e32 v17, v5, v6
	ds_read2_b32 v[5:6], v17 offset1:1
	s_waitcnt lgkmcnt(0)
	v_max_f32_e32 v20, v6, v6
	v_max_f32_e32 v19, v5, v5
	v_cmp_u_f32_e64 s4, v5, v5
	v_cmp_u_f32_e64 s5, v6, v6
	v_min_f32_e32 v21, v19, v20
	v_max_f32_e32 v20, v19, v20
	v_cndmask_b32_e64 v21, v21, v5, s4
	v_cndmask_b32_e64 v22, v20, v5, s4
	;; [unrolled: 1-line block ×4, first 2 shown]
	v_mov_b32_e32 v21, v5
	v_cmp_class_f32_e64 s14, v20, 0x1f8
	v_cmp_neq_f32_e64 s5, v20, v6
	s_or_b32 s5, s5, s14
	s_and_saveexec_b32 s14, s5
	s_cbranch_execz .LBB113_21
; %bb.20:
	v_sub_f32_e32 v20, v20, v6
	v_mul_f32_e32 v21, 0x3fb8aa3b, v20
	v_cmp_ngt_f32_e64 s5, 0xc2ce8ed0, v20
	v_fma_f32 v22, 0x3fb8aa3b, v20, -v21
	v_rndne_f32_e32 v23, v21
	v_fmamk_f32 v22, v20, 0x32a5705f, v22
	v_sub_f32_e32 v21, v21, v23
	v_add_f32_e32 v21, v21, v22
	v_cvt_i32_f32_e32 v22, v23
	v_exp_f32_e32 v21, v21
	v_ldexp_f32 v21, v21, v22
	v_cndmask_b32_e64 v21, 0, v21, s5
	v_cmp_nlt_f32_e64 s5, 0x42b17218, v20
	v_cndmask_b32_e64 v22, 0x7f800000, v21, s5
	v_add_f32_e32 v23, 1.0, v22
	v_cvt_f64_f32_e32 v[20:21], v23
	v_frexp_exp_i32_f64_e32 v20, v[20:21]
	v_frexp_mant_f32_e32 v21, v23
	v_cmp_gt_f32_e64 s5, 0x3f2aaaab, v21
	v_add_f32_e32 v21, -1.0, v23
	v_sub_f32_e32 v25, v21, v23
	v_sub_f32_e32 v21, v22, v21
	v_add_f32_e32 v25, 1.0, v25
	v_add_f32_e32 v21, v21, v25
	v_subrev_co_ci_u32_e64 v20, null, 0, v20, s5
	s_mov_b32 s5, 0x3e9b6dac
	v_sub_nc_u32_e32 v24, 0, v20
	v_cvt_f32_i32_e32 v20, v20
	v_ldexp_f32 v23, v23, v24
	v_ldexp_f32 v21, v21, v24
	v_add_f32_e32 v26, 1.0, v23
	v_add_f32_e32 v24, -1.0, v23
	v_add_f32_e32 v25, -1.0, v26
	v_add_f32_e32 v27, 1.0, v24
	v_sub_f32_e32 v25, v23, v25
	v_sub_f32_e32 v23, v23, v27
	v_add_f32_e32 v25, v21, v25
	v_add_f32_e32 v21, v21, v23
	v_add_f32_e32 v27, v26, v25
	v_add_f32_e32 v28, v24, v21
	v_rcp_f32_e32 v23, v27
	v_sub_f32_e32 v26, v26, v27
	v_sub_f32_e32 v24, v24, v28
	v_add_f32_e32 v25, v25, v26
	v_add_f32_e32 v21, v21, v24
	v_mul_f32_e32 v29, v28, v23
	v_mul_f32_e32 v30, v27, v29
	v_fma_f32 v26, v29, v27, -v30
	v_fmac_f32_e32 v26, v29, v25
	v_add_f32_e32 v31, v30, v26
	v_sub_f32_e32 v32, v28, v31
	v_sub_f32_e32 v24, v31, v30
	;; [unrolled: 1-line block ×5, first 2 shown]
	v_add_f32_e32 v21, v21, v28
	v_add_f32_e32 v21, v24, v21
	v_add_f32_e32 v24, v32, v21
	v_mul_f32_e32 v26, v23, v24
	v_sub_f32_e32 v31, v32, v24
	v_mul_f32_e32 v28, v27, v26
	v_add_f32_e32 v21, v21, v31
	v_fma_f32 v27, v26, v27, -v28
	v_fmac_f32_e32 v27, v26, v25
	v_add_f32_e32 v25, v28, v27
	v_sub_f32_e32 v30, v24, v25
	v_sub_f32_e32 v28, v25, v28
	v_sub_f32_e32 v24, v24, v30
	v_sub_f32_e32 v24, v24, v25
	v_sub_f32_e32 v25, v28, v27
	v_add_f32_e32 v21, v21, v24
	v_add_f32_e32 v24, v29, v26
	;; [unrolled: 1-line block ×3, first 2 shown]
	v_sub_f32_e32 v25, v24, v29
	v_add_f32_e32 v21, v30, v21
	v_sub_f32_e32 v25, v26, v25
	v_mul_f32_e32 v21, v23, v21
	v_add_f32_e32 v21, v25, v21
	v_add_f32_e32 v23, v24, v21
	v_mul_f32_e32 v25, v23, v23
	v_fmaak_f32 v26, s5, v25, 0x3ecc95a3
	v_mul_f32_e32 v27, v23, v25
	v_cmp_neq_f32_e64 s5, 0x7f800000, v22
	v_fmaak_f32 v25, v25, v26, 0x3f2aaada
	v_ldexp_f32 v26, v23, 1
	v_sub_f32_e32 v23, v23, v24
	v_mul_f32_e32 v25, v27, v25
	v_mul_f32_e32 v27, 0x3f317218, v20
	v_sub_f32_e32 v21, v21, v23
	v_add_f32_e32 v24, v26, v25
	v_ldexp_f32 v21, v21, 1
	v_sub_f32_e32 v23, v24, v26
	v_fma_f32 v26, 0x3f317218, v20, -v27
	v_sub_f32_e32 v23, v25, v23
	v_fmamk_f32 v20, v20, 0xb102e308, v26
	v_add_f32_e32 v21, v21, v23
	v_add_f32_e32 v23, v27, v20
	;; [unrolled: 1-line block ×3, first 2 shown]
	v_sub_f32_e32 v27, v23, v27
	v_add_f32_e32 v26, v23, v25
	v_sub_f32_e32 v24, v25, v24
	v_sub_f32_e32 v20, v20, v27
	;; [unrolled: 1-line block ×6, first 2 shown]
	v_add_f32_e32 v25, v20, v21
	v_sub_f32_e32 v23, v23, v29
	v_add_f32_e32 v23, v24, v23
	v_sub_f32_e32 v24, v25, v20
	;; [unrolled: 2-line block ×3, first 2 shown]
	v_sub_f32_e32 v21, v21, v24
	v_add_f32_e32 v27, v26, v23
	v_sub_f32_e32 v20, v20, v25
	v_sub_f32_e32 v24, v27, v26
	v_add_f32_e32 v20, v21, v20
	v_sub_f32_e32 v21, v23, v24
	v_add_f32_e32 v20, v20, v21
	v_add_f32_e32 v20, v27, v20
	v_cndmask_b32_e64 v20, 0x7f800000, v20, s5
	v_cmp_gt_f32_e64 s5, 0x33800000, |v22|
	v_cndmask_b32_e64 v20, v20, v22, s5
	v_add_f32_e32 v21, v6, v20
.LBB113_21:
	s_or_b32 exec_lo, exec_lo, s14
	v_mbcnt_lo_u32_b32 v6, -1, 0
	v_mov_b32_dpp v22, v21 row_shr:1 row_mask:0xf bank_mask:0xf
	s_mov_b32 s14, exec_lo
	v_and_b32_e32 v20, 15, v6
	v_cmpx_ne_u32_e32 0, v20
	s_xor_b32 s14, exec_lo, s14
	s_cbranch_execz .LBB113_25
; %bb.22:
	v_max_f32_e32 v23, v21, v21
	v_max_f32_e32 v24, v22, v22
	v_cmp_u_f32_e64 s5, v22, v22
	v_min_f32_e32 v25, v24, v23
	v_max_f32_e32 v23, v24, v23
	v_cndmask_b32_e64 v24, v25, v22, s5
	v_cndmask_b32_e64 v25, v23, v22, s5
	v_cmp_u_f32_e64 s5, v21, v21
	v_cndmask_b32_e64 v23, v24, v21, s5
	v_cndmask_b32_e64 v21, v25, v21, s5
	v_cmp_class_f32_e64 s15, v23, 0x1f8
	v_cmp_neq_f32_e64 s5, v23, v21
	s_or_b32 s5, s5, s15
	s_and_saveexec_b32 s15, s5
	s_cbranch_execz .LBB113_24
; %bb.23:
	v_sub_f32_e32 v22, v23, v21
	v_mul_f32_e32 v23, 0x3fb8aa3b, v22
	v_cmp_ngt_f32_e64 s5, 0xc2ce8ed0, v22
	v_fma_f32 v24, 0x3fb8aa3b, v22, -v23
	v_rndne_f32_e32 v25, v23
	v_fmamk_f32 v24, v22, 0x32a5705f, v24
	v_sub_f32_e32 v23, v23, v25
	v_add_f32_e32 v23, v23, v24
	v_cvt_i32_f32_e32 v24, v25
	v_exp_f32_e32 v23, v23
	v_ldexp_f32 v23, v23, v24
	v_cndmask_b32_e64 v23, 0, v23, s5
	v_cmp_nlt_f32_e64 s5, 0x42b17218, v22
	v_cndmask_b32_e64 v24, 0x7f800000, v23, s5
	v_add_f32_e32 v25, 1.0, v24
	v_cvt_f64_f32_e32 v[22:23], v25
	v_frexp_exp_i32_f64_e32 v22, v[22:23]
	v_frexp_mant_f32_e32 v23, v25
	v_cmp_gt_f32_e64 s5, 0x3f2aaaab, v23
	v_add_f32_e32 v23, -1.0, v25
	v_sub_f32_e32 v27, v23, v25
	v_sub_f32_e32 v23, v24, v23
	v_add_f32_e32 v27, 1.0, v27
	v_add_f32_e32 v23, v23, v27
	v_subrev_co_ci_u32_e64 v22, null, 0, v22, s5
	s_mov_b32 s5, 0x3e9b6dac
	v_sub_nc_u32_e32 v26, 0, v22
	v_cvt_f32_i32_e32 v22, v22
	v_ldexp_f32 v25, v25, v26
	v_ldexp_f32 v23, v23, v26
	v_add_f32_e32 v28, 1.0, v25
	v_add_f32_e32 v26, -1.0, v25
	v_add_f32_e32 v27, -1.0, v28
	v_add_f32_e32 v29, 1.0, v26
	v_sub_f32_e32 v27, v25, v27
	v_sub_f32_e32 v25, v25, v29
	v_add_f32_e32 v27, v23, v27
	v_add_f32_e32 v23, v23, v25
	v_add_f32_e32 v29, v28, v27
	v_add_f32_e32 v30, v26, v23
	v_rcp_f32_e32 v25, v29
	v_sub_f32_e32 v28, v28, v29
	v_sub_f32_e32 v26, v26, v30
	v_add_f32_e32 v27, v27, v28
	v_add_f32_e32 v23, v23, v26
	v_mul_f32_e32 v31, v30, v25
	v_mul_f32_e32 v32, v29, v31
	v_fma_f32 v28, v31, v29, -v32
	v_fmac_f32_e32 v28, v31, v27
	v_add_f32_e32 v33, v32, v28
	v_sub_f32_e32 v34, v30, v33
	v_sub_f32_e32 v26, v33, v32
	;; [unrolled: 1-line block ×5, first 2 shown]
	v_add_f32_e32 v23, v23, v30
	v_add_f32_e32 v23, v26, v23
	;; [unrolled: 1-line block ×3, first 2 shown]
	v_mul_f32_e32 v28, v25, v26
	v_sub_f32_e32 v33, v34, v26
	v_mul_f32_e32 v30, v29, v28
	v_add_f32_e32 v23, v23, v33
	v_fma_f32 v29, v28, v29, -v30
	v_fmac_f32_e32 v29, v28, v27
	v_add_f32_e32 v27, v30, v29
	v_sub_f32_e32 v32, v26, v27
	v_sub_f32_e32 v30, v27, v30
	;; [unrolled: 1-line block ×5, first 2 shown]
	v_add_f32_e32 v23, v23, v26
	v_add_f32_e32 v26, v31, v28
	;; [unrolled: 1-line block ×3, first 2 shown]
	v_sub_f32_e32 v27, v26, v31
	v_add_f32_e32 v23, v32, v23
	v_sub_f32_e32 v27, v28, v27
	v_mul_f32_e32 v23, v25, v23
	v_add_f32_e32 v23, v27, v23
	v_add_f32_e32 v25, v26, v23
	v_mul_f32_e32 v27, v25, v25
	v_fmaak_f32 v28, s5, v27, 0x3ecc95a3
	v_mul_f32_e32 v29, v25, v27
	v_cmp_neq_f32_e64 s5, 0x7f800000, v24
	v_fmaak_f32 v27, v27, v28, 0x3f2aaada
	v_ldexp_f32 v28, v25, 1
	v_sub_f32_e32 v25, v25, v26
	v_mul_f32_e32 v27, v29, v27
	v_mul_f32_e32 v29, 0x3f317218, v22
	v_sub_f32_e32 v23, v23, v25
	v_add_f32_e32 v26, v28, v27
	v_ldexp_f32 v23, v23, 1
	v_sub_f32_e32 v25, v26, v28
	v_fma_f32 v28, 0x3f317218, v22, -v29
	v_sub_f32_e32 v25, v27, v25
	v_fmamk_f32 v22, v22, 0xb102e308, v28
	v_add_f32_e32 v23, v23, v25
	v_add_f32_e32 v25, v29, v22
	;; [unrolled: 1-line block ×3, first 2 shown]
	v_sub_f32_e32 v29, v25, v29
	v_add_f32_e32 v28, v25, v27
	v_sub_f32_e32 v26, v27, v26
	v_sub_f32_e32 v22, v22, v29
	;; [unrolled: 1-line block ×6, first 2 shown]
	v_add_f32_e32 v27, v22, v23
	v_sub_f32_e32 v25, v25, v31
	v_add_f32_e32 v25, v26, v25
	v_sub_f32_e32 v26, v27, v22
	;; [unrolled: 2-line block ×3, first 2 shown]
	v_sub_f32_e32 v23, v23, v26
	v_add_f32_e32 v29, v28, v25
	v_sub_f32_e32 v22, v22, v27
	v_sub_f32_e32 v26, v29, v28
	v_add_f32_e32 v22, v23, v22
	v_sub_f32_e32 v23, v25, v26
	v_add_f32_e32 v22, v22, v23
	v_add_f32_e32 v22, v29, v22
	v_cndmask_b32_e64 v22, 0x7f800000, v22, s5
	v_cmp_gt_f32_e64 s5, 0x33800000, |v24|
	v_cndmask_b32_e64 v22, v22, v24, s5
	v_add_f32_e32 v22, v21, v22
.LBB113_24:
	s_or_b32 exec_lo, exec_lo, s15
	v_mov_b32_e32 v21, v22
.LBB113_25:
	s_or_b32 exec_lo, exec_lo, s14
	v_mov_b32_dpp v22, v21 row_shr:2 row_mask:0xf bank_mask:0xf
	s_mov_b32 s14, exec_lo
	v_cmpx_lt_u32_e32 1, v20
	s_cbranch_execz .LBB113_29
; %bb.26:
	v_max_f32_e32 v23, v21, v21
	v_max_f32_e32 v24, v22, v22
	v_cmp_u_f32_e64 s5, v22, v22
	v_min_f32_e32 v25, v24, v23
	v_max_f32_e32 v23, v24, v23
	v_cndmask_b32_e64 v24, v25, v22, s5
	v_cndmask_b32_e64 v25, v23, v22, s5
	v_cmp_u_f32_e64 s5, v21, v21
	v_cndmask_b32_e64 v23, v24, v21, s5
	v_cndmask_b32_e64 v21, v25, v21, s5
	v_cmp_class_f32_e64 s15, v23, 0x1f8
	v_cmp_neq_f32_e64 s5, v23, v21
	s_or_b32 s5, s5, s15
	s_and_saveexec_b32 s15, s5
	s_cbranch_execz .LBB113_28
; %bb.27:
	v_sub_f32_e32 v22, v23, v21
	v_mul_f32_e32 v23, 0x3fb8aa3b, v22
	v_cmp_ngt_f32_e64 s5, 0xc2ce8ed0, v22
	v_fma_f32 v24, 0x3fb8aa3b, v22, -v23
	v_rndne_f32_e32 v25, v23
	v_fmamk_f32 v24, v22, 0x32a5705f, v24
	v_sub_f32_e32 v23, v23, v25
	v_add_f32_e32 v23, v23, v24
	v_cvt_i32_f32_e32 v24, v25
	v_exp_f32_e32 v23, v23
	v_ldexp_f32 v23, v23, v24
	v_cndmask_b32_e64 v23, 0, v23, s5
	v_cmp_nlt_f32_e64 s5, 0x42b17218, v22
	v_cndmask_b32_e64 v24, 0x7f800000, v23, s5
	v_add_f32_e32 v25, 1.0, v24
	v_cvt_f64_f32_e32 v[22:23], v25
	v_frexp_exp_i32_f64_e32 v22, v[22:23]
	v_frexp_mant_f32_e32 v23, v25
	v_cmp_gt_f32_e64 s5, 0x3f2aaaab, v23
	v_add_f32_e32 v23, -1.0, v25
	v_sub_f32_e32 v27, v23, v25
	v_sub_f32_e32 v23, v24, v23
	v_add_f32_e32 v27, 1.0, v27
	v_add_f32_e32 v23, v23, v27
	v_subrev_co_ci_u32_e64 v22, null, 0, v22, s5
	s_mov_b32 s5, 0x3e9b6dac
	v_sub_nc_u32_e32 v26, 0, v22
	v_cvt_f32_i32_e32 v22, v22
	v_ldexp_f32 v25, v25, v26
	v_ldexp_f32 v23, v23, v26
	v_add_f32_e32 v28, 1.0, v25
	v_add_f32_e32 v26, -1.0, v25
	v_add_f32_e32 v27, -1.0, v28
	v_add_f32_e32 v29, 1.0, v26
	v_sub_f32_e32 v27, v25, v27
	v_sub_f32_e32 v25, v25, v29
	v_add_f32_e32 v27, v23, v27
	v_add_f32_e32 v23, v23, v25
	;; [unrolled: 1-line block ×4, first 2 shown]
	v_rcp_f32_e32 v25, v29
	v_sub_f32_e32 v28, v28, v29
	v_sub_f32_e32 v26, v26, v30
	v_add_f32_e32 v27, v27, v28
	v_add_f32_e32 v23, v23, v26
	v_mul_f32_e32 v31, v30, v25
	v_mul_f32_e32 v32, v29, v31
	v_fma_f32 v28, v31, v29, -v32
	v_fmac_f32_e32 v28, v31, v27
	v_add_f32_e32 v33, v32, v28
	v_sub_f32_e32 v34, v30, v33
	v_sub_f32_e32 v26, v33, v32
	;; [unrolled: 1-line block ×5, first 2 shown]
	v_add_f32_e32 v23, v23, v30
	v_add_f32_e32 v23, v26, v23
	;; [unrolled: 1-line block ×3, first 2 shown]
	v_mul_f32_e32 v28, v25, v26
	v_sub_f32_e32 v33, v34, v26
	v_mul_f32_e32 v30, v29, v28
	v_add_f32_e32 v23, v23, v33
	v_fma_f32 v29, v28, v29, -v30
	v_fmac_f32_e32 v29, v28, v27
	v_add_f32_e32 v27, v30, v29
	v_sub_f32_e32 v32, v26, v27
	v_sub_f32_e32 v30, v27, v30
	;; [unrolled: 1-line block ×5, first 2 shown]
	v_add_f32_e32 v23, v23, v26
	v_add_f32_e32 v26, v31, v28
	;; [unrolled: 1-line block ×3, first 2 shown]
	v_sub_f32_e32 v27, v26, v31
	v_add_f32_e32 v23, v32, v23
	v_sub_f32_e32 v27, v28, v27
	v_mul_f32_e32 v23, v25, v23
	v_add_f32_e32 v23, v27, v23
	v_add_f32_e32 v25, v26, v23
	v_mul_f32_e32 v27, v25, v25
	v_fmaak_f32 v28, s5, v27, 0x3ecc95a3
	v_mul_f32_e32 v29, v25, v27
	v_cmp_neq_f32_e64 s5, 0x7f800000, v24
	v_fmaak_f32 v27, v27, v28, 0x3f2aaada
	v_ldexp_f32 v28, v25, 1
	v_sub_f32_e32 v25, v25, v26
	v_mul_f32_e32 v27, v29, v27
	v_mul_f32_e32 v29, 0x3f317218, v22
	v_sub_f32_e32 v23, v23, v25
	v_add_f32_e32 v26, v28, v27
	v_ldexp_f32 v23, v23, 1
	v_sub_f32_e32 v25, v26, v28
	v_fma_f32 v28, 0x3f317218, v22, -v29
	v_sub_f32_e32 v25, v27, v25
	v_fmamk_f32 v22, v22, 0xb102e308, v28
	v_add_f32_e32 v23, v23, v25
	v_add_f32_e32 v25, v29, v22
	;; [unrolled: 1-line block ×3, first 2 shown]
	v_sub_f32_e32 v29, v25, v29
	v_add_f32_e32 v28, v25, v27
	v_sub_f32_e32 v26, v27, v26
	v_sub_f32_e32 v22, v22, v29
	;; [unrolled: 1-line block ×6, first 2 shown]
	v_add_f32_e32 v27, v22, v23
	v_sub_f32_e32 v25, v25, v31
	v_add_f32_e32 v25, v26, v25
	v_sub_f32_e32 v26, v27, v22
	;; [unrolled: 2-line block ×3, first 2 shown]
	v_sub_f32_e32 v23, v23, v26
	v_add_f32_e32 v29, v28, v25
	v_sub_f32_e32 v22, v22, v27
	v_sub_f32_e32 v26, v29, v28
	v_add_f32_e32 v22, v23, v22
	v_sub_f32_e32 v23, v25, v26
	v_add_f32_e32 v22, v22, v23
	v_add_f32_e32 v22, v29, v22
	v_cndmask_b32_e64 v22, 0x7f800000, v22, s5
	v_cmp_gt_f32_e64 s5, 0x33800000, |v24|
	v_cndmask_b32_e64 v22, v22, v24, s5
	v_add_f32_e32 v22, v21, v22
.LBB113_28:
	s_or_b32 exec_lo, exec_lo, s15
	v_mov_b32_e32 v21, v22
.LBB113_29:
	s_or_b32 exec_lo, exec_lo, s14
	v_mov_b32_dpp v22, v21 row_shr:4 row_mask:0xf bank_mask:0xf
	s_mov_b32 s14, exec_lo
	v_cmpx_lt_u32_e32 3, v20
	s_cbranch_execz .LBB113_33
; %bb.30:
	v_max_f32_e32 v23, v21, v21
	v_max_f32_e32 v24, v22, v22
	v_cmp_u_f32_e64 s5, v22, v22
	v_min_f32_e32 v25, v24, v23
	v_max_f32_e32 v23, v24, v23
	v_cndmask_b32_e64 v24, v25, v22, s5
	v_cndmask_b32_e64 v25, v23, v22, s5
	v_cmp_u_f32_e64 s5, v21, v21
	v_cndmask_b32_e64 v23, v24, v21, s5
	v_cndmask_b32_e64 v21, v25, v21, s5
	v_cmp_class_f32_e64 s15, v23, 0x1f8
	v_cmp_neq_f32_e64 s5, v23, v21
	s_or_b32 s5, s5, s15
	s_and_saveexec_b32 s15, s5
	s_cbranch_execz .LBB113_32
; %bb.31:
	v_sub_f32_e32 v22, v23, v21
	v_mul_f32_e32 v23, 0x3fb8aa3b, v22
	v_cmp_ngt_f32_e64 s5, 0xc2ce8ed0, v22
	v_fma_f32 v24, 0x3fb8aa3b, v22, -v23
	v_rndne_f32_e32 v25, v23
	v_fmamk_f32 v24, v22, 0x32a5705f, v24
	v_sub_f32_e32 v23, v23, v25
	v_add_f32_e32 v23, v23, v24
	v_cvt_i32_f32_e32 v24, v25
	v_exp_f32_e32 v23, v23
	v_ldexp_f32 v23, v23, v24
	v_cndmask_b32_e64 v23, 0, v23, s5
	v_cmp_nlt_f32_e64 s5, 0x42b17218, v22
	v_cndmask_b32_e64 v24, 0x7f800000, v23, s5
	v_add_f32_e32 v25, 1.0, v24
	v_cvt_f64_f32_e32 v[22:23], v25
	v_frexp_exp_i32_f64_e32 v22, v[22:23]
	v_frexp_mant_f32_e32 v23, v25
	v_cmp_gt_f32_e64 s5, 0x3f2aaaab, v23
	v_add_f32_e32 v23, -1.0, v25
	v_sub_f32_e32 v27, v23, v25
	v_sub_f32_e32 v23, v24, v23
	v_add_f32_e32 v27, 1.0, v27
	v_add_f32_e32 v23, v23, v27
	v_subrev_co_ci_u32_e64 v22, null, 0, v22, s5
	s_mov_b32 s5, 0x3e9b6dac
	v_sub_nc_u32_e32 v26, 0, v22
	v_cvt_f32_i32_e32 v22, v22
	v_ldexp_f32 v25, v25, v26
	v_ldexp_f32 v23, v23, v26
	v_add_f32_e32 v28, 1.0, v25
	v_add_f32_e32 v26, -1.0, v25
	v_add_f32_e32 v27, -1.0, v28
	v_add_f32_e32 v29, 1.0, v26
	v_sub_f32_e32 v27, v25, v27
	v_sub_f32_e32 v25, v25, v29
	v_add_f32_e32 v27, v23, v27
	v_add_f32_e32 v23, v23, v25
	;; [unrolled: 1-line block ×4, first 2 shown]
	v_rcp_f32_e32 v25, v29
	v_sub_f32_e32 v28, v28, v29
	v_sub_f32_e32 v26, v26, v30
	v_add_f32_e32 v27, v27, v28
	v_add_f32_e32 v23, v23, v26
	v_mul_f32_e32 v31, v30, v25
	v_mul_f32_e32 v32, v29, v31
	v_fma_f32 v28, v31, v29, -v32
	v_fmac_f32_e32 v28, v31, v27
	v_add_f32_e32 v33, v32, v28
	v_sub_f32_e32 v34, v30, v33
	v_sub_f32_e32 v26, v33, v32
	;; [unrolled: 1-line block ×5, first 2 shown]
	v_add_f32_e32 v23, v23, v30
	v_add_f32_e32 v23, v26, v23
	;; [unrolled: 1-line block ×3, first 2 shown]
	v_mul_f32_e32 v28, v25, v26
	v_sub_f32_e32 v33, v34, v26
	v_mul_f32_e32 v30, v29, v28
	v_add_f32_e32 v23, v23, v33
	v_fma_f32 v29, v28, v29, -v30
	v_fmac_f32_e32 v29, v28, v27
	v_add_f32_e32 v27, v30, v29
	v_sub_f32_e32 v32, v26, v27
	v_sub_f32_e32 v30, v27, v30
	v_sub_f32_e32 v26, v26, v32
	v_sub_f32_e32 v26, v26, v27
	v_sub_f32_e32 v27, v30, v29
	v_add_f32_e32 v23, v23, v26
	v_add_f32_e32 v26, v31, v28
	;; [unrolled: 1-line block ×3, first 2 shown]
	v_sub_f32_e32 v27, v26, v31
	v_add_f32_e32 v23, v32, v23
	v_sub_f32_e32 v27, v28, v27
	v_mul_f32_e32 v23, v25, v23
	v_add_f32_e32 v23, v27, v23
	v_add_f32_e32 v25, v26, v23
	v_mul_f32_e32 v27, v25, v25
	v_fmaak_f32 v28, s5, v27, 0x3ecc95a3
	v_mul_f32_e32 v29, v25, v27
	v_cmp_neq_f32_e64 s5, 0x7f800000, v24
	v_fmaak_f32 v27, v27, v28, 0x3f2aaada
	v_ldexp_f32 v28, v25, 1
	v_sub_f32_e32 v25, v25, v26
	v_mul_f32_e32 v27, v29, v27
	v_mul_f32_e32 v29, 0x3f317218, v22
	v_sub_f32_e32 v23, v23, v25
	v_add_f32_e32 v26, v28, v27
	v_ldexp_f32 v23, v23, 1
	v_sub_f32_e32 v25, v26, v28
	v_fma_f32 v28, 0x3f317218, v22, -v29
	v_sub_f32_e32 v25, v27, v25
	v_fmamk_f32 v22, v22, 0xb102e308, v28
	v_add_f32_e32 v23, v23, v25
	v_add_f32_e32 v25, v29, v22
	;; [unrolled: 1-line block ×3, first 2 shown]
	v_sub_f32_e32 v29, v25, v29
	v_add_f32_e32 v28, v25, v27
	v_sub_f32_e32 v26, v27, v26
	v_sub_f32_e32 v22, v22, v29
	;; [unrolled: 1-line block ×6, first 2 shown]
	v_add_f32_e32 v27, v22, v23
	v_sub_f32_e32 v25, v25, v31
	v_add_f32_e32 v25, v26, v25
	v_sub_f32_e32 v26, v27, v22
	v_add_f32_e32 v25, v27, v25
	v_sub_f32_e32 v27, v27, v26
	v_sub_f32_e32 v23, v23, v26
	v_add_f32_e32 v29, v28, v25
	v_sub_f32_e32 v22, v22, v27
	v_sub_f32_e32 v26, v29, v28
	v_add_f32_e32 v22, v23, v22
	v_sub_f32_e32 v23, v25, v26
	v_add_f32_e32 v22, v22, v23
	v_add_f32_e32 v22, v29, v22
	v_cndmask_b32_e64 v22, 0x7f800000, v22, s5
	v_cmp_gt_f32_e64 s5, 0x33800000, |v24|
	v_cndmask_b32_e64 v22, v22, v24, s5
	v_add_f32_e32 v22, v21, v22
.LBB113_32:
	s_or_b32 exec_lo, exec_lo, s15
	v_mov_b32_e32 v21, v22
.LBB113_33:
	s_or_b32 exec_lo, exec_lo, s14
	v_mov_b32_dpp v22, v21 row_shr:8 row_mask:0xf bank_mask:0xf
	s_mov_b32 s14, exec_lo
	v_cmpx_lt_u32_e32 7, v20
	s_cbranch_execz .LBB113_37
; %bb.34:
	v_max_f32_e32 v20, v21, v21
	v_max_f32_e32 v23, v22, v22
	v_cmp_u_f32_e64 s5, v22, v22
	v_min_f32_e32 v24, v23, v20
	v_max_f32_e32 v20, v23, v20
	v_cndmask_b32_e64 v23, v24, v22, s5
	v_cndmask_b32_e64 v20, v20, v22, s5
	v_cmp_u_f32_e64 s5, v21, v21
	v_cndmask_b32_e64 v23, v23, v21, s5
	v_cndmask_b32_e64 v20, v20, v21, s5
	v_cmp_class_f32_e64 s15, v23, 0x1f8
	v_cmp_neq_f32_e64 s5, v23, v20
	s_or_b32 s5, s5, s15
	s_and_saveexec_b32 s15, s5
	s_cbranch_execz .LBB113_36
; %bb.35:
	v_sub_f32_e32 v21, v23, v20
	v_mul_f32_e32 v22, 0x3fb8aa3b, v21
	v_cmp_ngt_f32_e64 s5, 0xc2ce8ed0, v21
	v_fma_f32 v23, 0x3fb8aa3b, v21, -v22
	v_rndne_f32_e32 v24, v22
	v_fmamk_f32 v23, v21, 0x32a5705f, v23
	v_sub_f32_e32 v22, v22, v24
	v_add_f32_e32 v22, v22, v23
	v_cvt_i32_f32_e32 v23, v24
	v_exp_f32_e32 v22, v22
	v_ldexp_f32 v22, v22, v23
	v_cndmask_b32_e64 v22, 0, v22, s5
	v_cmp_nlt_f32_e64 s5, 0x42b17218, v21
	v_cndmask_b32_e64 v23, 0x7f800000, v22, s5
	v_add_f32_e32 v24, 1.0, v23
	v_cvt_f64_f32_e32 v[21:22], v24
	v_frexp_exp_i32_f64_e32 v21, v[21:22]
	v_frexp_mant_f32_e32 v22, v24
	v_cmp_gt_f32_e64 s5, 0x3f2aaaab, v22
	v_add_f32_e32 v22, -1.0, v24
	v_sub_f32_e32 v26, v22, v24
	v_sub_f32_e32 v22, v23, v22
	v_add_f32_e32 v26, 1.0, v26
	v_add_f32_e32 v22, v22, v26
	v_subrev_co_ci_u32_e64 v21, null, 0, v21, s5
	s_mov_b32 s5, 0x3e9b6dac
	v_sub_nc_u32_e32 v25, 0, v21
	v_cvt_f32_i32_e32 v21, v21
	v_ldexp_f32 v24, v24, v25
	v_ldexp_f32 v22, v22, v25
	v_add_f32_e32 v27, 1.0, v24
	v_add_f32_e32 v25, -1.0, v24
	v_add_f32_e32 v26, -1.0, v27
	v_add_f32_e32 v28, 1.0, v25
	v_sub_f32_e32 v26, v24, v26
	v_sub_f32_e32 v24, v24, v28
	v_add_f32_e32 v26, v22, v26
	v_add_f32_e32 v22, v22, v24
	v_add_f32_e32 v28, v27, v26
	v_add_f32_e32 v29, v25, v22
	v_rcp_f32_e32 v24, v28
	v_sub_f32_e32 v27, v27, v28
	v_sub_f32_e32 v25, v25, v29
	v_add_f32_e32 v26, v26, v27
	v_add_f32_e32 v22, v22, v25
	v_mul_f32_e32 v30, v29, v24
	v_mul_f32_e32 v31, v28, v30
	v_fma_f32 v27, v30, v28, -v31
	v_fmac_f32_e32 v27, v30, v26
	v_add_f32_e32 v32, v31, v27
	v_sub_f32_e32 v33, v29, v32
	v_sub_f32_e32 v25, v32, v31
	;; [unrolled: 1-line block ×5, first 2 shown]
	v_add_f32_e32 v22, v22, v29
	v_add_f32_e32 v22, v25, v22
	;; [unrolled: 1-line block ×3, first 2 shown]
	v_mul_f32_e32 v27, v24, v25
	v_sub_f32_e32 v32, v33, v25
	v_mul_f32_e32 v29, v28, v27
	v_add_f32_e32 v22, v22, v32
	v_fma_f32 v28, v27, v28, -v29
	v_fmac_f32_e32 v28, v27, v26
	v_add_f32_e32 v26, v29, v28
	v_sub_f32_e32 v31, v25, v26
	v_sub_f32_e32 v29, v26, v29
	;; [unrolled: 1-line block ×5, first 2 shown]
	v_add_f32_e32 v22, v22, v25
	v_add_f32_e32 v25, v30, v27
	;; [unrolled: 1-line block ×3, first 2 shown]
	v_sub_f32_e32 v26, v25, v30
	v_add_f32_e32 v22, v31, v22
	v_sub_f32_e32 v26, v27, v26
	v_mul_f32_e32 v22, v24, v22
	v_add_f32_e32 v22, v26, v22
	v_add_f32_e32 v24, v25, v22
	v_mul_f32_e32 v26, v24, v24
	v_fmaak_f32 v27, s5, v26, 0x3ecc95a3
	v_mul_f32_e32 v28, v24, v26
	v_cmp_neq_f32_e64 s5, 0x7f800000, v23
	v_fmaak_f32 v26, v26, v27, 0x3f2aaada
	v_ldexp_f32 v27, v24, 1
	v_sub_f32_e32 v24, v24, v25
	v_mul_f32_e32 v26, v28, v26
	v_mul_f32_e32 v28, 0x3f317218, v21
	v_sub_f32_e32 v22, v22, v24
	v_add_f32_e32 v25, v27, v26
	v_ldexp_f32 v22, v22, 1
	v_sub_f32_e32 v24, v25, v27
	v_fma_f32 v27, 0x3f317218, v21, -v28
	v_sub_f32_e32 v24, v26, v24
	v_fmamk_f32 v21, v21, 0xb102e308, v27
	v_add_f32_e32 v22, v22, v24
	v_add_f32_e32 v24, v28, v21
	;; [unrolled: 1-line block ×3, first 2 shown]
	v_sub_f32_e32 v28, v24, v28
	v_add_f32_e32 v27, v24, v26
	v_sub_f32_e32 v25, v26, v25
	v_sub_f32_e32 v21, v21, v28
	;; [unrolled: 1-line block ×6, first 2 shown]
	v_add_f32_e32 v26, v21, v22
	v_sub_f32_e32 v24, v24, v30
	v_add_f32_e32 v24, v25, v24
	v_sub_f32_e32 v25, v26, v21
	;; [unrolled: 2-line block ×3, first 2 shown]
	v_sub_f32_e32 v22, v22, v25
	v_add_f32_e32 v28, v27, v24
	v_sub_f32_e32 v21, v21, v26
	v_sub_f32_e32 v25, v28, v27
	v_add_f32_e32 v21, v22, v21
	v_sub_f32_e32 v22, v24, v25
	v_add_f32_e32 v21, v21, v22
	v_add_f32_e32 v21, v28, v21
	v_cndmask_b32_e64 v21, 0x7f800000, v21, s5
	v_cmp_gt_f32_e64 s5, 0x33800000, |v23|
	v_cndmask_b32_e64 v21, v21, v23, s5
	v_add_f32_e32 v22, v20, v21
.LBB113_36:
	s_or_b32 exec_lo, exec_lo, s15
	v_mov_b32_e32 v21, v22
.LBB113_37:
	s_or_b32 exec_lo, exec_lo, s14
	ds_swizzle_b32 v22, v21 offset:swizzle(BROADCAST,32,15)
	v_and_b32_e32 v20, 16, v6
	s_mov_b32 s14, exec_lo
	v_cmpx_ne_u32_e32 0, v20
	s_cbranch_execz .LBB113_41
; %bb.38:
	v_max_f32_e32 v20, v21, v21
	s_waitcnt lgkmcnt(0)
	v_max_f32_e32 v23, v22, v22
	v_cmp_u_f32_e64 s5, v22, v22
	v_min_f32_e32 v24, v23, v20
	v_max_f32_e32 v20, v23, v20
	v_cndmask_b32_e64 v23, v24, v22, s5
	v_cndmask_b32_e64 v20, v20, v22, s5
	v_cmp_u_f32_e64 s5, v21, v21
	v_cndmask_b32_e64 v23, v23, v21, s5
	v_cndmask_b32_e64 v20, v20, v21, s5
	v_cmp_class_f32_e64 s15, v23, 0x1f8
	v_cmp_neq_f32_e64 s5, v23, v20
	s_or_b32 s5, s5, s15
	s_and_saveexec_b32 s15, s5
	s_cbranch_execz .LBB113_40
; %bb.39:
	v_sub_f32_e32 v21, v23, v20
	v_mul_f32_e32 v22, 0x3fb8aa3b, v21
	v_cmp_ngt_f32_e64 s5, 0xc2ce8ed0, v21
	v_fma_f32 v23, 0x3fb8aa3b, v21, -v22
	v_rndne_f32_e32 v24, v22
	v_fmamk_f32 v23, v21, 0x32a5705f, v23
	v_sub_f32_e32 v22, v22, v24
	v_add_f32_e32 v22, v22, v23
	v_cvt_i32_f32_e32 v23, v24
	v_exp_f32_e32 v22, v22
	v_ldexp_f32 v22, v22, v23
	v_cndmask_b32_e64 v22, 0, v22, s5
	v_cmp_nlt_f32_e64 s5, 0x42b17218, v21
	v_cndmask_b32_e64 v23, 0x7f800000, v22, s5
	v_add_f32_e32 v24, 1.0, v23
	v_cvt_f64_f32_e32 v[21:22], v24
	v_frexp_exp_i32_f64_e32 v21, v[21:22]
	v_frexp_mant_f32_e32 v22, v24
	v_cmp_gt_f32_e64 s5, 0x3f2aaaab, v22
	v_add_f32_e32 v22, -1.0, v24
	v_sub_f32_e32 v26, v22, v24
	v_sub_f32_e32 v22, v23, v22
	v_add_f32_e32 v26, 1.0, v26
	v_add_f32_e32 v22, v22, v26
	v_subrev_co_ci_u32_e64 v21, null, 0, v21, s5
	s_mov_b32 s5, 0x3e9b6dac
	v_sub_nc_u32_e32 v25, 0, v21
	v_cvt_f32_i32_e32 v21, v21
	v_ldexp_f32 v24, v24, v25
	v_ldexp_f32 v22, v22, v25
	v_add_f32_e32 v27, 1.0, v24
	v_add_f32_e32 v25, -1.0, v24
	v_add_f32_e32 v26, -1.0, v27
	v_add_f32_e32 v28, 1.0, v25
	v_sub_f32_e32 v26, v24, v26
	v_sub_f32_e32 v24, v24, v28
	v_add_f32_e32 v26, v22, v26
	v_add_f32_e32 v22, v22, v24
	;; [unrolled: 1-line block ×4, first 2 shown]
	v_rcp_f32_e32 v24, v28
	v_sub_f32_e32 v27, v27, v28
	v_sub_f32_e32 v25, v25, v29
	v_add_f32_e32 v26, v26, v27
	v_add_f32_e32 v22, v22, v25
	v_mul_f32_e32 v30, v29, v24
	v_mul_f32_e32 v31, v28, v30
	v_fma_f32 v27, v30, v28, -v31
	v_fmac_f32_e32 v27, v30, v26
	v_add_f32_e32 v32, v31, v27
	v_sub_f32_e32 v33, v29, v32
	v_sub_f32_e32 v25, v32, v31
	;; [unrolled: 1-line block ×5, first 2 shown]
	v_add_f32_e32 v22, v22, v29
	v_add_f32_e32 v22, v25, v22
	;; [unrolled: 1-line block ×3, first 2 shown]
	v_mul_f32_e32 v27, v24, v25
	v_sub_f32_e32 v32, v33, v25
	v_mul_f32_e32 v29, v28, v27
	v_add_f32_e32 v22, v22, v32
	v_fma_f32 v28, v27, v28, -v29
	v_fmac_f32_e32 v28, v27, v26
	v_add_f32_e32 v26, v29, v28
	v_sub_f32_e32 v31, v25, v26
	v_sub_f32_e32 v29, v26, v29
	;; [unrolled: 1-line block ×5, first 2 shown]
	v_add_f32_e32 v22, v22, v25
	v_add_f32_e32 v25, v30, v27
	;; [unrolled: 1-line block ×3, first 2 shown]
	v_sub_f32_e32 v26, v25, v30
	v_add_f32_e32 v22, v31, v22
	v_sub_f32_e32 v26, v27, v26
	v_mul_f32_e32 v22, v24, v22
	v_add_f32_e32 v22, v26, v22
	v_add_f32_e32 v24, v25, v22
	v_mul_f32_e32 v26, v24, v24
	v_fmaak_f32 v27, s5, v26, 0x3ecc95a3
	v_mul_f32_e32 v28, v24, v26
	v_cmp_neq_f32_e64 s5, 0x7f800000, v23
	v_fmaak_f32 v26, v26, v27, 0x3f2aaada
	v_ldexp_f32 v27, v24, 1
	v_sub_f32_e32 v24, v24, v25
	v_mul_f32_e32 v26, v28, v26
	v_mul_f32_e32 v28, 0x3f317218, v21
	v_sub_f32_e32 v22, v22, v24
	v_add_f32_e32 v25, v27, v26
	v_ldexp_f32 v22, v22, 1
	v_sub_f32_e32 v24, v25, v27
	v_fma_f32 v27, 0x3f317218, v21, -v28
	v_sub_f32_e32 v24, v26, v24
	v_fmamk_f32 v21, v21, 0xb102e308, v27
	v_add_f32_e32 v22, v22, v24
	v_add_f32_e32 v24, v28, v21
	;; [unrolled: 1-line block ×3, first 2 shown]
	v_sub_f32_e32 v28, v24, v28
	v_add_f32_e32 v27, v24, v26
	v_sub_f32_e32 v25, v26, v25
	v_sub_f32_e32 v21, v21, v28
	v_sub_f32_e32 v29, v27, v24
	v_sub_f32_e32 v22, v22, v25
	v_sub_f32_e32 v30, v27, v29
	v_sub_f32_e32 v25, v26, v29
	v_add_f32_e32 v26, v21, v22
	v_sub_f32_e32 v24, v24, v30
	v_add_f32_e32 v24, v25, v24
	v_sub_f32_e32 v25, v26, v21
	;; [unrolled: 2-line block ×3, first 2 shown]
	v_sub_f32_e32 v22, v22, v25
	v_add_f32_e32 v28, v27, v24
	v_sub_f32_e32 v21, v21, v26
	v_sub_f32_e32 v25, v28, v27
	v_add_f32_e32 v21, v22, v21
	v_sub_f32_e32 v22, v24, v25
	v_add_f32_e32 v21, v21, v22
	v_add_f32_e32 v21, v28, v21
	v_cndmask_b32_e64 v21, 0x7f800000, v21, s5
	v_cmp_gt_f32_e64 s5, 0x33800000, |v23|
	v_cndmask_b32_e64 v21, v21, v23, s5
	v_add_f32_e32 v22, v20, v21
.LBB113_40:
	s_or_b32 exec_lo, exec_lo, s15
	v_mov_b32_e32 v21, v22
.LBB113_41:
	s_or_b32 exec_lo, exec_lo, s14
	v_add_nc_u32_e32 v20, -1, v6
	v_cmp_gt_i32_e64 s5, 0, v20
	v_cndmask_b32_e64 v6, v20, v6, s5
	v_lshlrev_b32_e32 v6, 2, v6
	ds_bpermute_b32 v6, v6, v21
	s_waitcnt lgkmcnt(0)
	v_max_f32_e32 v20, v6, v6
	v_cmp_u_f32_e64 s5, v6, v6
	v_min_f32_e32 v21, v20, v19
	v_max_f32_e32 v19, v20, v19
	v_cndmask_b32_e64 v20, v21, v6, s5
	v_cndmask_b32_e64 v21, v19, v6, s5
	;; [unrolled: 1-line block ×4, first 2 shown]
	v_cmp_class_f32_e64 s5, v19, 0x1f8
	v_cmp_neq_f32_e64 s4, v19, v5
	s_or_b32 s4, s4, s5
	s_and_saveexec_b32 s5, s4
	s_cbranch_execz .LBB113_43
; %bb.42:
	v_sub_f32_e32 v6, v19, v5
	v_mul_f32_e32 v19, 0x3fb8aa3b, v6
	v_cmp_ngt_f32_e64 s4, 0xc2ce8ed0, v6
	v_fma_f32 v20, 0x3fb8aa3b, v6, -v19
	v_rndne_f32_e32 v21, v19
	v_fmamk_f32 v20, v6, 0x32a5705f, v20
	v_sub_f32_e32 v19, v19, v21
	v_add_f32_e32 v19, v19, v20
	v_cvt_i32_f32_e32 v20, v21
	v_exp_f32_e32 v19, v19
	v_ldexp_f32 v19, v19, v20
	v_cndmask_b32_e64 v19, 0, v19, s4
	v_cmp_nlt_f32_e64 s4, 0x42b17218, v6
	v_cndmask_b32_e64 v6, 0x7f800000, v19, s4
	v_add_f32_e32 v21, 1.0, v6
	v_cvt_f64_f32_e32 v[19:20], v21
	v_frexp_exp_i32_f64_e32 v19, v[19:20]
	v_frexp_mant_f32_e32 v20, v21
	v_cmp_gt_f32_e64 s4, 0x3f2aaaab, v20
	v_add_f32_e32 v20, -1.0, v21
	v_sub_f32_e32 v23, v20, v21
	v_sub_f32_e32 v20, v6, v20
	v_add_f32_e32 v23, 1.0, v23
	v_add_f32_e32 v20, v20, v23
	v_subrev_co_ci_u32_e64 v19, null, 0, v19, s4
	s_mov_b32 s4, 0x3e9b6dac
	v_sub_nc_u32_e32 v22, 0, v19
	v_cvt_f32_i32_e32 v19, v19
	v_ldexp_f32 v21, v21, v22
	v_ldexp_f32 v20, v20, v22
	v_add_f32_e32 v24, 1.0, v21
	v_add_f32_e32 v22, -1.0, v21
	v_add_f32_e32 v23, -1.0, v24
	v_add_f32_e32 v25, 1.0, v22
	v_sub_f32_e32 v23, v21, v23
	v_sub_f32_e32 v21, v21, v25
	v_add_f32_e32 v23, v20, v23
	v_add_f32_e32 v20, v20, v21
	;; [unrolled: 1-line block ×4, first 2 shown]
	v_rcp_f32_e32 v21, v25
	v_sub_f32_e32 v24, v24, v25
	v_sub_f32_e32 v22, v22, v26
	v_add_f32_e32 v23, v23, v24
	v_add_f32_e32 v20, v20, v22
	v_mul_f32_e32 v27, v26, v21
	v_mul_f32_e32 v28, v25, v27
	v_fma_f32 v24, v27, v25, -v28
	v_fmac_f32_e32 v24, v27, v23
	v_add_f32_e32 v29, v28, v24
	v_sub_f32_e32 v30, v26, v29
	v_sub_f32_e32 v22, v29, v28
	;; [unrolled: 1-line block ×5, first 2 shown]
	v_add_f32_e32 v20, v20, v26
	v_add_f32_e32 v20, v22, v20
	;; [unrolled: 1-line block ×3, first 2 shown]
	v_mul_f32_e32 v24, v21, v22
	v_sub_f32_e32 v29, v30, v22
	v_mul_f32_e32 v26, v25, v24
	v_add_f32_e32 v20, v20, v29
	v_fma_f32 v25, v24, v25, -v26
	v_fmac_f32_e32 v25, v24, v23
	v_add_f32_e32 v23, v26, v25
	v_sub_f32_e32 v28, v22, v23
	v_sub_f32_e32 v26, v23, v26
	;; [unrolled: 1-line block ×5, first 2 shown]
	v_add_f32_e32 v20, v20, v22
	v_add_f32_e32 v22, v27, v24
	;; [unrolled: 1-line block ×3, first 2 shown]
	v_sub_f32_e32 v23, v22, v27
	v_add_f32_e32 v20, v28, v20
	v_sub_f32_e32 v23, v24, v23
	v_mul_f32_e32 v20, v21, v20
	v_add_f32_e32 v20, v23, v20
	v_add_f32_e32 v21, v22, v20
	v_mul_f32_e32 v23, v21, v21
	v_fmaak_f32 v24, s4, v23, 0x3ecc95a3
	v_mul_f32_e32 v25, v21, v23
	v_cmp_neq_f32_e64 s4, 0x7f800000, v6
	v_fmaak_f32 v23, v23, v24, 0x3f2aaada
	v_ldexp_f32 v24, v21, 1
	v_sub_f32_e32 v21, v21, v22
	v_mul_f32_e32 v23, v25, v23
	v_mul_f32_e32 v25, 0x3f317218, v19
	v_sub_f32_e32 v20, v20, v21
	v_add_f32_e32 v22, v24, v23
	v_ldexp_f32 v20, v20, 1
	v_sub_f32_e32 v21, v22, v24
	v_fma_f32 v24, 0x3f317218, v19, -v25
	v_sub_f32_e32 v21, v23, v21
	v_fmamk_f32 v19, v19, 0xb102e308, v24
	v_add_f32_e32 v20, v20, v21
	v_add_f32_e32 v21, v25, v19
	v_add_f32_e32 v23, v22, v20
	v_sub_f32_e32 v25, v21, v25
	v_add_f32_e32 v24, v21, v23
	v_sub_f32_e32 v22, v23, v22
	v_sub_f32_e32 v19, v19, v25
	;; [unrolled: 1-line block ×6, first 2 shown]
	v_add_f32_e32 v23, v19, v20
	v_sub_f32_e32 v21, v21, v27
	v_add_f32_e32 v21, v22, v21
	v_sub_f32_e32 v22, v23, v19
	;; [unrolled: 2-line block ×3, first 2 shown]
	v_sub_f32_e32 v20, v20, v22
	v_add_f32_e32 v25, v24, v21
	v_sub_f32_e32 v19, v19, v23
	v_sub_f32_e32 v22, v25, v24
	v_add_f32_e32 v19, v20, v19
	v_sub_f32_e32 v20, v21, v22
	v_add_f32_e32 v19, v19, v20
	v_add_f32_e32 v19, v25, v19
	v_cndmask_b32_e64 v19, 0x7f800000, v19, s4
	v_cmp_gt_f32_e64 s4, 0x33800000, |v6|
	v_cndmask_b32_e64 v6, v19, v6, s4
	v_add_f32_e32 v6, v5, v6
.LBB113_43:
	s_or_b32 exec_lo, exec_lo, s5
	v_cmp_eq_u32_e64 s4, 0, v0
	; wave barrier
	v_cndmask_b32_e64 v6, v6, v18, s4
	ds_write_b32 v17, v6
	; wave barrier
	ds_read_b32 v5, v17 offset:4
	v_max_f32_e32 v18, v6, v6
	v_cmp_u_f32_e64 s4, v6, v6
	s_waitcnt lgkmcnt(0)
	v_max_f32_e32 v19, v5, v5
	v_min_f32_e32 v20, v18, v19
	v_max_f32_e32 v18, v18, v19
	v_cndmask_b32_e64 v19, v20, v6, s4
	v_cndmask_b32_e64 v20, v18, v6, s4
	v_cmp_u_f32_e64 s4, v5, v5
	v_cndmask_b32_e64 v18, v19, v5, s4
	v_cndmask_b32_e64 v5, v20, v5, s4
	v_cmp_class_f32_e64 s5, v18, 0x1f8
	v_cmp_neq_f32_e64 s4, v18, v5
	s_or_b32 s4, s4, s5
	s_and_saveexec_b32 s5, s4
	s_cbranch_execz .LBB113_45
; %bb.44:
	v_sub_f32_e32 v6, v18, v5
	v_mul_f32_e32 v18, 0x3fb8aa3b, v6
	v_cmp_ngt_f32_e64 s4, 0xc2ce8ed0, v6
	v_fma_f32 v19, 0x3fb8aa3b, v6, -v18
	v_rndne_f32_e32 v20, v18
	v_fmamk_f32 v19, v6, 0x32a5705f, v19
	v_sub_f32_e32 v18, v18, v20
	v_add_f32_e32 v18, v18, v19
	v_cvt_i32_f32_e32 v19, v20
	v_exp_f32_e32 v18, v18
	v_ldexp_f32 v18, v18, v19
	v_cndmask_b32_e64 v18, 0, v18, s4
	v_cmp_nlt_f32_e64 s4, 0x42b17218, v6
	v_cndmask_b32_e64 v6, 0x7f800000, v18, s4
	v_add_f32_e32 v20, 1.0, v6
	v_cvt_f64_f32_e32 v[18:19], v20
	v_frexp_exp_i32_f64_e32 v18, v[18:19]
	v_frexp_mant_f32_e32 v19, v20
	v_cmp_gt_f32_e64 s4, 0x3f2aaaab, v19
	v_add_f32_e32 v19, -1.0, v20
	v_sub_f32_e32 v22, v19, v20
	v_sub_f32_e32 v19, v6, v19
	v_add_f32_e32 v22, 1.0, v22
	v_add_f32_e32 v19, v19, v22
	v_subrev_co_ci_u32_e64 v18, null, 0, v18, s4
	s_mov_b32 s4, 0x3e9b6dac
	v_sub_nc_u32_e32 v21, 0, v18
	v_cvt_f32_i32_e32 v18, v18
	v_ldexp_f32 v20, v20, v21
	v_ldexp_f32 v19, v19, v21
	v_add_f32_e32 v23, 1.0, v20
	v_add_f32_e32 v21, -1.0, v20
	v_add_f32_e32 v22, -1.0, v23
	v_add_f32_e32 v24, 1.0, v21
	v_sub_f32_e32 v22, v20, v22
	v_sub_f32_e32 v20, v20, v24
	v_add_f32_e32 v22, v19, v22
	v_add_f32_e32 v19, v19, v20
	;; [unrolled: 1-line block ×4, first 2 shown]
	v_rcp_f32_e32 v20, v24
	v_sub_f32_e32 v23, v23, v24
	v_sub_f32_e32 v21, v21, v25
	v_add_f32_e32 v22, v22, v23
	v_add_f32_e32 v19, v19, v21
	v_mul_f32_e32 v26, v25, v20
	v_mul_f32_e32 v27, v24, v26
	v_fma_f32 v23, v26, v24, -v27
	v_fmac_f32_e32 v23, v26, v22
	v_add_f32_e32 v28, v27, v23
	v_sub_f32_e32 v29, v25, v28
	v_sub_f32_e32 v21, v28, v27
	;; [unrolled: 1-line block ×5, first 2 shown]
	v_add_f32_e32 v19, v19, v25
	v_add_f32_e32 v19, v21, v19
	;; [unrolled: 1-line block ×3, first 2 shown]
	v_mul_f32_e32 v23, v20, v21
	v_sub_f32_e32 v28, v29, v21
	v_mul_f32_e32 v25, v24, v23
	v_add_f32_e32 v19, v19, v28
	v_fma_f32 v24, v23, v24, -v25
	v_fmac_f32_e32 v24, v23, v22
	v_add_f32_e32 v22, v25, v24
	v_sub_f32_e32 v27, v21, v22
	v_sub_f32_e32 v25, v22, v25
	;; [unrolled: 1-line block ×5, first 2 shown]
	v_add_f32_e32 v19, v19, v21
	v_add_f32_e32 v21, v26, v23
	;; [unrolled: 1-line block ×3, first 2 shown]
	v_sub_f32_e32 v22, v21, v26
	v_add_f32_e32 v19, v27, v19
	v_sub_f32_e32 v22, v23, v22
	v_mul_f32_e32 v19, v20, v19
	v_add_f32_e32 v19, v22, v19
	v_add_f32_e32 v20, v21, v19
	v_mul_f32_e32 v22, v20, v20
	v_fmaak_f32 v23, s4, v22, 0x3ecc95a3
	v_mul_f32_e32 v24, v20, v22
	v_cmp_neq_f32_e64 s4, 0x7f800000, v6
	v_fmaak_f32 v22, v22, v23, 0x3f2aaada
	v_ldexp_f32 v23, v20, 1
	v_sub_f32_e32 v20, v20, v21
	v_mul_f32_e32 v22, v24, v22
	v_mul_f32_e32 v24, 0x3f317218, v18
	v_sub_f32_e32 v19, v19, v20
	v_add_f32_e32 v21, v23, v22
	v_ldexp_f32 v19, v19, 1
	v_sub_f32_e32 v20, v21, v23
	v_fma_f32 v23, 0x3f317218, v18, -v24
	v_sub_f32_e32 v20, v22, v20
	v_fmamk_f32 v18, v18, 0xb102e308, v23
	v_add_f32_e32 v19, v19, v20
	v_add_f32_e32 v20, v24, v18
	v_add_f32_e32 v22, v21, v19
	v_sub_f32_e32 v24, v20, v24
	v_add_f32_e32 v23, v20, v22
	v_sub_f32_e32 v21, v22, v21
	v_sub_f32_e32 v18, v18, v24
	;; [unrolled: 1-line block ×6, first 2 shown]
	v_add_f32_e32 v22, v18, v19
	v_sub_f32_e32 v20, v20, v26
	v_add_f32_e32 v20, v21, v20
	v_sub_f32_e32 v21, v22, v18
	;; [unrolled: 2-line block ×3, first 2 shown]
	v_sub_f32_e32 v19, v19, v21
	v_add_f32_e32 v24, v23, v20
	v_sub_f32_e32 v18, v18, v22
	v_sub_f32_e32 v21, v24, v23
	v_add_f32_e32 v18, v19, v18
	v_sub_f32_e32 v19, v20, v21
	v_add_f32_e32 v18, v18, v19
	v_add_f32_e32 v18, v24, v18
	v_cndmask_b32_e64 v18, 0x7f800000, v18, s4
	v_cmp_gt_f32_e64 s4, 0x33800000, |v6|
	v_cndmask_b32_e64 v6, v18, v6, s4
	v_add_f32_e32 v6, v5, v6
.LBB113_45:
	s_or_b32 exec_lo, exec_lo, s5
	ds_write_b32 v17, v6 offset:4
.LBB113_46:
	s_or_b32 exec_lo, exec_lo, s11
	s_mov_b32 s5, exec_lo
	s_waitcnt lgkmcnt(0)
	s_barrier
	buffer_gl0_inv
	v_cmpx_ne_u32_e32 0, v0
	s_cbranch_execz .LBB113_50
; %bb.47:
	v_add_nc_u32_e32 v5, -1, v0
	v_lshrrev_b32_e32 v6, 3, v5
	v_and_b32_e32 v6, 0x1ffffffc, v6
	v_lshl_add_u32 v5, v5, 2, v6
	ds_read_b32 v5, v5
	s_waitcnt lgkmcnt(0)
	v_max_f32_e32 v6, v5, v5
	v_cmp_u_f32_e64 s4, v5, v5
	v_min_f32_e32 v14, v6, v15
	v_max_f32_e32 v6, v6, v15
	v_cndmask_b32_e64 v14, v14, v5, s4
	v_cndmask_b32_e64 v15, v6, v5, s4
	;; [unrolled: 1-line block ×4, first 2 shown]
	v_cmp_class_f32_e64 s10, v6, 0x1f8
	v_cmp_neq_f32_e64 s4, v6, v1
	s_or_b32 s4, s4, s10
	s_and_saveexec_b32 s10, s4
	s_cbranch_execz .LBB113_49
; %bb.48:
	v_sub_f32_e32 v5, v6, v1
	v_mul_f32_e32 v6, 0x3fb8aa3b, v5
	v_cmp_ngt_f32_e64 s4, 0xc2ce8ed0, v5
	v_fma_f32 v14, 0x3fb8aa3b, v5, -v6
	v_rndne_f32_e32 v15, v6
	v_fmamk_f32 v14, v5, 0x32a5705f, v14
	v_sub_f32_e32 v6, v6, v15
	v_add_f32_e32 v6, v6, v14
	v_cvt_i32_f32_e32 v14, v15
	v_exp_f32_e32 v6, v6
	v_ldexp_f32 v6, v6, v14
	v_cndmask_b32_e64 v6, 0, v6, s4
	v_cmp_nlt_f32_e64 s4, 0x42b17218, v5
	v_cndmask_b32_e64 v14, 0x7f800000, v6, s4
	v_add_f32_e32 v15, 1.0, v14
	v_cvt_f64_f32_e32 v[5:6], v15
	v_frexp_exp_i32_f64_e32 v5, v[5:6]
	v_frexp_mant_f32_e32 v6, v15
	v_cmp_gt_f32_e64 s4, 0x3f2aaaab, v6
	v_add_f32_e32 v6, -1.0, v15
	v_sub_f32_e32 v17, v6, v15
	v_sub_f32_e32 v6, v14, v6
	v_add_f32_e32 v17, 1.0, v17
	v_add_f32_e32 v6, v6, v17
	v_subrev_co_ci_u32_e64 v5, null, 0, v5, s4
	s_mov_b32 s4, 0x3e9b6dac
	v_sub_nc_u32_e32 v16, 0, v5
	v_cvt_f32_i32_e32 v5, v5
	v_ldexp_f32 v15, v15, v16
	v_ldexp_f32 v6, v6, v16
	v_add_f32_e32 v18, 1.0, v15
	v_add_f32_e32 v16, -1.0, v15
	v_add_f32_e32 v17, -1.0, v18
	v_add_f32_e32 v19, 1.0, v16
	v_sub_f32_e32 v17, v15, v17
	v_sub_f32_e32 v15, v15, v19
	v_add_f32_e32 v17, v6, v17
	v_add_f32_e32 v6, v6, v15
	;; [unrolled: 1-line block ×4, first 2 shown]
	v_rcp_f32_e32 v15, v19
	v_sub_f32_e32 v18, v18, v19
	v_sub_f32_e32 v16, v16, v20
	v_add_f32_e32 v17, v17, v18
	v_add_f32_e32 v6, v6, v16
	v_mul_f32_e32 v21, v20, v15
	v_mul_f32_e32 v22, v19, v21
	v_fma_f32 v18, v21, v19, -v22
	v_fmac_f32_e32 v18, v21, v17
	v_add_f32_e32 v23, v22, v18
	v_sub_f32_e32 v24, v20, v23
	v_sub_f32_e32 v16, v23, v22
	v_sub_f32_e32 v20, v20, v24
	v_sub_f32_e32 v16, v16, v18
	v_sub_f32_e32 v20, v20, v23
	v_add_f32_e32 v6, v6, v20
	v_add_f32_e32 v6, v16, v6
	;; [unrolled: 1-line block ×3, first 2 shown]
	v_mul_f32_e32 v18, v15, v16
	v_sub_f32_e32 v23, v24, v16
	v_mul_f32_e32 v20, v19, v18
	v_add_f32_e32 v6, v6, v23
	v_fma_f32 v19, v18, v19, -v20
	v_fmac_f32_e32 v19, v18, v17
	v_add_f32_e32 v17, v20, v19
	v_sub_f32_e32 v22, v16, v17
	v_sub_f32_e32 v20, v17, v20
	;; [unrolled: 1-line block ×5, first 2 shown]
	v_add_f32_e32 v6, v6, v16
	v_add_f32_e32 v16, v21, v18
	v_add_f32_e32 v6, v17, v6
	v_sub_f32_e32 v17, v16, v21
	v_add_f32_e32 v6, v22, v6
	v_sub_f32_e32 v17, v18, v17
	v_mul_f32_e32 v6, v15, v6
	v_add_f32_e32 v6, v17, v6
	v_add_f32_e32 v15, v16, v6
	v_mul_f32_e32 v17, v15, v15
	v_fmaak_f32 v18, s4, v17, 0x3ecc95a3
	v_mul_f32_e32 v19, v15, v17
	v_cmp_neq_f32_e64 s4, 0x7f800000, v14
	v_fmaak_f32 v17, v17, v18, 0x3f2aaada
	v_ldexp_f32 v18, v15, 1
	v_sub_f32_e32 v15, v15, v16
	v_mul_f32_e32 v17, v19, v17
	v_mul_f32_e32 v19, 0x3f317218, v5
	v_sub_f32_e32 v6, v6, v15
	v_add_f32_e32 v16, v18, v17
	v_ldexp_f32 v6, v6, 1
	v_sub_f32_e32 v15, v16, v18
	v_fma_f32 v18, 0x3f317218, v5, -v19
	v_sub_f32_e32 v15, v17, v15
	v_fmamk_f32 v5, v5, 0xb102e308, v18
	v_add_f32_e32 v6, v6, v15
	v_add_f32_e32 v15, v19, v5
	;; [unrolled: 1-line block ×3, first 2 shown]
	v_sub_f32_e32 v19, v15, v19
	v_add_f32_e32 v18, v15, v17
	v_sub_f32_e32 v16, v17, v16
	v_sub_f32_e32 v5, v5, v19
	;; [unrolled: 1-line block ×6, first 2 shown]
	v_add_f32_e32 v17, v5, v6
	v_sub_f32_e32 v15, v15, v21
	v_add_f32_e32 v15, v16, v15
	v_sub_f32_e32 v16, v17, v5
	;; [unrolled: 2-line block ×3, first 2 shown]
	v_sub_f32_e32 v6, v6, v16
	v_add_f32_e32 v19, v18, v15
	v_sub_f32_e32 v5, v5, v17
	v_sub_f32_e32 v16, v19, v18
	v_add_f32_e32 v5, v6, v5
	v_sub_f32_e32 v6, v15, v16
	v_add_f32_e32 v5, v5, v6
	v_add_f32_e32 v5, v19, v5
	v_cndmask_b32_e64 v5, 0x7f800000, v5, s4
	v_cmp_gt_f32_e64 s4, 0x33800000, |v14|
	v_cndmask_b32_e64 v5, v5, v14, s4
	v_add_f32_e32 v5, v1, v5
.LBB113_49:
	s_or_b32 exec_lo, exec_lo, s10
	v_max_f32_e32 v1, v5, v5
	;;#ASMSTART
	;;#ASMEND
	v_min_f32_e32 v14, v1, v13
	v_max_f32_e32 v16, v1, v13
	v_mov_b32_e32 v1, v5
.LBB113_50:
	s_or_b32 exec_lo, exec_lo, s5
	v_cmp_u_f32_e64 s4, v1, v1
	v_cndmask_b32_e64 v5, v14, v1, s4
	v_cndmask_b32_e64 v13, v16, v1, s4
	;; [unrolled: 1-line block ×4, first 2 shown]
	v_mov_b32_e32 v2, v1
	v_cmp_class_f32_e64 s5, v6, 0x1f8
	v_cmp_neq_f32_e64 s4, v6, v5
	s_or_b32 s4, s4, s5
	s_and_saveexec_b32 s5, s4
	s_cbranch_execz .LBB113_52
; %bb.51:
	v_sub_f32_e32 v2, v6, v5
	v_mul_f32_e32 v6, 0x3fb8aa3b, v2
	v_cmp_ngt_f32_e64 s4, 0xc2ce8ed0, v2
	v_fma_f32 v13, 0x3fb8aa3b, v2, -v6
	v_rndne_f32_e32 v14, v6
	v_fmamk_f32 v13, v2, 0x32a5705f, v13
	v_sub_f32_e32 v6, v6, v14
	v_add_f32_e32 v6, v6, v13
	v_cvt_i32_f32_e32 v13, v14
	v_exp_f32_e32 v6, v6
	v_ldexp_f32 v6, v6, v13
	v_cndmask_b32_e64 v6, 0, v6, s4
	v_cmp_nlt_f32_e64 s4, 0x42b17218, v2
	v_cndmask_b32_e64 v2, 0x7f800000, v6, s4
	v_add_f32_e32 v6, 1.0, v2
	v_cvt_f64_f32_e32 v[13:14], v6
	v_frexp_exp_i32_f64_e32 v13, v[13:14]
	v_frexp_mant_f32_e32 v14, v6
	v_cmp_gt_f32_e64 s4, 0x3f2aaaab, v14
	v_add_f32_e32 v14, -1.0, v6
	v_sub_f32_e32 v16, v14, v6
	v_sub_f32_e32 v14, v2, v14
	v_add_f32_e32 v16, 1.0, v16
	v_add_f32_e32 v14, v14, v16
	v_subrev_co_ci_u32_e64 v13, null, 0, v13, s4
	s_mov_b32 s4, 0x3e9b6dac
	v_sub_nc_u32_e32 v15, 0, v13
	v_cvt_f32_i32_e32 v13, v13
	v_ldexp_f32 v6, v6, v15
	v_ldexp_f32 v14, v14, v15
	v_add_f32_e32 v17, 1.0, v6
	v_add_f32_e32 v15, -1.0, v6
	v_add_f32_e32 v16, -1.0, v17
	v_add_f32_e32 v18, 1.0, v15
	v_sub_f32_e32 v16, v6, v16
	v_sub_f32_e32 v6, v6, v18
	v_add_f32_e32 v16, v14, v16
	v_add_f32_e32 v6, v14, v6
	;; [unrolled: 1-line block ×4, first 2 shown]
	v_rcp_f32_e32 v14, v18
	v_sub_f32_e32 v17, v17, v18
	v_sub_f32_e32 v15, v15, v19
	v_add_f32_e32 v16, v16, v17
	v_add_f32_e32 v6, v6, v15
	v_mul_f32_e32 v20, v19, v14
	v_mul_f32_e32 v21, v18, v20
	v_fma_f32 v17, v20, v18, -v21
	v_fmac_f32_e32 v17, v20, v16
	v_add_f32_e32 v22, v21, v17
	v_sub_f32_e32 v23, v19, v22
	v_sub_f32_e32 v15, v22, v21
	;; [unrolled: 1-line block ×5, first 2 shown]
	v_add_f32_e32 v6, v6, v19
	v_add_f32_e32 v6, v15, v6
	;; [unrolled: 1-line block ×3, first 2 shown]
	v_mul_f32_e32 v17, v14, v15
	v_sub_f32_e32 v22, v23, v15
	v_mul_f32_e32 v19, v18, v17
	v_add_f32_e32 v6, v6, v22
	v_fma_f32 v18, v17, v18, -v19
	v_fmac_f32_e32 v18, v17, v16
	v_add_f32_e32 v16, v19, v18
	v_sub_f32_e32 v21, v15, v16
	v_sub_f32_e32 v19, v16, v19
	;; [unrolled: 1-line block ×5, first 2 shown]
	v_add_f32_e32 v6, v6, v15
	v_add_f32_e32 v15, v20, v17
	v_add_f32_e32 v6, v16, v6
	v_sub_f32_e32 v16, v15, v20
	v_add_f32_e32 v6, v21, v6
	v_sub_f32_e32 v16, v17, v16
	v_mul_f32_e32 v6, v14, v6
	v_add_f32_e32 v6, v16, v6
	v_add_f32_e32 v14, v15, v6
	v_mul_f32_e32 v16, v14, v14
	v_fmaak_f32 v17, s4, v16, 0x3ecc95a3
	v_mul_f32_e32 v18, v14, v16
	v_cmp_neq_f32_e64 s4, 0x7f800000, v2
	v_fmaak_f32 v16, v16, v17, 0x3f2aaada
	v_ldexp_f32 v17, v14, 1
	v_sub_f32_e32 v14, v14, v15
	v_mul_f32_e32 v16, v18, v16
	v_mul_f32_e32 v18, 0x3f317218, v13
	v_sub_f32_e32 v6, v6, v14
	v_add_f32_e32 v15, v17, v16
	v_ldexp_f32 v6, v6, 1
	v_sub_f32_e32 v14, v15, v17
	v_fma_f32 v17, 0x3f317218, v13, -v18
	v_sub_f32_e32 v14, v16, v14
	v_fmamk_f32 v13, v13, 0xb102e308, v17
	v_add_f32_e32 v6, v6, v14
	v_add_f32_e32 v14, v18, v13
	;; [unrolled: 1-line block ×3, first 2 shown]
	v_sub_f32_e32 v18, v14, v18
	v_add_f32_e32 v17, v14, v16
	v_sub_f32_e32 v15, v16, v15
	v_sub_f32_e32 v13, v13, v18
	;; [unrolled: 1-line block ×6, first 2 shown]
	v_add_f32_e32 v16, v13, v6
	v_sub_f32_e32 v14, v14, v20
	v_add_f32_e32 v14, v15, v14
	v_sub_f32_e32 v15, v16, v13
	;; [unrolled: 2-line block ×3, first 2 shown]
	v_sub_f32_e32 v6, v6, v15
	v_add_f32_e32 v18, v17, v14
	v_sub_f32_e32 v13, v13, v16
	v_sub_f32_e32 v15, v18, v17
	v_add_f32_e32 v6, v6, v13
	v_sub_f32_e32 v13, v14, v15
	v_add_f32_e32 v6, v6, v13
	v_add_f32_e32 v6, v18, v6
	v_cndmask_b32_e64 v6, 0x7f800000, v6, s4
	v_cmp_gt_f32_e64 s4, 0x33800000, |v2|
	v_cndmask_b32_e64 v2, v6, v2, s4
	v_add_f32_e32 v2, v5, v2
.LBB113_52:
	s_or_b32 exec_lo, exec_lo, s5
	v_max_f32_e32 v5, v2, v2
	v_cmp_u_f32_e64 s4, v2, v2
	v_min_f32_e32 v6, v5, v10
	v_max_f32_e32 v5, v5, v10
	v_cndmask_b32_e64 v6, v6, v2, s4
	v_cndmask_b32_e64 v5, v5, v2, s4
	;; [unrolled: 1-line block ×4, first 2 shown]
	v_mov_b32_e32 v3, v2
	v_cmp_class_f32_e64 s5, v6, 0x1f8
	v_cmp_neq_f32_e64 s4, v6, v5
	s_or_b32 s4, s4, s5
	s_and_saveexec_b32 s5, s4
	s_cbranch_execz .LBB113_54
; %bb.53:
	v_sub_f32_e32 v3, v6, v5
	v_mul_f32_e32 v6, 0x3fb8aa3b, v3
	v_cmp_ngt_f32_e64 s4, 0xc2ce8ed0, v3
	v_fma_f32 v10, 0x3fb8aa3b, v3, -v6
	v_rndne_f32_e32 v13, v6
	v_fmamk_f32 v10, v3, 0x32a5705f, v10
	v_sub_f32_e32 v6, v6, v13
	v_add_f32_e32 v6, v6, v10
	v_cvt_i32_f32_e32 v10, v13
	v_exp_f32_e32 v6, v6
	v_ldexp_f32 v6, v6, v10
	v_cndmask_b32_e64 v6, 0, v6, s4
	v_cmp_nlt_f32_e64 s4, 0x42b17218, v3
	v_cndmask_b32_e64 v3, 0x7f800000, v6, s4
	v_add_f32_e32 v6, 1.0, v3
	v_cvt_f64_f32_e32 v[13:14], v6
	v_frexp_exp_i32_f64_e32 v10, v[13:14]
	v_frexp_mant_f32_e32 v13, v6
	v_cmp_gt_f32_e64 s4, 0x3f2aaaab, v13
	v_add_f32_e32 v13, -1.0, v6
	v_sub_f32_e32 v15, v13, v6
	v_sub_f32_e32 v13, v3, v13
	v_add_f32_e32 v15, 1.0, v15
	v_add_f32_e32 v13, v13, v15
	v_subrev_co_ci_u32_e64 v10, null, 0, v10, s4
	s_mov_b32 s4, 0x3e9b6dac
	v_sub_nc_u32_e32 v14, 0, v10
	v_cvt_f32_i32_e32 v10, v10
	v_ldexp_f32 v6, v6, v14
	v_ldexp_f32 v13, v13, v14
	v_add_f32_e32 v16, 1.0, v6
	v_add_f32_e32 v14, -1.0, v6
	v_add_f32_e32 v15, -1.0, v16
	v_add_f32_e32 v17, 1.0, v14
	v_sub_f32_e32 v15, v6, v15
	v_sub_f32_e32 v6, v6, v17
	v_add_f32_e32 v15, v13, v15
	v_add_f32_e32 v6, v13, v6
	;; [unrolled: 1-line block ×4, first 2 shown]
	v_rcp_f32_e32 v13, v17
	v_sub_f32_e32 v16, v16, v17
	v_sub_f32_e32 v14, v14, v18
	v_add_f32_e32 v15, v15, v16
	v_add_f32_e32 v6, v6, v14
	v_mul_f32_e32 v19, v18, v13
	v_mul_f32_e32 v20, v17, v19
	v_fma_f32 v16, v19, v17, -v20
	v_fmac_f32_e32 v16, v19, v15
	v_add_f32_e32 v21, v20, v16
	v_sub_f32_e32 v22, v18, v21
	v_sub_f32_e32 v14, v21, v20
	;; [unrolled: 1-line block ×5, first 2 shown]
	v_add_f32_e32 v6, v6, v18
	v_add_f32_e32 v6, v14, v6
	;; [unrolled: 1-line block ×3, first 2 shown]
	v_mul_f32_e32 v16, v13, v14
	v_sub_f32_e32 v21, v22, v14
	v_mul_f32_e32 v18, v17, v16
	v_add_f32_e32 v6, v6, v21
	v_fma_f32 v17, v16, v17, -v18
	v_fmac_f32_e32 v17, v16, v15
	v_add_f32_e32 v15, v18, v17
	v_sub_f32_e32 v20, v14, v15
	v_sub_f32_e32 v18, v15, v18
	;; [unrolled: 1-line block ×5, first 2 shown]
	v_add_f32_e32 v6, v6, v14
	v_add_f32_e32 v14, v19, v16
	;; [unrolled: 1-line block ×3, first 2 shown]
	v_sub_f32_e32 v15, v14, v19
	v_add_f32_e32 v6, v20, v6
	v_sub_f32_e32 v15, v16, v15
	v_mul_f32_e32 v6, v13, v6
	v_add_f32_e32 v6, v15, v6
	v_add_f32_e32 v13, v14, v6
	v_mul_f32_e32 v15, v13, v13
	v_fmaak_f32 v16, s4, v15, 0x3ecc95a3
	v_mul_f32_e32 v17, v13, v15
	v_cmp_neq_f32_e64 s4, 0x7f800000, v3
	v_fmaak_f32 v15, v15, v16, 0x3f2aaada
	v_ldexp_f32 v16, v13, 1
	v_sub_f32_e32 v13, v13, v14
	v_mul_f32_e32 v15, v17, v15
	v_mul_f32_e32 v17, 0x3f317218, v10
	v_sub_f32_e32 v6, v6, v13
	v_add_f32_e32 v14, v16, v15
	v_ldexp_f32 v6, v6, 1
	v_sub_f32_e32 v13, v14, v16
	v_fma_f32 v16, 0x3f317218, v10, -v17
	v_sub_f32_e32 v13, v15, v13
	v_fmamk_f32 v10, v10, 0xb102e308, v16
	v_add_f32_e32 v6, v6, v13
	v_add_f32_e32 v13, v17, v10
	;; [unrolled: 1-line block ×3, first 2 shown]
	v_sub_f32_e32 v17, v13, v17
	v_add_f32_e32 v16, v13, v15
	v_sub_f32_e32 v14, v15, v14
	v_sub_f32_e32 v10, v10, v17
	;; [unrolled: 1-line block ×6, first 2 shown]
	v_add_f32_e32 v15, v10, v6
	v_sub_f32_e32 v13, v13, v19
	v_add_f32_e32 v13, v14, v13
	v_sub_f32_e32 v14, v15, v10
	;; [unrolled: 2-line block ×3, first 2 shown]
	v_sub_f32_e32 v6, v6, v14
	v_add_f32_e32 v17, v16, v13
	v_sub_f32_e32 v10, v10, v15
	v_sub_f32_e32 v14, v17, v16
	v_add_f32_e32 v6, v6, v10
	v_sub_f32_e32 v10, v13, v14
	v_add_f32_e32 v6, v6, v10
	v_add_f32_e32 v6, v17, v6
	v_cndmask_b32_e64 v6, 0x7f800000, v6, s4
	v_cmp_gt_f32_e64 s4, 0x33800000, |v3|
	v_cndmask_b32_e64 v3, v6, v3, s4
	v_add_f32_e32 v3, v5, v3
.LBB113_54:
	s_or_b32 exec_lo, exec_lo, s5
	v_max_f32_e32 v5, v3, v3
	v_cmp_u_f32_e64 s4, v3, v3
	v_min_f32_e32 v6, v5, v11
	v_max_f32_e32 v5, v5, v11
	v_cndmask_b32_e64 v6, v6, v3, s4
	v_cndmask_b32_e64 v5, v5, v3, s4
	;; [unrolled: 1-line block ×4, first 2 shown]
	v_mov_b32_e32 v4, v3
	v_cmp_class_f32_e64 s5, v6, 0x1f8
	v_cmp_neq_f32_e64 s4, v6, v5
	s_or_b32 s4, s4, s5
	s_and_saveexec_b32 s5, s4
	s_cbranch_execz .LBB113_56
; %bb.55:
	v_sub_f32_e32 v4, v6, v5
	v_mul_f32_e32 v6, 0x3fb8aa3b, v4
	v_cmp_ngt_f32_e64 s4, 0xc2ce8ed0, v4
	v_fma_f32 v10, 0x3fb8aa3b, v4, -v6
	v_rndne_f32_e32 v11, v6
	v_fmamk_f32 v10, v4, 0x32a5705f, v10
	v_sub_f32_e32 v6, v6, v11
	v_add_f32_e32 v6, v6, v10
	v_cvt_i32_f32_e32 v10, v11
	v_exp_f32_e32 v6, v6
	v_ldexp_f32 v6, v6, v10
	v_cndmask_b32_e64 v6, 0, v6, s4
	v_cmp_nlt_f32_e64 s4, 0x42b17218, v4
	v_cndmask_b32_e64 v4, 0x7f800000, v6, s4
	v_add_f32_e32 v6, 1.0, v4
	v_cvt_f64_f32_e32 v[10:11], v6
	v_frexp_exp_i32_f64_e32 v10, v[10:11]
	v_frexp_mant_f32_e32 v11, v6
	v_cmp_gt_f32_e64 s4, 0x3f2aaaab, v11
	v_add_f32_e32 v11, -1.0, v6
	v_sub_f32_e32 v14, v11, v6
	v_sub_f32_e32 v11, v4, v11
	v_add_f32_e32 v14, 1.0, v14
	v_add_f32_e32 v11, v11, v14
	v_subrev_co_ci_u32_e64 v10, null, 0, v10, s4
	s_mov_b32 s4, 0x3e9b6dac
	v_sub_nc_u32_e32 v13, 0, v10
	v_cvt_f32_i32_e32 v10, v10
	v_ldexp_f32 v6, v6, v13
	v_ldexp_f32 v11, v11, v13
	v_add_f32_e32 v15, 1.0, v6
	v_add_f32_e32 v13, -1.0, v6
	v_add_f32_e32 v14, -1.0, v15
	v_add_f32_e32 v16, 1.0, v13
	v_sub_f32_e32 v14, v6, v14
	v_sub_f32_e32 v6, v6, v16
	v_add_f32_e32 v14, v11, v14
	v_add_f32_e32 v6, v11, v6
	;; [unrolled: 1-line block ×4, first 2 shown]
	v_rcp_f32_e32 v11, v16
	v_sub_f32_e32 v15, v15, v16
	v_sub_f32_e32 v13, v13, v17
	v_add_f32_e32 v14, v14, v15
	v_add_f32_e32 v6, v6, v13
	v_mul_f32_e32 v18, v17, v11
	v_mul_f32_e32 v19, v16, v18
	v_fma_f32 v15, v18, v16, -v19
	v_fmac_f32_e32 v15, v18, v14
	v_add_f32_e32 v20, v19, v15
	v_sub_f32_e32 v21, v17, v20
	v_sub_f32_e32 v13, v20, v19
	;; [unrolled: 1-line block ×5, first 2 shown]
	v_add_f32_e32 v6, v6, v17
	v_add_f32_e32 v6, v13, v6
	;; [unrolled: 1-line block ×3, first 2 shown]
	v_mul_f32_e32 v15, v11, v13
	v_sub_f32_e32 v20, v21, v13
	v_mul_f32_e32 v17, v16, v15
	v_add_f32_e32 v6, v6, v20
	v_fma_f32 v16, v15, v16, -v17
	v_fmac_f32_e32 v16, v15, v14
	v_add_f32_e32 v14, v17, v16
	v_sub_f32_e32 v19, v13, v14
	v_sub_f32_e32 v17, v14, v17
	;; [unrolled: 1-line block ×5, first 2 shown]
	v_add_f32_e32 v6, v6, v13
	v_add_f32_e32 v13, v18, v15
	;; [unrolled: 1-line block ×3, first 2 shown]
	v_sub_f32_e32 v14, v13, v18
	v_add_f32_e32 v6, v19, v6
	v_sub_f32_e32 v14, v15, v14
	v_mul_f32_e32 v6, v11, v6
	v_add_f32_e32 v6, v14, v6
	v_add_f32_e32 v11, v13, v6
	v_mul_f32_e32 v14, v11, v11
	v_fmaak_f32 v15, s4, v14, 0x3ecc95a3
	v_mul_f32_e32 v16, v11, v14
	v_cmp_neq_f32_e64 s4, 0x7f800000, v4
	v_fmaak_f32 v14, v14, v15, 0x3f2aaada
	v_ldexp_f32 v15, v11, 1
	v_sub_f32_e32 v11, v11, v13
	v_mul_f32_e32 v14, v16, v14
	v_mul_f32_e32 v16, 0x3f317218, v10
	v_sub_f32_e32 v6, v6, v11
	v_add_f32_e32 v13, v15, v14
	v_ldexp_f32 v6, v6, 1
	v_sub_f32_e32 v11, v13, v15
	v_fma_f32 v15, 0x3f317218, v10, -v16
	v_sub_f32_e32 v11, v14, v11
	v_fmamk_f32 v10, v10, 0xb102e308, v15
	v_add_f32_e32 v6, v6, v11
	v_add_f32_e32 v11, v16, v10
	;; [unrolled: 1-line block ×3, first 2 shown]
	v_sub_f32_e32 v16, v11, v16
	v_add_f32_e32 v15, v11, v14
	v_sub_f32_e32 v13, v14, v13
	v_sub_f32_e32 v10, v10, v16
	;; [unrolled: 1-line block ×6, first 2 shown]
	v_add_f32_e32 v14, v10, v6
	v_sub_f32_e32 v11, v11, v18
	v_add_f32_e32 v11, v13, v11
	v_sub_f32_e32 v13, v14, v10
	;; [unrolled: 2-line block ×3, first 2 shown]
	v_sub_f32_e32 v6, v6, v13
	v_add_f32_e32 v16, v15, v11
	v_sub_f32_e32 v10, v10, v14
	v_sub_f32_e32 v13, v16, v15
	v_add_f32_e32 v6, v6, v10
	v_sub_f32_e32 v10, v11, v13
	v_add_f32_e32 v6, v6, v10
	v_add_f32_e32 v6, v16, v6
	v_cndmask_b32_e64 v6, 0x7f800000, v6, s4
	v_cmp_gt_f32_e64 s4, 0x33800000, |v4|
	v_cndmask_b32_e64 v4, v6, v4, s4
	v_add_f32_e32 v4, v5, v4
.LBB113_56:
	s_or_b32 exec_lo, exec_lo, s5
	v_max_f32_e32 v5, v4, v4
	v_cmp_u_f32_e64 s4, v4, v4
	v_min_f32_e32 v6, v5, v12
	v_max_f32_e32 v5, v5, v12
	v_cndmask_b32_e64 v6, v6, v4, s4
	v_cndmask_b32_e64 v5, v5, v4, s4
	v_cndmask_b32_e64 v10, v6, v9, s9
	v_cndmask_b32_e64 v5, v5, v9, s9
	v_mov_b32_e32 v6, v4
	v_cmp_class_f32_e64 s5, v10, 0x1f8
	v_cmp_neq_f32_e64 s4, v10, v5
	s_or_b32 s4, s4, s5
	s_and_saveexec_b32 s5, s4
	s_cbranch_execz .LBB113_58
; %bb.57:
	v_sub_f32_e32 v6, v10, v5
	v_mul_f32_e32 v9, 0x3fb8aa3b, v6
	v_cmp_ngt_f32_e64 s4, 0xc2ce8ed0, v6
	v_fma_f32 v10, 0x3fb8aa3b, v6, -v9
	v_rndne_f32_e32 v11, v9
	v_fmamk_f32 v10, v6, 0x32a5705f, v10
	v_sub_f32_e32 v9, v9, v11
	v_add_f32_e32 v9, v9, v10
	v_cvt_i32_f32_e32 v10, v11
	v_exp_f32_e32 v9, v9
	v_ldexp_f32 v9, v9, v10
	v_cndmask_b32_e64 v9, 0, v9, s4
	v_cmp_nlt_f32_e64 s4, 0x42b17218, v6
	v_cndmask_b32_e64 v6, 0x7f800000, v9, s4
	v_add_f32_e32 v11, 1.0, v6
	v_cvt_f64_f32_e32 v[9:10], v11
	v_frexp_exp_i32_f64_e32 v9, v[9:10]
	v_frexp_mant_f32_e32 v10, v11
	v_cmp_gt_f32_e64 s4, 0x3f2aaaab, v10
	v_add_f32_e32 v10, -1.0, v11
	v_sub_f32_e32 v13, v10, v11
	v_sub_f32_e32 v10, v6, v10
	v_add_f32_e32 v13, 1.0, v13
	v_add_f32_e32 v10, v10, v13
	v_subrev_co_ci_u32_e64 v9, null, 0, v9, s4
	s_mov_b32 s4, 0x3e9b6dac
	v_sub_nc_u32_e32 v12, 0, v9
	v_cvt_f32_i32_e32 v9, v9
	v_ldexp_f32 v11, v11, v12
	v_ldexp_f32 v10, v10, v12
	v_add_f32_e32 v14, 1.0, v11
	v_add_f32_e32 v12, -1.0, v11
	v_add_f32_e32 v13, -1.0, v14
	v_add_f32_e32 v15, 1.0, v12
	v_sub_f32_e32 v13, v11, v13
	v_sub_f32_e32 v11, v11, v15
	v_add_f32_e32 v13, v10, v13
	v_add_f32_e32 v10, v10, v11
	v_add_f32_e32 v15, v14, v13
	v_add_f32_e32 v16, v12, v10
	v_rcp_f32_e32 v11, v15
	v_sub_f32_e32 v14, v14, v15
	v_sub_f32_e32 v12, v12, v16
	v_add_f32_e32 v13, v13, v14
	v_add_f32_e32 v10, v10, v12
	v_mul_f32_e32 v17, v16, v11
	v_mul_f32_e32 v18, v15, v17
	v_fma_f32 v14, v17, v15, -v18
	v_fmac_f32_e32 v14, v17, v13
	v_add_f32_e32 v19, v18, v14
	v_sub_f32_e32 v20, v16, v19
	v_sub_f32_e32 v12, v19, v18
	;; [unrolled: 1-line block ×5, first 2 shown]
	v_add_f32_e32 v10, v10, v16
	v_add_f32_e32 v10, v12, v10
	;; [unrolled: 1-line block ×3, first 2 shown]
	v_mul_f32_e32 v14, v11, v12
	v_sub_f32_e32 v19, v20, v12
	v_mul_f32_e32 v16, v15, v14
	v_add_f32_e32 v10, v10, v19
	v_fma_f32 v15, v14, v15, -v16
	v_fmac_f32_e32 v15, v14, v13
	v_add_f32_e32 v13, v16, v15
	v_sub_f32_e32 v18, v12, v13
	v_sub_f32_e32 v16, v13, v16
	;; [unrolled: 1-line block ×5, first 2 shown]
	v_add_f32_e32 v10, v10, v12
	v_add_f32_e32 v12, v17, v14
	;; [unrolled: 1-line block ×3, first 2 shown]
	v_sub_f32_e32 v13, v12, v17
	v_add_f32_e32 v10, v18, v10
	v_sub_f32_e32 v13, v14, v13
	v_mul_f32_e32 v10, v11, v10
	v_add_f32_e32 v10, v13, v10
	v_add_f32_e32 v11, v12, v10
	v_mul_f32_e32 v13, v11, v11
	v_fmaak_f32 v14, s4, v13, 0x3ecc95a3
	v_mul_f32_e32 v15, v11, v13
	v_cmp_neq_f32_e64 s4, 0x7f800000, v6
	v_fmaak_f32 v13, v13, v14, 0x3f2aaada
	v_ldexp_f32 v14, v11, 1
	v_sub_f32_e32 v11, v11, v12
	v_mul_f32_e32 v13, v15, v13
	v_mul_f32_e32 v15, 0x3f317218, v9
	v_sub_f32_e32 v10, v10, v11
	v_add_f32_e32 v12, v14, v13
	v_ldexp_f32 v10, v10, 1
	v_sub_f32_e32 v11, v12, v14
	v_fma_f32 v14, 0x3f317218, v9, -v15
	v_sub_f32_e32 v11, v13, v11
	v_fmamk_f32 v9, v9, 0xb102e308, v14
	v_add_f32_e32 v10, v10, v11
	v_add_f32_e32 v11, v15, v9
	;; [unrolled: 1-line block ×3, first 2 shown]
	v_sub_f32_e32 v15, v11, v15
	v_add_f32_e32 v14, v11, v13
	v_sub_f32_e32 v12, v13, v12
	v_sub_f32_e32 v9, v9, v15
	;; [unrolled: 1-line block ×6, first 2 shown]
	v_add_f32_e32 v13, v9, v10
	v_sub_f32_e32 v11, v11, v17
	v_add_f32_e32 v11, v12, v11
	v_sub_f32_e32 v12, v13, v9
	;; [unrolled: 2-line block ×3, first 2 shown]
	v_sub_f32_e32 v10, v10, v12
	v_add_f32_e32 v15, v14, v11
	v_sub_f32_e32 v9, v9, v13
	v_sub_f32_e32 v12, v15, v14
	v_add_f32_e32 v9, v10, v9
	v_sub_f32_e32 v10, v11, v12
	v_add_f32_e32 v9, v9, v10
	v_add_f32_e32 v9, v15, v9
	v_cndmask_b32_e64 v9, 0x7f800000, v9, s4
	v_cmp_gt_f32_e64 s4, 0x33800000, |v6|
	v_cndmask_b32_e64 v6, v9, v6, s4
	v_add_f32_e32 v6, v5, v6
.LBB113_58:
	s_or_b32 exec_lo, exec_lo, s5
	s_barrier
	buffer_gl0_inv
	ds_write2_b32 v8, v1, v2 offset1:1
	ds_write2_b32 v8, v3, v4 offset0:2 offset1:3
	ds_write_b32 v8, v6 offset:16
	s_waitcnt lgkmcnt(0)
	s_barrier
	buffer_gl0_inv
	ds_read2st64_b32 v[5:6], v7 offset0:1 offset1:2
	ds_read2st64_b32 v[1:2], v7 offset0:3 offset1:4
	v_lshlrev_b32_e32 v0, 2, v0
	v_add_co_u32 v3, s4, s12, v0
	v_add_co_ci_u32_e64 v4, null, s13, 0, s4
	s_and_saveexec_b32 s4, vcc_lo
	s_cbranch_execnz .LBB113_64
; %bb.59:
	s_or_b32 exec_lo, exec_lo, s4
	s_and_saveexec_b32 s4, s0
	s_cbranch_execnz .LBB113_65
.LBB113_60:
	s_or_b32 exec_lo, exec_lo, s4
	s_and_saveexec_b32 s0, s1
	s_cbranch_execnz .LBB113_66
.LBB113_61:
	s_or_b32 exec_lo, exec_lo, s0
	s_and_saveexec_b32 s0, s2
	s_cbranch_execnz .LBB113_67
.LBB113_62:
	s_or_b32 exec_lo, exec_lo, s0
	s_and_saveexec_b32 s0, s3
	s_cbranch_execnz .LBB113_68
.LBB113_63:
	s_endpgm
.LBB113_64:
	ds_read_b32 v0, v7
	s_waitcnt lgkmcnt(0)
	global_store_dword v[3:4], v0, off
	s_or_b32 exec_lo, exec_lo, s4
	s_and_saveexec_b32 s4, s0
	s_cbranch_execz .LBB113_60
.LBB113_65:
	s_waitcnt lgkmcnt(1)
	global_store_dword v[3:4], v5, off offset:256
	s_or_b32 exec_lo, exec_lo, s4
	s_and_saveexec_b32 s0, s1
	s_cbranch_execz .LBB113_61
.LBB113_66:
	s_waitcnt lgkmcnt(1)
	global_store_dword v[3:4], v6, off offset:512
	s_or_b32 exec_lo, exec_lo, s0
	s_and_saveexec_b32 s0, s2
	s_cbranch_execz .LBB113_62
.LBB113_67:
	s_waitcnt lgkmcnt(0)
	global_store_dword v[3:4], v1, off offset:768
	s_or_b32 exec_lo, exec_lo, s0
	s_and_saveexec_b32 s0, s3
	s_cbranch_execz .LBB113_63
.LBB113_68:
	s_waitcnt lgkmcnt(0)
	global_store_dword v[3:4], v2, off offset:1024
	s_endpgm
	.section	.rodata,"a",@progbits
	.p2align	6, 0x0
	.amdhsa_kernel _ZN7rocprim17ROCPRIM_400000_NS6detail17trampoline_kernelINS0_14default_configENS1_20scan_config_selectorIfEEZZNS1_9scan_implILNS1_25lookback_scan_determinismE0ELb0ELb0ES3_PKfPffZZZN2at6native31launch_logcumsumexp_cuda_kernelERKNSB_10TensorBaseESF_lENKUlvE_clEvENKUlvE0_clEvEUlffE_fEEDaPvRmT3_T4_T5_mT6_P12ihipStream_tbENKUlT_T0_E_clISt17integral_constantIbLb0EESW_EEDaSR_SS_EUlSR_E0_NS1_11comp_targetILNS1_3genE8ELNS1_11target_archE1030ELNS1_3gpuE2ELNS1_3repE0EEENS1_30default_config_static_selectorELNS0_4arch9wavefront6targetE0EEEvT1_
		.amdhsa_group_segment_fixed_size 1280
		.amdhsa_private_segment_fixed_size 0
		.amdhsa_kernarg_size 32
		.amdhsa_user_sgpr_count 6
		.amdhsa_user_sgpr_private_segment_buffer 1
		.amdhsa_user_sgpr_dispatch_ptr 0
		.amdhsa_user_sgpr_queue_ptr 0
		.amdhsa_user_sgpr_kernarg_segment_ptr 1
		.amdhsa_user_sgpr_dispatch_id 0
		.amdhsa_user_sgpr_flat_scratch_init 0
		.amdhsa_user_sgpr_private_segment_size 0
		.amdhsa_wavefront_size32 1
		.amdhsa_uses_dynamic_stack 0
		.amdhsa_system_sgpr_private_segment_wavefront_offset 0
		.amdhsa_system_sgpr_workgroup_id_x 1
		.amdhsa_system_sgpr_workgroup_id_y 0
		.amdhsa_system_sgpr_workgroup_id_z 0
		.amdhsa_system_sgpr_workgroup_info 0
		.amdhsa_system_vgpr_workitem_id 0
		.amdhsa_next_free_vgpr 35
		.amdhsa_next_free_sgpr 20
		.amdhsa_reserve_vcc 1
		.amdhsa_reserve_flat_scratch 0
		.amdhsa_float_round_mode_32 0
		.amdhsa_float_round_mode_16_64 0
		.amdhsa_float_denorm_mode_32 3
		.amdhsa_float_denorm_mode_16_64 3
		.amdhsa_dx10_clamp 1
		.amdhsa_ieee_mode 1
		.amdhsa_fp16_overflow 0
		.amdhsa_workgroup_processor_mode 1
		.amdhsa_memory_ordered 1
		.amdhsa_forward_progress 1
		.amdhsa_shared_vgpr_count 0
		.amdhsa_exception_fp_ieee_invalid_op 0
		.amdhsa_exception_fp_denorm_src 0
		.amdhsa_exception_fp_ieee_div_zero 0
		.amdhsa_exception_fp_ieee_overflow 0
		.amdhsa_exception_fp_ieee_underflow 0
		.amdhsa_exception_fp_ieee_inexact 0
		.amdhsa_exception_int_div_zero 0
	.end_amdhsa_kernel
	.section	.text._ZN7rocprim17ROCPRIM_400000_NS6detail17trampoline_kernelINS0_14default_configENS1_20scan_config_selectorIfEEZZNS1_9scan_implILNS1_25lookback_scan_determinismE0ELb0ELb0ES3_PKfPffZZZN2at6native31launch_logcumsumexp_cuda_kernelERKNSB_10TensorBaseESF_lENKUlvE_clEvENKUlvE0_clEvEUlffE_fEEDaPvRmT3_T4_T5_mT6_P12ihipStream_tbENKUlT_T0_E_clISt17integral_constantIbLb0EESW_EEDaSR_SS_EUlSR_E0_NS1_11comp_targetILNS1_3genE8ELNS1_11target_archE1030ELNS1_3gpuE2ELNS1_3repE0EEENS1_30default_config_static_selectorELNS0_4arch9wavefront6targetE0EEEvT1_,"axG",@progbits,_ZN7rocprim17ROCPRIM_400000_NS6detail17trampoline_kernelINS0_14default_configENS1_20scan_config_selectorIfEEZZNS1_9scan_implILNS1_25lookback_scan_determinismE0ELb0ELb0ES3_PKfPffZZZN2at6native31launch_logcumsumexp_cuda_kernelERKNSB_10TensorBaseESF_lENKUlvE_clEvENKUlvE0_clEvEUlffE_fEEDaPvRmT3_T4_T5_mT6_P12ihipStream_tbENKUlT_T0_E_clISt17integral_constantIbLb0EESW_EEDaSR_SS_EUlSR_E0_NS1_11comp_targetILNS1_3genE8ELNS1_11target_archE1030ELNS1_3gpuE2ELNS1_3repE0EEENS1_30default_config_static_selectorELNS0_4arch9wavefront6targetE0EEEvT1_,comdat
.Lfunc_end113:
	.size	_ZN7rocprim17ROCPRIM_400000_NS6detail17trampoline_kernelINS0_14default_configENS1_20scan_config_selectorIfEEZZNS1_9scan_implILNS1_25lookback_scan_determinismE0ELb0ELb0ES3_PKfPffZZZN2at6native31launch_logcumsumexp_cuda_kernelERKNSB_10TensorBaseESF_lENKUlvE_clEvENKUlvE0_clEvEUlffE_fEEDaPvRmT3_T4_T5_mT6_P12ihipStream_tbENKUlT_T0_E_clISt17integral_constantIbLb0EESW_EEDaSR_SS_EUlSR_E0_NS1_11comp_targetILNS1_3genE8ELNS1_11target_archE1030ELNS1_3gpuE2ELNS1_3repE0EEENS1_30default_config_static_selectorELNS0_4arch9wavefront6targetE0EEEvT1_, .Lfunc_end113-_ZN7rocprim17ROCPRIM_400000_NS6detail17trampoline_kernelINS0_14default_configENS1_20scan_config_selectorIfEEZZNS1_9scan_implILNS1_25lookback_scan_determinismE0ELb0ELb0ES3_PKfPffZZZN2at6native31launch_logcumsumexp_cuda_kernelERKNSB_10TensorBaseESF_lENKUlvE_clEvENKUlvE0_clEvEUlffE_fEEDaPvRmT3_T4_T5_mT6_P12ihipStream_tbENKUlT_T0_E_clISt17integral_constantIbLb0EESW_EEDaSR_SS_EUlSR_E0_NS1_11comp_targetILNS1_3genE8ELNS1_11target_archE1030ELNS1_3gpuE2ELNS1_3repE0EEENS1_30default_config_static_selectorELNS0_4arch9wavefront6targetE0EEEvT1_
                                        ; -- End function
	.set _ZN7rocprim17ROCPRIM_400000_NS6detail17trampoline_kernelINS0_14default_configENS1_20scan_config_selectorIfEEZZNS1_9scan_implILNS1_25lookback_scan_determinismE0ELb0ELb0ES3_PKfPffZZZN2at6native31launch_logcumsumexp_cuda_kernelERKNSB_10TensorBaseESF_lENKUlvE_clEvENKUlvE0_clEvEUlffE_fEEDaPvRmT3_T4_T5_mT6_P12ihipStream_tbENKUlT_T0_E_clISt17integral_constantIbLb0EESW_EEDaSR_SS_EUlSR_E0_NS1_11comp_targetILNS1_3genE8ELNS1_11target_archE1030ELNS1_3gpuE2ELNS1_3repE0EEENS1_30default_config_static_selectorELNS0_4arch9wavefront6targetE0EEEvT1_.num_vgpr, 35
	.set _ZN7rocprim17ROCPRIM_400000_NS6detail17trampoline_kernelINS0_14default_configENS1_20scan_config_selectorIfEEZZNS1_9scan_implILNS1_25lookback_scan_determinismE0ELb0ELb0ES3_PKfPffZZZN2at6native31launch_logcumsumexp_cuda_kernelERKNSB_10TensorBaseESF_lENKUlvE_clEvENKUlvE0_clEvEUlffE_fEEDaPvRmT3_T4_T5_mT6_P12ihipStream_tbENKUlT_T0_E_clISt17integral_constantIbLb0EESW_EEDaSR_SS_EUlSR_E0_NS1_11comp_targetILNS1_3genE8ELNS1_11target_archE1030ELNS1_3gpuE2ELNS1_3repE0EEENS1_30default_config_static_selectorELNS0_4arch9wavefront6targetE0EEEvT1_.num_agpr, 0
	.set _ZN7rocprim17ROCPRIM_400000_NS6detail17trampoline_kernelINS0_14default_configENS1_20scan_config_selectorIfEEZZNS1_9scan_implILNS1_25lookback_scan_determinismE0ELb0ELb0ES3_PKfPffZZZN2at6native31launch_logcumsumexp_cuda_kernelERKNSB_10TensorBaseESF_lENKUlvE_clEvENKUlvE0_clEvEUlffE_fEEDaPvRmT3_T4_T5_mT6_P12ihipStream_tbENKUlT_T0_E_clISt17integral_constantIbLb0EESW_EEDaSR_SS_EUlSR_E0_NS1_11comp_targetILNS1_3genE8ELNS1_11target_archE1030ELNS1_3gpuE2ELNS1_3repE0EEENS1_30default_config_static_selectorELNS0_4arch9wavefront6targetE0EEEvT1_.numbered_sgpr, 20
	.set _ZN7rocprim17ROCPRIM_400000_NS6detail17trampoline_kernelINS0_14default_configENS1_20scan_config_selectorIfEEZZNS1_9scan_implILNS1_25lookback_scan_determinismE0ELb0ELb0ES3_PKfPffZZZN2at6native31launch_logcumsumexp_cuda_kernelERKNSB_10TensorBaseESF_lENKUlvE_clEvENKUlvE0_clEvEUlffE_fEEDaPvRmT3_T4_T5_mT6_P12ihipStream_tbENKUlT_T0_E_clISt17integral_constantIbLb0EESW_EEDaSR_SS_EUlSR_E0_NS1_11comp_targetILNS1_3genE8ELNS1_11target_archE1030ELNS1_3gpuE2ELNS1_3repE0EEENS1_30default_config_static_selectorELNS0_4arch9wavefront6targetE0EEEvT1_.num_named_barrier, 0
	.set _ZN7rocprim17ROCPRIM_400000_NS6detail17trampoline_kernelINS0_14default_configENS1_20scan_config_selectorIfEEZZNS1_9scan_implILNS1_25lookback_scan_determinismE0ELb0ELb0ES3_PKfPffZZZN2at6native31launch_logcumsumexp_cuda_kernelERKNSB_10TensorBaseESF_lENKUlvE_clEvENKUlvE0_clEvEUlffE_fEEDaPvRmT3_T4_T5_mT6_P12ihipStream_tbENKUlT_T0_E_clISt17integral_constantIbLb0EESW_EEDaSR_SS_EUlSR_E0_NS1_11comp_targetILNS1_3genE8ELNS1_11target_archE1030ELNS1_3gpuE2ELNS1_3repE0EEENS1_30default_config_static_selectorELNS0_4arch9wavefront6targetE0EEEvT1_.private_seg_size, 0
	.set _ZN7rocprim17ROCPRIM_400000_NS6detail17trampoline_kernelINS0_14default_configENS1_20scan_config_selectorIfEEZZNS1_9scan_implILNS1_25lookback_scan_determinismE0ELb0ELb0ES3_PKfPffZZZN2at6native31launch_logcumsumexp_cuda_kernelERKNSB_10TensorBaseESF_lENKUlvE_clEvENKUlvE0_clEvEUlffE_fEEDaPvRmT3_T4_T5_mT6_P12ihipStream_tbENKUlT_T0_E_clISt17integral_constantIbLb0EESW_EEDaSR_SS_EUlSR_E0_NS1_11comp_targetILNS1_3genE8ELNS1_11target_archE1030ELNS1_3gpuE2ELNS1_3repE0EEENS1_30default_config_static_selectorELNS0_4arch9wavefront6targetE0EEEvT1_.uses_vcc, 1
	.set _ZN7rocprim17ROCPRIM_400000_NS6detail17trampoline_kernelINS0_14default_configENS1_20scan_config_selectorIfEEZZNS1_9scan_implILNS1_25lookback_scan_determinismE0ELb0ELb0ES3_PKfPffZZZN2at6native31launch_logcumsumexp_cuda_kernelERKNSB_10TensorBaseESF_lENKUlvE_clEvENKUlvE0_clEvEUlffE_fEEDaPvRmT3_T4_T5_mT6_P12ihipStream_tbENKUlT_T0_E_clISt17integral_constantIbLb0EESW_EEDaSR_SS_EUlSR_E0_NS1_11comp_targetILNS1_3genE8ELNS1_11target_archE1030ELNS1_3gpuE2ELNS1_3repE0EEENS1_30default_config_static_selectorELNS0_4arch9wavefront6targetE0EEEvT1_.uses_flat_scratch, 0
	.set _ZN7rocprim17ROCPRIM_400000_NS6detail17trampoline_kernelINS0_14default_configENS1_20scan_config_selectorIfEEZZNS1_9scan_implILNS1_25lookback_scan_determinismE0ELb0ELb0ES3_PKfPffZZZN2at6native31launch_logcumsumexp_cuda_kernelERKNSB_10TensorBaseESF_lENKUlvE_clEvENKUlvE0_clEvEUlffE_fEEDaPvRmT3_T4_T5_mT6_P12ihipStream_tbENKUlT_T0_E_clISt17integral_constantIbLb0EESW_EEDaSR_SS_EUlSR_E0_NS1_11comp_targetILNS1_3genE8ELNS1_11target_archE1030ELNS1_3gpuE2ELNS1_3repE0EEENS1_30default_config_static_selectorELNS0_4arch9wavefront6targetE0EEEvT1_.has_dyn_sized_stack, 0
	.set _ZN7rocprim17ROCPRIM_400000_NS6detail17trampoline_kernelINS0_14default_configENS1_20scan_config_selectorIfEEZZNS1_9scan_implILNS1_25lookback_scan_determinismE0ELb0ELb0ES3_PKfPffZZZN2at6native31launch_logcumsumexp_cuda_kernelERKNSB_10TensorBaseESF_lENKUlvE_clEvENKUlvE0_clEvEUlffE_fEEDaPvRmT3_T4_T5_mT6_P12ihipStream_tbENKUlT_T0_E_clISt17integral_constantIbLb0EESW_EEDaSR_SS_EUlSR_E0_NS1_11comp_targetILNS1_3genE8ELNS1_11target_archE1030ELNS1_3gpuE2ELNS1_3repE0EEENS1_30default_config_static_selectorELNS0_4arch9wavefront6targetE0EEEvT1_.has_recursion, 0
	.set _ZN7rocprim17ROCPRIM_400000_NS6detail17trampoline_kernelINS0_14default_configENS1_20scan_config_selectorIfEEZZNS1_9scan_implILNS1_25lookback_scan_determinismE0ELb0ELb0ES3_PKfPffZZZN2at6native31launch_logcumsumexp_cuda_kernelERKNSB_10TensorBaseESF_lENKUlvE_clEvENKUlvE0_clEvEUlffE_fEEDaPvRmT3_T4_T5_mT6_P12ihipStream_tbENKUlT_T0_E_clISt17integral_constantIbLb0EESW_EEDaSR_SS_EUlSR_E0_NS1_11comp_targetILNS1_3genE8ELNS1_11target_archE1030ELNS1_3gpuE2ELNS1_3repE0EEENS1_30default_config_static_selectorELNS0_4arch9wavefront6targetE0EEEvT1_.has_indirect_call, 0
	.section	.AMDGPU.csdata,"",@progbits
; Kernel info:
; codeLenInByte = 13504
; TotalNumSgprs: 22
; NumVgprs: 35
; ScratchSize: 0
; MemoryBound: 0
; FloatMode: 240
; IeeeMode: 1
; LDSByteSize: 1280 bytes/workgroup (compile time only)
; SGPRBlocks: 0
; VGPRBlocks: 4
; NumSGPRsForWavesPerEU: 22
; NumVGPRsForWavesPerEU: 35
; Occupancy: 16
; WaveLimiterHint : 0
; COMPUTE_PGM_RSRC2:SCRATCH_EN: 0
; COMPUTE_PGM_RSRC2:USER_SGPR: 6
; COMPUTE_PGM_RSRC2:TRAP_HANDLER: 0
; COMPUTE_PGM_RSRC2:TGID_X_EN: 1
; COMPUTE_PGM_RSRC2:TGID_Y_EN: 0
; COMPUTE_PGM_RSRC2:TGID_Z_EN: 0
; COMPUTE_PGM_RSRC2:TIDIG_COMP_CNT: 0
	.section	.text._ZN7rocprim17ROCPRIM_400000_NS6detail31init_lookback_scan_state_kernelINS1_19lookback_scan_stateIfLb1ELb1EEENS1_16block_id_wrapperIjLb1EEEEEvT_jT0_jPNS7_10value_typeE,"axG",@progbits,_ZN7rocprim17ROCPRIM_400000_NS6detail31init_lookback_scan_state_kernelINS1_19lookback_scan_stateIfLb1ELb1EEENS1_16block_id_wrapperIjLb1EEEEEvT_jT0_jPNS7_10value_typeE,comdat
	.protected	_ZN7rocprim17ROCPRIM_400000_NS6detail31init_lookback_scan_state_kernelINS1_19lookback_scan_stateIfLb1ELb1EEENS1_16block_id_wrapperIjLb1EEEEEvT_jT0_jPNS7_10value_typeE ; -- Begin function _ZN7rocprim17ROCPRIM_400000_NS6detail31init_lookback_scan_state_kernelINS1_19lookback_scan_stateIfLb1ELb1EEENS1_16block_id_wrapperIjLb1EEEEEvT_jT0_jPNS7_10value_typeE
	.globl	_ZN7rocprim17ROCPRIM_400000_NS6detail31init_lookback_scan_state_kernelINS1_19lookback_scan_stateIfLb1ELb1EEENS1_16block_id_wrapperIjLb1EEEEEvT_jT0_jPNS7_10value_typeE
	.p2align	8
	.type	_ZN7rocprim17ROCPRIM_400000_NS6detail31init_lookback_scan_state_kernelINS1_19lookback_scan_stateIfLb1ELb1EEENS1_16block_id_wrapperIjLb1EEEEEvT_jT0_jPNS7_10value_typeE,@function
_ZN7rocprim17ROCPRIM_400000_NS6detail31init_lookback_scan_state_kernelINS1_19lookback_scan_stateIfLb1ELb1EEENS1_16block_id_wrapperIjLb1EEEEEvT_jT0_jPNS7_10value_typeE: ; @_ZN7rocprim17ROCPRIM_400000_NS6detail31init_lookback_scan_state_kernelINS1_19lookback_scan_stateIfLb1ELb1EEENS1_16block_id_wrapperIjLb1EEEEEvT_jT0_jPNS7_10value_typeE
; %bb.0:
	s_clause 0x3
	s_load_dword s7, s[4:5], 0x34
	s_load_dwordx2 s[2:3], s[4:5], 0x20
	s_load_dwordx2 s[0:1], s[4:5], 0x0
	s_load_dword s8, s[4:5], 0x8
	s_waitcnt lgkmcnt(0)
	s_and_b32 s7, s7, 0xffff
	s_cmp_eq_u64 s[2:3], 0
	v_mad_u64_u32 v[0:1], null, s6, s7, v[0:1]
	s_cbranch_scc1 .LBB114_9
; %bb.1:
	s_load_dword s6, s[4:5], 0x18
	s_waitcnt lgkmcnt(0)
	s_cmp_lt_u32 s6, s8
	s_cselect_b32 s7, s6, 0
	v_cmp_eq_u32_e32 vcc_lo, s7, v0
	s_mov_b32 s7, 0
	s_and_saveexec_b32 s9, vcc_lo
	s_cbranch_execz .LBB114_8
; %bb.2:
	s_add_i32 s6, s6, 32
	v_mov_b32_e32 v1, 0
	s_lshl_b64 s[6:7], s[6:7], 3
	s_add_u32 s6, s0, s6
	s_addc_u32 s7, s1, s7
	global_load_dwordx2 v[3:4], v1, s[6:7] glc dlc
	s_waitcnt vmcnt(0)
	v_and_b32_e32 v2, 0xff, v4
	v_cmp_ne_u64_e32 vcc_lo, 0, v[1:2]
	s_cbranch_vccnz .LBB114_7
; %bb.3:
	s_mov_b32 s10, 1
.LBB114_4:                              ; =>This Loop Header: Depth=1
                                        ;     Child Loop BB114_5 Depth 2
	s_mov_b32 s11, s10
.LBB114_5:                              ;   Parent Loop BB114_4 Depth=1
                                        ; =>  This Inner Loop Header: Depth=2
	s_add_i32 s11, s11, -1
	s_sleep 1
	s_cmp_eq_u32 s11, 0
	s_cbranch_scc0 .LBB114_5
; %bb.6:                                ;   in Loop: Header=BB114_4 Depth=1
	global_load_dwordx2 v[3:4], v1, s[6:7] glc dlc
	s_cmp_lt_u32 s10, 32
	s_cselect_b32 s11, -1, 0
	s_cmp_lg_u32 s11, 0
	s_addc_u32 s10, s10, 0
	s_waitcnt vmcnt(0)
	v_and_b32_e32 v2, 0xff, v4
	v_cmp_ne_u64_e32 vcc_lo, 0, v[1:2]
	s_cbranch_vccz .LBB114_4
.LBB114_7:
	v_mov_b32_e32 v1, 0
	global_store_dword v1, v3, s[2:3]
.LBB114_8:
	s_or_b32 exec_lo, exec_lo, s9
.LBB114_9:
	s_mov_b32 s2, exec_lo
	v_cmpx_eq_u32_e32 0, v0
	s_cbranch_execz .LBB114_11
; %bb.10:
	s_load_dwordx2 s[4:5], s[4:5], 0x10
	v_mov_b32_e32 v1, 0
	s_waitcnt lgkmcnt(0)
	global_store_dword v1, v1, s[4:5]
.LBB114_11:
	s_or_b32 exec_lo, exec_lo, s2
	s_mov_b32 s2, exec_lo
	v_cmpx_gt_u32_e64 s8, v0
	s_cbranch_execz .LBB114_13
; %bb.12:
	v_add_nc_u32_e32 v1, 32, v0
	v_mov_b32_e32 v2, 0
	v_lshlrev_b64 v[3:4], 3, v[1:2]
	v_mov_b32_e32 v1, v2
	v_add_co_u32 v3, vcc_lo, s0, v3
	v_add_co_ci_u32_e64 v4, null, s1, v4, vcc_lo
	global_store_dwordx2 v[3:4], v[1:2], off
.LBB114_13:
	s_or_b32 exec_lo, exec_lo, s2
	s_mov_b32 s2, exec_lo
	v_cmpx_gt_u32_e32 32, v0
	s_cbranch_execz .LBB114_15
; %bb.14:
	v_mov_b32_e32 v1, 0
	v_mov_b32_e32 v4, 0xff
	v_lshlrev_b64 v[2:3], 3, v[0:1]
	v_add_co_u32 v5, vcc_lo, s0, v2
	v_add_co_ci_u32_e64 v6, null, s1, v3, vcc_lo
	v_mov_b32_e32 v3, v1
	global_store_dwordx2 v[5:6], v[3:4], off
.LBB114_15:
	s_endpgm
	.section	.rodata,"a",@progbits
	.p2align	6, 0x0
	.amdhsa_kernel _ZN7rocprim17ROCPRIM_400000_NS6detail31init_lookback_scan_state_kernelINS1_19lookback_scan_stateIfLb1ELb1EEENS1_16block_id_wrapperIjLb1EEEEEvT_jT0_jPNS7_10value_typeE
		.amdhsa_group_segment_fixed_size 0
		.amdhsa_private_segment_fixed_size 0
		.amdhsa_kernarg_size 296
		.amdhsa_user_sgpr_count 6
		.amdhsa_user_sgpr_private_segment_buffer 1
		.amdhsa_user_sgpr_dispatch_ptr 0
		.amdhsa_user_sgpr_queue_ptr 0
		.amdhsa_user_sgpr_kernarg_segment_ptr 1
		.amdhsa_user_sgpr_dispatch_id 0
		.amdhsa_user_sgpr_flat_scratch_init 0
		.amdhsa_user_sgpr_private_segment_size 0
		.amdhsa_wavefront_size32 1
		.amdhsa_uses_dynamic_stack 0
		.amdhsa_system_sgpr_private_segment_wavefront_offset 0
		.amdhsa_system_sgpr_workgroup_id_x 1
		.amdhsa_system_sgpr_workgroup_id_y 0
		.amdhsa_system_sgpr_workgroup_id_z 0
		.amdhsa_system_sgpr_workgroup_info 0
		.amdhsa_system_vgpr_workitem_id 0
		.amdhsa_next_free_vgpr 7
		.amdhsa_next_free_sgpr 12
		.amdhsa_reserve_vcc 1
		.amdhsa_reserve_flat_scratch 0
		.amdhsa_float_round_mode_32 0
		.amdhsa_float_round_mode_16_64 0
		.amdhsa_float_denorm_mode_32 3
		.amdhsa_float_denorm_mode_16_64 3
		.amdhsa_dx10_clamp 1
		.amdhsa_ieee_mode 1
		.amdhsa_fp16_overflow 0
		.amdhsa_workgroup_processor_mode 1
		.amdhsa_memory_ordered 1
		.amdhsa_forward_progress 1
		.amdhsa_shared_vgpr_count 0
		.amdhsa_exception_fp_ieee_invalid_op 0
		.amdhsa_exception_fp_denorm_src 0
		.amdhsa_exception_fp_ieee_div_zero 0
		.amdhsa_exception_fp_ieee_overflow 0
		.amdhsa_exception_fp_ieee_underflow 0
		.amdhsa_exception_fp_ieee_inexact 0
		.amdhsa_exception_int_div_zero 0
	.end_amdhsa_kernel
	.section	.text._ZN7rocprim17ROCPRIM_400000_NS6detail31init_lookback_scan_state_kernelINS1_19lookback_scan_stateIfLb1ELb1EEENS1_16block_id_wrapperIjLb1EEEEEvT_jT0_jPNS7_10value_typeE,"axG",@progbits,_ZN7rocprim17ROCPRIM_400000_NS6detail31init_lookback_scan_state_kernelINS1_19lookback_scan_stateIfLb1ELb1EEENS1_16block_id_wrapperIjLb1EEEEEvT_jT0_jPNS7_10value_typeE,comdat
.Lfunc_end114:
	.size	_ZN7rocprim17ROCPRIM_400000_NS6detail31init_lookback_scan_state_kernelINS1_19lookback_scan_stateIfLb1ELb1EEENS1_16block_id_wrapperIjLb1EEEEEvT_jT0_jPNS7_10value_typeE, .Lfunc_end114-_ZN7rocprim17ROCPRIM_400000_NS6detail31init_lookback_scan_state_kernelINS1_19lookback_scan_stateIfLb1ELb1EEENS1_16block_id_wrapperIjLb1EEEEEvT_jT0_jPNS7_10value_typeE
                                        ; -- End function
	.set _ZN7rocprim17ROCPRIM_400000_NS6detail31init_lookback_scan_state_kernelINS1_19lookback_scan_stateIfLb1ELb1EEENS1_16block_id_wrapperIjLb1EEEEEvT_jT0_jPNS7_10value_typeE.num_vgpr, 7
	.set _ZN7rocprim17ROCPRIM_400000_NS6detail31init_lookback_scan_state_kernelINS1_19lookback_scan_stateIfLb1ELb1EEENS1_16block_id_wrapperIjLb1EEEEEvT_jT0_jPNS7_10value_typeE.num_agpr, 0
	.set _ZN7rocprim17ROCPRIM_400000_NS6detail31init_lookback_scan_state_kernelINS1_19lookback_scan_stateIfLb1ELb1EEENS1_16block_id_wrapperIjLb1EEEEEvT_jT0_jPNS7_10value_typeE.numbered_sgpr, 12
	.set _ZN7rocprim17ROCPRIM_400000_NS6detail31init_lookback_scan_state_kernelINS1_19lookback_scan_stateIfLb1ELb1EEENS1_16block_id_wrapperIjLb1EEEEEvT_jT0_jPNS7_10value_typeE.num_named_barrier, 0
	.set _ZN7rocprim17ROCPRIM_400000_NS6detail31init_lookback_scan_state_kernelINS1_19lookback_scan_stateIfLb1ELb1EEENS1_16block_id_wrapperIjLb1EEEEEvT_jT0_jPNS7_10value_typeE.private_seg_size, 0
	.set _ZN7rocprim17ROCPRIM_400000_NS6detail31init_lookback_scan_state_kernelINS1_19lookback_scan_stateIfLb1ELb1EEENS1_16block_id_wrapperIjLb1EEEEEvT_jT0_jPNS7_10value_typeE.uses_vcc, 1
	.set _ZN7rocprim17ROCPRIM_400000_NS6detail31init_lookback_scan_state_kernelINS1_19lookback_scan_stateIfLb1ELb1EEENS1_16block_id_wrapperIjLb1EEEEEvT_jT0_jPNS7_10value_typeE.uses_flat_scratch, 0
	.set _ZN7rocprim17ROCPRIM_400000_NS6detail31init_lookback_scan_state_kernelINS1_19lookback_scan_stateIfLb1ELb1EEENS1_16block_id_wrapperIjLb1EEEEEvT_jT0_jPNS7_10value_typeE.has_dyn_sized_stack, 0
	.set _ZN7rocprim17ROCPRIM_400000_NS6detail31init_lookback_scan_state_kernelINS1_19lookback_scan_stateIfLb1ELb1EEENS1_16block_id_wrapperIjLb1EEEEEvT_jT0_jPNS7_10value_typeE.has_recursion, 0
	.set _ZN7rocprim17ROCPRIM_400000_NS6detail31init_lookback_scan_state_kernelINS1_19lookback_scan_stateIfLb1ELb1EEENS1_16block_id_wrapperIjLb1EEEEEvT_jT0_jPNS7_10value_typeE.has_indirect_call, 0
	.section	.AMDGPU.csdata,"",@progbits
; Kernel info:
; codeLenInByte = 400
; TotalNumSgprs: 14
; NumVgprs: 7
; ScratchSize: 0
; MemoryBound: 0
; FloatMode: 240
; IeeeMode: 1
; LDSByteSize: 0 bytes/workgroup (compile time only)
; SGPRBlocks: 0
; VGPRBlocks: 0
; NumSGPRsForWavesPerEU: 14
; NumVGPRsForWavesPerEU: 7
; Occupancy: 16
; WaveLimiterHint : 0
; COMPUTE_PGM_RSRC2:SCRATCH_EN: 0
; COMPUTE_PGM_RSRC2:USER_SGPR: 6
; COMPUTE_PGM_RSRC2:TRAP_HANDLER: 0
; COMPUTE_PGM_RSRC2:TGID_X_EN: 1
; COMPUTE_PGM_RSRC2:TGID_Y_EN: 0
; COMPUTE_PGM_RSRC2:TGID_Z_EN: 0
; COMPUTE_PGM_RSRC2:TIDIG_COMP_CNT: 0
	.section	.text._ZN7rocprim17ROCPRIM_400000_NS6detail17trampoline_kernelINS0_14default_configENS1_20scan_config_selectorIfEEZZNS1_9scan_implILNS1_25lookback_scan_determinismE0ELb0ELb0ES3_PKfPffZZZN2at6native31launch_logcumsumexp_cuda_kernelERKNSB_10TensorBaseESF_lENKUlvE_clEvENKUlvE0_clEvEUlffE_fEEDaPvRmT3_T4_T5_mT6_P12ihipStream_tbENKUlT_T0_E_clISt17integral_constantIbLb1EESW_EEDaSR_SS_EUlSR_E_NS1_11comp_targetILNS1_3genE0ELNS1_11target_archE4294967295ELNS1_3gpuE0ELNS1_3repE0EEENS1_30default_config_static_selectorELNS0_4arch9wavefront6targetE0EEEvT1_,"axG",@progbits,_ZN7rocprim17ROCPRIM_400000_NS6detail17trampoline_kernelINS0_14default_configENS1_20scan_config_selectorIfEEZZNS1_9scan_implILNS1_25lookback_scan_determinismE0ELb0ELb0ES3_PKfPffZZZN2at6native31launch_logcumsumexp_cuda_kernelERKNSB_10TensorBaseESF_lENKUlvE_clEvENKUlvE0_clEvEUlffE_fEEDaPvRmT3_T4_T5_mT6_P12ihipStream_tbENKUlT_T0_E_clISt17integral_constantIbLb1EESW_EEDaSR_SS_EUlSR_E_NS1_11comp_targetILNS1_3genE0ELNS1_11target_archE4294967295ELNS1_3gpuE0ELNS1_3repE0EEENS1_30default_config_static_selectorELNS0_4arch9wavefront6targetE0EEEvT1_,comdat
	.globl	_ZN7rocprim17ROCPRIM_400000_NS6detail17trampoline_kernelINS0_14default_configENS1_20scan_config_selectorIfEEZZNS1_9scan_implILNS1_25lookback_scan_determinismE0ELb0ELb0ES3_PKfPffZZZN2at6native31launch_logcumsumexp_cuda_kernelERKNSB_10TensorBaseESF_lENKUlvE_clEvENKUlvE0_clEvEUlffE_fEEDaPvRmT3_T4_T5_mT6_P12ihipStream_tbENKUlT_T0_E_clISt17integral_constantIbLb1EESW_EEDaSR_SS_EUlSR_E_NS1_11comp_targetILNS1_3genE0ELNS1_11target_archE4294967295ELNS1_3gpuE0ELNS1_3repE0EEENS1_30default_config_static_selectorELNS0_4arch9wavefront6targetE0EEEvT1_ ; -- Begin function _ZN7rocprim17ROCPRIM_400000_NS6detail17trampoline_kernelINS0_14default_configENS1_20scan_config_selectorIfEEZZNS1_9scan_implILNS1_25lookback_scan_determinismE0ELb0ELb0ES3_PKfPffZZZN2at6native31launch_logcumsumexp_cuda_kernelERKNSB_10TensorBaseESF_lENKUlvE_clEvENKUlvE0_clEvEUlffE_fEEDaPvRmT3_T4_T5_mT6_P12ihipStream_tbENKUlT_T0_E_clISt17integral_constantIbLb1EESW_EEDaSR_SS_EUlSR_E_NS1_11comp_targetILNS1_3genE0ELNS1_11target_archE4294967295ELNS1_3gpuE0ELNS1_3repE0EEENS1_30default_config_static_selectorELNS0_4arch9wavefront6targetE0EEEvT1_
	.p2align	8
	.type	_ZN7rocprim17ROCPRIM_400000_NS6detail17trampoline_kernelINS0_14default_configENS1_20scan_config_selectorIfEEZZNS1_9scan_implILNS1_25lookback_scan_determinismE0ELb0ELb0ES3_PKfPffZZZN2at6native31launch_logcumsumexp_cuda_kernelERKNSB_10TensorBaseESF_lENKUlvE_clEvENKUlvE0_clEvEUlffE_fEEDaPvRmT3_T4_T5_mT6_P12ihipStream_tbENKUlT_T0_E_clISt17integral_constantIbLb1EESW_EEDaSR_SS_EUlSR_E_NS1_11comp_targetILNS1_3genE0ELNS1_11target_archE4294967295ELNS1_3gpuE0ELNS1_3repE0EEENS1_30default_config_static_selectorELNS0_4arch9wavefront6targetE0EEEvT1_,@function
_ZN7rocprim17ROCPRIM_400000_NS6detail17trampoline_kernelINS0_14default_configENS1_20scan_config_selectorIfEEZZNS1_9scan_implILNS1_25lookback_scan_determinismE0ELb0ELb0ES3_PKfPffZZZN2at6native31launch_logcumsumexp_cuda_kernelERKNSB_10TensorBaseESF_lENKUlvE_clEvENKUlvE0_clEvEUlffE_fEEDaPvRmT3_T4_T5_mT6_P12ihipStream_tbENKUlT_T0_E_clISt17integral_constantIbLb1EESW_EEDaSR_SS_EUlSR_E_NS1_11comp_targetILNS1_3genE0ELNS1_11target_archE4294967295ELNS1_3gpuE0ELNS1_3repE0EEENS1_30default_config_static_selectorELNS0_4arch9wavefront6targetE0EEEvT1_: ; @_ZN7rocprim17ROCPRIM_400000_NS6detail17trampoline_kernelINS0_14default_configENS1_20scan_config_selectorIfEEZZNS1_9scan_implILNS1_25lookback_scan_determinismE0ELb0ELb0ES3_PKfPffZZZN2at6native31launch_logcumsumexp_cuda_kernelERKNSB_10TensorBaseESF_lENKUlvE_clEvENKUlvE0_clEvEUlffE_fEEDaPvRmT3_T4_T5_mT6_P12ihipStream_tbENKUlT_T0_E_clISt17integral_constantIbLb1EESW_EEDaSR_SS_EUlSR_E_NS1_11comp_targetILNS1_3genE0ELNS1_11target_archE4294967295ELNS1_3gpuE0ELNS1_3repE0EEENS1_30default_config_static_selectorELNS0_4arch9wavefront6targetE0EEEvT1_
; %bb.0:
	.section	.rodata,"a",@progbits
	.p2align	6, 0x0
	.amdhsa_kernel _ZN7rocprim17ROCPRIM_400000_NS6detail17trampoline_kernelINS0_14default_configENS1_20scan_config_selectorIfEEZZNS1_9scan_implILNS1_25lookback_scan_determinismE0ELb0ELb0ES3_PKfPffZZZN2at6native31launch_logcumsumexp_cuda_kernelERKNSB_10TensorBaseESF_lENKUlvE_clEvENKUlvE0_clEvEUlffE_fEEDaPvRmT3_T4_T5_mT6_P12ihipStream_tbENKUlT_T0_E_clISt17integral_constantIbLb1EESW_EEDaSR_SS_EUlSR_E_NS1_11comp_targetILNS1_3genE0ELNS1_11target_archE4294967295ELNS1_3gpuE0ELNS1_3repE0EEENS1_30default_config_static_selectorELNS0_4arch9wavefront6targetE0EEEvT1_
		.amdhsa_group_segment_fixed_size 0
		.amdhsa_private_segment_fixed_size 0
		.amdhsa_kernarg_size 96
		.amdhsa_user_sgpr_count 6
		.amdhsa_user_sgpr_private_segment_buffer 1
		.amdhsa_user_sgpr_dispatch_ptr 0
		.amdhsa_user_sgpr_queue_ptr 0
		.amdhsa_user_sgpr_kernarg_segment_ptr 1
		.amdhsa_user_sgpr_dispatch_id 0
		.amdhsa_user_sgpr_flat_scratch_init 0
		.amdhsa_user_sgpr_private_segment_size 0
		.amdhsa_wavefront_size32 1
		.amdhsa_uses_dynamic_stack 0
		.amdhsa_system_sgpr_private_segment_wavefront_offset 0
		.amdhsa_system_sgpr_workgroup_id_x 1
		.amdhsa_system_sgpr_workgroup_id_y 0
		.amdhsa_system_sgpr_workgroup_id_z 0
		.amdhsa_system_sgpr_workgroup_info 0
		.amdhsa_system_vgpr_workitem_id 0
		.amdhsa_next_free_vgpr 1
		.amdhsa_next_free_sgpr 1
		.amdhsa_reserve_vcc 0
		.amdhsa_reserve_flat_scratch 0
		.amdhsa_float_round_mode_32 0
		.amdhsa_float_round_mode_16_64 0
		.amdhsa_float_denorm_mode_32 3
		.amdhsa_float_denorm_mode_16_64 3
		.amdhsa_dx10_clamp 1
		.amdhsa_ieee_mode 1
		.amdhsa_fp16_overflow 0
		.amdhsa_workgroup_processor_mode 1
		.amdhsa_memory_ordered 1
		.amdhsa_forward_progress 1
		.amdhsa_shared_vgpr_count 0
		.amdhsa_exception_fp_ieee_invalid_op 0
		.amdhsa_exception_fp_denorm_src 0
		.amdhsa_exception_fp_ieee_div_zero 0
		.amdhsa_exception_fp_ieee_overflow 0
		.amdhsa_exception_fp_ieee_underflow 0
		.amdhsa_exception_fp_ieee_inexact 0
		.amdhsa_exception_int_div_zero 0
	.end_amdhsa_kernel
	.section	.text._ZN7rocprim17ROCPRIM_400000_NS6detail17trampoline_kernelINS0_14default_configENS1_20scan_config_selectorIfEEZZNS1_9scan_implILNS1_25lookback_scan_determinismE0ELb0ELb0ES3_PKfPffZZZN2at6native31launch_logcumsumexp_cuda_kernelERKNSB_10TensorBaseESF_lENKUlvE_clEvENKUlvE0_clEvEUlffE_fEEDaPvRmT3_T4_T5_mT6_P12ihipStream_tbENKUlT_T0_E_clISt17integral_constantIbLb1EESW_EEDaSR_SS_EUlSR_E_NS1_11comp_targetILNS1_3genE0ELNS1_11target_archE4294967295ELNS1_3gpuE0ELNS1_3repE0EEENS1_30default_config_static_selectorELNS0_4arch9wavefront6targetE0EEEvT1_,"axG",@progbits,_ZN7rocprim17ROCPRIM_400000_NS6detail17trampoline_kernelINS0_14default_configENS1_20scan_config_selectorIfEEZZNS1_9scan_implILNS1_25lookback_scan_determinismE0ELb0ELb0ES3_PKfPffZZZN2at6native31launch_logcumsumexp_cuda_kernelERKNSB_10TensorBaseESF_lENKUlvE_clEvENKUlvE0_clEvEUlffE_fEEDaPvRmT3_T4_T5_mT6_P12ihipStream_tbENKUlT_T0_E_clISt17integral_constantIbLb1EESW_EEDaSR_SS_EUlSR_E_NS1_11comp_targetILNS1_3genE0ELNS1_11target_archE4294967295ELNS1_3gpuE0ELNS1_3repE0EEENS1_30default_config_static_selectorELNS0_4arch9wavefront6targetE0EEEvT1_,comdat
.Lfunc_end115:
	.size	_ZN7rocprim17ROCPRIM_400000_NS6detail17trampoline_kernelINS0_14default_configENS1_20scan_config_selectorIfEEZZNS1_9scan_implILNS1_25lookback_scan_determinismE0ELb0ELb0ES3_PKfPffZZZN2at6native31launch_logcumsumexp_cuda_kernelERKNSB_10TensorBaseESF_lENKUlvE_clEvENKUlvE0_clEvEUlffE_fEEDaPvRmT3_T4_T5_mT6_P12ihipStream_tbENKUlT_T0_E_clISt17integral_constantIbLb1EESW_EEDaSR_SS_EUlSR_E_NS1_11comp_targetILNS1_3genE0ELNS1_11target_archE4294967295ELNS1_3gpuE0ELNS1_3repE0EEENS1_30default_config_static_selectorELNS0_4arch9wavefront6targetE0EEEvT1_, .Lfunc_end115-_ZN7rocprim17ROCPRIM_400000_NS6detail17trampoline_kernelINS0_14default_configENS1_20scan_config_selectorIfEEZZNS1_9scan_implILNS1_25lookback_scan_determinismE0ELb0ELb0ES3_PKfPffZZZN2at6native31launch_logcumsumexp_cuda_kernelERKNSB_10TensorBaseESF_lENKUlvE_clEvENKUlvE0_clEvEUlffE_fEEDaPvRmT3_T4_T5_mT6_P12ihipStream_tbENKUlT_T0_E_clISt17integral_constantIbLb1EESW_EEDaSR_SS_EUlSR_E_NS1_11comp_targetILNS1_3genE0ELNS1_11target_archE4294967295ELNS1_3gpuE0ELNS1_3repE0EEENS1_30default_config_static_selectorELNS0_4arch9wavefront6targetE0EEEvT1_
                                        ; -- End function
	.set _ZN7rocprim17ROCPRIM_400000_NS6detail17trampoline_kernelINS0_14default_configENS1_20scan_config_selectorIfEEZZNS1_9scan_implILNS1_25lookback_scan_determinismE0ELb0ELb0ES3_PKfPffZZZN2at6native31launch_logcumsumexp_cuda_kernelERKNSB_10TensorBaseESF_lENKUlvE_clEvENKUlvE0_clEvEUlffE_fEEDaPvRmT3_T4_T5_mT6_P12ihipStream_tbENKUlT_T0_E_clISt17integral_constantIbLb1EESW_EEDaSR_SS_EUlSR_E_NS1_11comp_targetILNS1_3genE0ELNS1_11target_archE4294967295ELNS1_3gpuE0ELNS1_3repE0EEENS1_30default_config_static_selectorELNS0_4arch9wavefront6targetE0EEEvT1_.num_vgpr, 0
	.set _ZN7rocprim17ROCPRIM_400000_NS6detail17trampoline_kernelINS0_14default_configENS1_20scan_config_selectorIfEEZZNS1_9scan_implILNS1_25lookback_scan_determinismE0ELb0ELb0ES3_PKfPffZZZN2at6native31launch_logcumsumexp_cuda_kernelERKNSB_10TensorBaseESF_lENKUlvE_clEvENKUlvE0_clEvEUlffE_fEEDaPvRmT3_T4_T5_mT6_P12ihipStream_tbENKUlT_T0_E_clISt17integral_constantIbLb1EESW_EEDaSR_SS_EUlSR_E_NS1_11comp_targetILNS1_3genE0ELNS1_11target_archE4294967295ELNS1_3gpuE0ELNS1_3repE0EEENS1_30default_config_static_selectorELNS0_4arch9wavefront6targetE0EEEvT1_.num_agpr, 0
	.set _ZN7rocprim17ROCPRIM_400000_NS6detail17trampoline_kernelINS0_14default_configENS1_20scan_config_selectorIfEEZZNS1_9scan_implILNS1_25lookback_scan_determinismE0ELb0ELb0ES3_PKfPffZZZN2at6native31launch_logcumsumexp_cuda_kernelERKNSB_10TensorBaseESF_lENKUlvE_clEvENKUlvE0_clEvEUlffE_fEEDaPvRmT3_T4_T5_mT6_P12ihipStream_tbENKUlT_T0_E_clISt17integral_constantIbLb1EESW_EEDaSR_SS_EUlSR_E_NS1_11comp_targetILNS1_3genE0ELNS1_11target_archE4294967295ELNS1_3gpuE0ELNS1_3repE0EEENS1_30default_config_static_selectorELNS0_4arch9wavefront6targetE0EEEvT1_.numbered_sgpr, 0
	.set _ZN7rocprim17ROCPRIM_400000_NS6detail17trampoline_kernelINS0_14default_configENS1_20scan_config_selectorIfEEZZNS1_9scan_implILNS1_25lookback_scan_determinismE0ELb0ELb0ES3_PKfPffZZZN2at6native31launch_logcumsumexp_cuda_kernelERKNSB_10TensorBaseESF_lENKUlvE_clEvENKUlvE0_clEvEUlffE_fEEDaPvRmT3_T4_T5_mT6_P12ihipStream_tbENKUlT_T0_E_clISt17integral_constantIbLb1EESW_EEDaSR_SS_EUlSR_E_NS1_11comp_targetILNS1_3genE0ELNS1_11target_archE4294967295ELNS1_3gpuE0ELNS1_3repE0EEENS1_30default_config_static_selectorELNS0_4arch9wavefront6targetE0EEEvT1_.num_named_barrier, 0
	.set _ZN7rocprim17ROCPRIM_400000_NS6detail17trampoline_kernelINS0_14default_configENS1_20scan_config_selectorIfEEZZNS1_9scan_implILNS1_25lookback_scan_determinismE0ELb0ELb0ES3_PKfPffZZZN2at6native31launch_logcumsumexp_cuda_kernelERKNSB_10TensorBaseESF_lENKUlvE_clEvENKUlvE0_clEvEUlffE_fEEDaPvRmT3_T4_T5_mT6_P12ihipStream_tbENKUlT_T0_E_clISt17integral_constantIbLb1EESW_EEDaSR_SS_EUlSR_E_NS1_11comp_targetILNS1_3genE0ELNS1_11target_archE4294967295ELNS1_3gpuE0ELNS1_3repE0EEENS1_30default_config_static_selectorELNS0_4arch9wavefront6targetE0EEEvT1_.private_seg_size, 0
	.set _ZN7rocprim17ROCPRIM_400000_NS6detail17trampoline_kernelINS0_14default_configENS1_20scan_config_selectorIfEEZZNS1_9scan_implILNS1_25lookback_scan_determinismE0ELb0ELb0ES3_PKfPffZZZN2at6native31launch_logcumsumexp_cuda_kernelERKNSB_10TensorBaseESF_lENKUlvE_clEvENKUlvE0_clEvEUlffE_fEEDaPvRmT3_T4_T5_mT6_P12ihipStream_tbENKUlT_T0_E_clISt17integral_constantIbLb1EESW_EEDaSR_SS_EUlSR_E_NS1_11comp_targetILNS1_3genE0ELNS1_11target_archE4294967295ELNS1_3gpuE0ELNS1_3repE0EEENS1_30default_config_static_selectorELNS0_4arch9wavefront6targetE0EEEvT1_.uses_vcc, 0
	.set _ZN7rocprim17ROCPRIM_400000_NS6detail17trampoline_kernelINS0_14default_configENS1_20scan_config_selectorIfEEZZNS1_9scan_implILNS1_25lookback_scan_determinismE0ELb0ELb0ES3_PKfPffZZZN2at6native31launch_logcumsumexp_cuda_kernelERKNSB_10TensorBaseESF_lENKUlvE_clEvENKUlvE0_clEvEUlffE_fEEDaPvRmT3_T4_T5_mT6_P12ihipStream_tbENKUlT_T0_E_clISt17integral_constantIbLb1EESW_EEDaSR_SS_EUlSR_E_NS1_11comp_targetILNS1_3genE0ELNS1_11target_archE4294967295ELNS1_3gpuE0ELNS1_3repE0EEENS1_30default_config_static_selectorELNS0_4arch9wavefront6targetE0EEEvT1_.uses_flat_scratch, 0
	.set _ZN7rocprim17ROCPRIM_400000_NS6detail17trampoline_kernelINS0_14default_configENS1_20scan_config_selectorIfEEZZNS1_9scan_implILNS1_25lookback_scan_determinismE0ELb0ELb0ES3_PKfPffZZZN2at6native31launch_logcumsumexp_cuda_kernelERKNSB_10TensorBaseESF_lENKUlvE_clEvENKUlvE0_clEvEUlffE_fEEDaPvRmT3_T4_T5_mT6_P12ihipStream_tbENKUlT_T0_E_clISt17integral_constantIbLb1EESW_EEDaSR_SS_EUlSR_E_NS1_11comp_targetILNS1_3genE0ELNS1_11target_archE4294967295ELNS1_3gpuE0ELNS1_3repE0EEENS1_30default_config_static_selectorELNS0_4arch9wavefront6targetE0EEEvT1_.has_dyn_sized_stack, 0
	.set _ZN7rocprim17ROCPRIM_400000_NS6detail17trampoline_kernelINS0_14default_configENS1_20scan_config_selectorIfEEZZNS1_9scan_implILNS1_25lookback_scan_determinismE0ELb0ELb0ES3_PKfPffZZZN2at6native31launch_logcumsumexp_cuda_kernelERKNSB_10TensorBaseESF_lENKUlvE_clEvENKUlvE0_clEvEUlffE_fEEDaPvRmT3_T4_T5_mT6_P12ihipStream_tbENKUlT_T0_E_clISt17integral_constantIbLb1EESW_EEDaSR_SS_EUlSR_E_NS1_11comp_targetILNS1_3genE0ELNS1_11target_archE4294967295ELNS1_3gpuE0ELNS1_3repE0EEENS1_30default_config_static_selectorELNS0_4arch9wavefront6targetE0EEEvT1_.has_recursion, 0
	.set _ZN7rocprim17ROCPRIM_400000_NS6detail17trampoline_kernelINS0_14default_configENS1_20scan_config_selectorIfEEZZNS1_9scan_implILNS1_25lookback_scan_determinismE0ELb0ELb0ES3_PKfPffZZZN2at6native31launch_logcumsumexp_cuda_kernelERKNSB_10TensorBaseESF_lENKUlvE_clEvENKUlvE0_clEvEUlffE_fEEDaPvRmT3_T4_T5_mT6_P12ihipStream_tbENKUlT_T0_E_clISt17integral_constantIbLb1EESW_EEDaSR_SS_EUlSR_E_NS1_11comp_targetILNS1_3genE0ELNS1_11target_archE4294967295ELNS1_3gpuE0ELNS1_3repE0EEENS1_30default_config_static_selectorELNS0_4arch9wavefront6targetE0EEEvT1_.has_indirect_call, 0
	.section	.AMDGPU.csdata,"",@progbits
; Kernel info:
; codeLenInByte = 0
; TotalNumSgprs: 0
; NumVgprs: 0
; ScratchSize: 0
; MemoryBound: 0
; FloatMode: 240
; IeeeMode: 1
; LDSByteSize: 0 bytes/workgroup (compile time only)
; SGPRBlocks: 0
; VGPRBlocks: 0
; NumSGPRsForWavesPerEU: 1
; NumVGPRsForWavesPerEU: 1
; Occupancy: 16
; WaveLimiterHint : 0
; COMPUTE_PGM_RSRC2:SCRATCH_EN: 0
; COMPUTE_PGM_RSRC2:USER_SGPR: 6
; COMPUTE_PGM_RSRC2:TRAP_HANDLER: 0
; COMPUTE_PGM_RSRC2:TGID_X_EN: 1
; COMPUTE_PGM_RSRC2:TGID_Y_EN: 0
; COMPUTE_PGM_RSRC2:TGID_Z_EN: 0
; COMPUTE_PGM_RSRC2:TIDIG_COMP_CNT: 0
	.section	.text._ZN7rocprim17ROCPRIM_400000_NS6detail17trampoline_kernelINS0_14default_configENS1_20scan_config_selectorIfEEZZNS1_9scan_implILNS1_25lookback_scan_determinismE0ELb0ELb0ES3_PKfPffZZZN2at6native31launch_logcumsumexp_cuda_kernelERKNSB_10TensorBaseESF_lENKUlvE_clEvENKUlvE0_clEvEUlffE_fEEDaPvRmT3_T4_T5_mT6_P12ihipStream_tbENKUlT_T0_E_clISt17integral_constantIbLb1EESW_EEDaSR_SS_EUlSR_E_NS1_11comp_targetILNS1_3genE5ELNS1_11target_archE942ELNS1_3gpuE9ELNS1_3repE0EEENS1_30default_config_static_selectorELNS0_4arch9wavefront6targetE0EEEvT1_,"axG",@progbits,_ZN7rocprim17ROCPRIM_400000_NS6detail17trampoline_kernelINS0_14default_configENS1_20scan_config_selectorIfEEZZNS1_9scan_implILNS1_25lookback_scan_determinismE0ELb0ELb0ES3_PKfPffZZZN2at6native31launch_logcumsumexp_cuda_kernelERKNSB_10TensorBaseESF_lENKUlvE_clEvENKUlvE0_clEvEUlffE_fEEDaPvRmT3_T4_T5_mT6_P12ihipStream_tbENKUlT_T0_E_clISt17integral_constantIbLb1EESW_EEDaSR_SS_EUlSR_E_NS1_11comp_targetILNS1_3genE5ELNS1_11target_archE942ELNS1_3gpuE9ELNS1_3repE0EEENS1_30default_config_static_selectorELNS0_4arch9wavefront6targetE0EEEvT1_,comdat
	.globl	_ZN7rocprim17ROCPRIM_400000_NS6detail17trampoline_kernelINS0_14default_configENS1_20scan_config_selectorIfEEZZNS1_9scan_implILNS1_25lookback_scan_determinismE0ELb0ELb0ES3_PKfPffZZZN2at6native31launch_logcumsumexp_cuda_kernelERKNSB_10TensorBaseESF_lENKUlvE_clEvENKUlvE0_clEvEUlffE_fEEDaPvRmT3_T4_T5_mT6_P12ihipStream_tbENKUlT_T0_E_clISt17integral_constantIbLb1EESW_EEDaSR_SS_EUlSR_E_NS1_11comp_targetILNS1_3genE5ELNS1_11target_archE942ELNS1_3gpuE9ELNS1_3repE0EEENS1_30default_config_static_selectorELNS0_4arch9wavefront6targetE0EEEvT1_ ; -- Begin function _ZN7rocprim17ROCPRIM_400000_NS6detail17trampoline_kernelINS0_14default_configENS1_20scan_config_selectorIfEEZZNS1_9scan_implILNS1_25lookback_scan_determinismE0ELb0ELb0ES3_PKfPffZZZN2at6native31launch_logcumsumexp_cuda_kernelERKNSB_10TensorBaseESF_lENKUlvE_clEvENKUlvE0_clEvEUlffE_fEEDaPvRmT3_T4_T5_mT6_P12ihipStream_tbENKUlT_T0_E_clISt17integral_constantIbLb1EESW_EEDaSR_SS_EUlSR_E_NS1_11comp_targetILNS1_3genE5ELNS1_11target_archE942ELNS1_3gpuE9ELNS1_3repE0EEENS1_30default_config_static_selectorELNS0_4arch9wavefront6targetE0EEEvT1_
	.p2align	8
	.type	_ZN7rocprim17ROCPRIM_400000_NS6detail17trampoline_kernelINS0_14default_configENS1_20scan_config_selectorIfEEZZNS1_9scan_implILNS1_25lookback_scan_determinismE0ELb0ELb0ES3_PKfPffZZZN2at6native31launch_logcumsumexp_cuda_kernelERKNSB_10TensorBaseESF_lENKUlvE_clEvENKUlvE0_clEvEUlffE_fEEDaPvRmT3_T4_T5_mT6_P12ihipStream_tbENKUlT_T0_E_clISt17integral_constantIbLb1EESW_EEDaSR_SS_EUlSR_E_NS1_11comp_targetILNS1_3genE5ELNS1_11target_archE942ELNS1_3gpuE9ELNS1_3repE0EEENS1_30default_config_static_selectorELNS0_4arch9wavefront6targetE0EEEvT1_,@function
_ZN7rocprim17ROCPRIM_400000_NS6detail17trampoline_kernelINS0_14default_configENS1_20scan_config_selectorIfEEZZNS1_9scan_implILNS1_25lookback_scan_determinismE0ELb0ELb0ES3_PKfPffZZZN2at6native31launch_logcumsumexp_cuda_kernelERKNSB_10TensorBaseESF_lENKUlvE_clEvENKUlvE0_clEvEUlffE_fEEDaPvRmT3_T4_T5_mT6_P12ihipStream_tbENKUlT_T0_E_clISt17integral_constantIbLb1EESW_EEDaSR_SS_EUlSR_E_NS1_11comp_targetILNS1_3genE5ELNS1_11target_archE942ELNS1_3gpuE9ELNS1_3repE0EEENS1_30default_config_static_selectorELNS0_4arch9wavefront6targetE0EEEvT1_: ; @_ZN7rocprim17ROCPRIM_400000_NS6detail17trampoline_kernelINS0_14default_configENS1_20scan_config_selectorIfEEZZNS1_9scan_implILNS1_25lookback_scan_determinismE0ELb0ELb0ES3_PKfPffZZZN2at6native31launch_logcumsumexp_cuda_kernelERKNSB_10TensorBaseESF_lENKUlvE_clEvENKUlvE0_clEvEUlffE_fEEDaPvRmT3_T4_T5_mT6_P12ihipStream_tbENKUlT_T0_E_clISt17integral_constantIbLb1EESW_EEDaSR_SS_EUlSR_E_NS1_11comp_targetILNS1_3genE5ELNS1_11target_archE942ELNS1_3gpuE9ELNS1_3repE0EEENS1_30default_config_static_selectorELNS0_4arch9wavefront6targetE0EEEvT1_
; %bb.0:
	.section	.rodata,"a",@progbits
	.p2align	6, 0x0
	.amdhsa_kernel _ZN7rocprim17ROCPRIM_400000_NS6detail17trampoline_kernelINS0_14default_configENS1_20scan_config_selectorIfEEZZNS1_9scan_implILNS1_25lookback_scan_determinismE0ELb0ELb0ES3_PKfPffZZZN2at6native31launch_logcumsumexp_cuda_kernelERKNSB_10TensorBaseESF_lENKUlvE_clEvENKUlvE0_clEvEUlffE_fEEDaPvRmT3_T4_T5_mT6_P12ihipStream_tbENKUlT_T0_E_clISt17integral_constantIbLb1EESW_EEDaSR_SS_EUlSR_E_NS1_11comp_targetILNS1_3genE5ELNS1_11target_archE942ELNS1_3gpuE9ELNS1_3repE0EEENS1_30default_config_static_selectorELNS0_4arch9wavefront6targetE0EEEvT1_
		.amdhsa_group_segment_fixed_size 0
		.amdhsa_private_segment_fixed_size 0
		.amdhsa_kernarg_size 96
		.amdhsa_user_sgpr_count 6
		.amdhsa_user_sgpr_private_segment_buffer 1
		.amdhsa_user_sgpr_dispatch_ptr 0
		.amdhsa_user_sgpr_queue_ptr 0
		.amdhsa_user_sgpr_kernarg_segment_ptr 1
		.amdhsa_user_sgpr_dispatch_id 0
		.amdhsa_user_sgpr_flat_scratch_init 0
		.amdhsa_user_sgpr_private_segment_size 0
		.amdhsa_wavefront_size32 1
		.amdhsa_uses_dynamic_stack 0
		.amdhsa_system_sgpr_private_segment_wavefront_offset 0
		.amdhsa_system_sgpr_workgroup_id_x 1
		.amdhsa_system_sgpr_workgroup_id_y 0
		.amdhsa_system_sgpr_workgroup_id_z 0
		.amdhsa_system_sgpr_workgroup_info 0
		.amdhsa_system_vgpr_workitem_id 0
		.amdhsa_next_free_vgpr 1
		.amdhsa_next_free_sgpr 1
		.amdhsa_reserve_vcc 0
		.amdhsa_reserve_flat_scratch 0
		.amdhsa_float_round_mode_32 0
		.amdhsa_float_round_mode_16_64 0
		.amdhsa_float_denorm_mode_32 3
		.amdhsa_float_denorm_mode_16_64 3
		.amdhsa_dx10_clamp 1
		.amdhsa_ieee_mode 1
		.amdhsa_fp16_overflow 0
		.amdhsa_workgroup_processor_mode 1
		.amdhsa_memory_ordered 1
		.amdhsa_forward_progress 1
		.amdhsa_shared_vgpr_count 0
		.amdhsa_exception_fp_ieee_invalid_op 0
		.amdhsa_exception_fp_denorm_src 0
		.amdhsa_exception_fp_ieee_div_zero 0
		.amdhsa_exception_fp_ieee_overflow 0
		.amdhsa_exception_fp_ieee_underflow 0
		.amdhsa_exception_fp_ieee_inexact 0
		.amdhsa_exception_int_div_zero 0
	.end_amdhsa_kernel
	.section	.text._ZN7rocprim17ROCPRIM_400000_NS6detail17trampoline_kernelINS0_14default_configENS1_20scan_config_selectorIfEEZZNS1_9scan_implILNS1_25lookback_scan_determinismE0ELb0ELb0ES3_PKfPffZZZN2at6native31launch_logcumsumexp_cuda_kernelERKNSB_10TensorBaseESF_lENKUlvE_clEvENKUlvE0_clEvEUlffE_fEEDaPvRmT3_T4_T5_mT6_P12ihipStream_tbENKUlT_T0_E_clISt17integral_constantIbLb1EESW_EEDaSR_SS_EUlSR_E_NS1_11comp_targetILNS1_3genE5ELNS1_11target_archE942ELNS1_3gpuE9ELNS1_3repE0EEENS1_30default_config_static_selectorELNS0_4arch9wavefront6targetE0EEEvT1_,"axG",@progbits,_ZN7rocprim17ROCPRIM_400000_NS6detail17trampoline_kernelINS0_14default_configENS1_20scan_config_selectorIfEEZZNS1_9scan_implILNS1_25lookback_scan_determinismE0ELb0ELb0ES3_PKfPffZZZN2at6native31launch_logcumsumexp_cuda_kernelERKNSB_10TensorBaseESF_lENKUlvE_clEvENKUlvE0_clEvEUlffE_fEEDaPvRmT3_T4_T5_mT6_P12ihipStream_tbENKUlT_T0_E_clISt17integral_constantIbLb1EESW_EEDaSR_SS_EUlSR_E_NS1_11comp_targetILNS1_3genE5ELNS1_11target_archE942ELNS1_3gpuE9ELNS1_3repE0EEENS1_30default_config_static_selectorELNS0_4arch9wavefront6targetE0EEEvT1_,comdat
.Lfunc_end116:
	.size	_ZN7rocprim17ROCPRIM_400000_NS6detail17trampoline_kernelINS0_14default_configENS1_20scan_config_selectorIfEEZZNS1_9scan_implILNS1_25lookback_scan_determinismE0ELb0ELb0ES3_PKfPffZZZN2at6native31launch_logcumsumexp_cuda_kernelERKNSB_10TensorBaseESF_lENKUlvE_clEvENKUlvE0_clEvEUlffE_fEEDaPvRmT3_T4_T5_mT6_P12ihipStream_tbENKUlT_T0_E_clISt17integral_constantIbLb1EESW_EEDaSR_SS_EUlSR_E_NS1_11comp_targetILNS1_3genE5ELNS1_11target_archE942ELNS1_3gpuE9ELNS1_3repE0EEENS1_30default_config_static_selectorELNS0_4arch9wavefront6targetE0EEEvT1_, .Lfunc_end116-_ZN7rocprim17ROCPRIM_400000_NS6detail17trampoline_kernelINS0_14default_configENS1_20scan_config_selectorIfEEZZNS1_9scan_implILNS1_25lookback_scan_determinismE0ELb0ELb0ES3_PKfPffZZZN2at6native31launch_logcumsumexp_cuda_kernelERKNSB_10TensorBaseESF_lENKUlvE_clEvENKUlvE0_clEvEUlffE_fEEDaPvRmT3_T4_T5_mT6_P12ihipStream_tbENKUlT_T0_E_clISt17integral_constantIbLb1EESW_EEDaSR_SS_EUlSR_E_NS1_11comp_targetILNS1_3genE5ELNS1_11target_archE942ELNS1_3gpuE9ELNS1_3repE0EEENS1_30default_config_static_selectorELNS0_4arch9wavefront6targetE0EEEvT1_
                                        ; -- End function
	.set _ZN7rocprim17ROCPRIM_400000_NS6detail17trampoline_kernelINS0_14default_configENS1_20scan_config_selectorIfEEZZNS1_9scan_implILNS1_25lookback_scan_determinismE0ELb0ELb0ES3_PKfPffZZZN2at6native31launch_logcumsumexp_cuda_kernelERKNSB_10TensorBaseESF_lENKUlvE_clEvENKUlvE0_clEvEUlffE_fEEDaPvRmT3_T4_T5_mT6_P12ihipStream_tbENKUlT_T0_E_clISt17integral_constantIbLb1EESW_EEDaSR_SS_EUlSR_E_NS1_11comp_targetILNS1_3genE5ELNS1_11target_archE942ELNS1_3gpuE9ELNS1_3repE0EEENS1_30default_config_static_selectorELNS0_4arch9wavefront6targetE0EEEvT1_.num_vgpr, 0
	.set _ZN7rocprim17ROCPRIM_400000_NS6detail17trampoline_kernelINS0_14default_configENS1_20scan_config_selectorIfEEZZNS1_9scan_implILNS1_25lookback_scan_determinismE0ELb0ELb0ES3_PKfPffZZZN2at6native31launch_logcumsumexp_cuda_kernelERKNSB_10TensorBaseESF_lENKUlvE_clEvENKUlvE0_clEvEUlffE_fEEDaPvRmT3_T4_T5_mT6_P12ihipStream_tbENKUlT_T0_E_clISt17integral_constantIbLb1EESW_EEDaSR_SS_EUlSR_E_NS1_11comp_targetILNS1_3genE5ELNS1_11target_archE942ELNS1_3gpuE9ELNS1_3repE0EEENS1_30default_config_static_selectorELNS0_4arch9wavefront6targetE0EEEvT1_.num_agpr, 0
	.set _ZN7rocprim17ROCPRIM_400000_NS6detail17trampoline_kernelINS0_14default_configENS1_20scan_config_selectorIfEEZZNS1_9scan_implILNS1_25lookback_scan_determinismE0ELb0ELb0ES3_PKfPffZZZN2at6native31launch_logcumsumexp_cuda_kernelERKNSB_10TensorBaseESF_lENKUlvE_clEvENKUlvE0_clEvEUlffE_fEEDaPvRmT3_T4_T5_mT6_P12ihipStream_tbENKUlT_T0_E_clISt17integral_constantIbLb1EESW_EEDaSR_SS_EUlSR_E_NS1_11comp_targetILNS1_3genE5ELNS1_11target_archE942ELNS1_3gpuE9ELNS1_3repE0EEENS1_30default_config_static_selectorELNS0_4arch9wavefront6targetE0EEEvT1_.numbered_sgpr, 0
	.set _ZN7rocprim17ROCPRIM_400000_NS6detail17trampoline_kernelINS0_14default_configENS1_20scan_config_selectorIfEEZZNS1_9scan_implILNS1_25lookback_scan_determinismE0ELb0ELb0ES3_PKfPffZZZN2at6native31launch_logcumsumexp_cuda_kernelERKNSB_10TensorBaseESF_lENKUlvE_clEvENKUlvE0_clEvEUlffE_fEEDaPvRmT3_T4_T5_mT6_P12ihipStream_tbENKUlT_T0_E_clISt17integral_constantIbLb1EESW_EEDaSR_SS_EUlSR_E_NS1_11comp_targetILNS1_3genE5ELNS1_11target_archE942ELNS1_3gpuE9ELNS1_3repE0EEENS1_30default_config_static_selectorELNS0_4arch9wavefront6targetE0EEEvT1_.num_named_barrier, 0
	.set _ZN7rocprim17ROCPRIM_400000_NS6detail17trampoline_kernelINS0_14default_configENS1_20scan_config_selectorIfEEZZNS1_9scan_implILNS1_25lookback_scan_determinismE0ELb0ELb0ES3_PKfPffZZZN2at6native31launch_logcumsumexp_cuda_kernelERKNSB_10TensorBaseESF_lENKUlvE_clEvENKUlvE0_clEvEUlffE_fEEDaPvRmT3_T4_T5_mT6_P12ihipStream_tbENKUlT_T0_E_clISt17integral_constantIbLb1EESW_EEDaSR_SS_EUlSR_E_NS1_11comp_targetILNS1_3genE5ELNS1_11target_archE942ELNS1_3gpuE9ELNS1_3repE0EEENS1_30default_config_static_selectorELNS0_4arch9wavefront6targetE0EEEvT1_.private_seg_size, 0
	.set _ZN7rocprim17ROCPRIM_400000_NS6detail17trampoline_kernelINS0_14default_configENS1_20scan_config_selectorIfEEZZNS1_9scan_implILNS1_25lookback_scan_determinismE0ELb0ELb0ES3_PKfPffZZZN2at6native31launch_logcumsumexp_cuda_kernelERKNSB_10TensorBaseESF_lENKUlvE_clEvENKUlvE0_clEvEUlffE_fEEDaPvRmT3_T4_T5_mT6_P12ihipStream_tbENKUlT_T0_E_clISt17integral_constantIbLb1EESW_EEDaSR_SS_EUlSR_E_NS1_11comp_targetILNS1_3genE5ELNS1_11target_archE942ELNS1_3gpuE9ELNS1_3repE0EEENS1_30default_config_static_selectorELNS0_4arch9wavefront6targetE0EEEvT1_.uses_vcc, 0
	.set _ZN7rocprim17ROCPRIM_400000_NS6detail17trampoline_kernelINS0_14default_configENS1_20scan_config_selectorIfEEZZNS1_9scan_implILNS1_25lookback_scan_determinismE0ELb0ELb0ES3_PKfPffZZZN2at6native31launch_logcumsumexp_cuda_kernelERKNSB_10TensorBaseESF_lENKUlvE_clEvENKUlvE0_clEvEUlffE_fEEDaPvRmT3_T4_T5_mT6_P12ihipStream_tbENKUlT_T0_E_clISt17integral_constantIbLb1EESW_EEDaSR_SS_EUlSR_E_NS1_11comp_targetILNS1_3genE5ELNS1_11target_archE942ELNS1_3gpuE9ELNS1_3repE0EEENS1_30default_config_static_selectorELNS0_4arch9wavefront6targetE0EEEvT1_.uses_flat_scratch, 0
	.set _ZN7rocprim17ROCPRIM_400000_NS6detail17trampoline_kernelINS0_14default_configENS1_20scan_config_selectorIfEEZZNS1_9scan_implILNS1_25lookback_scan_determinismE0ELb0ELb0ES3_PKfPffZZZN2at6native31launch_logcumsumexp_cuda_kernelERKNSB_10TensorBaseESF_lENKUlvE_clEvENKUlvE0_clEvEUlffE_fEEDaPvRmT3_T4_T5_mT6_P12ihipStream_tbENKUlT_T0_E_clISt17integral_constantIbLb1EESW_EEDaSR_SS_EUlSR_E_NS1_11comp_targetILNS1_3genE5ELNS1_11target_archE942ELNS1_3gpuE9ELNS1_3repE0EEENS1_30default_config_static_selectorELNS0_4arch9wavefront6targetE0EEEvT1_.has_dyn_sized_stack, 0
	.set _ZN7rocprim17ROCPRIM_400000_NS6detail17trampoline_kernelINS0_14default_configENS1_20scan_config_selectorIfEEZZNS1_9scan_implILNS1_25lookback_scan_determinismE0ELb0ELb0ES3_PKfPffZZZN2at6native31launch_logcumsumexp_cuda_kernelERKNSB_10TensorBaseESF_lENKUlvE_clEvENKUlvE0_clEvEUlffE_fEEDaPvRmT3_T4_T5_mT6_P12ihipStream_tbENKUlT_T0_E_clISt17integral_constantIbLb1EESW_EEDaSR_SS_EUlSR_E_NS1_11comp_targetILNS1_3genE5ELNS1_11target_archE942ELNS1_3gpuE9ELNS1_3repE0EEENS1_30default_config_static_selectorELNS0_4arch9wavefront6targetE0EEEvT1_.has_recursion, 0
	.set _ZN7rocprim17ROCPRIM_400000_NS6detail17trampoline_kernelINS0_14default_configENS1_20scan_config_selectorIfEEZZNS1_9scan_implILNS1_25lookback_scan_determinismE0ELb0ELb0ES3_PKfPffZZZN2at6native31launch_logcumsumexp_cuda_kernelERKNSB_10TensorBaseESF_lENKUlvE_clEvENKUlvE0_clEvEUlffE_fEEDaPvRmT3_T4_T5_mT6_P12ihipStream_tbENKUlT_T0_E_clISt17integral_constantIbLb1EESW_EEDaSR_SS_EUlSR_E_NS1_11comp_targetILNS1_3genE5ELNS1_11target_archE942ELNS1_3gpuE9ELNS1_3repE0EEENS1_30default_config_static_selectorELNS0_4arch9wavefront6targetE0EEEvT1_.has_indirect_call, 0
	.section	.AMDGPU.csdata,"",@progbits
; Kernel info:
; codeLenInByte = 0
; TotalNumSgprs: 0
; NumVgprs: 0
; ScratchSize: 0
; MemoryBound: 0
; FloatMode: 240
; IeeeMode: 1
; LDSByteSize: 0 bytes/workgroup (compile time only)
; SGPRBlocks: 0
; VGPRBlocks: 0
; NumSGPRsForWavesPerEU: 1
; NumVGPRsForWavesPerEU: 1
; Occupancy: 16
; WaveLimiterHint : 0
; COMPUTE_PGM_RSRC2:SCRATCH_EN: 0
; COMPUTE_PGM_RSRC2:USER_SGPR: 6
; COMPUTE_PGM_RSRC2:TRAP_HANDLER: 0
; COMPUTE_PGM_RSRC2:TGID_X_EN: 1
; COMPUTE_PGM_RSRC2:TGID_Y_EN: 0
; COMPUTE_PGM_RSRC2:TGID_Z_EN: 0
; COMPUTE_PGM_RSRC2:TIDIG_COMP_CNT: 0
	.section	.text._ZN7rocprim17ROCPRIM_400000_NS6detail17trampoline_kernelINS0_14default_configENS1_20scan_config_selectorIfEEZZNS1_9scan_implILNS1_25lookback_scan_determinismE0ELb0ELb0ES3_PKfPffZZZN2at6native31launch_logcumsumexp_cuda_kernelERKNSB_10TensorBaseESF_lENKUlvE_clEvENKUlvE0_clEvEUlffE_fEEDaPvRmT3_T4_T5_mT6_P12ihipStream_tbENKUlT_T0_E_clISt17integral_constantIbLb1EESW_EEDaSR_SS_EUlSR_E_NS1_11comp_targetILNS1_3genE4ELNS1_11target_archE910ELNS1_3gpuE8ELNS1_3repE0EEENS1_30default_config_static_selectorELNS0_4arch9wavefront6targetE0EEEvT1_,"axG",@progbits,_ZN7rocprim17ROCPRIM_400000_NS6detail17trampoline_kernelINS0_14default_configENS1_20scan_config_selectorIfEEZZNS1_9scan_implILNS1_25lookback_scan_determinismE0ELb0ELb0ES3_PKfPffZZZN2at6native31launch_logcumsumexp_cuda_kernelERKNSB_10TensorBaseESF_lENKUlvE_clEvENKUlvE0_clEvEUlffE_fEEDaPvRmT3_T4_T5_mT6_P12ihipStream_tbENKUlT_T0_E_clISt17integral_constantIbLb1EESW_EEDaSR_SS_EUlSR_E_NS1_11comp_targetILNS1_3genE4ELNS1_11target_archE910ELNS1_3gpuE8ELNS1_3repE0EEENS1_30default_config_static_selectorELNS0_4arch9wavefront6targetE0EEEvT1_,comdat
	.globl	_ZN7rocprim17ROCPRIM_400000_NS6detail17trampoline_kernelINS0_14default_configENS1_20scan_config_selectorIfEEZZNS1_9scan_implILNS1_25lookback_scan_determinismE0ELb0ELb0ES3_PKfPffZZZN2at6native31launch_logcumsumexp_cuda_kernelERKNSB_10TensorBaseESF_lENKUlvE_clEvENKUlvE0_clEvEUlffE_fEEDaPvRmT3_T4_T5_mT6_P12ihipStream_tbENKUlT_T0_E_clISt17integral_constantIbLb1EESW_EEDaSR_SS_EUlSR_E_NS1_11comp_targetILNS1_3genE4ELNS1_11target_archE910ELNS1_3gpuE8ELNS1_3repE0EEENS1_30default_config_static_selectorELNS0_4arch9wavefront6targetE0EEEvT1_ ; -- Begin function _ZN7rocprim17ROCPRIM_400000_NS6detail17trampoline_kernelINS0_14default_configENS1_20scan_config_selectorIfEEZZNS1_9scan_implILNS1_25lookback_scan_determinismE0ELb0ELb0ES3_PKfPffZZZN2at6native31launch_logcumsumexp_cuda_kernelERKNSB_10TensorBaseESF_lENKUlvE_clEvENKUlvE0_clEvEUlffE_fEEDaPvRmT3_T4_T5_mT6_P12ihipStream_tbENKUlT_T0_E_clISt17integral_constantIbLb1EESW_EEDaSR_SS_EUlSR_E_NS1_11comp_targetILNS1_3genE4ELNS1_11target_archE910ELNS1_3gpuE8ELNS1_3repE0EEENS1_30default_config_static_selectorELNS0_4arch9wavefront6targetE0EEEvT1_
	.p2align	8
	.type	_ZN7rocprim17ROCPRIM_400000_NS6detail17trampoline_kernelINS0_14default_configENS1_20scan_config_selectorIfEEZZNS1_9scan_implILNS1_25lookback_scan_determinismE0ELb0ELb0ES3_PKfPffZZZN2at6native31launch_logcumsumexp_cuda_kernelERKNSB_10TensorBaseESF_lENKUlvE_clEvENKUlvE0_clEvEUlffE_fEEDaPvRmT3_T4_T5_mT6_P12ihipStream_tbENKUlT_T0_E_clISt17integral_constantIbLb1EESW_EEDaSR_SS_EUlSR_E_NS1_11comp_targetILNS1_3genE4ELNS1_11target_archE910ELNS1_3gpuE8ELNS1_3repE0EEENS1_30default_config_static_selectorELNS0_4arch9wavefront6targetE0EEEvT1_,@function
_ZN7rocprim17ROCPRIM_400000_NS6detail17trampoline_kernelINS0_14default_configENS1_20scan_config_selectorIfEEZZNS1_9scan_implILNS1_25lookback_scan_determinismE0ELb0ELb0ES3_PKfPffZZZN2at6native31launch_logcumsumexp_cuda_kernelERKNSB_10TensorBaseESF_lENKUlvE_clEvENKUlvE0_clEvEUlffE_fEEDaPvRmT3_T4_T5_mT6_P12ihipStream_tbENKUlT_T0_E_clISt17integral_constantIbLb1EESW_EEDaSR_SS_EUlSR_E_NS1_11comp_targetILNS1_3genE4ELNS1_11target_archE910ELNS1_3gpuE8ELNS1_3repE0EEENS1_30default_config_static_selectorELNS0_4arch9wavefront6targetE0EEEvT1_: ; @_ZN7rocprim17ROCPRIM_400000_NS6detail17trampoline_kernelINS0_14default_configENS1_20scan_config_selectorIfEEZZNS1_9scan_implILNS1_25lookback_scan_determinismE0ELb0ELb0ES3_PKfPffZZZN2at6native31launch_logcumsumexp_cuda_kernelERKNSB_10TensorBaseESF_lENKUlvE_clEvENKUlvE0_clEvEUlffE_fEEDaPvRmT3_T4_T5_mT6_P12ihipStream_tbENKUlT_T0_E_clISt17integral_constantIbLb1EESW_EEDaSR_SS_EUlSR_E_NS1_11comp_targetILNS1_3genE4ELNS1_11target_archE910ELNS1_3gpuE8ELNS1_3repE0EEENS1_30default_config_static_selectorELNS0_4arch9wavefront6targetE0EEEvT1_
; %bb.0:
	.section	.rodata,"a",@progbits
	.p2align	6, 0x0
	.amdhsa_kernel _ZN7rocprim17ROCPRIM_400000_NS6detail17trampoline_kernelINS0_14default_configENS1_20scan_config_selectorIfEEZZNS1_9scan_implILNS1_25lookback_scan_determinismE0ELb0ELb0ES3_PKfPffZZZN2at6native31launch_logcumsumexp_cuda_kernelERKNSB_10TensorBaseESF_lENKUlvE_clEvENKUlvE0_clEvEUlffE_fEEDaPvRmT3_T4_T5_mT6_P12ihipStream_tbENKUlT_T0_E_clISt17integral_constantIbLb1EESW_EEDaSR_SS_EUlSR_E_NS1_11comp_targetILNS1_3genE4ELNS1_11target_archE910ELNS1_3gpuE8ELNS1_3repE0EEENS1_30default_config_static_selectorELNS0_4arch9wavefront6targetE0EEEvT1_
		.amdhsa_group_segment_fixed_size 0
		.amdhsa_private_segment_fixed_size 0
		.amdhsa_kernarg_size 96
		.amdhsa_user_sgpr_count 6
		.amdhsa_user_sgpr_private_segment_buffer 1
		.amdhsa_user_sgpr_dispatch_ptr 0
		.amdhsa_user_sgpr_queue_ptr 0
		.amdhsa_user_sgpr_kernarg_segment_ptr 1
		.amdhsa_user_sgpr_dispatch_id 0
		.amdhsa_user_sgpr_flat_scratch_init 0
		.amdhsa_user_sgpr_private_segment_size 0
		.amdhsa_wavefront_size32 1
		.amdhsa_uses_dynamic_stack 0
		.amdhsa_system_sgpr_private_segment_wavefront_offset 0
		.amdhsa_system_sgpr_workgroup_id_x 1
		.amdhsa_system_sgpr_workgroup_id_y 0
		.amdhsa_system_sgpr_workgroup_id_z 0
		.amdhsa_system_sgpr_workgroup_info 0
		.amdhsa_system_vgpr_workitem_id 0
		.amdhsa_next_free_vgpr 1
		.amdhsa_next_free_sgpr 1
		.amdhsa_reserve_vcc 0
		.amdhsa_reserve_flat_scratch 0
		.amdhsa_float_round_mode_32 0
		.amdhsa_float_round_mode_16_64 0
		.amdhsa_float_denorm_mode_32 3
		.amdhsa_float_denorm_mode_16_64 3
		.amdhsa_dx10_clamp 1
		.amdhsa_ieee_mode 1
		.amdhsa_fp16_overflow 0
		.amdhsa_workgroup_processor_mode 1
		.amdhsa_memory_ordered 1
		.amdhsa_forward_progress 1
		.amdhsa_shared_vgpr_count 0
		.amdhsa_exception_fp_ieee_invalid_op 0
		.amdhsa_exception_fp_denorm_src 0
		.amdhsa_exception_fp_ieee_div_zero 0
		.amdhsa_exception_fp_ieee_overflow 0
		.amdhsa_exception_fp_ieee_underflow 0
		.amdhsa_exception_fp_ieee_inexact 0
		.amdhsa_exception_int_div_zero 0
	.end_amdhsa_kernel
	.section	.text._ZN7rocprim17ROCPRIM_400000_NS6detail17trampoline_kernelINS0_14default_configENS1_20scan_config_selectorIfEEZZNS1_9scan_implILNS1_25lookback_scan_determinismE0ELb0ELb0ES3_PKfPffZZZN2at6native31launch_logcumsumexp_cuda_kernelERKNSB_10TensorBaseESF_lENKUlvE_clEvENKUlvE0_clEvEUlffE_fEEDaPvRmT3_T4_T5_mT6_P12ihipStream_tbENKUlT_T0_E_clISt17integral_constantIbLb1EESW_EEDaSR_SS_EUlSR_E_NS1_11comp_targetILNS1_3genE4ELNS1_11target_archE910ELNS1_3gpuE8ELNS1_3repE0EEENS1_30default_config_static_selectorELNS0_4arch9wavefront6targetE0EEEvT1_,"axG",@progbits,_ZN7rocprim17ROCPRIM_400000_NS6detail17trampoline_kernelINS0_14default_configENS1_20scan_config_selectorIfEEZZNS1_9scan_implILNS1_25lookback_scan_determinismE0ELb0ELb0ES3_PKfPffZZZN2at6native31launch_logcumsumexp_cuda_kernelERKNSB_10TensorBaseESF_lENKUlvE_clEvENKUlvE0_clEvEUlffE_fEEDaPvRmT3_T4_T5_mT6_P12ihipStream_tbENKUlT_T0_E_clISt17integral_constantIbLb1EESW_EEDaSR_SS_EUlSR_E_NS1_11comp_targetILNS1_3genE4ELNS1_11target_archE910ELNS1_3gpuE8ELNS1_3repE0EEENS1_30default_config_static_selectorELNS0_4arch9wavefront6targetE0EEEvT1_,comdat
.Lfunc_end117:
	.size	_ZN7rocprim17ROCPRIM_400000_NS6detail17trampoline_kernelINS0_14default_configENS1_20scan_config_selectorIfEEZZNS1_9scan_implILNS1_25lookback_scan_determinismE0ELb0ELb0ES3_PKfPffZZZN2at6native31launch_logcumsumexp_cuda_kernelERKNSB_10TensorBaseESF_lENKUlvE_clEvENKUlvE0_clEvEUlffE_fEEDaPvRmT3_T4_T5_mT6_P12ihipStream_tbENKUlT_T0_E_clISt17integral_constantIbLb1EESW_EEDaSR_SS_EUlSR_E_NS1_11comp_targetILNS1_3genE4ELNS1_11target_archE910ELNS1_3gpuE8ELNS1_3repE0EEENS1_30default_config_static_selectorELNS0_4arch9wavefront6targetE0EEEvT1_, .Lfunc_end117-_ZN7rocprim17ROCPRIM_400000_NS6detail17trampoline_kernelINS0_14default_configENS1_20scan_config_selectorIfEEZZNS1_9scan_implILNS1_25lookback_scan_determinismE0ELb0ELb0ES3_PKfPffZZZN2at6native31launch_logcumsumexp_cuda_kernelERKNSB_10TensorBaseESF_lENKUlvE_clEvENKUlvE0_clEvEUlffE_fEEDaPvRmT3_T4_T5_mT6_P12ihipStream_tbENKUlT_T0_E_clISt17integral_constantIbLb1EESW_EEDaSR_SS_EUlSR_E_NS1_11comp_targetILNS1_3genE4ELNS1_11target_archE910ELNS1_3gpuE8ELNS1_3repE0EEENS1_30default_config_static_selectorELNS0_4arch9wavefront6targetE0EEEvT1_
                                        ; -- End function
	.set _ZN7rocprim17ROCPRIM_400000_NS6detail17trampoline_kernelINS0_14default_configENS1_20scan_config_selectorIfEEZZNS1_9scan_implILNS1_25lookback_scan_determinismE0ELb0ELb0ES3_PKfPffZZZN2at6native31launch_logcumsumexp_cuda_kernelERKNSB_10TensorBaseESF_lENKUlvE_clEvENKUlvE0_clEvEUlffE_fEEDaPvRmT3_T4_T5_mT6_P12ihipStream_tbENKUlT_T0_E_clISt17integral_constantIbLb1EESW_EEDaSR_SS_EUlSR_E_NS1_11comp_targetILNS1_3genE4ELNS1_11target_archE910ELNS1_3gpuE8ELNS1_3repE0EEENS1_30default_config_static_selectorELNS0_4arch9wavefront6targetE0EEEvT1_.num_vgpr, 0
	.set _ZN7rocprim17ROCPRIM_400000_NS6detail17trampoline_kernelINS0_14default_configENS1_20scan_config_selectorIfEEZZNS1_9scan_implILNS1_25lookback_scan_determinismE0ELb0ELb0ES3_PKfPffZZZN2at6native31launch_logcumsumexp_cuda_kernelERKNSB_10TensorBaseESF_lENKUlvE_clEvENKUlvE0_clEvEUlffE_fEEDaPvRmT3_T4_T5_mT6_P12ihipStream_tbENKUlT_T0_E_clISt17integral_constantIbLb1EESW_EEDaSR_SS_EUlSR_E_NS1_11comp_targetILNS1_3genE4ELNS1_11target_archE910ELNS1_3gpuE8ELNS1_3repE0EEENS1_30default_config_static_selectorELNS0_4arch9wavefront6targetE0EEEvT1_.num_agpr, 0
	.set _ZN7rocprim17ROCPRIM_400000_NS6detail17trampoline_kernelINS0_14default_configENS1_20scan_config_selectorIfEEZZNS1_9scan_implILNS1_25lookback_scan_determinismE0ELb0ELb0ES3_PKfPffZZZN2at6native31launch_logcumsumexp_cuda_kernelERKNSB_10TensorBaseESF_lENKUlvE_clEvENKUlvE0_clEvEUlffE_fEEDaPvRmT3_T4_T5_mT6_P12ihipStream_tbENKUlT_T0_E_clISt17integral_constantIbLb1EESW_EEDaSR_SS_EUlSR_E_NS1_11comp_targetILNS1_3genE4ELNS1_11target_archE910ELNS1_3gpuE8ELNS1_3repE0EEENS1_30default_config_static_selectorELNS0_4arch9wavefront6targetE0EEEvT1_.numbered_sgpr, 0
	.set _ZN7rocprim17ROCPRIM_400000_NS6detail17trampoline_kernelINS0_14default_configENS1_20scan_config_selectorIfEEZZNS1_9scan_implILNS1_25lookback_scan_determinismE0ELb0ELb0ES3_PKfPffZZZN2at6native31launch_logcumsumexp_cuda_kernelERKNSB_10TensorBaseESF_lENKUlvE_clEvENKUlvE0_clEvEUlffE_fEEDaPvRmT3_T4_T5_mT6_P12ihipStream_tbENKUlT_T0_E_clISt17integral_constantIbLb1EESW_EEDaSR_SS_EUlSR_E_NS1_11comp_targetILNS1_3genE4ELNS1_11target_archE910ELNS1_3gpuE8ELNS1_3repE0EEENS1_30default_config_static_selectorELNS0_4arch9wavefront6targetE0EEEvT1_.num_named_barrier, 0
	.set _ZN7rocprim17ROCPRIM_400000_NS6detail17trampoline_kernelINS0_14default_configENS1_20scan_config_selectorIfEEZZNS1_9scan_implILNS1_25lookback_scan_determinismE0ELb0ELb0ES3_PKfPffZZZN2at6native31launch_logcumsumexp_cuda_kernelERKNSB_10TensorBaseESF_lENKUlvE_clEvENKUlvE0_clEvEUlffE_fEEDaPvRmT3_T4_T5_mT6_P12ihipStream_tbENKUlT_T0_E_clISt17integral_constantIbLb1EESW_EEDaSR_SS_EUlSR_E_NS1_11comp_targetILNS1_3genE4ELNS1_11target_archE910ELNS1_3gpuE8ELNS1_3repE0EEENS1_30default_config_static_selectorELNS0_4arch9wavefront6targetE0EEEvT1_.private_seg_size, 0
	.set _ZN7rocprim17ROCPRIM_400000_NS6detail17trampoline_kernelINS0_14default_configENS1_20scan_config_selectorIfEEZZNS1_9scan_implILNS1_25lookback_scan_determinismE0ELb0ELb0ES3_PKfPffZZZN2at6native31launch_logcumsumexp_cuda_kernelERKNSB_10TensorBaseESF_lENKUlvE_clEvENKUlvE0_clEvEUlffE_fEEDaPvRmT3_T4_T5_mT6_P12ihipStream_tbENKUlT_T0_E_clISt17integral_constantIbLb1EESW_EEDaSR_SS_EUlSR_E_NS1_11comp_targetILNS1_3genE4ELNS1_11target_archE910ELNS1_3gpuE8ELNS1_3repE0EEENS1_30default_config_static_selectorELNS0_4arch9wavefront6targetE0EEEvT1_.uses_vcc, 0
	.set _ZN7rocprim17ROCPRIM_400000_NS6detail17trampoline_kernelINS0_14default_configENS1_20scan_config_selectorIfEEZZNS1_9scan_implILNS1_25lookback_scan_determinismE0ELb0ELb0ES3_PKfPffZZZN2at6native31launch_logcumsumexp_cuda_kernelERKNSB_10TensorBaseESF_lENKUlvE_clEvENKUlvE0_clEvEUlffE_fEEDaPvRmT3_T4_T5_mT6_P12ihipStream_tbENKUlT_T0_E_clISt17integral_constantIbLb1EESW_EEDaSR_SS_EUlSR_E_NS1_11comp_targetILNS1_3genE4ELNS1_11target_archE910ELNS1_3gpuE8ELNS1_3repE0EEENS1_30default_config_static_selectorELNS0_4arch9wavefront6targetE0EEEvT1_.uses_flat_scratch, 0
	.set _ZN7rocprim17ROCPRIM_400000_NS6detail17trampoline_kernelINS0_14default_configENS1_20scan_config_selectorIfEEZZNS1_9scan_implILNS1_25lookback_scan_determinismE0ELb0ELb0ES3_PKfPffZZZN2at6native31launch_logcumsumexp_cuda_kernelERKNSB_10TensorBaseESF_lENKUlvE_clEvENKUlvE0_clEvEUlffE_fEEDaPvRmT3_T4_T5_mT6_P12ihipStream_tbENKUlT_T0_E_clISt17integral_constantIbLb1EESW_EEDaSR_SS_EUlSR_E_NS1_11comp_targetILNS1_3genE4ELNS1_11target_archE910ELNS1_3gpuE8ELNS1_3repE0EEENS1_30default_config_static_selectorELNS0_4arch9wavefront6targetE0EEEvT1_.has_dyn_sized_stack, 0
	.set _ZN7rocprim17ROCPRIM_400000_NS6detail17trampoline_kernelINS0_14default_configENS1_20scan_config_selectorIfEEZZNS1_9scan_implILNS1_25lookback_scan_determinismE0ELb0ELb0ES3_PKfPffZZZN2at6native31launch_logcumsumexp_cuda_kernelERKNSB_10TensorBaseESF_lENKUlvE_clEvENKUlvE0_clEvEUlffE_fEEDaPvRmT3_T4_T5_mT6_P12ihipStream_tbENKUlT_T0_E_clISt17integral_constantIbLb1EESW_EEDaSR_SS_EUlSR_E_NS1_11comp_targetILNS1_3genE4ELNS1_11target_archE910ELNS1_3gpuE8ELNS1_3repE0EEENS1_30default_config_static_selectorELNS0_4arch9wavefront6targetE0EEEvT1_.has_recursion, 0
	.set _ZN7rocprim17ROCPRIM_400000_NS6detail17trampoline_kernelINS0_14default_configENS1_20scan_config_selectorIfEEZZNS1_9scan_implILNS1_25lookback_scan_determinismE0ELb0ELb0ES3_PKfPffZZZN2at6native31launch_logcumsumexp_cuda_kernelERKNSB_10TensorBaseESF_lENKUlvE_clEvENKUlvE0_clEvEUlffE_fEEDaPvRmT3_T4_T5_mT6_P12ihipStream_tbENKUlT_T0_E_clISt17integral_constantIbLb1EESW_EEDaSR_SS_EUlSR_E_NS1_11comp_targetILNS1_3genE4ELNS1_11target_archE910ELNS1_3gpuE8ELNS1_3repE0EEENS1_30default_config_static_selectorELNS0_4arch9wavefront6targetE0EEEvT1_.has_indirect_call, 0
	.section	.AMDGPU.csdata,"",@progbits
; Kernel info:
; codeLenInByte = 0
; TotalNumSgprs: 0
; NumVgprs: 0
; ScratchSize: 0
; MemoryBound: 0
; FloatMode: 240
; IeeeMode: 1
; LDSByteSize: 0 bytes/workgroup (compile time only)
; SGPRBlocks: 0
; VGPRBlocks: 0
; NumSGPRsForWavesPerEU: 1
; NumVGPRsForWavesPerEU: 1
; Occupancy: 16
; WaveLimiterHint : 0
; COMPUTE_PGM_RSRC2:SCRATCH_EN: 0
; COMPUTE_PGM_RSRC2:USER_SGPR: 6
; COMPUTE_PGM_RSRC2:TRAP_HANDLER: 0
; COMPUTE_PGM_RSRC2:TGID_X_EN: 1
; COMPUTE_PGM_RSRC2:TGID_Y_EN: 0
; COMPUTE_PGM_RSRC2:TGID_Z_EN: 0
; COMPUTE_PGM_RSRC2:TIDIG_COMP_CNT: 0
	.section	.text._ZN7rocprim17ROCPRIM_400000_NS6detail17trampoline_kernelINS0_14default_configENS1_20scan_config_selectorIfEEZZNS1_9scan_implILNS1_25lookback_scan_determinismE0ELb0ELb0ES3_PKfPffZZZN2at6native31launch_logcumsumexp_cuda_kernelERKNSB_10TensorBaseESF_lENKUlvE_clEvENKUlvE0_clEvEUlffE_fEEDaPvRmT3_T4_T5_mT6_P12ihipStream_tbENKUlT_T0_E_clISt17integral_constantIbLb1EESW_EEDaSR_SS_EUlSR_E_NS1_11comp_targetILNS1_3genE3ELNS1_11target_archE908ELNS1_3gpuE7ELNS1_3repE0EEENS1_30default_config_static_selectorELNS0_4arch9wavefront6targetE0EEEvT1_,"axG",@progbits,_ZN7rocprim17ROCPRIM_400000_NS6detail17trampoline_kernelINS0_14default_configENS1_20scan_config_selectorIfEEZZNS1_9scan_implILNS1_25lookback_scan_determinismE0ELb0ELb0ES3_PKfPffZZZN2at6native31launch_logcumsumexp_cuda_kernelERKNSB_10TensorBaseESF_lENKUlvE_clEvENKUlvE0_clEvEUlffE_fEEDaPvRmT3_T4_T5_mT6_P12ihipStream_tbENKUlT_T0_E_clISt17integral_constantIbLb1EESW_EEDaSR_SS_EUlSR_E_NS1_11comp_targetILNS1_3genE3ELNS1_11target_archE908ELNS1_3gpuE7ELNS1_3repE0EEENS1_30default_config_static_selectorELNS0_4arch9wavefront6targetE0EEEvT1_,comdat
	.globl	_ZN7rocprim17ROCPRIM_400000_NS6detail17trampoline_kernelINS0_14default_configENS1_20scan_config_selectorIfEEZZNS1_9scan_implILNS1_25lookback_scan_determinismE0ELb0ELb0ES3_PKfPffZZZN2at6native31launch_logcumsumexp_cuda_kernelERKNSB_10TensorBaseESF_lENKUlvE_clEvENKUlvE0_clEvEUlffE_fEEDaPvRmT3_T4_T5_mT6_P12ihipStream_tbENKUlT_T0_E_clISt17integral_constantIbLb1EESW_EEDaSR_SS_EUlSR_E_NS1_11comp_targetILNS1_3genE3ELNS1_11target_archE908ELNS1_3gpuE7ELNS1_3repE0EEENS1_30default_config_static_selectorELNS0_4arch9wavefront6targetE0EEEvT1_ ; -- Begin function _ZN7rocprim17ROCPRIM_400000_NS6detail17trampoline_kernelINS0_14default_configENS1_20scan_config_selectorIfEEZZNS1_9scan_implILNS1_25lookback_scan_determinismE0ELb0ELb0ES3_PKfPffZZZN2at6native31launch_logcumsumexp_cuda_kernelERKNSB_10TensorBaseESF_lENKUlvE_clEvENKUlvE0_clEvEUlffE_fEEDaPvRmT3_T4_T5_mT6_P12ihipStream_tbENKUlT_T0_E_clISt17integral_constantIbLb1EESW_EEDaSR_SS_EUlSR_E_NS1_11comp_targetILNS1_3genE3ELNS1_11target_archE908ELNS1_3gpuE7ELNS1_3repE0EEENS1_30default_config_static_selectorELNS0_4arch9wavefront6targetE0EEEvT1_
	.p2align	8
	.type	_ZN7rocprim17ROCPRIM_400000_NS6detail17trampoline_kernelINS0_14default_configENS1_20scan_config_selectorIfEEZZNS1_9scan_implILNS1_25lookback_scan_determinismE0ELb0ELb0ES3_PKfPffZZZN2at6native31launch_logcumsumexp_cuda_kernelERKNSB_10TensorBaseESF_lENKUlvE_clEvENKUlvE0_clEvEUlffE_fEEDaPvRmT3_T4_T5_mT6_P12ihipStream_tbENKUlT_T0_E_clISt17integral_constantIbLb1EESW_EEDaSR_SS_EUlSR_E_NS1_11comp_targetILNS1_3genE3ELNS1_11target_archE908ELNS1_3gpuE7ELNS1_3repE0EEENS1_30default_config_static_selectorELNS0_4arch9wavefront6targetE0EEEvT1_,@function
_ZN7rocprim17ROCPRIM_400000_NS6detail17trampoline_kernelINS0_14default_configENS1_20scan_config_selectorIfEEZZNS1_9scan_implILNS1_25lookback_scan_determinismE0ELb0ELb0ES3_PKfPffZZZN2at6native31launch_logcumsumexp_cuda_kernelERKNSB_10TensorBaseESF_lENKUlvE_clEvENKUlvE0_clEvEUlffE_fEEDaPvRmT3_T4_T5_mT6_P12ihipStream_tbENKUlT_T0_E_clISt17integral_constantIbLb1EESW_EEDaSR_SS_EUlSR_E_NS1_11comp_targetILNS1_3genE3ELNS1_11target_archE908ELNS1_3gpuE7ELNS1_3repE0EEENS1_30default_config_static_selectorELNS0_4arch9wavefront6targetE0EEEvT1_: ; @_ZN7rocprim17ROCPRIM_400000_NS6detail17trampoline_kernelINS0_14default_configENS1_20scan_config_selectorIfEEZZNS1_9scan_implILNS1_25lookback_scan_determinismE0ELb0ELb0ES3_PKfPffZZZN2at6native31launch_logcumsumexp_cuda_kernelERKNSB_10TensorBaseESF_lENKUlvE_clEvENKUlvE0_clEvEUlffE_fEEDaPvRmT3_T4_T5_mT6_P12ihipStream_tbENKUlT_T0_E_clISt17integral_constantIbLb1EESW_EEDaSR_SS_EUlSR_E_NS1_11comp_targetILNS1_3genE3ELNS1_11target_archE908ELNS1_3gpuE7ELNS1_3repE0EEENS1_30default_config_static_selectorELNS0_4arch9wavefront6targetE0EEEvT1_
; %bb.0:
	.section	.rodata,"a",@progbits
	.p2align	6, 0x0
	.amdhsa_kernel _ZN7rocprim17ROCPRIM_400000_NS6detail17trampoline_kernelINS0_14default_configENS1_20scan_config_selectorIfEEZZNS1_9scan_implILNS1_25lookback_scan_determinismE0ELb0ELb0ES3_PKfPffZZZN2at6native31launch_logcumsumexp_cuda_kernelERKNSB_10TensorBaseESF_lENKUlvE_clEvENKUlvE0_clEvEUlffE_fEEDaPvRmT3_T4_T5_mT6_P12ihipStream_tbENKUlT_T0_E_clISt17integral_constantIbLb1EESW_EEDaSR_SS_EUlSR_E_NS1_11comp_targetILNS1_3genE3ELNS1_11target_archE908ELNS1_3gpuE7ELNS1_3repE0EEENS1_30default_config_static_selectorELNS0_4arch9wavefront6targetE0EEEvT1_
		.amdhsa_group_segment_fixed_size 0
		.amdhsa_private_segment_fixed_size 0
		.amdhsa_kernarg_size 96
		.amdhsa_user_sgpr_count 6
		.amdhsa_user_sgpr_private_segment_buffer 1
		.amdhsa_user_sgpr_dispatch_ptr 0
		.amdhsa_user_sgpr_queue_ptr 0
		.amdhsa_user_sgpr_kernarg_segment_ptr 1
		.amdhsa_user_sgpr_dispatch_id 0
		.amdhsa_user_sgpr_flat_scratch_init 0
		.amdhsa_user_sgpr_private_segment_size 0
		.amdhsa_wavefront_size32 1
		.amdhsa_uses_dynamic_stack 0
		.amdhsa_system_sgpr_private_segment_wavefront_offset 0
		.amdhsa_system_sgpr_workgroup_id_x 1
		.amdhsa_system_sgpr_workgroup_id_y 0
		.amdhsa_system_sgpr_workgroup_id_z 0
		.amdhsa_system_sgpr_workgroup_info 0
		.amdhsa_system_vgpr_workitem_id 0
		.amdhsa_next_free_vgpr 1
		.amdhsa_next_free_sgpr 1
		.amdhsa_reserve_vcc 0
		.amdhsa_reserve_flat_scratch 0
		.amdhsa_float_round_mode_32 0
		.amdhsa_float_round_mode_16_64 0
		.amdhsa_float_denorm_mode_32 3
		.amdhsa_float_denorm_mode_16_64 3
		.amdhsa_dx10_clamp 1
		.amdhsa_ieee_mode 1
		.amdhsa_fp16_overflow 0
		.amdhsa_workgroup_processor_mode 1
		.amdhsa_memory_ordered 1
		.amdhsa_forward_progress 1
		.amdhsa_shared_vgpr_count 0
		.amdhsa_exception_fp_ieee_invalid_op 0
		.amdhsa_exception_fp_denorm_src 0
		.amdhsa_exception_fp_ieee_div_zero 0
		.amdhsa_exception_fp_ieee_overflow 0
		.amdhsa_exception_fp_ieee_underflow 0
		.amdhsa_exception_fp_ieee_inexact 0
		.amdhsa_exception_int_div_zero 0
	.end_amdhsa_kernel
	.section	.text._ZN7rocprim17ROCPRIM_400000_NS6detail17trampoline_kernelINS0_14default_configENS1_20scan_config_selectorIfEEZZNS1_9scan_implILNS1_25lookback_scan_determinismE0ELb0ELb0ES3_PKfPffZZZN2at6native31launch_logcumsumexp_cuda_kernelERKNSB_10TensorBaseESF_lENKUlvE_clEvENKUlvE0_clEvEUlffE_fEEDaPvRmT3_T4_T5_mT6_P12ihipStream_tbENKUlT_T0_E_clISt17integral_constantIbLb1EESW_EEDaSR_SS_EUlSR_E_NS1_11comp_targetILNS1_3genE3ELNS1_11target_archE908ELNS1_3gpuE7ELNS1_3repE0EEENS1_30default_config_static_selectorELNS0_4arch9wavefront6targetE0EEEvT1_,"axG",@progbits,_ZN7rocprim17ROCPRIM_400000_NS6detail17trampoline_kernelINS0_14default_configENS1_20scan_config_selectorIfEEZZNS1_9scan_implILNS1_25lookback_scan_determinismE0ELb0ELb0ES3_PKfPffZZZN2at6native31launch_logcumsumexp_cuda_kernelERKNSB_10TensorBaseESF_lENKUlvE_clEvENKUlvE0_clEvEUlffE_fEEDaPvRmT3_T4_T5_mT6_P12ihipStream_tbENKUlT_T0_E_clISt17integral_constantIbLb1EESW_EEDaSR_SS_EUlSR_E_NS1_11comp_targetILNS1_3genE3ELNS1_11target_archE908ELNS1_3gpuE7ELNS1_3repE0EEENS1_30default_config_static_selectorELNS0_4arch9wavefront6targetE0EEEvT1_,comdat
.Lfunc_end118:
	.size	_ZN7rocprim17ROCPRIM_400000_NS6detail17trampoline_kernelINS0_14default_configENS1_20scan_config_selectorIfEEZZNS1_9scan_implILNS1_25lookback_scan_determinismE0ELb0ELb0ES3_PKfPffZZZN2at6native31launch_logcumsumexp_cuda_kernelERKNSB_10TensorBaseESF_lENKUlvE_clEvENKUlvE0_clEvEUlffE_fEEDaPvRmT3_T4_T5_mT6_P12ihipStream_tbENKUlT_T0_E_clISt17integral_constantIbLb1EESW_EEDaSR_SS_EUlSR_E_NS1_11comp_targetILNS1_3genE3ELNS1_11target_archE908ELNS1_3gpuE7ELNS1_3repE0EEENS1_30default_config_static_selectorELNS0_4arch9wavefront6targetE0EEEvT1_, .Lfunc_end118-_ZN7rocprim17ROCPRIM_400000_NS6detail17trampoline_kernelINS0_14default_configENS1_20scan_config_selectorIfEEZZNS1_9scan_implILNS1_25lookback_scan_determinismE0ELb0ELb0ES3_PKfPffZZZN2at6native31launch_logcumsumexp_cuda_kernelERKNSB_10TensorBaseESF_lENKUlvE_clEvENKUlvE0_clEvEUlffE_fEEDaPvRmT3_T4_T5_mT6_P12ihipStream_tbENKUlT_T0_E_clISt17integral_constantIbLb1EESW_EEDaSR_SS_EUlSR_E_NS1_11comp_targetILNS1_3genE3ELNS1_11target_archE908ELNS1_3gpuE7ELNS1_3repE0EEENS1_30default_config_static_selectorELNS0_4arch9wavefront6targetE0EEEvT1_
                                        ; -- End function
	.set _ZN7rocprim17ROCPRIM_400000_NS6detail17trampoline_kernelINS0_14default_configENS1_20scan_config_selectorIfEEZZNS1_9scan_implILNS1_25lookback_scan_determinismE0ELb0ELb0ES3_PKfPffZZZN2at6native31launch_logcumsumexp_cuda_kernelERKNSB_10TensorBaseESF_lENKUlvE_clEvENKUlvE0_clEvEUlffE_fEEDaPvRmT3_T4_T5_mT6_P12ihipStream_tbENKUlT_T0_E_clISt17integral_constantIbLb1EESW_EEDaSR_SS_EUlSR_E_NS1_11comp_targetILNS1_3genE3ELNS1_11target_archE908ELNS1_3gpuE7ELNS1_3repE0EEENS1_30default_config_static_selectorELNS0_4arch9wavefront6targetE0EEEvT1_.num_vgpr, 0
	.set _ZN7rocprim17ROCPRIM_400000_NS6detail17trampoline_kernelINS0_14default_configENS1_20scan_config_selectorIfEEZZNS1_9scan_implILNS1_25lookback_scan_determinismE0ELb0ELb0ES3_PKfPffZZZN2at6native31launch_logcumsumexp_cuda_kernelERKNSB_10TensorBaseESF_lENKUlvE_clEvENKUlvE0_clEvEUlffE_fEEDaPvRmT3_T4_T5_mT6_P12ihipStream_tbENKUlT_T0_E_clISt17integral_constantIbLb1EESW_EEDaSR_SS_EUlSR_E_NS1_11comp_targetILNS1_3genE3ELNS1_11target_archE908ELNS1_3gpuE7ELNS1_3repE0EEENS1_30default_config_static_selectorELNS0_4arch9wavefront6targetE0EEEvT1_.num_agpr, 0
	.set _ZN7rocprim17ROCPRIM_400000_NS6detail17trampoline_kernelINS0_14default_configENS1_20scan_config_selectorIfEEZZNS1_9scan_implILNS1_25lookback_scan_determinismE0ELb0ELb0ES3_PKfPffZZZN2at6native31launch_logcumsumexp_cuda_kernelERKNSB_10TensorBaseESF_lENKUlvE_clEvENKUlvE0_clEvEUlffE_fEEDaPvRmT3_T4_T5_mT6_P12ihipStream_tbENKUlT_T0_E_clISt17integral_constantIbLb1EESW_EEDaSR_SS_EUlSR_E_NS1_11comp_targetILNS1_3genE3ELNS1_11target_archE908ELNS1_3gpuE7ELNS1_3repE0EEENS1_30default_config_static_selectorELNS0_4arch9wavefront6targetE0EEEvT1_.numbered_sgpr, 0
	.set _ZN7rocprim17ROCPRIM_400000_NS6detail17trampoline_kernelINS0_14default_configENS1_20scan_config_selectorIfEEZZNS1_9scan_implILNS1_25lookback_scan_determinismE0ELb0ELb0ES3_PKfPffZZZN2at6native31launch_logcumsumexp_cuda_kernelERKNSB_10TensorBaseESF_lENKUlvE_clEvENKUlvE0_clEvEUlffE_fEEDaPvRmT3_T4_T5_mT6_P12ihipStream_tbENKUlT_T0_E_clISt17integral_constantIbLb1EESW_EEDaSR_SS_EUlSR_E_NS1_11comp_targetILNS1_3genE3ELNS1_11target_archE908ELNS1_3gpuE7ELNS1_3repE0EEENS1_30default_config_static_selectorELNS0_4arch9wavefront6targetE0EEEvT1_.num_named_barrier, 0
	.set _ZN7rocprim17ROCPRIM_400000_NS6detail17trampoline_kernelINS0_14default_configENS1_20scan_config_selectorIfEEZZNS1_9scan_implILNS1_25lookback_scan_determinismE0ELb0ELb0ES3_PKfPffZZZN2at6native31launch_logcumsumexp_cuda_kernelERKNSB_10TensorBaseESF_lENKUlvE_clEvENKUlvE0_clEvEUlffE_fEEDaPvRmT3_T4_T5_mT6_P12ihipStream_tbENKUlT_T0_E_clISt17integral_constantIbLb1EESW_EEDaSR_SS_EUlSR_E_NS1_11comp_targetILNS1_3genE3ELNS1_11target_archE908ELNS1_3gpuE7ELNS1_3repE0EEENS1_30default_config_static_selectorELNS0_4arch9wavefront6targetE0EEEvT1_.private_seg_size, 0
	.set _ZN7rocprim17ROCPRIM_400000_NS6detail17trampoline_kernelINS0_14default_configENS1_20scan_config_selectorIfEEZZNS1_9scan_implILNS1_25lookback_scan_determinismE0ELb0ELb0ES3_PKfPffZZZN2at6native31launch_logcumsumexp_cuda_kernelERKNSB_10TensorBaseESF_lENKUlvE_clEvENKUlvE0_clEvEUlffE_fEEDaPvRmT3_T4_T5_mT6_P12ihipStream_tbENKUlT_T0_E_clISt17integral_constantIbLb1EESW_EEDaSR_SS_EUlSR_E_NS1_11comp_targetILNS1_3genE3ELNS1_11target_archE908ELNS1_3gpuE7ELNS1_3repE0EEENS1_30default_config_static_selectorELNS0_4arch9wavefront6targetE0EEEvT1_.uses_vcc, 0
	.set _ZN7rocprim17ROCPRIM_400000_NS6detail17trampoline_kernelINS0_14default_configENS1_20scan_config_selectorIfEEZZNS1_9scan_implILNS1_25lookback_scan_determinismE0ELb0ELb0ES3_PKfPffZZZN2at6native31launch_logcumsumexp_cuda_kernelERKNSB_10TensorBaseESF_lENKUlvE_clEvENKUlvE0_clEvEUlffE_fEEDaPvRmT3_T4_T5_mT6_P12ihipStream_tbENKUlT_T0_E_clISt17integral_constantIbLb1EESW_EEDaSR_SS_EUlSR_E_NS1_11comp_targetILNS1_3genE3ELNS1_11target_archE908ELNS1_3gpuE7ELNS1_3repE0EEENS1_30default_config_static_selectorELNS0_4arch9wavefront6targetE0EEEvT1_.uses_flat_scratch, 0
	.set _ZN7rocprim17ROCPRIM_400000_NS6detail17trampoline_kernelINS0_14default_configENS1_20scan_config_selectorIfEEZZNS1_9scan_implILNS1_25lookback_scan_determinismE0ELb0ELb0ES3_PKfPffZZZN2at6native31launch_logcumsumexp_cuda_kernelERKNSB_10TensorBaseESF_lENKUlvE_clEvENKUlvE0_clEvEUlffE_fEEDaPvRmT3_T4_T5_mT6_P12ihipStream_tbENKUlT_T0_E_clISt17integral_constantIbLb1EESW_EEDaSR_SS_EUlSR_E_NS1_11comp_targetILNS1_3genE3ELNS1_11target_archE908ELNS1_3gpuE7ELNS1_3repE0EEENS1_30default_config_static_selectorELNS0_4arch9wavefront6targetE0EEEvT1_.has_dyn_sized_stack, 0
	.set _ZN7rocprim17ROCPRIM_400000_NS6detail17trampoline_kernelINS0_14default_configENS1_20scan_config_selectorIfEEZZNS1_9scan_implILNS1_25lookback_scan_determinismE0ELb0ELb0ES3_PKfPffZZZN2at6native31launch_logcumsumexp_cuda_kernelERKNSB_10TensorBaseESF_lENKUlvE_clEvENKUlvE0_clEvEUlffE_fEEDaPvRmT3_T4_T5_mT6_P12ihipStream_tbENKUlT_T0_E_clISt17integral_constantIbLb1EESW_EEDaSR_SS_EUlSR_E_NS1_11comp_targetILNS1_3genE3ELNS1_11target_archE908ELNS1_3gpuE7ELNS1_3repE0EEENS1_30default_config_static_selectorELNS0_4arch9wavefront6targetE0EEEvT1_.has_recursion, 0
	.set _ZN7rocprim17ROCPRIM_400000_NS6detail17trampoline_kernelINS0_14default_configENS1_20scan_config_selectorIfEEZZNS1_9scan_implILNS1_25lookback_scan_determinismE0ELb0ELb0ES3_PKfPffZZZN2at6native31launch_logcumsumexp_cuda_kernelERKNSB_10TensorBaseESF_lENKUlvE_clEvENKUlvE0_clEvEUlffE_fEEDaPvRmT3_T4_T5_mT6_P12ihipStream_tbENKUlT_T0_E_clISt17integral_constantIbLb1EESW_EEDaSR_SS_EUlSR_E_NS1_11comp_targetILNS1_3genE3ELNS1_11target_archE908ELNS1_3gpuE7ELNS1_3repE0EEENS1_30default_config_static_selectorELNS0_4arch9wavefront6targetE0EEEvT1_.has_indirect_call, 0
	.section	.AMDGPU.csdata,"",@progbits
; Kernel info:
; codeLenInByte = 0
; TotalNumSgprs: 0
; NumVgprs: 0
; ScratchSize: 0
; MemoryBound: 0
; FloatMode: 240
; IeeeMode: 1
; LDSByteSize: 0 bytes/workgroup (compile time only)
; SGPRBlocks: 0
; VGPRBlocks: 0
; NumSGPRsForWavesPerEU: 1
; NumVGPRsForWavesPerEU: 1
; Occupancy: 16
; WaveLimiterHint : 0
; COMPUTE_PGM_RSRC2:SCRATCH_EN: 0
; COMPUTE_PGM_RSRC2:USER_SGPR: 6
; COMPUTE_PGM_RSRC2:TRAP_HANDLER: 0
; COMPUTE_PGM_RSRC2:TGID_X_EN: 1
; COMPUTE_PGM_RSRC2:TGID_Y_EN: 0
; COMPUTE_PGM_RSRC2:TGID_Z_EN: 0
; COMPUTE_PGM_RSRC2:TIDIG_COMP_CNT: 0
	.section	.text._ZN7rocprim17ROCPRIM_400000_NS6detail17trampoline_kernelINS0_14default_configENS1_20scan_config_selectorIfEEZZNS1_9scan_implILNS1_25lookback_scan_determinismE0ELb0ELb0ES3_PKfPffZZZN2at6native31launch_logcumsumexp_cuda_kernelERKNSB_10TensorBaseESF_lENKUlvE_clEvENKUlvE0_clEvEUlffE_fEEDaPvRmT3_T4_T5_mT6_P12ihipStream_tbENKUlT_T0_E_clISt17integral_constantIbLb1EESW_EEDaSR_SS_EUlSR_E_NS1_11comp_targetILNS1_3genE2ELNS1_11target_archE906ELNS1_3gpuE6ELNS1_3repE0EEENS1_30default_config_static_selectorELNS0_4arch9wavefront6targetE0EEEvT1_,"axG",@progbits,_ZN7rocprim17ROCPRIM_400000_NS6detail17trampoline_kernelINS0_14default_configENS1_20scan_config_selectorIfEEZZNS1_9scan_implILNS1_25lookback_scan_determinismE0ELb0ELb0ES3_PKfPffZZZN2at6native31launch_logcumsumexp_cuda_kernelERKNSB_10TensorBaseESF_lENKUlvE_clEvENKUlvE0_clEvEUlffE_fEEDaPvRmT3_T4_T5_mT6_P12ihipStream_tbENKUlT_T0_E_clISt17integral_constantIbLb1EESW_EEDaSR_SS_EUlSR_E_NS1_11comp_targetILNS1_3genE2ELNS1_11target_archE906ELNS1_3gpuE6ELNS1_3repE0EEENS1_30default_config_static_selectorELNS0_4arch9wavefront6targetE0EEEvT1_,comdat
	.globl	_ZN7rocprim17ROCPRIM_400000_NS6detail17trampoline_kernelINS0_14default_configENS1_20scan_config_selectorIfEEZZNS1_9scan_implILNS1_25lookback_scan_determinismE0ELb0ELb0ES3_PKfPffZZZN2at6native31launch_logcumsumexp_cuda_kernelERKNSB_10TensorBaseESF_lENKUlvE_clEvENKUlvE0_clEvEUlffE_fEEDaPvRmT3_T4_T5_mT6_P12ihipStream_tbENKUlT_T0_E_clISt17integral_constantIbLb1EESW_EEDaSR_SS_EUlSR_E_NS1_11comp_targetILNS1_3genE2ELNS1_11target_archE906ELNS1_3gpuE6ELNS1_3repE0EEENS1_30default_config_static_selectorELNS0_4arch9wavefront6targetE0EEEvT1_ ; -- Begin function _ZN7rocprim17ROCPRIM_400000_NS6detail17trampoline_kernelINS0_14default_configENS1_20scan_config_selectorIfEEZZNS1_9scan_implILNS1_25lookback_scan_determinismE0ELb0ELb0ES3_PKfPffZZZN2at6native31launch_logcumsumexp_cuda_kernelERKNSB_10TensorBaseESF_lENKUlvE_clEvENKUlvE0_clEvEUlffE_fEEDaPvRmT3_T4_T5_mT6_P12ihipStream_tbENKUlT_T0_E_clISt17integral_constantIbLb1EESW_EEDaSR_SS_EUlSR_E_NS1_11comp_targetILNS1_3genE2ELNS1_11target_archE906ELNS1_3gpuE6ELNS1_3repE0EEENS1_30default_config_static_selectorELNS0_4arch9wavefront6targetE0EEEvT1_
	.p2align	8
	.type	_ZN7rocprim17ROCPRIM_400000_NS6detail17trampoline_kernelINS0_14default_configENS1_20scan_config_selectorIfEEZZNS1_9scan_implILNS1_25lookback_scan_determinismE0ELb0ELb0ES3_PKfPffZZZN2at6native31launch_logcumsumexp_cuda_kernelERKNSB_10TensorBaseESF_lENKUlvE_clEvENKUlvE0_clEvEUlffE_fEEDaPvRmT3_T4_T5_mT6_P12ihipStream_tbENKUlT_T0_E_clISt17integral_constantIbLb1EESW_EEDaSR_SS_EUlSR_E_NS1_11comp_targetILNS1_3genE2ELNS1_11target_archE906ELNS1_3gpuE6ELNS1_3repE0EEENS1_30default_config_static_selectorELNS0_4arch9wavefront6targetE0EEEvT1_,@function
_ZN7rocprim17ROCPRIM_400000_NS6detail17trampoline_kernelINS0_14default_configENS1_20scan_config_selectorIfEEZZNS1_9scan_implILNS1_25lookback_scan_determinismE0ELb0ELb0ES3_PKfPffZZZN2at6native31launch_logcumsumexp_cuda_kernelERKNSB_10TensorBaseESF_lENKUlvE_clEvENKUlvE0_clEvEUlffE_fEEDaPvRmT3_T4_T5_mT6_P12ihipStream_tbENKUlT_T0_E_clISt17integral_constantIbLb1EESW_EEDaSR_SS_EUlSR_E_NS1_11comp_targetILNS1_3genE2ELNS1_11target_archE906ELNS1_3gpuE6ELNS1_3repE0EEENS1_30default_config_static_selectorELNS0_4arch9wavefront6targetE0EEEvT1_: ; @_ZN7rocprim17ROCPRIM_400000_NS6detail17trampoline_kernelINS0_14default_configENS1_20scan_config_selectorIfEEZZNS1_9scan_implILNS1_25lookback_scan_determinismE0ELb0ELb0ES3_PKfPffZZZN2at6native31launch_logcumsumexp_cuda_kernelERKNSB_10TensorBaseESF_lENKUlvE_clEvENKUlvE0_clEvEUlffE_fEEDaPvRmT3_T4_T5_mT6_P12ihipStream_tbENKUlT_T0_E_clISt17integral_constantIbLb1EESW_EEDaSR_SS_EUlSR_E_NS1_11comp_targetILNS1_3genE2ELNS1_11target_archE906ELNS1_3gpuE6ELNS1_3repE0EEENS1_30default_config_static_selectorELNS0_4arch9wavefront6targetE0EEEvT1_
; %bb.0:
	.section	.rodata,"a",@progbits
	.p2align	6, 0x0
	.amdhsa_kernel _ZN7rocprim17ROCPRIM_400000_NS6detail17trampoline_kernelINS0_14default_configENS1_20scan_config_selectorIfEEZZNS1_9scan_implILNS1_25lookback_scan_determinismE0ELb0ELb0ES3_PKfPffZZZN2at6native31launch_logcumsumexp_cuda_kernelERKNSB_10TensorBaseESF_lENKUlvE_clEvENKUlvE0_clEvEUlffE_fEEDaPvRmT3_T4_T5_mT6_P12ihipStream_tbENKUlT_T0_E_clISt17integral_constantIbLb1EESW_EEDaSR_SS_EUlSR_E_NS1_11comp_targetILNS1_3genE2ELNS1_11target_archE906ELNS1_3gpuE6ELNS1_3repE0EEENS1_30default_config_static_selectorELNS0_4arch9wavefront6targetE0EEEvT1_
		.amdhsa_group_segment_fixed_size 0
		.amdhsa_private_segment_fixed_size 0
		.amdhsa_kernarg_size 96
		.amdhsa_user_sgpr_count 6
		.amdhsa_user_sgpr_private_segment_buffer 1
		.amdhsa_user_sgpr_dispatch_ptr 0
		.amdhsa_user_sgpr_queue_ptr 0
		.amdhsa_user_sgpr_kernarg_segment_ptr 1
		.amdhsa_user_sgpr_dispatch_id 0
		.amdhsa_user_sgpr_flat_scratch_init 0
		.amdhsa_user_sgpr_private_segment_size 0
		.amdhsa_wavefront_size32 1
		.amdhsa_uses_dynamic_stack 0
		.amdhsa_system_sgpr_private_segment_wavefront_offset 0
		.amdhsa_system_sgpr_workgroup_id_x 1
		.amdhsa_system_sgpr_workgroup_id_y 0
		.amdhsa_system_sgpr_workgroup_id_z 0
		.amdhsa_system_sgpr_workgroup_info 0
		.amdhsa_system_vgpr_workitem_id 0
		.amdhsa_next_free_vgpr 1
		.amdhsa_next_free_sgpr 1
		.amdhsa_reserve_vcc 0
		.amdhsa_reserve_flat_scratch 0
		.amdhsa_float_round_mode_32 0
		.amdhsa_float_round_mode_16_64 0
		.amdhsa_float_denorm_mode_32 3
		.amdhsa_float_denorm_mode_16_64 3
		.amdhsa_dx10_clamp 1
		.amdhsa_ieee_mode 1
		.amdhsa_fp16_overflow 0
		.amdhsa_workgroup_processor_mode 1
		.amdhsa_memory_ordered 1
		.amdhsa_forward_progress 1
		.amdhsa_shared_vgpr_count 0
		.amdhsa_exception_fp_ieee_invalid_op 0
		.amdhsa_exception_fp_denorm_src 0
		.amdhsa_exception_fp_ieee_div_zero 0
		.amdhsa_exception_fp_ieee_overflow 0
		.amdhsa_exception_fp_ieee_underflow 0
		.amdhsa_exception_fp_ieee_inexact 0
		.amdhsa_exception_int_div_zero 0
	.end_amdhsa_kernel
	.section	.text._ZN7rocprim17ROCPRIM_400000_NS6detail17trampoline_kernelINS0_14default_configENS1_20scan_config_selectorIfEEZZNS1_9scan_implILNS1_25lookback_scan_determinismE0ELb0ELb0ES3_PKfPffZZZN2at6native31launch_logcumsumexp_cuda_kernelERKNSB_10TensorBaseESF_lENKUlvE_clEvENKUlvE0_clEvEUlffE_fEEDaPvRmT3_T4_T5_mT6_P12ihipStream_tbENKUlT_T0_E_clISt17integral_constantIbLb1EESW_EEDaSR_SS_EUlSR_E_NS1_11comp_targetILNS1_3genE2ELNS1_11target_archE906ELNS1_3gpuE6ELNS1_3repE0EEENS1_30default_config_static_selectorELNS0_4arch9wavefront6targetE0EEEvT1_,"axG",@progbits,_ZN7rocprim17ROCPRIM_400000_NS6detail17trampoline_kernelINS0_14default_configENS1_20scan_config_selectorIfEEZZNS1_9scan_implILNS1_25lookback_scan_determinismE0ELb0ELb0ES3_PKfPffZZZN2at6native31launch_logcumsumexp_cuda_kernelERKNSB_10TensorBaseESF_lENKUlvE_clEvENKUlvE0_clEvEUlffE_fEEDaPvRmT3_T4_T5_mT6_P12ihipStream_tbENKUlT_T0_E_clISt17integral_constantIbLb1EESW_EEDaSR_SS_EUlSR_E_NS1_11comp_targetILNS1_3genE2ELNS1_11target_archE906ELNS1_3gpuE6ELNS1_3repE0EEENS1_30default_config_static_selectorELNS0_4arch9wavefront6targetE0EEEvT1_,comdat
.Lfunc_end119:
	.size	_ZN7rocprim17ROCPRIM_400000_NS6detail17trampoline_kernelINS0_14default_configENS1_20scan_config_selectorIfEEZZNS1_9scan_implILNS1_25lookback_scan_determinismE0ELb0ELb0ES3_PKfPffZZZN2at6native31launch_logcumsumexp_cuda_kernelERKNSB_10TensorBaseESF_lENKUlvE_clEvENKUlvE0_clEvEUlffE_fEEDaPvRmT3_T4_T5_mT6_P12ihipStream_tbENKUlT_T0_E_clISt17integral_constantIbLb1EESW_EEDaSR_SS_EUlSR_E_NS1_11comp_targetILNS1_3genE2ELNS1_11target_archE906ELNS1_3gpuE6ELNS1_3repE0EEENS1_30default_config_static_selectorELNS0_4arch9wavefront6targetE0EEEvT1_, .Lfunc_end119-_ZN7rocprim17ROCPRIM_400000_NS6detail17trampoline_kernelINS0_14default_configENS1_20scan_config_selectorIfEEZZNS1_9scan_implILNS1_25lookback_scan_determinismE0ELb0ELb0ES3_PKfPffZZZN2at6native31launch_logcumsumexp_cuda_kernelERKNSB_10TensorBaseESF_lENKUlvE_clEvENKUlvE0_clEvEUlffE_fEEDaPvRmT3_T4_T5_mT6_P12ihipStream_tbENKUlT_T0_E_clISt17integral_constantIbLb1EESW_EEDaSR_SS_EUlSR_E_NS1_11comp_targetILNS1_3genE2ELNS1_11target_archE906ELNS1_3gpuE6ELNS1_3repE0EEENS1_30default_config_static_selectorELNS0_4arch9wavefront6targetE0EEEvT1_
                                        ; -- End function
	.set _ZN7rocprim17ROCPRIM_400000_NS6detail17trampoline_kernelINS0_14default_configENS1_20scan_config_selectorIfEEZZNS1_9scan_implILNS1_25lookback_scan_determinismE0ELb0ELb0ES3_PKfPffZZZN2at6native31launch_logcumsumexp_cuda_kernelERKNSB_10TensorBaseESF_lENKUlvE_clEvENKUlvE0_clEvEUlffE_fEEDaPvRmT3_T4_T5_mT6_P12ihipStream_tbENKUlT_T0_E_clISt17integral_constantIbLb1EESW_EEDaSR_SS_EUlSR_E_NS1_11comp_targetILNS1_3genE2ELNS1_11target_archE906ELNS1_3gpuE6ELNS1_3repE0EEENS1_30default_config_static_selectorELNS0_4arch9wavefront6targetE0EEEvT1_.num_vgpr, 0
	.set _ZN7rocprim17ROCPRIM_400000_NS6detail17trampoline_kernelINS0_14default_configENS1_20scan_config_selectorIfEEZZNS1_9scan_implILNS1_25lookback_scan_determinismE0ELb0ELb0ES3_PKfPffZZZN2at6native31launch_logcumsumexp_cuda_kernelERKNSB_10TensorBaseESF_lENKUlvE_clEvENKUlvE0_clEvEUlffE_fEEDaPvRmT3_T4_T5_mT6_P12ihipStream_tbENKUlT_T0_E_clISt17integral_constantIbLb1EESW_EEDaSR_SS_EUlSR_E_NS1_11comp_targetILNS1_3genE2ELNS1_11target_archE906ELNS1_3gpuE6ELNS1_3repE0EEENS1_30default_config_static_selectorELNS0_4arch9wavefront6targetE0EEEvT1_.num_agpr, 0
	.set _ZN7rocprim17ROCPRIM_400000_NS6detail17trampoline_kernelINS0_14default_configENS1_20scan_config_selectorIfEEZZNS1_9scan_implILNS1_25lookback_scan_determinismE0ELb0ELb0ES3_PKfPffZZZN2at6native31launch_logcumsumexp_cuda_kernelERKNSB_10TensorBaseESF_lENKUlvE_clEvENKUlvE0_clEvEUlffE_fEEDaPvRmT3_T4_T5_mT6_P12ihipStream_tbENKUlT_T0_E_clISt17integral_constantIbLb1EESW_EEDaSR_SS_EUlSR_E_NS1_11comp_targetILNS1_3genE2ELNS1_11target_archE906ELNS1_3gpuE6ELNS1_3repE0EEENS1_30default_config_static_selectorELNS0_4arch9wavefront6targetE0EEEvT1_.numbered_sgpr, 0
	.set _ZN7rocprim17ROCPRIM_400000_NS6detail17trampoline_kernelINS0_14default_configENS1_20scan_config_selectorIfEEZZNS1_9scan_implILNS1_25lookback_scan_determinismE0ELb0ELb0ES3_PKfPffZZZN2at6native31launch_logcumsumexp_cuda_kernelERKNSB_10TensorBaseESF_lENKUlvE_clEvENKUlvE0_clEvEUlffE_fEEDaPvRmT3_T4_T5_mT6_P12ihipStream_tbENKUlT_T0_E_clISt17integral_constantIbLb1EESW_EEDaSR_SS_EUlSR_E_NS1_11comp_targetILNS1_3genE2ELNS1_11target_archE906ELNS1_3gpuE6ELNS1_3repE0EEENS1_30default_config_static_selectorELNS0_4arch9wavefront6targetE0EEEvT1_.num_named_barrier, 0
	.set _ZN7rocprim17ROCPRIM_400000_NS6detail17trampoline_kernelINS0_14default_configENS1_20scan_config_selectorIfEEZZNS1_9scan_implILNS1_25lookback_scan_determinismE0ELb0ELb0ES3_PKfPffZZZN2at6native31launch_logcumsumexp_cuda_kernelERKNSB_10TensorBaseESF_lENKUlvE_clEvENKUlvE0_clEvEUlffE_fEEDaPvRmT3_T4_T5_mT6_P12ihipStream_tbENKUlT_T0_E_clISt17integral_constantIbLb1EESW_EEDaSR_SS_EUlSR_E_NS1_11comp_targetILNS1_3genE2ELNS1_11target_archE906ELNS1_3gpuE6ELNS1_3repE0EEENS1_30default_config_static_selectorELNS0_4arch9wavefront6targetE0EEEvT1_.private_seg_size, 0
	.set _ZN7rocprim17ROCPRIM_400000_NS6detail17trampoline_kernelINS0_14default_configENS1_20scan_config_selectorIfEEZZNS1_9scan_implILNS1_25lookback_scan_determinismE0ELb0ELb0ES3_PKfPffZZZN2at6native31launch_logcumsumexp_cuda_kernelERKNSB_10TensorBaseESF_lENKUlvE_clEvENKUlvE0_clEvEUlffE_fEEDaPvRmT3_T4_T5_mT6_P12ihipStream_tbENKUlT_T0_E_clISt17integral_constantIbLb1EESW_EEDaSR_SS_EUlSR_E_NS1_11comp_targetILNS1_3genE2ELNS1_11target_archE906ELNS1_3gpuE6ELNS1_3repE0EEENS1_30default_config_static_selectorELNS0_4arch9wavefront6targetE0EEEvT1_.uses_vcc, 0
	.set _ZN7rocprim17ROCPRIM_400000_NS6detail17trampoline_kernelINS0_14default_configENS1_20scan_config_selectorIfEEZZNS1_9scan_implILNS1_25lookback_scan_determinismE0ELb0ELb0ES3_PKfPffZZZN2at6native31launch_logcumsumexp_cuda_kernelERKNSB_10TensorBaseESF_lENKUlvE_clEvENKUlvE0_clEvEUlffE_fEEDaPvRmT3_T4_T5_mT6_P12ihipStream_tbENKUlT_T0_E_clISt17integral_constantIbLb1EESW_EEDaSR_SS_EUlSR_E_NS1_11comp_targetILNS1_3genE2ELNS1_11target_archE906ELNS1_3gpuE6ELNS1_3repE0EEENS1_30default_config_static_selectorELNS0_4arch9wavefront6targetE0EEEvT1_.uses_flat_scratch, 0
	.set _ZN7rocprim17ROCPRIM_400000_NS6detail17trampoline_kernelINS0_14default_configENS1_20scan_config_selectorIfEEZZNS1_9scan_implILNS1_25lookback_scan_determinismE0ELb0ELb0ES3_PKfPffZZZN2at6native31launch_logcumsumexp_cuda_kernelERKNSB_10TensorBaseESF_lENKUlvE_clEvENKUlvE0_clEvEUlffE_fEEDaPvRmT3_T4_T5_mT6_P12ihipStream_tbENKUlT_T0_E_clISt17integral_constantIbLb1EESW_EEDaSR_SS_EUlSR_E_NS1_11comp_targetILNS1_3genE2ELNS1_11target_archE906ELNS1_3gpuE6ELNS1_3repE0EEENS1_30default_config_static_selectorELNS0_4arch9wavefront6targetE0EEEvT1_.has_dyn_sized_stack, 0
	.set _ZN7rocprim17ROCPRIM_400000_NS6detail17trampoline_kernelINS0_14default_configENS1_20scan_config_selectorIfEEZZNS1_9scan_implILNS1_25lookback_scan_determinismE0ELb0ELb0ES3_PKfPffZZZN2at6native31launch_logcumsumexp_cuda_kernelERKNSB_10TensorBaseESF_lENKUlvE_clEvENKUlvE0_clEvEUlffE_fEEDaPvRmT3_T4_T5_mT6_P12ihipStream_tbENKUlT_T0_E_clISt17integral_constantIbLb1EESW_EEDaSR_SS_EUlSR_E_NS1_11comp_targetILNS1_3genE2ELNS1_11target_archE906ELNS1_3gpuE6ELNS1_3repE0EEENS1_30default_config_static_selectorELNS0_4arch9wavefront6targetE0EEEvT1_.has_recursion, 0
	.set _ZN7rocprim17ROCPRIM_400000_NS6detail17trampoline_kernelINS0_14default_configENS1_20scan_config_selectorIfEEZZNS1_9scan_implILNS1_25lookback_scan_determinismE0ELb0ELb0ES3_PKfPffZZZN2at6native31launch_logcumsumexp_cuda_kernelERKNSB_10TensorBaseESF_lENKUlvE_clEvENKUlvE0_clEvEUlffE_fEEDaPvRmT3_T4_T5_mT6_P12ihipStream_tbENKUlT_T0_E_clISt17integral_constantIbLb1EESW_EEDaSR_SS_EUlSR_E_NS1_11comp_targetILNS1_3genE2ELNS1_11target_archE906ELNS1_3gpuE6ELNS1_3repE0EEENS1_30default_config_static_selectorELNS0_4arch9wavefront6targetE0EEEvT1_.has_indirect_call, 0
	.section	.AMDGPU.csdata,"",@progbits
; Kernel info:
; codeLenInByte = 0
; TotalNumSgprs: 0
; NumVgprs: 0
; ScratchSize: 0
; MemoryBound: 0
; FloatMode: 240
; IeeeMode: 1
; LDSByteSize: 0 bytes/workgroup (compile time only)
; SGPRBlocks: 0
; VGPRBlocks: 0
; NumSGPRsForWavesPerEU: 1
; NumVGPRsForWavesPerEU: 1
; Occupancy: 16
; WaveLimiterHint : 0
; COMPUTE_PGM_RSRC2:SCRATCH_EN: 0
; COMPUTE_PGM_RSRC2:USER_SGPR: 6
; COMPUTE_PGM_RSRC2:TRAP_HANDLER: 0
; COMPUTE_PGM_RSRC2:TGID_X_EN: 1
; COMPUTE_PGM_RSRC2:TGID_Y_EN: 0
; COMPUTE_PGM_RSRC2:TGID_Z_EN: 0
; COMPUTE_PGM_RSRC2:TIDIG_COMP_CNT: 0
	.section	.text._ZN7rocprim17ROCPRIM_400000_NS6detail17trampoline_kernelINS0_14default_configENS1_20scan_config_selectorIfEEZZNS1_9scan_implILNS1_25lookback_scan_determinismE0ELb0ELb0ES3_PKfPffZZZN2at6native31launch_logcumsumexp_cuda_kernelERKNSB_10TensorBaseESF_lENKUlvE_clEvENKUlvE0_clEvEUlffE_fEEDaPvRmT3_T4_T5_mT6_P12ihipStream_tbENKUlT_T0_E_clISt17integral_constantIbLb1EESW_EEDaSR_SS_EUlSR_E_NS1_11comp_targetILNS1_3genE10ELNS1_11target_archE1201ELNS1_3gpuE5ELNS1_3repE0EEENS1_30default_config_static_selectorELNS0_4arch9wavefront6targetE0EEEvT1_,"axG",@progbits,_ZN7rocprim17ROCPRIM_400000_NS6detail17trampoline_kernelINS0_14default_configENS1_20scan_config_selectorIfEEZZNS1_9scan_implILNS1_25lookback_scan_determinismE0ELb0ELb0ES3_PKfPffZZZN2at6native31launch_logcumsumexp_cuda_kernelERKNSB_10TensorBaseESF_lENKUlvE_clEvENKUlvE0_clEvEUlffE_fEEDaPvRmT3_T4_T5_mT6_P12ihipStream_tbENKUlT_T0_E_clISt17integral_constantIbLb1EESW_EEDaSR_SS_EUlSR_E_NS1_11comp_targetILNS1_3genE10ELNS1_11target_archE1201ELNS1_3gpuE5ELNS1_3repE0EEENS1_30default_config_static_selectorELNS0_4arch9wavefront6targetE0EEEvT1_,comdat
	.globl	_ZN7rocprim17ROCPRIM_400000_NS6detail17trampoline_kernelINS0_14default_configENS1_20scan_config_selectorIfEEZZNS1_9scan_implILNS1_25lookback_scan_determinismE0ELb0ELb0ES3_PKfPffZZZN2at6native31launch_logcumsumexp_cuda_kernelERKNSB_10TensorBaseESF_lENKUlvE_clEvENKUlvE0_clEvEUlffE_fEEDaPvRmT3_T4_T5_mT6_P12ihipStream_tbENKUlT_T0_E_clISt17integral_constantIbLb1EESW_EEDaSR_SS_EUlSR_E_NS1_11comp_targetILNS1_3genE10ELNS1_11target_archE1201ELNS1_3gpuE5ELNS1_3repE0EEENS1_30default_config_static_selectorELNS0_4arch9wavefront6targetE0EEEvT1_ ; -- Begin function _ZN7rocprim17ROCPRIM_400000_NS6detail17trampoline_kernelINS0_14default_configENS1_20scan_config_selectorIfEEZZNS1_9scan_implILNS1_25lookback_scan_determinismE0ELb0ELb0ES3_PKfPffZZZN2at6native31launch_logcumsumexp_cuda_kernelERKNSB_10TensorBaseESF_lENKUlvE_clEvENKUlvE0_clEvEUlffE_fEEDaPvRmT3_T4_T5_mT6_P12ihipStream_tbENKUlT_T0_E_clISt17integral_constantIbLb1EESW_EEDaSR_SS_EUlSR_E_NS1_11comp_targetILNS1_3genE10ELNS1_11target_archE1201ELNS1_3gpuE5ELNS1_3repE0EEENS1_30default_config_static_selectorELNS0_4arch9wavefront6targetE0EEEvT1_
	.p2align	8
	.type	_ZN7rocprim17ROCPRIM_400000_NS6detail17trampoline_kernelINS0_14default_configENS1_20scan_config_selectorIfEEZZNS1_9scan_implILNS1_25lookback_scan_determinismE0ELb0ELb0ES3_PKfPffZZZN2at6native31launch_logcumsumexp_cuda_kernelERKNSB_10TensorBaseESF_lENKUlvE_clEvENKUlvE0_clEvEUlffE_fEEDaPvRmT3_T4_T5_mT6_P12ihipStream_tbENKUlT_T0_E_clISt17integral_constantIbLb1EESW_EEDaSR_SS_EUlSR_E_NS1_11comp_targetILNS1_3genE10ELNS1_11target_archE1201ELNS1_3gpuE5ELNS1_3repE0EEENS1_30default_config_static_selectorELNS0_4arch9wavefront6targetE0EEEvT1_,@function
_ZN7rocprim17ROCPRIM_400000_NS6detail17trampoline_kernelINS0_14default_configENS1_20scan_config_selectorIfEEZZNS1_9scan_implILNS1_25lookback_scan_determinismE0ELb0ELb0ES3_PKfPffZZZN2at6native31launch_logcumsumexp_cuda_kernelERKNSB_10TensorBaseESF_lENKUlvE_clEvENKUlvE0_clEvEUlffE_fEEDaPvRmT3_T4_T5_mT6_P12ihipStream_tbENKUlT_T0_E_clISt17integral_constantIbLb1EESW_EEDaSR_SS_EUlSR_E_NS1_11comp_targetILNS1_3genE10ELNS1_11target_archE1201ELNS1_3gpuE5ELNS1_3repE0EEENS1_30default_config_static_selectorELNS0_4arch9wavefront6targetE0EEEvT1_: ; @_ZN7rocprim17ROCPRIM_400000_NS6detail17trampoline_kernelINS0_14default_configENS1_20scan_config_selectorIfEEZZNS1_9scan_implILNS1_25lookback_scan_determinismE0ELb0ELb0ES3_PKfPffZZZN2at6native31launch_logcumsumexp_cuda_kernelERKNSB_10TensorBaseESF_lENKUlvE_clEvENKUlvE0_clEvEUlffE_fEEDaPvRmT3_T4_T5_mT6_P12ihipStream_tbENKUlT_T0_E_clISt17integral_constantIbLb1EESW_EEDaSR_SS_EUlSR_E_NS1_11comp_targetILNS1_3genE10ELNS1_11target_archE1201ELNS1_3gpuE5ELNS1_3repE0EEENS1_30default_config_static_selectorELNS0_4arch9wavefront6targetE0EEEvT1_
; %bb.0:
	.section	.rodata,"a",@progbits
	.p2align	6, 0x0
	.amdhsa_kernel _ZN7rocprim17ROCPRIM_400000_NS6detail17trampoline_kernelINS0_14default_configENS1_20scan_config_selectorIfEEZZNS1_9scan_implILNS1_25lookback_scan_determinismE0ELb0ELb0ES3_PKfPffZZZN2at6native31launch_logcumsumexp_cuda_kernelERKNSB_10TensorBaseESF_lENKUlvE_clEvENKUlvE0_clEvEUlffE_fEEDaPvRmT3_T4_T5_mT6_P12ihipStream_tbENKUlT_T0_E_clISt17integral_constantIbLb1EESW_EEDaSR_SS_EUlSR_E_NS1_11comp_targetILNS1_3genE10ELNS1_11target_archE1201ELNS1_3gpuE5ELNS1_3repE0EEENS1_30default_config_static_selectorELNS0_4arch9wavefront6targetE0EEEvT1_
		.amdhsa_group_segment_fixed_size 0
		.amdhsa_private_segment_fixed_size 0
		.amdhsa_kernarg_size 96
		.amdhsa_user_sgpr_count 6
		.amdhsa_user_sgpr_private_segment_buffer 1
		.amdhsa_user_sgpr_dispatch_ptr 0
		.amdhsa_user_sgpr_queue_ptr 0
		.amdhsa_user_sgpr_kernarg_segment_ptr 1
		.amdhsa_user_sgpr_dispatch_id 0
		.amdhsa_user_sgpr_flat_scratch_init 0
		.amdhsa_user_sgpr_private_segment_size 0
		.amdhsa_wavefront_size32 1
		.amdhsa_uses_dynamic_stack 0
		.amdhsa_system_sgpr_private_segment_wavefront_offset 0
		.amdhsa_system_sgpr_workgroup_id_x 1
		.amdhsa_system_sgpr_workgroup_id_y 0
		.amdhsa_system_sgpr_workgroup_id_z 0
		.amdhsa_system_sgpr_workgroup_info 0
		.amdhsa_system_vgpr_workitem_id 0
		.amdhsa_next_free_vgpr 1
		.amdhsa_next_free_sgpr 1
		.amdhsa_reserve_vcc 0
		.amdhsa_reserve_flat_scratch 0
		.amdhsa_float_round_mode_32 0
		.amdhsa_float_round_mode_16_64 0
		.amdhsa_float_denorm_mode_32 3
		.amdhsa_float_denorm_mode_16_64 3
		.amdhsa_dx10_clamp 1
		.amdhsa_ieee_mode 1
		.amdhsa_fp16_overflow 0
		.amdhsa_workgroup_processor_mode 1
		.amdhsa_memory_ordered 1
		.amdhsa_forward_progress 1
		.amdhsa_shared_vgpr_count 0
		.amdhsa_exception_fp_ieee_invalid_op 0
		.amdhsa_exception_fp_denorm_src 0
		.amdhsa_exception_fp_ieee_div_zero 0
		.amdhsa_exception_fp_ieee_overflow 0
		.amdhsa_exception_fp_ieee_underflow 0
		.amdhsa_exception_fp_ieee_inexact 0
		.amdhsa_exception_int_div_zero 0
	.end_amdhsa_kernel
	.section	.text._ZN7rocprim17ROCPRIM_400000_NS6detail17trampoline_kernelINS0_14default_configENS1_20scan_config_selectorIfEEZZNS1_9scan_implILNS1_25lookback_scan_determinismE0ELb0ELb0ES3_PKfPffZZZN2at6native31launch_logcumsumexp_cuda_kernelERKNSB_10TensorBaseESF_lENKUlvE_clEvENKUlvE0_clEvEUlffE_fEEDaPvRmT3_T4_T5_mT6_P12ihipStream_tbENKUlT_T0_E_clISt17integral_constantIbLb1EESW_EEDaSR_SS_EUlSR_E_NS1_11comp_targetILNS1_3genE10ELNS1_11target_archE1201ELNS1_3gpuE5ELNS1_3repE0EEENS1_30default_config_static_selectorELNS0_4arch9wavefront6targetE0EEEvT1_,"axG",@progbits,_ZN7rocprim17ROCPRIM_400000_NS6detail17trampoline_kernelINS0_14default_configENS1_20scan_config_selectorIfEEZZNS1_9scan_implILNS1_25lookback_scan_determinismE0ELb0ELb0ES3_PKfPffZZZN2at6native31launch_logcumsumexp_cuda_kernelERKNSB_10TensorBaseESF_lENKUlvE_clEvENKUlvE0_clEvEUlffE_fEEDaPvRmT3_T4_T5_mT6_P12ihipStream_tbENKUlT_T0_E_clISt17integral_constantIbLb1EESW_EEDaSR_SS_EUlSR_E_NS1_11comp_targetILNS1_3genE10ELNS1_11target_archE1201ELNS1_3gpuE5ELNS1_3repE0EEENS1_30default_config_static_selectorELNS0_4arch9wavefront6targetE0EEEvT1_,comdat
.Lfunc_end120:
	.size	_ZN7rocprim17ROCPRIM_400000_NS6detail17trampoline_kernelINS0_14default_configENS1_20scan_config_selectorIfEEZZNS1_9scan_implILNS1_25lookback_scan_determinismE0ELb0ELb0ES3_PKfPffZZZN2at6native31launch_logcumsumexp_cuda_kernelERKNSB_10TensorBaseESF_lENKUlvE_clEvENKUlvE0_clEvEUlffE_fEEDaPvRmT3_T4_T5_mT6_P12ihipStream_tbENKUlT_T0_E_clISt17integral_constantIbLb1EESW_EEDaSR_SS_EUlSR_E_NS1_11comp_targetILNS1_3genE10ELNS1_11target_archE1201ELNS1_3gpuE5ELNS1_3repE0EEENS1_30default_config_static_selectorELNS0_4arch9wavefront6targetE0EEEvT1_, .Lfunc_end120-_ZN7rocprim17ROCPRIM_400000_NS6detail17trampoline_kernelINS0_14default_configENS1_20scan_config_selectorIfEEZZNS1_9scan_implILNS1_25lookback_scan_determinismE0ELb0ELb0ES3_PKfPffZZZN2at6native31launch_logcumsumexp_cuda_kernelERKNSB_10TensorBaseESF_lENKUlvE_clEvENKUlvE0_clEvEUlffE_fEEDaPvRmT3_T4_T5_mT6_P12ihipStream_tbENKUlT_T0_E_clISt17integral_constantIbLb1EESW_EEDaSR_SS_EUlSR_E_NS1_11comp_targetILNS1_3genE10ELNS1_11target_archE1201ELNS1_3gpuE5ELNS1_3repE0EEENS1_30default_config_static_selectorELNS0_4arch9wavefront6targetE0EEEvT1_
                                        ; -- End function
	.set _ZN7rocprim17ROCPRIM_400000_NS6detail17trampoline_kernelINS0_14default_configENS1_20scan_config_selectorIfEEZZNS1_9scan_implILNS1_25lookback_scan_determinismE0ELb0ELb0ES3_PKfPffZZZN2at6native31launch_logcumsumexp_cuda_kernelERKNSB_10TensorBaseESF_lENKUlvE_clEvENKUlvE0_clEvEUlffE_fEEDaPvRmT3_T4_T5_mT6_P12ihipStream_tbENKUlT_T0_E_clISt17integral_constantIbLb1EESW_EEDaSR_SS_EUlSR_E_NS1_11comp_targetILNS1_3genE10ELNS1_11target_archE1201ELNS1_3gpuE5ELNS1_3repE0EEENS1_30default_config_static_selectorELNS0_4arch9wavefront6targetE0EEEvT1_.num_vgpr, 0
	.set _ZN7rocprim17ROCPRIM_400000_NS6detail17trampoline_kernelINS0_14default_configENS1_20scan_config_selectorIfEEZZNS1_9scan_implILNS1_25lookback_scan_determinismE0ELb0ELb0ES3_PKfPffZZZN2at6native31launch_logcumsumexp_cuda_kernelERKNSB_10TensorBaseESF_lENKUlvE_clEvENKUlvE0_clEvEUlffE_fEEDaPvRmT3_T4_T5_mT6_P12ihipStream_tbENKUlT_T0_E_clISt17integral_constantIbLb1EESW_EEDaSR_SS_EUlSR_E_NS1_11comp_targetILNS1_3genE10ELNS1_11target_archE1201ELNS1_3gpuE5ELNS1_3repE0EEENS1_30default_config_static_selectorELNS0_4arch9wavefront6targetE0EEEvT1_.num_agpr, 0
	.set _ZN7rocprim17ROCPRIM_400000_NS6detail17trampoline_kernelINS0_14default_configENS1_20scan_config_selectorIfEEZZNS1_9scan_implILNS1_25lookback_scan_determinismE0ELb0ELb0ES3_PKfPffZZZN2at6native31launch_logcumsumexp_cuda_kernelERKNSB_10TensorBaseESF_lENKUlvE_clEvENKUlvE0_clEvEUlffE_fEEDaPvRmT3_T4_T5_mT6_P12ihipStream_tbENKUlT_T0_E_clISt17integral_constantIbLb1EESW_EEDaSR_SS_EUlSR_E_NS1_11comp_targetILNS1_3genE10ELNS1_11target_archE1201ELNS1_3gpuE5ELNS1_3repE0EEENS1_30default_config_static_selectorELNS0_4arch9wavefront6targetE0EEEvT1_.numbered_sgpr, 0
	.set _ZN7rocprim17ROCPRIM_400000_NS6detail17trampoline_kernelINS0_14default_configENS1_20scan_config_selectorIfEEZZNS1_9scan_implILNS1_25lookback_scan_determinismE0ELb0ELb0ES3_PKfPffZZZN2at6native31launch_logcumsumexp_cuda_kernelERKNSB_10TensorBaseESF_lENKUlvE_clEvENKUlvE0_clEvEUlffE_fEEDaPvRmT3_T4_T5_mT6_P12ihipStream_tbENKUlT_T0_E_clISt17integral_constantIbLb1EESW_EEDaSR_SS_EUlSR_E_NS1_11comp_targetILNS1_3genE10ELNS1_11target_archE1201ELNS1_3gpuE5ELNS1_3repE0EEENS1_30default_config_static_selectorELNS0_4arch9wavefront6targetE0EEEvT1_.num_named_barrier, 0
	.set _ZN7rocprim17ROCPRIM_400000_NS6detail17trampoline_kernelINS0_14default_configENS1_20scan_config_selectorIfEEZZNS1_9scan_implILNS1_25lookback_scan_determinismE0ELb0ELb0ES3_PKfPffZZZN2at6native31launch_logcumsumexp_cuda_kernelERKNSB_10TensorBaseESF_lENKUlvE_clEvENKUlvE0_clEvEUlffE_fEEDaPvRmT3_T4_T5_mT6_P12ihipStream_tbENKUlT_T0_E_clISt17integral_constantIbLb1EESW_EEDaSR_SS_EUlSR_E_NS1_11comp_targetILNS1_3genE10ELNS1_11target_archE1201ELNS1_3gpuE5ELNS1_3repE0EEENS1_30default_config_static_selectorELNS0_4arch9wavefront6targetE0EEEvT1_.private_seg_size, 0
	.set _ZN7rocprim17ROCPRIM_400000_NS6detail17trampoline_kernelINS0_14default_configENS1_20scan_config_selectorIfEEZZNS1_9scan_implILNS1_25lookback_scan_determinismE0ELb0ELb0ES3_PKfPffZZZN2at6native31launch_logcumsumexp_cuda_kernelERKNSB_10TensorBaseESF_lENKUlvE_clEvENKUlvE0_clEvEUlffE_fEEDaPvRmT3_T4_T5_mT6_P12ihipStream_tbENKUlT_T0_E_clISt17integral_constantIbLb1EESW_EEDaSR_SS_EUlSR_E_NS1_11comp_targetILNS1_3genE10ELNS1_11target_archE1201ELNS1_3gpuE5ELNS1_3repE0EEENS1_30default_config_static_selectorELNS0_4arch9wavefront6targetE0EEEvT1_.uses_vcc, 0
	.set _ZN7rocprim17ROCPRIM_400000_NS6detail17trampoline_kernelINS0_14default_configENS1_20scan_config_selectorIfEEZZNS1_9scan_implILNS1_25lookback_scan_determinismE0ELb0ELb0ES3_PKfPffZZZN2at6native31launch_logcumsumexp_cuda_kernelERKNSB_10TensorBaseESF_lENKUlvE_clEvENKUlvE0_clEvEUlffE_fEEDaPvRmT3_T4_T5_mT6_P12ihipStream_tbENKUlT_T0_E_clISt17integral_constantIbLb1EESW_EEDaSR_SS_EUlSR_E_NS1_11comp_targetILNS1_3genE10ELNS1_11target_archE1201ELNS1_3gpuE5ELNS1_3repE0EEENS1_30default_config_static_selectorELNS0_4arch9wavefront6targetE0EEEvT1_.uses_flat_scratch, 0
	.set _ZN7rocprim17ROCPRIM_400000_NS6detail17trampoline_kernelINS0_14default_configENS1_20scan_config_selectorIfEEZZNS1_9scan_implILNS1_25lookback_scan_determinismE0ELb0ELb0ES3_PKfPffZZZN2at6native31launch_logcumsumexp_cuda_kernelERKNSB_10TensorBaseESF_lENKUlvE_clEvENKUlvE0_clEvEUlffE_fEEDaPvRmT3_T4_T5_mT6_P12ihipStream_tbENKUlT_T0_E_clISt17integral_constantIbLb1EESW_EEDaSR_SS_EUlSR_E_NS1_11comp_targetILNS1_3genE10ELNS1_11target_archE1201ELNS1_3gpuE5ELNS1_3repE0EEENS1_30default_config_static_selectorELNS0_4arch9wavefront6targetE0EEEvT1_.has_dyn_sized_stack, 0
	.set _ZN7rocprim17ROCPRIM_400000_NS6detail17trampoline_kernelINS0_14default_configENS1_20scan_config_selectorIfEEZZNS1_9scan_implILNS1_25lookback_scan_determinismE0ELb0ELb0ES3_PKfPffZZZN2at6native31launch_logcumsumexp_cuda_kernelERKNSB_10TensorBaseESF_lENKUlvE_clEvENKUlvE0_clEvEUlffE_fEEDaPvRmT3_T4_T5_mT6_P12ihipStream_tbENKUlT_T0_E_clISt17integral_constantIbLb1EESW_EEDaSR_SS_EUlSR_E_NS1_11comp_targetILNS1_3genE10ELNS1_11target_archE1201ELNS1_3gpuE5ELNS1_3repE0EEENS1_30default_config_static_selectorELNS0_4arch9wavefront6targetE0EEEvT1_.has_recursion, 0
	.set _ZN7rocprim17ROCPRIM_400000_NS6detail17trampoline_kernelINS0_14default_configENS1_20scan_config_selectorIfEEZZNS1_9scan_implILNS1_25lookback_scan_determinismE0ELb0ELb0ES3_PKfPffZZZN2at6native31launch_logcumsumexp_cuda_kernelERKNSB_10TensorBaseESF_lENKUlvE_clEvENKUlvE0_clEvEUlffE_fEEDaPvRmT3_T4_T5_mT6_P12ihipStream_tbENKUlT_T0_E_clISt17integral_constantIbLb1EESW_EEDaSR_SS_EUlSR_E_NS1_11comp_targetILNS1_3genE10ELNS1_11target_archE1201ELNS1_3gpuE5ELNS1_3repE0EEENS1_30default_config_static_selectorELNS0_4arch9wavefront6targetE0EEEvT1_.has_indirect_call, 0
	.section	.AMDGPU.csdata,"",@progbits
; Kernel info:
; codeLenInByte = 0
; TotalNumSgprs: 0
; NumVgprs: 0
; ScratchSize: 0
; MemoryBound: 0
; FloatMode: 240
; IeeeMode: 1
; LDSByteSize: 0 bytes/workgroup (compile time only)
; SGPRBlocks: 0
; VGPRBlocks: 0
; NumSGPRsForWavesPerEU: 1
; NumVGPRsForWavesPerEU: 1
; Occupancy: 16
; WaveLimiterHint : 0
; COMPUTE_PGM_RSRC2:SCRATCH_EN: 0
; COMPUTE_PGM_RSRC2:USER_SGPR: 6
; COMPUTE_PGM_RSRC2:TRAP_HANDLER: 0
; COMPUTE_PGM_RSRC2:TGID_X_EN: 1
; COMPUTE_PGM_RSRC2:TGID_Y_EN: 0
; COMPUTE_PGM_RSRC2:TGID_Z_EN: 0
; COMPUTE_PGM_RSRC2:TIDIG_COMP_CNT: 0
	.section	.text._ZN7rocprim17ROCPRIM_400000_NS6detail17trampoline_kernelINS0_14default_configENS1_20scan_config_selectorIfEEZZNS1_9scan_implILNS1_25lookback_scan_determinismE0ELb0ELb0ES3_PKfPffZZZN2at6native31launch_logcumsumexp_cuda_kernelERKNSB_10TensorBaseESF_lENKUlvE_clEvENKUlvE0_clEvEUlffE_fEEDaPvRmT3_T4_T5_mT6_P12ihipStream_tbENKUlT_T0_E_clISt17integral_constantIbLb1EESW_EEDaSR_SS_EUlSR_E_NS1_11comp_targetILNS1_3genE10ELNS1_11target_archE1200ELNS1_3gpuE4ELNS1_3repE0EEENS1_30default_config_static_selectorELNS0_4arch9wavefront6targetE0EEEvT1_,"axG",@progbits,_ZN7rocprim17ROCPRIM_400000_NS6detail17trampoline_kernelINS0_14default_configENS1_20scan_config_selectorIfEEZZNS1_9scan_implILNS1_25lookback_scan_determinismE0ELb0ELb0ES3_PKfPffZZZN2at6native31launch_logcumsumexp_cuda_kernelERKNSB_10TensorBaseESF_lENKUlvE_clEvENKUlvE0_clEvEUlffE_fEEDaPvRmT3_T4_T5_mT6_P12ihipStream_tbENKUlT_T0_E_clISt17integral_constantIbLb1EESW_EEDaSR_SS_EUlSR_E_NS1_11comp_targetILNS1_3genE10ELNS1_11target_archE1200ELNS1_3gpuE4ELNS1_3repE0EEENS1_30default_config_static_selectorELNS0_4arch9wavefront6targetE0EEEvT1_,comdat
	.globl	_ZN7rocprim17ROCPRIM_400000_NS6detail17trampoline_kernelINS0_14default_configENS1_20scan_config_selectorIfEEZZNS1_9scan_implILNS1_25lookback_scan_determinismE0ELb0ELb0ES3_PKfPffZZZN2at6native31launch_logcumsumexp_cuda_kernelERKNSB_10TensorBaseESF_lENKUlvE_clEvENKUlvE0_clEvEUlffE_fEEDaPvRmT3_T4_T5_mT6_P12ihipStream_tbENKUlT_T0_E_clISt17integral_constantIbLb1EESW_EEDaSR_SS_EUlSR_E_NS1_11comp_targetILNS1_3genE10ELNS1_11target_archE1200ELNS1_3gpuE4ELNS1_3repE0EEENS1_30default_config_static_selectorELNS0_4arch9wavefront6targetE0EEEvT1_ ; -- Begin function _ZN7rocprim17ROCPRIM_400000_NS6detail17trampoline_kernelINS0_14default_configENS1_20scan_config_selectorIfEEZZNS1_9scan_implILNS1_25lookback_scan_determinismE0ELb0ELb0ES3_PKfPffZZZN2at6native31launch_logcumsumexp_cuda_kernelERKNSB_10TensorBaseESF_lENKUlvE_clEvENKUlvE0_clEvEUlffE_fEEDaPvRmT3_T4_T5_mT6_P12ihipStream_tbENKUlT_T0_E_clISt17integral_constantIbLb1EESW_EEDaSR_SS_EUlSR_E_NS1_11comp_targetILNS1_3genE10ELNS1_11target_archE1200ELNS1_3gpuE4ELNS1_3repE0EEENS1_30default_config_static_selectorELNS0_4arch9wavefront6targetE0EEEvT1_
	.p2align	8
	.type	_ZN7rocprim17ROCPRIM_400000_NS6detail17trampoline_kernelINS0_14default_configENS1_20scan_config_selectorIfEEZZNS1_9scan_implILNS1_25lookback_scan_determinismE0ELb0ELb0ES3_PKfPffZZZN2at6native31launch_logcumsumexp_cuda_kernelERKNSB_10TensorBaseESF_lENKUlvE_clEvENKUlvE0_clEvEUlffE_fEEDaPvRmT3_T4_T5_mT6_P12ihipStream_tbENKUlT_T0_E_clISt17integral_constantIbLb1EESW_EEDaSR_SS_EUlSR_E_NS1_11comp_targetILNS1_3genE10ELNS1_11target_archE1200ELNS1_3gpuE4ELNS1_3repE0EEENS1_30default_config_static_selectorELNS0_4arch9wavefront6targetE0EEEvT1_,@function
_ZN7rocprim17ROCPRIM_400000_NS6detail17trampoline_kernelINS0_14default_configENS1_20scan_config_selectorIfEEZZNS1_9scan_implILNS1_25lookback_scan_determinismE0ELb0ELb0ES3_PKfPffZZZN2at6native31launch_logcumsumexp_cuda_kernelERKNSB_10TensorBaseESF_lENKUlvE_clEvENKUlvE0_clEvEUlffE_fEEDaPvRmT3_T4_T5_mT6_P12ihipStream_tbENKUlT_T0_E_clISt17integral_constantIbLb1EESW_EEDaSR_SS_EUlSR_E_NS1_11comp_targetILNS1_3genE10ELNS1_11target_archE1200ELNS1_3gpuE4ELNS1_3repE0EEENS1_30default_config_static_selectorELNS0_4arch9wavefront6targetE0EEEvT1_: ; @_ZN7rocprim17ROCPRIM_400000_NS6detail17trampoline_kernelINS0_14default_configENS1_20scan_config_selectorIfEEZZNS1_9scan_implILNS1_25lookback_scan_determinismE0ELb0ELb0ES3_PKfPffZZZN2at6native31launch_logcumsumexp_cuda_kernelERKNSB_10TensorBaseESF_lENKUlvE_clEvENKUlvE0_clEvEUlffE_fEEDaPvRmT3_T4_T5_mT6_P12ihipStream_tbENKUlT_T0_E_clISt17integral_constantIbLb1EESW_EEDaSR_SS_EUlSR_E_NS1_11comp_targetILNS1_3genE10ELNS1_11target_archE1200ELNS1_3gpuE4ELNS1_3repE0EEENS1_30default_config_static_selectorELNS0_4arch9wavefront6targetE0EEEvT1_
; %bb.0:
	.section	.rodata,"a",@progbits
	.p2align	6, 0x0
	.amdhsa_kernel _ZN7rocprim17ROCPRIM_400000_NS6detail17trampoline_kernelINS0_14default_configENS1_20scan_config_selectorIfEEZZNS1_9scan_implILNS1_25lookback_scan_determinismE0ELb0ELb0ES3_PKfPffZZZN2at6native31launch_logcumsumexp_cuda_kernelERKNSB_10TensorBaseESF_lENKUlvE_clEvENKUlvE0_clEvEUlffE_fEEDaPvRmT3_T4_T5_mT6_P12ihipStream_tbENKUlT_T0_E_clISt17integral_constantIbLb1EESW_EEDaSR_SS_EUlSR_E_NS1_11comp_targetILNS1_3genE10ELNS1_11target_archE1200ELNS1_3gpuE4ELNS1_3repE0EEENS1_30default_config_static_selectorELNS0_4arch9wavefront6targetE0EEEvT1_
		.amdhsa_group_segment_fixed_size 0
		.amdhsa_private_segment_fixed_size 0
		.amdhsa_kernarg_size 96
		.amdhsa_user_sgpr_count 6
		.amdhsa_user_sgpr_private_segment_buffer 1
		.amdhsa_user_sgpr_dispatch_ptr 0
		.amdhsa_user_sgpr_queue_ptr 0
		.amdhsa_user_sgpr_kernarg_segment_ptr 1
		.amdhsa_user_sgpr_dispatch_id 0
		.amdhsa_user_sgpr_flat_scratch_init 0
		.amdhsa_user_sgpr_private_segment_size 0
		.amdhsa_wavefront_size32 1
		.amdhsa_uses_dynamic_stack 0
		.amdhsa_system_sgpr_private_segment_wavefront_offset 0
		.amdhsa_system_sgpr_workgroup_id_x 1
		.amdhsa_system_sgpr_workgroup_id_y 0
		.amdhsa_system_sgpr_workgroup_id_z 0
		.amdhsa_system_sgpr_workgroup_info 0
		.amdhsa_system_vgpr_workitem_id 0
		.amdhsa_next_free_vgpr 1
		.amdhsa_next_free_sgpr 1
		.amdhsa_reserve_vcc 0
		.amdhsa_reserve_flat_scratch 0
		.amdhsa_float_round_mode_32 0
		.amdhsa_float_round_mode_16_64 0
		.amdhsa_float_denorm_mode_32 3
		.amdhsa_float_denorm_mode_16_64 3
		.amdhsa_dx10_clamp 1
		.amdhsa_ieee_mode 1
		.amdhsa_fp16_overflow 0
		.amdhsa_workgroup_processor_mode 1
		.amdhsa_memory_ordered 1
		.amdhsa_forward_progress 1
		.amdhsa_shared_vgpr_count 0
		.amdhsa_exception_fp_ieee_invalid_op 0
		.amdhsa_exception_fp_denorm_src 0
		.amdhsa_exception_fp_ieee_div_zero 0
		.amdhsa_exception_fp_ieee_overflow 0
		.amdhsa_exception_fp_ieee_underflow 0
		.amdhsa_exception_fp_ieee_inexact 0
		.amdhsa_exception_int_div_zero 0
	.end_amdhsa_kernel
	.section	.text._ZN7rocprim17ROCPRIM_400000_NS6detail17trampoline_kernelINS0_14default_configENS1_20scan_config_selectorIfEEZZNS1_9scan_implILNS1_25lookback_scan_determinismE0ELb0ELb0ES3_PKfPffZZZN2at6native31launch_logcumsumexp_cuda_kernelERKNSB_10TensorBaseESF_lENKUlvE_clEvENKUlvE0_clEvEUlffE_fEEDaPvRmT3_T4_T5_mT6_P12ihipStream_tbENKUlT_T0_E_clISt17integral_constantIbLb1EESW_EEDaSR_SS_EUlSR_E_NS1_11comp_targetILNS1_3genE10ELNS1_11target_archE1200ELNS1_3gpuE4ELNS1_3repE0EEENS1_30default_config_static_selectorELNS0_4arch9wavefront6targetE0EEEvT1_,"axG",@progbits,_ZN7rocprim17ROCPRIM_400000_NS6detail17trampoline_kernelINS0_14default_configENS1_20scan_config_selectorIfEEZZNS1_9scan_implILNS1_25lookback_scan_determinismE0ELb0ELb0ES3_PKfPffZZZN2at6native31launch_logcumsumexp_cuda_kernelERKNSB_10TensorBaseESF_lENKUlvE_clEvENKUlvE0_clEvEUlffE_fEEDaPvRmT3_T4_T5_mT6_P12ihipStream_tbENKUlT_T0_E_clISt17integral_constantIbLb1EESW_EEDaSR_SS_EUlSR_E_NS1_11comp_targetILNS1_3genE10ELNS1_11target_archE1200ELNS1_3gpuE4ELNS1_3repE0EEENS1_30default_config_static_selectorELNS0_4arch9wavefront6targetE0EEEvT1_,comdat
.Lfunc_end121:
	.size	_ZN7rocprim17ROCPRIM_400000_NS6detail17trampoline_kernelINS0_14default_configENS1_20scan_config_selectorIfEEZZNS1_9scan_implILNS1_25lookback_scan_determinismE0ELb0ELb0ES3_PKfPffZZZN2at6native31launch_logcumsumexp_cuda_kernelERKNSB_10TensorBaseESF_lENKUlvE_clEvENKUlvE0_clEvEUlffE_fEEDaPvRmT3_T4_T5_mT6_P12ihipStream_tbENKUlT_T0_E_clISt17integral_constantIbLb1EESW_EEDaSR_SS_EUlSR_E_NS1_11comp_targetILNS1_3genE10ELNS1_11target_archE1200ELNS1_3gpuE4ELNS1_3repE0EEENS1_30default_config_static_selectorELNS0_4arch9wavefront6targetE0EEEvT1_, .Lfunc_end121-_ZN7rocprim17ROCPRIM_400000_NS6detail17trampoline_kernelINS0_14default_configENS1_20scan_config_selectorIfEEZZNS1_9scan_implILNS1_25lookback_scan_determinismE0ELb0ELb0ES3_PKfPffZZZN2at6native31launch_logcumsumexp_cuda_kernelERKNSB_10TensorBaseESF_lENKUlvE_clEvENKUlvE0_clEvEUlffE_fEEDaPvRmT3_T4_T5_mT6_P12ihipStream_tbENKUlT_T0_E_clISt17integral_constantIbLb1EESW_EEDaSR_SS_EUlSR_E_NS1_11comp_targetILNS1_3genE10ELNS1_11target_archE1200ELNS1_3gpuE4ELNS1_3repE0EEENS1_30default_config_static_selectorELNS0_4arch9wavefront6targetE0EEEvT1_
                                        ; -- End function
	.set _ZN7rocprim17ROCPRIM_400000_NS6detail17trampoline_kernelINS0_14default_configENS1_20scan_config_selectorIfEEZZNS1_9scan_implILNS1_25lookback_scan_determinismE0ELb0ELb0ES3_PKfPffZZZN2at6native31launch_logcumsumexp_cuda_kernelERKNSB_10TensorBaseESF_lENKUlvE_clEvENKUlvE0_clEvEUlffE_fEEDaPvRmT3_T4_T5_mT6_P12ihipStream_tbENKUlT_T0_E_clISt17integral_constantIbLb1EESW_EEDaSR_SS_EUlSR_E_NS1_11comp_targetILNS1_3genE10ELNS1_11target_archE1200ELNS1_3gpuE4ELNS1_3repE0EEENS1_30default_config_static_selectorELNS0_4arch9wavefront6targetE0EEEvT1_.num_vgpr, 0
	.set _ZN7rocprim17ROCPRIM_400000_NS6detail17trampoline_kernelINS0_14default_configENS1_20scan_config_selectorIfEEZZNS1_9scan_implILNS1_25lookback_scan_determinismE0ELb0ELb0ES3_PKfPffZZZN2at6native31launch_logcumsumexp_cuda_kernelERKNSB_10TensorBaseESF_lENKUlvE_clEvENKUlvE0_clEvEUlffE_fEEDaPvRmT3_T4_T5_mT6_P12ihipStream_tbENKUlT_T0_E_clISt17integral_constantIbLb1EESW_EEDaSR_SS_EUlSR_E_NS1_11comp_targetILNS1_3genE10ELNS1_11target_archE1200ELNS1_3gpuE4ELNS1_3repE0EEENS1_30default_config_static_selectorELNS0_4arch9wavefront6targetE0EEEvT1_.num_agpr, 0
	.set _ZN7rocprim17ROCPRIM_400000_NS6detail17trampoline_kernelINS0_14default_configENS1_20scan_config_selectorIfEEZZNS1_9scan_implILNS1_25lookback_scan_determinismE0ELb0ELb0ES3_PKfPffZZZN2at6native31launch_logcumsumexp_cuda_kernelERKNSB_10TensorBaseESF_lENKUlvE_clEvENKUlvE0_clEvEUlffE_fEEDaPvRmT3_T4_T5_mT6_P12ihipStream_tbENKUlT_T0_E_clISt17integral_constantIbLb1EESW_EEDaSR_SS_EUlSR_E_NS1_11comp_targetILNS1_3genE10ELNS1_11target_archE1200ELNS1_3gpuE4ELNS1_3repE0EEENS1_30default_config_static_selectorELNS0_4arch9wavefront6targetE0EEEvT1_.numbered_sgpr, 0
	.set _ZN7rocprim17ROCPRIM_400000_NS6detail17trampoline_kernelINS0_14default_configENS1_20scan_config_selectorIfEEZZNS1_9scan_implILNS1_25lookback_scan_determinismE0ELb0ELb0ES3_PKfPffZZZN2at6native31launch_logcumsumexp_cuda_kernelERKNSB_10TensorBaseESF_lENKUlvE_clEvENKUlvE0_clEvEUlffE_fEEDaPvRmT3_T4_T5_mT6_P12ihipStream_tbENKUlT_T0_E_clISt17integral_constantIbLb1EESW_EEDaSR_SS_EUlSR_E_NS1_11comp_targetILNS1_3genE10ELNS1_11target_archE1200ELNS1_3gpuE4ELNS1_3repE0EEENS1_30default_config_static_selectorELNS0_4arch9wavefront6targetE0EEEvT1_.num_named_barrier, 0
	.set _ZN7rocprim17ROCPRIM_400000_NS6detail17trampoline_kernelINS0_14default_configENS1_20scan_config_selectorIfEEZZNS1_9scan_implILNS1_25lookback_scan_determinismE0ELb0ELb0ES3_PKfPffZZZN2at6native31launch_logcumsumexp_cuda_kernelERKNSB_10TensorBaseESF_lENKUlvE_clEvENKUlvE0_clEvEUlffE_fEEDaPvRmT3_T4_T5_mT6_P12ihipStream_tbENKUlT_T0_E_clISt17integral_constantIbLb1EESW_EEDaSR_SS_EUlSR_E_NS1_11comp_targetILNS1_3genE10ELNS1_11target_archE1200ELNS1_3gpuE4ELNS1_3repE0EEENS1_30default_config_static_selectorELNS0_4arch9wavefront6targetE0EEEvT1_.private_seg_size, 0
	.set _ZN7rocprim17ROCPRIM_400000_NS6detail17trampoline_kernelINS0_14default_configENS1_20scan_config_selectorIfEEZZNS1_9scan_implILNS1_25lookback_scan_determinismE0ELb0ELb0ES3_PKfPffZZZN2at6native31launch_logcumsumexp_cuda_kernelERKNSB_10TensorBaseESF_lENKUlvE_clEvENKUlvE0_clEvEUlffE_fEEDaPvRmT3_T4_T5_mT6_P12ihipStream_tbENKUlT_T0_E_clISt17integral_constantIbLb1EESW_EEDaSR_SS_EUlSR_E_NS1_11comp_targetILNS1_3genE10ELNS1_11target_archE1200ELNS1_3gpuE4ELNS1_3repE0EEENS1_30default_config_static_selectorELNS0_4arch9wavefront6targetE0EEEvT1_.uses_vcc, 0
	.set _ZN7rocprim17ROCPRIM_400000_NS6detail17trampoline_kernelINS0_14default_configENS1_20scan_config_selectorIfEEZZNS1_9scan_implILNS1_25lookback_scan_determinismE0ELb0ELb0ES3_PKfPffZZZN2at6native31launch_logcumsumexp_cuda_kernelERKNSB_10TensorBaseESF_lENKUlvE_clEvENKUlvE0_clEvEUlffE_fEEDaPvRmT3_T4_T5_mT6_P12ihipStream_tbENKUlT_T0_E_clISt17integral_constantIbLb1EESW_EEDaSR_SS_EUlSR_E_NS1_11comp_targetILNS1_3genE10ELNS1_11target_archE1200ELNS1_3gpuE4ELNS1_3repE0EEENS1_30default_config_static_selectorELNS0_4arch9wavefront6targetE0EEEvT1_.uses_flat_scratch, 0
	.set _ZN7rocprim17ROCPRIM_400000_NS6detail17trampoline_kernelINS0_14default_configENS1_20scan_config_selectorIfEEZZNS1_9scan_implILNS1_25lookback_scan_determinismE0ELb0ELb0ES3_PKfPffZZZN2at6native31launch_logcumsumexp_cuda_kernelERKNSB_10TensorBaseESF_lENKUlvE_clEvENKUlvE0_clEvEUlffE_fEEDaPvRmT3_T4_T5_mT6_P12ihipStream_tbENKUlT_T0_E_clISt17integral_constantIbLb1EESW_EEDaSR_SS_EUlSR_E_NS1_11comp_targetILNS1_3genE10ELNS1_11target_archE1200ELNS1_3gpuE4ELNS1_3repE0EEENS1_30default_config_static_selectorELNS0_4arch9wavefront6targetE0EEEvT1_.has_dyn_sized_stack, 0
	.set _ZN7rocprim17ROCPRIM_400000_NS6detail17trampoline_kernelINS0_14default_configENS1_20scan_config_selectorIfEEZZNS1_9scan_implILNS1_25lookback_scan_determinismE0ELb0ELb0ES3_PKfPffZZZN2at6native31launch_logcumsumexp_cuda_kernelERKNSB_10TensorBaseESF_lENKUlvE_clEvENKUlvE0_clEvEUlffE_fEEDaPvRmT3_T4_T5_mT6_P12ihipStream_tbENKUlT_T0_E_clISt17integral_constantIbLb1EESW_EEDaSR_SS_EUlSR_E_NS1_11comp_targetILNS1_3genE10ELNS1_11target_archE1200ELNS1_3gpuE4ELNS1_3repE0EEENS1_30default_config_static_selectorELNS0_4arch9wavefront6targetE0EEEvT1_.has_recursion, 0
	.set _ZN7rocprim17ROCPRIM_400000_NS6detail17trampoline_kernelINS0_14default_configENS1_20scan_config_selectorIfEEZZNS1_9scan_implILNS1_25lookback_scan_determinismE0ELb0ELb0ES3_PKfPffZZZN2at6native31launch_logcumsumexp_cuda_kernelERKNSB_10TensorBaseESF_lENKUlvE_clEvENKUlvE0_clEvEUlffE_fEEDaPvRmT3_T4_T5_mT6_P12ihipStream_tbENKUlT_T0_E_clISt17integral_constantIbLb1EESW_EEDaSR_SS_EUlSR_E_NS1_11comp_targetILNS1_3genE10ELNS1_11target_archE1200ELNS1_3gpuE4ELNS1_3repE0EEENS1_30default_config_static_selectorELNS0_4arch9wavefront6targetE0EEEvT1_.has_indirect_call, 0
	.section	.AMDGPU.csdata,"",@progbits
; Kernel info:
; codeLenInByte = 0
; TotalNumSgprs: 0
; NumVgprs: 0
; ScratchSize: 0
; MemoryBound: 0
; FloatMode: 240
; IeeeMode: 1
; LDSByteSize: 0 bytes/workgroup (compile time only)
; SGPRBlocks: 0
; VGPRBlocks: 0
; NumSGPRsForWavesPerEU: 1
; NumVGPRsForWavesPerEU: 1
; Occupancy: 16
; WaveLimiterHint : 0
; COMPUTE_PGM_RSRC2:SCRATCH_EN: 0
; COMPUTE_PGM_RSRC2:USER_SGPR: 6
; COMPUTE_PGM_RSRC2:TRAP_HANDLER: 0
; COMPUTE_PGM_RSRC2:TGID_X_EN: 1
; COMPUTE_PGM_RSRC2:TGID_Y_EN: 0
; COMPUTE_PGM_RSRC2:TGID_Z_EN: 0
; COMPUTE_PGM_RSRC2:TIDIG_COMP_CNT: 0
	.section	.text._ZN7rocprim17ROCPRIM_400000_NS6detail17trampoline_kernelINS0_14default_configENS1_20scan_config_selectorIfEEZZNS1_9scan_implILNS1_25lookback_scan_determinismE0ELb0ELb0ES3_PKfPffZZZN2at6native31launch_logcumsumexp_cuda_kernelERKNSB_10TensorBaseESF_lENKUlvE_clEvENKUlvE0_clEvEUlffE_fEEDaPvRmT3_T4_T5_mT6_P12ihipStream_tbENKUlT_T0_E_clISt17integral_constantIbLb1EESW_EEDaSR_SS_EUlSR_E_NS1_11comp_targetILNS1_3genE9ELNS1_11target_archE1100ELNS1_3gpuE3ELNS1_3repE0EEENS1_30default_config_static_selectorELNS0_4arch9wavefront6targetE0EEEvT1_,"axG",@progbits,_ZN7rocprim17ROCPRIM_400000_NS6detail17trampoline_kernelINS0_14default_configENS1_20scan_config_selectorIfEEZZNS1_9scan_implILNS1_25lookback_scan_determinismE0ELb0ELb0ES3_PKfPffZZZN2at6native31launch_logcumsumexp_cuda_kernelERKNSB_10TensorBaseESF_lENKUlvE_clEvENKUlvE0_clEvEUlffE_fEEDaPvRmT3_T4_T5_mT6_P12ihipStream_tbENKUlT_T0_E_clISt17integral_constantIbLb1EESW_EEDaSR_SS_EUlSR_E_NS1_11comp_targetILNS1_3genE9ELNS1_11target_archE1100ELNS1_3gpuE3ELNS1_3repE0EEENS1_30default_config_static_selectorELNS0_4arch9wavefront6targetE0EEEvT1_,comdat
	.globl	_ZN7rocprim17ROCPRIM_400000_NS6detail17trampoline_kernelINS0_14default_configENS1_20scan_config_selectorIfEEZZNS1_9scan_implILNS1_25lookback_scan_determinismE0ELb0ELb0ES3_PKfPffZZZN2at6native31launch_logcumsumexp_cuda_kernelERKNSB_10TensorBaseESF_lENKUlvE_clEvENKUlvE0_clEvEUlffE_fEEDaPvRmT3_T4_T5_mT6_P12ihipStream_tbENKUlT_T0_E_clISt17integral_constantIbLb1EESW_EEDaSR_SS_EUlSR_E_NS1_11comp_targetILNS1_3genE9ELNS1_11target_archE1100ELNS1_3gpuE3ELNS1_3repE0EEENS1_30default_config_static_selectorELNS0_4arch9wavefront6targetE0EEEvT1_ ; -- Begin function _ZN7rocprim17ROCPRIM_400000_NS6detail17trampoline_kernelINS0_14default_configENS1_20scan_config_selectorIfEEZZNS1_9scan_implILNS1_25lookback_scan_determinismE0ELb0ELb0ES3_PKfPffZZZN2at6native31launch_logcumsumexp_cuda_kernelERKNSB_10TensorBaseESF_lENKUlvE_clEvENKUlvE0_clEvEUlffE_fEEDaPvRmT3_T4_T5_mT6_P12ihipStream_tbENKUlT_T0_E_clISt17integral_constantIbLb1EESW_EEDaSR_SS_EUlSR_E_NS1_11comp_targetILNS1_3genE9ELNS1_11target_archE1100ELNS1_3gpuE3ELNS1_3repE0EEENS1_30default_config_static_selectorELNS0_4arch9wavefront6targetE0EEEvT1_
	.p2align	8
	.type	_ZN7rocprim17ROCPRIM_400000_NS6detail17trampoline_kernelINS0_14default_configENS1_20scan_config_selectorIfEEZZNS1_9scan_implILNS1_25lookback_scan_determinismE0ELb0ELb0ES3_PKfPffZZZN2at6native31launch_logcumsumexp_cuda_kernelERKNSB_10TensorBaseESF_lENKUlvE_clEvENKUlvE0_clEvEUlffE_fEEDaPvRmT3_T4_T5_mT6_P12ihipStream_tbENKUlT_T0_E_clISt17integral_constantIbLb1EESW_EEDaSR_SS_EUlSR_E_NS1_11comp_targetILNS1_3genE9ELNS1_11target_archE1100ELNS1_3gpuE3ELNS1_3repE0EEENS1_30default_config_static_selectorELNS0_4arch9wavefront6targetE0EEEvT1_,@function
_ZN7rocprim17ROCPRIM_400000_NS6detail17trampoline_kernelINS0_14default_configENS1_20scan_config_selectorIfEEZZNS1_9scan_implILNS1_25lookback_scan_determinismE0ELb0ELb0ES3_PKfPffZZZN2at6native31launch_logcumsumexp_cuda_kernelERKNSB_10TensorBaseESF_lENKUlvE_clEvENKUlvE0_clEvEUlffE_fEEDaPvRmT3_T4_T5_mT6_P12ihipStream_tbENKUlT_T0_E_clISt17integral_constantIbLb1EESW_EEDaSR_SS_EUlSR_E_NS1_11comp_targetILNS1_3genE9ELNS1_11target_archE1100ELNS1_3gpuE3ELNS1_3repE0EEENS1_30default_config_static_selectorELNS0_4arch9wavefront6targetE0EEEvT1_: ; @_ZN7rocprim17ROCPRIM_400000_NS6detail17trampoline_kernelINS0_14default_configENS1_20scan_config_selectorIfEEZZNS1_9scan_implILNS1_25lookback_scan_determinismE0ELb0ELb0ES3_PKfPffZZZN2at6native31launch_logcumsumexp_cuda_kernelERKNSB_10TensorBaseESF_lENKUlvE_clEvENKUlvE0_clEvEUlffE_fEEDaPvRmT3_T4_T5_mT6_P12ihipStream_tbENKUlT_T0_E_clISt17integral_constantIbLb1EESW_EEDaSR_SS_EUlSR_E_NS1_11comp_targetILNS1_3genE9ELNS1_11target_archE1100ELNS1_3gpuE3ELNS1_3repE0EEENS1_30default_config_static_selectorELNS0_4arch9wavefront6targetE0EEEvT1_
; %bb.0:
	.section	.rodata,"a",@progbits
	.p2align	6, 0x0
	.amdhsa_kernel _ZN7rocprim17ROCPRIM_400000_NS6detail17trampoline_kernelINS0_14default_configENS1_20scan_config_selectorIfEEZZNS1_9scan_implILNS1_25lookback_scan_determinismE0ELb0ELb0ES3_PKfPffZZZN2at6native31launch_logcumsumexp_cuda_kernelERKNSB_10TensorBaseESF_lENKUlvE_clEvENKUlvE0_clEvEUlffE_fEEDaPvRmT3_T4_T5_mT6_P12ihipStream_tbENKUlT_T0_E_clISt17integral_constantIbLb1EESW_EEDaSR_SS_EUlSR_E_NS1_11comp_targetILNS1_3genE9ELNS1_11target_archE1100ELNS1_3gpuE3ELNS1_3repE0EEENS1_30default_config_static_selectorELNS0_4arch9wavefront6targetE0EEEvT1_
		.amdhsa_group_segment_fixed_size 0
		.amdhsa_private_segment_fixed_size 0
		.amdhsa_kernarg_size 96
		.amdhsa_user_sgpr_count 6
		.amdhsa_user_sgpr_private_segment_buffer 1
		.amdhsa_user_sgpr_dispatch_ptr 0
		.amdhsa_user_sgpr_queue_ptr 0
		.amdhsa_user_sgpr_kernarg_segment_ptr 1
		.amdhsa_user_sgpr_dispatch_id 0
		.amdhsa_user_sgpr_flat_scratch_init 0
		.amdhsa_user_sgpr_private_segment_size 0
		.amdhsa_wavefront_size32 1
		.amdhsa_uses_dynamic_stack 0
		.amdhsa_system_sgpr_private_segment_wavefront_offset 0
		.amdhsa_system_sgpr_workgroup_id_x 1
		.amdhsa_system_sgpr_workgroup_id_y 0
		.amdhsa_system_sgpr_workgroup_id_z 0
		.amdhsa_system_sgpr_workgroup_info 0
		.amdhsa_system_vgpr_workitem_id 0
		.amdhsa_next_free_vgpr 1
		.amdhsa_next_free_sgpr 1
		.amdhsa_reserve_vcc 0
		.amdhsa_reserve_flat_scratch 0
		.amdhsa_float_round_mode_32 0
		.amdhsa_float_round_mode_16_64 0
		.amdhsa_float_denorm_mode_32 3
		.amdhsa_float_denorm_mode_16_64 3
		.amdhsa_dx10_clamp 1
		.amdhsa_ieee_mode 1
		.amdhsa_fp16_overflow 0
		.amdhsa_workgroup_processor_mode 1
		.amdhsa_memory_ordered 1
		.amdhsa_forward_progress 1
		.amdhsa_shared_vgpr_count 0
		.amdhsa_exception_fp_ieee_invalid_op 0
		.amdhsa_exception_fp_denorm_src 0
		.amdhsa_exception_fp_ieee_div_zero 0
		.amdhsa_exception_fp_ieee_overflow 0
		.amdhsa_exception_fp_ieee_underflow 0
		.amdhsa_exception_fp_ieee_inexact 0
		.amdhsa_exception_int_div_zero 0
	.end_amdhsa_kernel
	.section	.text._ZN7rocprim17ROCPRIM_400000_NS6detail17trampoline_kernelINS0_14default_configENS1_20scan_config_selectorIfEEZZNS1_9scan_implILNS1_25lookback_scan_determinismE0ELb0ELb0ES3_PKfPffZZZN2at6native31launch_logcumsumexp_cuda_kernelERKNSB_10TensorBaseESF_lENKUlvE_clEvENKUlvE0_clEvEUlffE_fEEDaPvRmT3_T4_T5_mT6_P12ihipStream_tbENKUlT_T0_E_clISt17integral_constantIbLb1EESW_EEDaSR_SS_EUlSR_E_NS1_11comp_targetILNS1_3genE9ELNS1_11target_archE1100ELNS1_3gpuE3ELNS1_3repE0EEENS1_30default_config_static_selectorELNS0_4arch9wavefront6targetE0EEEvT1_,"axG",@progbits,_ZN7rocprim17ROCPRIM_400000_NS6detail17trampoline_kernelINS0_14default_configENS1_20scan_config_selectorIfEEZZNS1_9scan_implILNS1_25lookback_scan_determinismE0ELb0ELb0ES3_PKfPffZZZN2at6native31launch_logcumsumexp_cuda_kernelERKNSB_10TensorBaseESF_lENKUlvE_clEvENKUlvE0_clEvEUlffE_fEEDaPvRmT3_T4_T5_mT6_P12ihipStream_tbENKUlT_T0_E_clISt17integral_constantIbLb1EESW_EEDaSR_SS_EUlSR_E_NS1_11comp_targetILNS1_3genE9ELNS1_11target_archE1100ELNS1_3gpuE3ELNS1_3repE0EEENS1_30default_config_static_selectorELNS0_4arch9wavefront6targetE0EEEvT1_,comdat
.Lfunc_end122:
	.size	_ZN7rocprim17ROCPRIM_400000_NS6detail17trampoline_kernelINS0_14default_configENS1_20scan_config_selectorIfEEZZNS1_9scan_implILNS1_25lookback_scan_determinismE0ELb0ELb0ES3_PKfPffZZZN2at6native31launch_logcumsumexp_cuda_kernelERKNSB_10TensorBaseESF_lENKUlvE_clEvENKUlvE0_clEvEUlffE_fEEDaPvRmT3_T4_T5_mT6_P12ihipStream_tbENKUlT_T0_E_clISt17integral_constantIbLb1EESW_EEDaSR_SS_EUlSR_E_NS1_11comp_targetILNS1_3genE9ELNS1_11target_archE1100ELNS1_3gpuE3ELNS1_3repE0EEENS1_30default_config_static_selectorELNS0_4arch9wavefront6targetE0EEEvT1_, .Lfunc_end122-_ZN7rocprim17ROCPRIM_400000_NS6detail17trampoline_kernelINS0_14default_configENS1_20scan_config_selectorIfEEZZNS1_9scan_implILNS1_25lookback_scan_determinismE0ELb0ELb0ES3_PKfPffZZZN2at6native31launch_logcumsumexp_cuda_kernelERKNSB_10TensorBaseESF_lENKUlvE_clEvENKUlvE0_clEvEUlffE_fEEDaPvRmT3_T4_T5_mT6_P12ihipStream_tbENKUlT_T0_E_clISt17integral_constantIbLb1EESW_EEDaSR_SS_EUlSR_E_NS1_11comp_targetILNS1_3genE9ELNS1_11target_archE1100ELNS1_3gpuE3ELNS1_3repE0EEENS1_30default_config_static_selectorELNS0_4arch9wavefront6targetE0EEEvT1_
                                        ; -- End function
	.set _ZN7rocprim17ROCPRIM_400000_NS6detail17trampoline_kernelINS0_14default_configENS1_20scan_config_selectorIfEEZZNS1_9scan_implILNS1_25lookback_scan_determinismE0ELb0ELb0ES3_PKfPffZZZN2at6native31launch_logcumsumexp_cuda_kernelERKNSB_10TensorBaseESF_lENKUlvE_clEvENKUlvE0_clEvEUlffE_fEEDaPvRmT3_T4_T5_mT6_P12ihipStream_tbENKUlT_T0_E_clISt17integral_constantIbLb1EESW_EEDaSR_SS_EUlSR_E_NS1_11comp_targetILNS1_3genE9ELNS1_11target_archE1100ELNS1_3gpuE3ELNS1_3repE0EEENS1_30default_config_static_selectorELNS0_4arch9wavefront6targetE0EEEvT1_.num_vgpr, 0
	.set _ZN7rocprim17ROCPRIM_400000_NS6detail17trampoline_kernelINS0_14default_configENS1_20scan_config_selectorIfEEZZNS1_9scan_implILNS1_25lookback_scan_determinismE0ELb0ELb0ES3_PKfPffZZZN2at6native31launch_logcumsumexp_cuda_kernelERKNSB_10TensorBaseESF_lENKUlvE_clEvENKUlvE0_clEvEUlffE_fEEDaPvRmT3_T4_T5_mT6_P12ihipStream_tbENKUlT_T0_E_clISt17integral_constantIbLb1EESW_EEDaSR_SS_EUlSR_E_NS1_11comp_targetILNS1_3genE9ELNS1_11target_archE1100ELNS1_3gpuE3ELNS1_3repE0EEENS1_30default_config_static_selectorELNS0_4arch9wavefront6targetE0EEEvT1_.num_agpr, 0
	.set _ZN7rocprim17ROCPRIM_400000_NS6detail17trampoline_kernelINS0_14default_configENS1_20scan_config_selectorIfEEZZNS1_9scan_implILNS1_25lookback_scan_determinismE0ELb0ELb0ES3_PKfPffZZZN2at6native31launch_logcumsumexp_cuda_kernelERKNSB_10TensorBaseESF_lENKUlvE_clEvENKUlvE0_clEvEUlffE_fEEDaPvRmT3_T4_T5_mT6_P12ihipStream_tbENKUlT_T0_E_clISt17integral_constantIbLb1EESW_EEDaSR_SS_EUlSR_E_NS1_11comp_targetILNS1_3genE9ELNS1_11target_archE1100ELNS1_3gpuE3ELNS1_3repE0EEENS1_30default_config_static_selectorELNS0_4arch9wavefront6targetE0EEEvT1_.numbered_sgpr, 0
	.set _ZN7rocprim17ROCPRIM_400000_NS6detail17trampoline_kernelINS0_14default_configENS1_20scan_config_selectorIfEEZZNS1_9scan_implILNS1_25lookback_scan_determinismE0ELb0ELb0ES3_PKfPffZZZN2at6native31launch_logcumsumexp_cuda_kernelERKNSB_10TensorBaseESF_lENKUlvE_clEvENKUlvE0_clEvEUlffE_fEEDaPvRmT3_T4_T5_mT6_P12ihipStream_tbENKUlT_T0_E_clISt17integral_constantIbLb1EESW_EEDaSR_SS_EUlSR_E_NS1_11comp_targetILNS1_3genE9ELNS1_11target_archE1100ELNS1_3gpuE3ELNS1_3repE0EEENS1_30default_config_static_selectorELNS0_4arch9wavefront6targetE0EEEvT1_.num_named_barrier, 0
	.set _ZN7rocprim17ROCPRIM_400000_NS6detail17trampoline_kernelINS0_14default_configENS1_20scan_config_selectorIfEEZZNS1_9scan_implILNS1_25lookback_scan_determinismE0ELb0ELb0ES3_PKfPffZZZN2at6native31launch_logcumsumexp_cuda_kernelERKNSB_10TensorBaseESF_lENKUlvE_clEvENKUlvE0_clEvEUlffE_fEEDaPvRmT3_T4_T5_mT6_P12ihipStream_tbENKUlT_T0_E_clISt17integral_constantIbLb1EESW_EEDaSR_SS_EUlSR_E_NS1_11comp_targetILNS1_3genE9ELNS1_11target_archE1100ELNS1_3gpuE3ELNS1_3repE0EEENS1_30default_config_static_selectorELNS0_4arch9wavefront6targetE0EEEvT1_.private_seg_size, 0
	.set _ZN7rocprim17ROCPRIM_400000_NS6detail17trampoline_kernelINS0_14default_configENS1_20scan_config_selectorIfEEZZNS1_9scan_implILNS1_25lookback_scan_determinismE0ELb0ELb0ES3_PKfPffZZZN2at6native31launch_logcumsumexp_cuda_kernelERKNSB_10TensorBaseESF_lENKUlvE_clEvENKUlvE0_clEvEUlffE_fEEDaPvRmT3_T4_T5_mT6_P12ihipStream_tbENKUlT_T0_E_clISt17integral_constantIbLb1EESW_EEDaSR_SS_EUlSR_E_NS1_11comp_targetILNS1_3genE9ELNS1_11target_archE1100ELNS1_3gpuE3ELNS1_3repE0EEENS1_30default_config_static_selectorELNS0_4arch9wavefront6targetE0EEEvT1_.uses_vcc, 0
	.set _ZN7rocprim17ROCPRIM_400000_NS6detail17trampoline_kernelINS0_14default_configENS1_20scan_config_selectorIfEEZZNS1_9scan_implILNS1_25lookback_scan_determinismE0ELb0ELb0ES3_PKfPffZZZN2at6native31launch_logcumsumexp_cuda_kernelERKNSB_10TensorBaseESF_lENKUlvE_clEvENKUlvE0_clEvEUlffE_fEEDaPvRmT3_T4_T5_mT6_P12ihipStream_tbENKUlT_T0_E_clISt17integral_constantIbLb1EESW_EEDaSR_SS_EUlSR_E_NS1_11comp_targetILNS1_3genE9ELNS1_11target_archE1100ELNS1_3gpuE3ELNS1_3repE0EEENS1_30default_config_static_selectorELNS0_4arch9wavefront6targetE0EEEvT1_.uses_flat_scratch, 0
	.set _ZN7rocprim17ROCPRIM_400000_NS6detail17trampoline_kernelINS0_14default_configENS1_20scan_config_selectorIfEEZZNS1_9scan_implILNS1_25lookback_scan_determinismE0ELb0ELb0ES3_PKfPffZZZN2at6native31launch_logcumsumexp_cuda_kernelERKNSB_10TensorBaseESF_lENKUlvE_clEvENKUlvE0_clEvEUlffE_fEEDaPvRmT3_T4_T5_mT6_P12ihipStream_tbENKUlT_T0_E_clISt17integral_constantIbLb1EESW_EEDaSR_SS_EUlSR_E_NS1_11comp_targetILNS1_3genE9ELNS1_11target_archE1100ELNS1_3gpuE3ELNS1_3repE0EEENS1_30default_config_static_selectorELNS0_4arch9wavefront6targetE0EEEvT1_.has_dyn_sized_stack, 0
	.set _ZN7rocprim17ROCPRIM_400000_NS6detail17trampoline_kernelINS0_14default_configENS1_20scan_config_selectorIfEEZZNS1_9scan_implILNS1_25lookback_scan_determinismE0ELb0ELb0ES3_PKfPffZZZN2at6native31launch_logcumsumexp_cuda_kernelERKNSB_10TensorBaseESF_lENKUlvE_clEvENKUlvE0_clEvEUlffE_fEEDaPvRmT3_T4_T5_mT6_P12ihipStream_tbENKUlT_T0_E_clISt17integral_constantIbLb1EESW_EEDaSR_SS_EUlSR_E_NS1_11comp_targetILNS1_3genE9ELNS1_11target_archE1100ELNS1_3gpuE3ELNS1_3repE0EEENS1_30default_config_static_selectorELNS0_4arch9wavefront6targetE0EEEvT1_.has_recursion, 0
	.set _ZN7rocprim17ROCPRIM_400000_NS6detail17trampoline_kernelINS0_14default_configENS1_20scan_config_selectorIfEEZZNS1_9scan_implILNS1_25lookback_scan_determinismE0ELb0ELb0ES3_PKfPffZZZN2at6native31launch_logcumsumexp_cuda_kernelERKNSB_10TensorBaseESF_lENKUlvE_clEvENKUlvE0_clEvEUlffE_fEEDaPvRmT3_T4_T5_mT6_P12ihipStream_tbENKUlT_T0_E_clISt17integral_constantIbLb1EESW_EEDaSR_SS_EUlSR_E_NS1_11comp_targetILNS1_3genE9ELNS1_11target_archE1100ELNS1_3gpuE3ELNS1_3repE0EEENS1_30default_config_static_selectorELNS0_4arch9wavefront6targetE0EEEvT1_.has_indirect_call, 0
	.section	.AMDGPU.csdata,"",@progbits
; Kernel info:
; codeLenInByte = 0
; TotalNumSgprs: 0
; NumVgprs: 0
; ScratchSize: 0
; MemoryBound: 0
; FloatMode: 240
; IeeeMode: 1
; LDSByteSize: 0 bytes/workgroup (compile time only)
; SGPRBlocks: 0
; VGPRBlocks: 0
; NumSGPRsForWavesPerEU: 1
; NumVGPRsForWavesPerEU: 1
; Occupancy: 16
; WaveLimiterHint : 0
; COMPUTE_PGM_RSRC2:SCRATCH_EN: 0
; COMPUTE_PGM_RSRC2:USER_SGPR: 6
; COMPUTE_PGM_RSRC2:TRAP_HANDLER: 0
; COMPUTE_PGM_RSRC2:TGID_X_EN: 1
; COMPUTE_PGM_RSRC2:TGID_Y_EN: 0
; COMPUTE_PGM_RSRC2:TGID_Z_EN: 0
; COMPUTE_PGM_RSRC2:TIDIG_COMP_CNT: 0
	.section	.text._ZN7rocprim17ROCPRIM_400000_NS6detail17trampoline_kernelINS0_14default_configENS1_20scan_config_selectorIfEEZZNS1_9scan_implILNS1_25lookback_scan_determinismE0ELb0ELb0ES3_PKfPffZZZN2at6native31launch_logcumsumexp_cuda_kernelERKNSB_10TensorBaseESF_lENKUlvE_clEvENKUlvE0_clEvEUlffE_fEEDaPvRmT3_T4_T5_mT6_P12ihipStream_tbENKUlT_T0_E_clISt17integral_constantIbLb1EESW_EEDaSR_SS_EUlSR_E_NS1_11comp_targetILNS1_3genE8ELNS1_11target_archE1030ELNS1_3gpuE2ELNS1_3repE0EEENS1_30default_config_static_selectorELNS0_4arch9wavefront6targetE0EEEvT1_,"axG",@progbits,_ZN7rocprim17ROCPRIM_400000_NS6detail17trampoline_kernelINS0_14default_configENS1_20scan_config_selectorIfEEZZNS1_9scan_implILNS1_25lookback_scan_determinismE0ELb0ELb0ES3_PKfPffZZZN2at6native31launch_logcumsumexp_cuda_kernelERKNSB_10TensorBaseESF_lENKUlvE_clEvENKUlvE0_clEvEUlffE_fEEDaPvRmT3_T4_T5_mT6_P12ihipStream_tbENKUlT_T0_E_clISt17integral_constantIbLb1EESW_EEDaSR_SS_EUlSR_E_NS1_11comp_targetILNS1_3genE8ELNS1_11target_archE1030ELNS1_3gpuE2ELNS1_3repE0EEENS1_30default_config_static_selectorELNS0_4arch9wavefront6targetE0EEEvT1_,comdat
	.globl	_ZN7rocprim17ROCPRIM_400000_NS6detail17trampoline_kernelINS0_14default_configENS1_20scan_config_selectorIfEEZZNS1_9scan_implILNS1_25lookback_scan_determinismE0ELb0ELb0ES3_PKfPffZZZN2at6native31launch_logcumsumexp_cuda_kernelERKNSB_10TensorBaseESF_lENKUlvE_clEvENKUlvE0_clEvEUlffE_fEEDaPvRmT3_T4_T5_mT6_P12ihipStream_tbENKUlT_T0_E_clISt17integral_constantIbLb1EESW_EEDaSR_SS_EUlSR_E_NS1_11comp_targetILNS1_3genE8ELNS1_11target_archE1030ELNS1_3gpuE2ELNS1_3repE0EEENS1_30default_config_static_selectorELNS0_4arch9wavefront6targetE0EEEvT1_ ; -- Begin function _ZN7rocprim17ROCPRIM_400000_NS6detail17trampoline_kernelINS0_14default_configENS1_20scan_config_selectorIfEEZZNS1_9scan_implILNS1_25lookback_scan_determinismE0ELb0ELb0ES3_PKfPffZZZN2at6native31launch_logcumsumexp_cuda_kernelERKNSB_10TensorBaseESF_lENKUlvE_clEvENKUlvE0_clEvEUlffE_fEEDaPvRmT3_T4_T5_mT6_P12ihipStream_tbENKUlT_T0_E_clISt17integral_constantIbLb1EESW_EEDaSR_SS_EUlSR_E_NS1_11comp_targetILNS1_3genE8ELNS1_11target_archE1030ELNS1_3gpuE2ELNS1_3repE0EEENS1_30default_config_static_selectorELNS0_4arch9wavefront6targetE0EEEvT1_
	.p2align	8
	.type	_ZN7rocprim17ROCPRIM_400000_NS6detail17trampoline_kernelINS0_14default_configENS1_20scan_config_selectorIfEEZZNS1_9scan_implILNS1_25lookback_scan_determinismE0ELb0ELb0ES3_PKfPffZZZN2at6native31launch_logcumsumexp_cuda_kernelERKNSB_10TensorBaseESF_lENKUlvE_clEvENKUlvE0_clEvEUlffE_fEEDaPvRmT3_T4_T5_mT6_P12ihipStream_tbENKUlT_T0_E_clISt17integral_constantIbLb1EESW_EEDaSR_SS_EUlSR_E_NS1_11comp_targetILNS1_3genE8ELNS1_11target_archE1030ELNS1_3gpuE2ELNS1_3repE0EEENS1_30default_config_static_selectorELNS0_4arch9wavefront6targetE0EEEvT1_,@function
_ZN7rocprim17ROCPRIM_400000_NS6detail17trampoline_kernelINS0_14default_configENS1_20scan_config_selectorIfEEZZNS1_9scan_implILNS1_25lookback_scan_determinismE0ELb0ELb0ES3_PKfPffZZZN2at6native31launch_logcumsumexp_cuda_kernelERKNSB_10TensorBaseESF_lENKUlvE_clEvENKUlvE0_clEvEUlffE_fEEDaPvRmT3_T4_T5_mT6_P12ihipStream_tbENKUlT_T0_E_clISt17integral_constantIbLb1EESW_EEDaSR_SS_EUlSR_E_NS1_11comp_targetILNS1_3genE8ELNS1_11target_archE1030ELNS1_3gpuE2ELNS1_3repE0EEENS1_30default_config_static_selectorELNS0_4arch9wavefront6targetE0EEEvT1_: ; @_ZN7rocprim17ROCPRIM_400000_NS6detail17trampoline_kernelINS0_14default_configENS1_20scan_config_selectorIfEEZZNS1_9scan_implILNS1_25lookback_scan_determinismE0ELb0ELb0ES3_PKfPffZZZN2at6native31launch_logcumsumexp_cuda_kernelERKNSB_10TensorBaseESF_lENKUlvE_clEvENKUlvE0_clEvEUlffE_fEEDaPvRmT3_T4_T5_mT6_P12ihipStream_tbENKUlT_T0_E_clISt17integral_constantIbLb1EESW_EEDaSR_SS_EUlSR_E_NS1_11comp_targetILNS1_3genE8ELNS1_11target_archE1030ELNS1_3gpuE2ELNS1_3repE0EEENS1_30default_config_static_selectorELNS0_4arch9wavefront6targetE0EEEvT1_
; %bb.0:
	s_endpgm
	.section	.rodata,"a",@progbits
	.p2align	6, 0x0
	.amdhsa_kernel _ZN7rocprim17ROCPRIM_400000_NS6detail17trampoline_kernelINS0_14default_configENS1_20scan_config_selectorIfEEZZNS1_9scan_implILNS1_25lookback_scan_determinismE0ELb0ELb0ES3_PKfPffZZZN2at6native31launch_logcumsumexp_cuda_kernelERKNSB_10TensorBaseESF_lENKUlvE_clEvENKUlvE0_clEvEUlffE_fEEDaPvRmT3_T4_T5_mT6_P12ihipStream_tbENKUlT_T0_E_clISt17integral_constantIbLb1EESW_EEDaSR_SS_EUlSR_E_NS1_11comp_targetILNS1_3genE8ELNS1_11target_archE1030ELNS1_3gpuE2ELNS1_3repE0EEENS1_30default_config_static_selectorELNS0_4arch9wavefront6targetE0EEEvT1_
		.amdhsa_group_segment_fixed_size 0
		.amdhsa_private_segment_fixed_size 0
		.amdhsa_kernarg_size 96
		.amdhsa_user_sgpr_count 6
		.amdhsa_user_sgpr_private_segment_buffer 1
		.amdhsa_user_sgpr_dispatch_ptr 0
		.amdhsa_user_sgpr_queue_ptr 0
		.amdhsa_user_sgpr_kernarg_segment_ptr 1
		.amdhsa_user_sgpr_dispatch_id 0
		.amdhsa_user_sgpr_flat_scratch_init 0
		.amdhsa_user_sgpr_private_segment_size 0
		.amdhsa_wavefront_size32 1
		.amdhsa_uses_dynamic_stack 0
		.amdhsa_system_sgpr_private_segment_wavefront_offset 0
		.amdhsa_system_sgpr_workgroup_id_x 1
		.amdhsa_system_sgpr_workgroup_id_y 0
		.amdhsa_system_sgpr_workgroup_id_z 0
		.amdhsa_system_sgpr_workgroup_info 0
		.amdhsa_system_vgpr_workitem_id 0
		.amdhsa_next_free_vgpr 1
		.amdhsa_next_free_sgpr 1
		.amdhsa_reserve_vcc 0
		.amdhsa_reserve_flat_scratch 0
		.amdhsa_float_round_mode_32 0
		.amdhsa_float_round_mode_16_64 0
		.amdhsa_float_denorm_mode_32 3
		.amdhsa_float_denorm_mode_16_64 3
		.amdhsa_dx10_clamp 1
		.amdhsa_ieee_mode 1
		.amdhsa_fp16_overflow 0
		.amdhsa_workgroup_processor_mode 1
		.amdhsa_memory_ordered 1
		.amdhsa_forward_progress 1
		.amdhsa_shared_vgpr_count 0
		.amdhsa_exception_fp_ieee_invalid_op 0
		.amdhsa_exception_fp_denorm_src 0
		.amdhsa_exception_fp_ieee_div_zero 0
		.amdhsa_exception_fp_ieee_overflow 0
		.amdhsa_exception_fp_ieee_underflow 0
		.amdhsa_exception_fp_ieee_inexact 0
		.amdhsa_exception_int_div_zero 0
	.end_amdhsa_kernel
	.section	.text._ZN7rocprim17ROCPRIM_400000_NS6detail17trampoline_kernelINS0_14default_configENS1_20scan_config_selectorIfEEZZNS1_9scan_implILNS1_25lookback_scan_determinismE0ELb0ELb0ES3_PKfPffZZZN2at6native31launch_logcumsumexp_cuda_kernelERKNSB_10TensorBaseESF_lENKUlvE_clEvENKUlvE0_clEvEUlffE_fEEDaPvRmT3_T4_T5_mT6_P12ihipStream_tbENKUlT_T0_E_clISt17integral_constantIbLb1EESW_EEDaSR_SS_EUlSR_E_NS1_11comp_targetILNS1_3genE8ELNS1_11target_archE1030ELNS1_3gpuE2ELNS1_3repE0EEENS1_30default_config_static_selectorELNS0_4arch9wavefront6targetE0EEEvT1_,"axG",@progbits,_ZN7rocprim17ROCPRIM_400000_NS6detail17trampoline_kernelINS0_14default_configENS1_20scan_config_selectorIfEEZZNS1_9scan_implILNS1_25lookback_scan_determinismE0ELb0ELb0ES3_PKfPffZZZN2at6native31launch_logcumsumexp_cuda_kernelERKNSB_10TensorBaseESF_lENKUlvE_clEvENKUlvE0_clEvEUlffE_fEEDaPvRmT3_T4_T5_mT6_P12ihipStream_tbENKUlT_T0_E_clISt17integral_constantIbLb1EESW_EEDaSR_SS_EUlSR_E_NS1_11comp_targetILNS1_3genE8ELNS1_11target_archE1030ELNS1_3gpuE2ELNS1_3repE0EEENS1_30default_config_static_selectorELNS0_4arch9wavefront6targetE0EEEvT1_,comdat
.Lfunc_end123:
	.size	_ZN7rocprim17ROCPRIM_400000_NS6detail17trampoline_kernelINS0_14default_configENS1_20scan_config_selectorIfEEZZNS1_9scan_implILNS1_25lookback_scan_determinismE0ELb0ELb0ES3_PKfPffZZZN2at6native31launch_logcumsumexp_cuda_kernelERKNSB_10TensorBaseESF_lENKUlvE_clEvENKUlvE0_clEvEUlffE_fEEDaPvRmT3_T4_T5_mT6_P12ihipStream_tbENKUlT_T0_E_clISt17integral_constantIbLb1EESW_EEDaSR_SS_EUlSR_E_NS1_11comp_targetILNS1_3genE8ELNS1_11target_archE1030ELNS1_3gpuE2ELNS1_3repE0EEENS1_30default_config_static_selectorELNS0_4arch9wavefront6targetE0EEEvT1_, .Lfunc_end123-_ZN7rocprim17ROCPRIM_400000_NS6detail17trampoline_kernelINS0_14default_configENS1_20scan_config_selectorIfEEZZNS1_9scan_implILNS1_25lookback_scan_determinismE0ELb0ELb0ES3_PKfPffZZZN2at6native31launch_logcumsumexp_cuda_kernelERKNSB_10TensorBaseESF_lENKUlvE_clEvENKUlvE0_clEvEUlffE_fEEDaPvRmT3_T4_T5_mT6_P12ihipStream_tbENKUlT_T0_E_clISt17integral_constantIbLb1EESW_EEDaSR_SS_EUlSR_E_NS1_11comp_targetILNS1_3genE8ELNS1_11target_archE1030ELNS1_3gpuE2ELNS1_3repE0EEENS1_30default_config_static_selectorELNS0_4arch9wavefront6targetE0EEEvT1_
                                        ; -- End function
	.set _ZN7rocprim17ROCPRIM_400000_NS6detail17trampoline_kernelINS0_14default_configENS1_20scan_config_selectorIfEEZZNS1_9scan_implILNS1_25lookback_scan_determinismE0ELb0ELb0ES3_PKfPffZZZN2at6native31launch_logcumsumexp_cuda_kernelERKNSB_10TensorBaseESF_lENKUlvE_clEvENKUlvE0_clEvEUlffE_fEEDaPvRmT3_T4_T5_mT6_P12ihipStream_tbENKUlT_T0_E_clISt17integral_constantIbLb1EESW_EEDaSR_SS_EUlSR_E_NS1_11comp_targetILNS1_3genE8ELNS1_11target_archE1030ELNS1_3gpuE2ELNS1_3repE0EEENS1_30default_config_static_selectorELNS0_4arch9wavefront6targetE0EEEvT1_.num_vgpr, 0
	.set _ZN7rocprim17ROCPRIM_400000_NS6detail17trampoline_kernelINS0_14default_configENS1_20scan_config_selectorIfEEZZNS1_9scan_implILNS1_25lookback_scan_determinismE0ELb0ELb0ES3_PKfPffZZZN2at6native31launch_logcumsumexp_cuda_kernelERKNSB_10TensorBaseESF_lENKUlvE_clEvENKUlvE0_clEvEUlffE_fEEDaPvRmT3_T4_T5_mT6_P12ihipStream_tbENKUlT_T0_E_clISt17integral_constantIbLb1EESW_EEDaSR_SS_EUlSR_E_NS1_11comp_targetILNS1_3genE8ELNS1_11target_archE1030ELNS1_3gpuE2ELNS1_3repE0EEENS1_30default_config_static_selectorELNS0_4arch9wavefront6targetE0EEEvT1_.num_agpr, 0
	.set _ZN7rocprim17ROCPRIM_400000_NS6detail17trampoline_kernelINS0_14default_configENS1_20scan_config_selectorIfEEZZNS1_9scan_implILNS1_25lookback_scan_determinismE0ELb0ELb0ES3_PKfPffZZZN2at6native31launch_logcumsumexp_cuda_kernelERKNSB_10TensorBaseESF_lENKUlvE_clEvENKUlvE0_clEvEUlffE_fEEDaPvRmT3_T4_T5_mT6_P12ihipStream_tbENKUlT_T0_E_clISt17integral_constantIbLb1EESW_EEDaSR_SS_EUlSR_E_NS1_11comp_targetILNS1_3genE8ELNS1_11target_archE1030ELNS1_3gpuE2ELNS1_3repE0EEENS1_30default_config_static_selectorELNS0_4arch9wavefront6targetE0EEEvT1_.numbered_sgpr, 0
	.set _ZN7rocprim17ROCPRIM_400000_NS6detail17trampoline_kernelINS0_14default_configENS1_20scan_config_selectorIfEEZZNS1_9scan_implILNS1_25lookback_scan_determinismE0ELb0ELb0ES3_PKfPffZZZN2at6native31launch_logcumsumexp_cuda_kernelERKNSB_10TensorBaseESF_lENKUlvE_clEvENKUlvE0_clEvEUlffE_fEEDaPvRmT3_T4_T5_mT6_P12ihipStream_tbENKUlT_T0_E_clISt17integral_constantIbLb1EESW_EEDaSR_SS_EUlSR_E_NS1_11comp_targetILNS1_3genE8ELNS1_11target_archE1030ELNS1_3gpuE2ELNS1_3repE0EEENS1_30default_config_static_selectorELNS0_4arch9wavefront6targetE0EEEvT1_.num_named_barrier, 0
	.set _ZN7rocprim17ROCPRIM_400000_NS6detail17trampoline_kernelINS0_14default_configENS1_20scan_config_selectorIfEEZZNS1_9scan_implILNS1_25lookback_scan_determinismE0ELb0ELb0ES3_PKfPffZZZN2at6native31launch_logcumsumexp_cuda_kernelERKNSB_10TensorBaseESF_lENKUlvE_clEvENKUlvE0_clEvEUlffE_fEEDaPvRmT3_T4_T5_mT6_P12ihipStream_tbENKUlT_T0_E_clISt17integral_constantIbLb1EESW_EEDaSR_SS_EUlSR_E_NS1_11comp_targetILNS1_3genE8ELNS1_11target_archE1030ELNS1_3gpuE2ELNS1_3repE0EEENS1_30default_config_static_selectorELNS0_4arch9wavefront6targetE0EEEvT1_.private_seg_size, 0
	.set _ZN7rocprim17ROCPRIM_400000_NS6detail17trampoline_kernelINS0_14default_configENS1_20scan_config_selectorIfEEZZNS1_9scan_implILNS1_25lookback_scan_determinismE0ELb0ELb0ES3_PKfPffZZZN2at6native31launch_logcumsumexp_cuda_kernelERKNSB_10TensorBaseESF_lENKUlvE_clEvENKUlvE0_clEvEUlffE_fEEDaPvRmT3_T4_T5_mT6_P12ihipStream_tbENKUlT_T0_E_clISt17integral_constantIbLb1EESW_EEDaSR_SS_EUlSR_E_NS1_11comp_targetILNS1_3genE8ELNS1_11target_archE1030ELNS1_3gpuE2ELNS1_3repE0EEENS1_30default_config_static_selectorELNS0_4arch9wavefront6targetE0EEEvT1_.uses_vcc, 0
	.set _ZN7rocprim17ROCPRIM_400000_NS6detail17trampoline_kernelINS0_14default_configENS1_20scan_config_selectorIfEEZZNS1_9scan_implILNS1_25lookback_scan_determinismE0ELb0ELb0ES3_PKfPffZZZN2at6native31launch_logcumsumexp_cuda_kernelERKNSB_10TensorBaseESF_lENKUlvE_clEvENKUlvE0_clEvEUlffE_fEEDaPvRmT3_T4_T5_mT6_P12ihipStream_tbENKUlT_T0_E_clISt17integral_constantIbLb1EESW_EEDaSR_SS_EUlSR_E_NS1_11comp_targetILNS1_3genE8ELNS1_11target_archE1030ELNS1_3gpuE2ELNS1_3repE0EEENS1_30default_config_static_selectorELNS0_4arch9wavefront6targetE0EEEvT1_.uses_flat_scratch, 0
	.set _ZN7rocprim17ROCPRIM_400000_NS6detail17trampoline_kernelINS0_14default_configENS1_20scan_config_selectorIfEEZZNS1_9scan_implILNS1_25lookback_scan_determinismE0ELb0ELb0ES3_PKfPffZZZN2at6native31launch_logcumsumexp_cuda_kernelERKNSB_10TensorBaseESF_lENKUlvE_clEvENKUlvE0_clEvEUlffE_fEEDaPvRmT3_T4_T5_mT6_P12ihipStream_tbENKUlT_T0_E_clISt17integral_constantIbLb1EESW_EEDaSR_SS_EUlSR_E_NS1_11comp_targetILNS1_3genE8ELNS1_11target_archE1030ELNS1_3gpuE2ELNS1_3repE0EEENS1_30default_config_static_selectorELNS0_4arch9wavefront6targetE0EEEvT1_.has_dyn_sized_stack, 0
	.set _ZN7rocprim17ROCPRIM_400000_NS6detail17trampoline_kernelINS0_14default_configENS1_20scan_config_selectorIfEEZZNS1_9scan_implILNS1_25lookback_scan_determinismE0ELb0ELb0ES3_PKfPffZZZN2at6native31launch_logcumsumexp_cuda_kernelERKNSB_10TensorBaseESF_lENKUlvE_clEvENKUlvE0_clEvEUlffE_fEEDaPvRmT3_T4_T5_mT6_P12ihipStream_tbENKUlT_T0_E_clISt17integral_constantIbLb1EESW_EEDaSR_SS_EUlSR_E_NS1_11comp_targetILNS1_3genE8ELNS1_11target_archE1030ELNS1_3gpuE2ELNS1_3repE0EEENS1_30default_config_static_selectorELNS0_4arch9wavefront6targetE0EEEvT1_.has_recursion, 0
	.set _ZN7rocprim17ROCPRIM_400000_NS6detail17trampoline_kernelINS0_14default_configENS1_20scan_config_selectorIfEEZZNS1_9scan_implILNS1_25lookback_scan_determinismE0ELb0ELb0ES3_PKfPffZZZN2at6native31launch_logcumsumexp_cuda_kernelERKNSB_10TensorBaseESF_lENKUlvE_clEvENKUlvE0_clEvEUlffE_fEEDaPvRmT3_T4_T5_mT6_P12ihipStream_tbENKUlT_T0_E_clISt17integral_constantIbLb1EESW_EEDaSR_SS_EUlSR_E_NS1_11comp_targetILNS1_3genE8ELNS1_11target_archE1030ELNS1_3gpuE2ELNS1_3repE0EEENS1_30default_config_static_selectorELNS0_4arch9wavefront6targetE0EEEvT1_.has_indirect_call, 0
	.section	.AMDGPU.csdata,"",@progbits
; Kernel info:
; codeLenInByte = 4
; TotalNumSgprs: 0
; NumVgprs: 0
; ScratchSize: 0
; MemoryBound: 0
; FloatMode: 240
; IeeeMode: 1
; LDSByteSize: 0 bytes/workgroup (compile time only)
; SGPRBlocks: 0
; VGPRBlocks: 0
; NumSGPRsForWavesPerEU: 1
; NumVGPRsForWavesPerEU: 1
; Occupancy: 16
; WaveLimiterHint : 0
; COMPUTE_PGM_RSRC2:SCRATCH_EN: 0
; COMPUTE_PGM_RSRC2:USER_SGPR: 6
; COMPUTE_PGM_RSRC2:TRAP_HANDLER: 0
; COMPUTE_PGM_RSRC2:TGID_X_EN: 1
; COMPUTE_PGM_RSRC2:TGID_Y_EN: 0
; COMPUTE_PGM_RSRC2:TGID_Z_EN: 0
; COMPUTE_PGM_RSRC2:TIDIG_COMP_CNT: 0
	.section	.text._ZN7rocprim17ROCPRIM_400000_NS6detail17trampoline_kernelINS0_14default_configENS1_20scan_config_selectorIfEEZZNS1_9scan_implILNS1_25lookback_scan_determinismE0ELb0ELb0ES3_PKfPffZZZN2at6native31launch_logcumsumexp_cuda_kernelERKNSB_10TensorBaseESF_lENKUlvE_clEvENKUlvE0_clEvEUlffE_fEEDaPvRmT3_T4_T5_mT6_P12ihipStream_tbENKUlT_T0_E_clISt17integral_constantIbLb1EESW_EEDaSR_SS_EUlSR_E0_NS1_11comp_targetILNS1_3genE0ELNS1_11target_archE4294967295ELNS1_3gpuE0ELNS1_3repE0EEENS1_30default_config_static_selectorELNS0_4arch9wavefront6targetE0EEEvT1_,"axG",@progbits,_ZN7rocprim17ROCPRIM_400000_NS6detail17trampoline_kernelINS0_14default_configENS1_20scan_config_selectorIfEEZZNS1_9scan_implILNS1_25lookback_scan_determinismE0ELb0ELb0ES3_PKfPffZZZN2at6native31launch_logcumsumexp_cuda_kernelERKNSB_10TensorBaseESF_lENKUlvE_clEvENKUlvE0_clEvEUlffE_fEEDaPvRmT3_T4_T5_mT6_P12ihipStream_tbENKUlT_T0_E_clISt17integral_constantIbLb1EESW_EEDaSR_SS_EUlSR_E0_NS1_11comp_targetILNS1_3genE0ELNS1_11target_archE4294967295ELNS1_3gpuE0ELNS1_3repE0EEENS1_30default_config_static_selectorELNS0_4arch9wavefront6targetE0EEEvT1_,comdat
	.globl	_ZN7rocprim17ROCPRIM_400000_NS6detail17trampoline_kernelINS0_14default_configENS1_20scan_config_selectorIfEEZZNS1_9scan_implILNS1_25lookback_scan_determinismE0ELb0ELb0ES3_PKfPffZZZN2at6native31launch_logcumsumexp_cuda_kernelERKNSB_10TensorBaseESF_lENKUlvE_clEvENKUlvE0_clEvEUlffE_fEEDaPvRmT3_T4_T5_mT6_P12ihipStream_tbENKUlT_T0_E_clISt17integral_constantIbLb1EESW_EEDaSR_SS_EUlSR_E0_NS1_11comp_targetILNS1_3genE0ELNS1_11target_archE4294967295ELNS1_3gpuE0ELNS1_3repE0EEENS1_30default_config_static_selectorELNS0_4arch9wavefront6targetE0EEEvT1_ ; -- Begin function _ZN7rocprim17ROCPRIM_400000_NS6detail17trampoline_kernelINS0_14default_configENS1_20scan_config_selectorIfEEZZNS1_9scan_implILNS1_25lookback_scan_determinismE0ELb0ELb0ES3_PKfPffZZZN2at6native31launch_logcumsumexp_cuda_kernelERKNSB_10TensorBaseESF_lENKUlvE_clEvENKUlvE0_clEvEUlffE_fEEDaPvRmT3_T4_T5_mT6_P12ihipStream_tbENKUlT_T0_E_clISt17integral_constantIbLb1EESW_EEDaSR_SS_EUlSR_E0_NS1_11comp_targetILNS1_3genE0ELNS1_11target_archE4294967295ELNS1_3gpuE0ELNS1_3repE0EEENS1_30default_config_static_selectorELNS0_4arch9wavefront6targetE0EEEvT1_
	.p2align	8
	.type	_ZN7rocprim17ROCPRIM_400000_NS6detail17trampoline_kernelINS0_14default_configENS1_20scan_config_selectorIfEEZZNS1_9scan_implILNS1_25lookback_scan_determinismE0ELb0ELb0ES3_PKfPffZZZN2at6native31launch_logcumsumexp_cuda_kernelERKNSB_10TensorBaseESF_lENKUlvE_clEvENKUlvE0_clEvEUlffE_fEEDaPvRmT3_T4_T5_mT6_P12ihipStream_tbENKUlT_T0_E_clISt17integral_constantIbLb1EESW_EEDaSR_SS_EUlSR_E0_NS1_11comp_targetILNS1_3genE0ELNS1_11target_archE4294967295ELNS1_3gpuE0ELNS1_3repE0EEENS1_30default_config_static_selectorELNS0_4arch9wavefront6targetE0EEEvT1_,@function
_ZN7rocprim17ROCPRIM_400000_NS6detail17trampoline_kernelINS0_14default_configENS1_20scan_config_selectorIfEEZZNS1_9scan_implILNS1_25lookback_scan_determinismE0ELb0ELb0ES3_PKfPffZZZN2at6native31launch_logcumsumexp_cuda_kernelERKNSB_10TensorBaseESF_lENKUlvE_clEvENKUlvE0_clEvEUlffE_fEEDaPvRmT3_T4_T5_mT6_P12ihipStream_tbENKUlT_T0_E_clISt17integral_constantIbLb1EESW_EEDaSR_SS_EUlSR_E0_NS1_11comp_targetILNS1_3genE0ELNS1_11target_archE4294967295ELNS1_3gpuE0ELNS1_3repE0EEENS1_30default_config_static_selectorELNS0_4arch9wavefront6targetE0EEEvT1_: ; @_ZN7rocprim17ROCPRIM_400000_NS6detail17trampoline_kernelINS0_14default_configENS1_20scan_config_selectorIfEEZZNS1_9scan_implILNS1_25lookback_scan_determinismE0ELb0ELb0ES3_PKfPffZZZN2at6native31launch_logcumsumexp_cuda_kernelERKNSB_10TensorBaseESF_lENKUlvE_clEvENKUlvE0_clEvEUlffE_fEEDaPvRmT3_T4_T5_mT6_P12ihipStream_tbENKUlT_T0_E_clISt17integral_constantIbLb1EESW_EEDaSR_SS_EUlSR_E0_NS1_11comp_targetILNS1_3genE0ELNS1_11target_archE4294967295ELNS1_3gpuE0ELNS1_3repE0EEENS1_30default_config_static_selectorELNS0_4arch9wavefront6targetE0EEEvT1_
; %bb.0:
	.section	.rodata,"a",@progbits
	.p2align	6, 0x0
	.amdhsa_kernel _ZN7rocprim17ROCPRIM_400000_NS6detail17trampoline_kernelINS0_14default_configENS1_20scan_config_selectorIfEEZZNS1_9scan_implILNS1_25lookback_scan_determinismE0ELb0ELb0ES3_PKfPffZZZN2at6native31launch_logcumsumexp_cuda_kernelERKNSB_10TensorBaseESF_lENKUlvE_clEvENKUlvE0_clEvEUlffE_fEEDaPvRmT3_T4_T5_mT6_P12ihipStream_tbENKUlT_T0_E_clISt17integral_constantIbLb1EESW_EEDaSR_SS_EUlSR_E0_NS1_11comp_targetILNS1_3genE0ELNS1_11target_archE4294967295ELNS1_3gpuE0ELNS1_3repE0EEENS1_30default_config_static_selectorELNS0_4arch9wavefront6targetE0EEEvT1_
		.amdhsa_group_segment_fixed_size 0
		.amdhsa_private_segment_fixed_size 0
		.amdhsa_kernarg_size 32
		.amdhsa_user_sgpr_count 6
		.amdhsa_user_sgpr_private_segment_buffer 1
		.amdhsa_user_sgpr_dispatch_ptr 0
		.amdhsa_user_sgpr_queue_ptr 0
		.amdhsa_user_sgpr_kernarg_segment_ptr 1
		.amdhsa_user_sgpr_dispatch_id 0
		.amdhsa_user_sgpr_flat_scratch_init 0
		.amdhsa_user_sgpr_private_segment_size 0
		.amdhsa_wavefront_size32 1
		.amdhsa_uses_dynamic_stack 0
		.amdhsa_system_sgpr_private_segment_wavefront_offset 0
		.amdhsa_system_sgpr_workgroup_id_x 1
		.amdhsa_system_sgpr_workgroup_id_y 0
		.amdhsa_system_sgpr_workgroup_id_z 0
		.amdhsa_system_sgpr_workgroup_info 0
		.amdhsa_system_vgpr_workitem_id 0
		.amdhsa_next_free_vgpr 1
		.amdhsa_next_free_sgpr 1
		.amdhsa_reserve_vcc 0
		.amdhsa_reserve_flat_scratch 0
		.amdhsa_float_round_mode_32 0
		.amdhsa_float_round_mode_16_64 0
		.amdhsa_float_denorm_mode_32 3
		.amdhsa_float_denorm_mode_16_64 3
		.amdhsa_dx10_clamp 1
		.amdhsa_ieee_mode 1
		.amdhsa_fp16_overflow 0
		.amdhsa_workgroup_processor_mode 1
		.amdhsa_memory_ordered 1
		.amdhsa_forward_progress 1
		.amdhsa_shared_vgpr_count 0
		.amdhsa_exception_fp_ieee_invalid_op 0
		.amdhsa_exception_fp_denorm_src 0
		.amdhsa_exception_fp_ieee_div_zero 0
		.amdhsa_exception_fp_ieee_overflow 0
		.amdhsa_exception_fp_ieee_underflow 0
		.amdhsa_exception_fp_ieee_inexact 0
		.amdhsa_exception_int_div_zero 0
	.end_amdhsa_kernel
	.section	.text._ZN7rocprim17ROCPRIM_400000_NS6detail17trampoline_kernelINS0_14default_configENS1_20scan_config_selectorIfEEZZNS1_9scan_implILNS1_25lookback_scan_determinismE0ELb0ELb0ES3_PKfPffZZZN2at6native31launch_logcumsumexp_cuda_kernelERKNSB_10TensorBaseESF_lENKUlvE_clEvENKUlvE0_clEvEUlffE_fEEDaPvRmT3_T4_T5_mT6_P12ihipStream_tbENKUlT_T0_E_clISt17integral_constantIbLb1EESW_EEDaSR_SS_EUlSR_E0_NS1_11comp_targetILNS1_3genE0ELNS1_11target_archE4294967295ELNS1_3gpuE0ELNS1_3repE0EEENS1_30default_config_static_selectorELNS0_4arch9wavefront6targetE0EEEvT1_,"axG",@progbits,_ZN7rocprim17ROCPRIM_400000_NS6detail17trampoline_kernelINS0_14default_configENS1_20scan_config_selectorIfEEZZNS1_9scan_implILNS1_25lookback_scan_determinismE0ELb0ELb0ES3_PKfPffZZZN2at6native31launch_logcumsumexp_cuda_kernelERKNSB_10TensorBaseESF_lENKUlvE_clEvENKUlvE0_clEvEUlffE_fEEDaPvRmT3_T4_T5_mT6_P12ihipStream_tbENKUlT_T0_E_clISt17integral_constantIbLb1EESW_EEDaSR_SS_EUlSR_E0_NS1_11comp_targetILNS1_3genE0ELNS1_11target_archE4294967295ELNS1_3gpuE0ELNS1_3repE0EEENS1_30default_config_static_selectorELNS0_4arch9wavefront6targetE0EEEvT1_,comdat
.Lfunc_end124:
	.size	_ZN7rocprim17ROCPRIM_400000_NS6detail17trampoline_kernelINS0_14default_configENS1_20scan_config_selectorIfEEZZNS1_9scan_implILNS1_25lookback_scan_determinismE0ELb0ELb0ES3_PKfPffZZZN2at6native31launch_logcumsumexp_cuda_kernelERKNSB_10TensorBaseESF_lENKUlvE_clEvENKUlvE0_clEvEUlffE_fEEDaPvRmT3_T4_T5_mT6_P12ihipStream_tbENKUlT_T0_E_clISt17integral_constantIbLb1EESW_EEDaSR_SS_EUlSR_E0_NS1_11comp_targetILNS1_3genE0ELNS1_11target_archE4294967295ELNS1_3gpuE0ELNS1_3repE0EEENS1_30default_config_static_selectorELNS0_4arch9wavefront6targetE0EEEvT1_, .Lfunc_end124-_ZN7rocprim17ROCPRIM_400000_NS6detail17trampoline_kernelINS0_14default_configENS1_20scan_config_selectorIfEEZZNS1_9scan_implILNS1_25lookback_scan_determinismE0ELb0ELb0ES3_PKfPffZZZN2at6native31launch_logcumsumexp_cuda_kernelERKNSB_10TensorBaseESF_lENKUlvE_clEvENKUlvE0_clEvEUlffE_fEEDaPvRmT3_T4_T5_mT6_P12ihipStream_tbENKUlT_T0_E_clISt17integral_constantIbLb1EESW_EEDaSR_SS_EUlSR_E0_NS1_11comp_targetILNS1_3genE0ELNS1_11target_archE4294967295ELNS1_3gpuE0ELNS1_3repE0EEENS1_30default_config_static_selectorELNS0_4arch9wavefront6targetE0EEEvT1_
                                        ; -- End function
	.set _ZN7rocprim17ROCPRIM_400000_NS6detail17trampoline_kernelINS0_14default_configENS1_20scan_config_selectorIfEEZZNS1_9scan_implILNS1_25lookback_scan_determinismE0ELb0ELb0ES3_PKfPffZZZN2at6native31launch_logcumsumexp_cuda_kernelERKNSB_10TensorBaseESF_lENKUlvE_clEvENKUlvE0_clEvEUlffE_fEEDaPvRmT3_T4_T5_mT6_P12ihipStream_tbENKUlT_T0_E_clISt17integral_constantIbLb1EESW_EEDaSR_SS_EUlSR_E0_NS1_11comp_targetILNS1_3genE0ELNS1_11target_archE4294967295ELNS1_3gpuE0ELNS1_3repE0EEENS1_30default_config_static_selectorELNS0_4arch9wavefront6targetE0EEEvT1_.num_vgpr, 0
	.set _ZN7rocprim17ROCPRIM_400000_NS6detail17trampoline_kernelINS0_14default_configENS1_20scan_config_selectorIfEEZZNS1_9scan_implILNS1_25lookback_scan_determinismE0ELb0ELb0ES3_PKfPffZZZN2at6native31launch_logcumsumexp_cuda_kernelERKNSB_10TensorBaseESF_lENKUlvE_clEvENKUlvE0_clEvEUlffE_fEEDaPvRmT3_T4_T5_mT6_P12ihipStream_tbENKUlT_T0_E_clISt17integral_constantIbLb1EESW_EEDaSR_SS_EUlSR_E0_NS1_11comp_targetILNS1_3genE0ELNS1_11target_archE4294967295ELNS1_3gpuE0ELNS1_3repE0EEENS1_30default_config_static_selectorELNS0_4arch9wavefront6targetE0EEEvT1_.num_agpr, 0
	.set _ZN7rocprim17ROCPRIM_400000_NS6detail17trampoline_kernelINS0_14default_configENS1_20scan_config_selectorIfEEZZNS1_9scan_implILNS1_25lookback_scan_determinismE0ELb0ELb0ES3_PKfPffZZZN2at6native31launch_logcumsumexp_cuda_kernelERKNSB_10TensorBaseESF_lENKUlvE_clEvENKUlvE0_clEvEUlffE_fEEDaPvRmT3_T4_T5_mT6_P12ihipStream_tbENKUlT_T0_E_clISt17integral_constantIbLb1EESW_EEDaSR_SS_EUlSR_E0_NS1_11comp_targetILNS1_3genE0ELNS1_11target_archE4294967295ELNS1_3gpuE0ELNS1_3repE0EEENS1_30default_config_static_selectorELNS0_4arch9wavefront6targetE0EEEvT1_.numbered_sgpr, 0
	.set _ZN7rocprim17ROCPRIM_400000_NS6detail17trampoline_kernelINS0_14default_configENS1_20scan_config_selectorIfEEZZNS1_9scan_implILNS1_25lookback_scan_determinismE0ELb0ELb0ES3_PKfPffZZZN2at6native31launch_logcumsumexp_cuda_kernelERKNSB_10TensorBaseESF_lENKUlvE_clEvENKUlvE0_clEvEUlffE_fEEDaPvRmT3_T4_T5_mT6_P12ihipStream_tbENKUlT_T0_E_clISt17integral_constantIbLb1EESW_EEDaSR_SS_EUlSR_E0_NS1_11comp_targetILNS1_3genE0ELNS1_11target_archE4294967295ELNS1_3gpuE0ELNS1_3repE0EEENS1_30default_config_static_selectorELNS0_4arch9wavefront6targetE0EEEvT1_.num_named_barrier, 0
	.set _ZN7rocprim17ROCPRIM_400000_NS6detail17trampoline_kernelINS0_14default_configENS1_20scan_config_selectorIfEEZZNS1_9scan_implILNS1_25lookback_scan_determinismE0ELb0ELb0ES3_PKfPffZZZN2at6native31launch_logcumsumexp_cuda_kernelERKNSB_10TensorBaseESF_lENKUlvE_clEvENKUlvE0_clEvEUlffE_fEEDaPvRmT3_T4_T5_mT6_P12ihipStream_tbENKUlT_T0_E_clISt17integral_constantIbLb1EESW_EEDaSR_SS_EUlSR_E0_NS1_11comp_targetILNS1_3genE0ELNS1_11target_archE4294967295ELNS1_3gpuE0ELNS1_3repE0EEENS1_30default_config_static_selectorELNS0_4arch9wavefront6targetE0EEEvT1_.private_seg_size, 0
	.set _ZN7rocprim17ROCPRIM_400000_NS6detail17trampoline_kernelINS0_14default_configENS1_20scan_config_selectorIfEEZZNS1_9scan_implILNS1_25lookback_scan_determinismE0ELb0ELb0ES3_PKfPffZZZN2at6native31launch_logcumsumexp_cuda_kernelERKNSB_10TensorBaseESF_lENKUlvE_clEvENKUlvE0_clEvEUlffE_fEEDaPvRmT3_T4_T5_mT6_P12ihipStream_tbENKUlT_T0_E_clISt17integral_constantIbLb1EESW_EEDaSR_SS_EUlSR_E0_NS1_11comp_targetILNS1_3genE0ELNS1_11target_archE4294967295ELNS1_3gpuE0ELNS1_3repE0EEENS1_30default_config_static_selectorELNS0_4arch9wavefront6targetE0EEEvT1_.uses_vcc, 0
	.set _ZN7rocprim17ROCPRIM_400000_NS6detail17trampoline_kernelINS0_14default_configENS1_20scan_config_selectorIfEEZZNS1_9scan_implILNS1_25lookback_scan_determinismE0ELb0ELb0ES3_PKfPffZZZN2at6native31launch_logcumsumexp_cuda_kernelERKNSB_10TensorBaseESF_lENKUlvE_clEvENKUlvE0_clEvEUlffE_fEEDaPvRmT3_T4_T5_mT6_P12ihipStream_tbENKUlT_T0_E_clISt17integral_constantIbLb1EESW_EEDaSR_SS_EUlSR_E0_NS1_11comp_targetILNS1_3genE0ELNS1_11target_archE4294967295ELNS1_3gpuE0ELNS1_3repE0EEENS1_30default_config_static_selectorELNS0_4arch9wavefront6targetE0EEEvT1_.uses_flat_scratch, 0
	.set _ZN7rocprim17ROCPRIM_400000_NS6detail17trampoline_kernelINS0_14default_configENS1_20scan_config_selectorIfEEZZNS1_9scan_implILNS1_25lookback_scan_determinismE0ELb0ELb0ES3_PKfPffZZZN2at6native31launch_logcumsumexp_cuda_kernelERKNSB_10TensorBaseESF_lENKUlvE_clEvENKUlvE0_clEvEUlffE_fEEDaPvRmT3_T4_T5_mT6_P12ihipStream_tbENKUlT_T0_E_clISt17integral_constantIbLb1EESW_EEDaSR_SS_EUlSR_E0_NS1_11comp_targetILNS1_3genE0ELNS1_11target_archE4294967295ELNS1_3gpuE0ELNS1_3repE0EEENS1_30default_config_static_selectorELNS0_4arch9wavefront6targetE0EEEvT1_.has_dyn_sized_stack, 0
	.set _ZN7rocprim17ROCPRIM_400000_NS6detail17trampoline_kernelINS0_14default_configENS1_20scan_config_selectorIfEEZZNS1_9scan_implILNS1_25lookback_scan_determinismE0ELb0ELb0ES3_PKfPffZZZN2at6native31launch_logcumsumexp_cuda_kernelERKNSB_10TensorBaseESF_lENKUlvE_clEvENKUlvE0_clEvEUlffE_fEEDaPvRmT3_T4_T5_mT6_P12ihipStream_tbENKUlT_T0_E_clISt17integral_constantIbLb1EESW_EEDaSR_SS_EUlSR_E0_NS1_11comp_targetILNS1_3genE0ELNS1_11target_archE4294967295ELNS1_3gpuE0ELNS1_3repE0EEENS1_30default_config_static_selectorELNS0_4arch9wavefront6targetE0EEEvT1_.has_recursion, 0
	.set _ZN7rocprim17ROCPRIM_400000_NS6detail17trampoline_kernelINS0_14default_configENS1_20scan_config_selectorIfEEZZNS1_9scan_implILNS1_25lookback_scan_determinismE0ELb0ELb0ES3_PKfPffZZZN2at6native31launch_logcumsumexp_cuda_kernelERKNSB_10TensorBaseESF_lENKUlvE_clEvENKUlvE0_clEvEUlffE_fEEDaPvRmT3_T4_T5_mT6_P12ihipStream_tbENKUlT_T0_E_clISt17integral_constantIbLb1EESW_EEDaSR_SS_EUlSR_E0_NS1_11comp_targetILNS1_3genE0ELNS1_11target_archE4294967295ELNS1_3gpuE0ELNS1_3repE0EEENS1_30default_config_static_selectorELNS0_4arch9wavefront6targetE0EEEvT1_.has_indirect_call, 0
	.section	.AMDGPU.csdata,"",@progbits
; Kernel info:
; codeLenInByte = 0
; TotalNumSgprs: 0
; NumVgprs: 0
; ScratchSize: 0
; MemoryBound: 0
; FloatMode: 240
; IeeeMode: 1
; LDSByteSize: 0 bytes/workgroup (compile time only)
; SGPRBlocks: 0
; VGPRBlocks: 0
; NumSGPRsForWavesPerEU: 1
; NumVGPRsForWavesPerEU: 1
; Occupancy: 16
; WaveLimiterHint : 0
; COMPUTE_PGM_RSRC2:SCRATCH_EN: 0
; COMPUTE_PGM_RSRC2:USER_SGPR: 6
; COMPUTE_PGM_RSRC2:TRAP_HANDLER: 0
; COMPUTE_PGM_RSRC2:TGID_X_EN: 1
; COMPUTE_PGM_RSRC2:TGID_Y_EN: 0
; COMPUTE_PGM_RSRC2:TGID_Z_EN: 0
; COMPUTE_PGM_RSRC2:TIDIG_COMP_CNT: 0
	.section	.text._ZN7rocprim17ROCPRIM_400000_NS6detail17trampoline_kernelINS0_14default_configENS1_20scan_config_selectorIfEEZZNS1_9scan_implILNS1_25lookback_scan_determinismE0ELb0ELb0ES3_PKfPffZZZN2at6native31launch_logcumsumexp_cuda_kernelERKNSB_10TensorBaseESF_lENKUlvE_clEvENKUlvE0_clEvEUlffE_fEEDaPvRmT3_T4_T5_mT6_P12ihipStream_tbENKUlT_T0_E_clISt17integral_constantIbLb1EESW_EEDaSR_SS_EUlSR_E0_NS1_11comp_targetILNS1_3genE5ELNS1_11target_archE942ELNS1_3gpuE9ELNS1_3repE0EEENS1_30default_config_static_selectorELNS0_4arch9wavefront6targetE0EEEvT1_,"axG",@progbits,_ZN7rocprim17ROCPRIM_400000_NS6detail17trampoline_kernelINS0_14default_configENS1_20scan_config_selectorIfEEZZNS1_9scan_implILNS1_25lookback_scan_determinismE0ELb0ELb0ES3_PKfPffZZZN2at6native31launch_logcumsumexp_cuda_kernelERKNSB_10TensorBaseESF_lENKUlvE_clEvENKUlvE0_clEvEUlffE_fEEDaPvRmT3_T4_T5_mT6_P12ihipStream_tbENKUlT_T0_E_clISt17integral_constantIbLb1EESW_EEDaSR_SS_EUlSR_E0_NS1_11comp_targetILNS1_3genE5ELNS1_11target_archE942ELNS1_3gpuE9ELNS1_3repE0EEENS1_30default_config_static_selectorELNS0_4arch9wavefront6targetE0EEEvT1_,comdat
	.globl	_ZN7rocprim17ROCPRIM_400000_NS6detail17trampoline_kernelINS0_14default_configENS1_20scan_config_selectorIfEEZZNS1_9scan_implILNS1_25lookback_scan_determinismE0ELb0ELb0ES3_PKfPffZZZN2at6native31launch_logcumsumexp_cuda_kernelERKNSB_10TensorBaseESF_lENKUlvE_clEvENKUlvE0_clEvEUlffE_fEEDaPvRmT3_T4_T5_mT6_P12ihipStream_tbENKUlT_T0_E_clISt17integral_constantIbLb1EESW_EEDaSR_SS_EUlSR_E0_NS1_11comp_targetILNS1_3genE5ELNS1_11target_archE942ELNS1_3gpuE9ELNS1_3repE0EEENS1_30default_config_static_selectorELNS0_4arch9wavefront6targetE0EEEvT1_ ; -- Begin function _ZN7rocprim17ROCPRIM_400000_NS6detail17trampoline_kernelINS0_14default_configENS1_20scan_config_selectorIfEEZZNS1_9scan_implILNS1_25lookback_scan_determinismE0ELb0ELb0ES3_PKfPffZZZN2at6native31launch_logcumsumexp_cuda_kernelERKNSB_10TensorBaseESF_lENKUlvE_clEvENKUlvE0_clEvEUlffE_fEEDaPvRmT3_T4_T5_mT6_P12ihipStream_tbENKUlT_T0_E_clISt17integral_constantIbLb1EESW_EEDaSR_SS_EUlSR_E0_NS1_11comp_targetILNS1_3genE5ELNS1_11target_archE942ELNS1_3gpuE9ELNS1_3repE0EEENS1_30default_config_static_selectorELNS0_4arch9wavefront6targetE0EEEvT1_
	.p2align	8
	.type	_ZN7rocprim17ROCPRIM_400000_NS6detail17trampoline_kernelINS0_14default_configENS1_20scan_config_selectorIfEEZZNS1_9scan_implILNS1_25lookback_scan_determinismE0ELb0ELb0ES3_PKfPffZZZN2at6native31launch_logcumsumexp_cuda_kernelERKNSB_10TensorBaseESF_lENKUlvE_clEvENKUlvE0_clEvEUlffE_fEEDaPvRmT3_T4_T5_mT6_P12ihipStream_tbENKUlT_T0_E_clISt17integral_constantIbLb1EESW_EEDaSR_SS_EUlSR_E0_NS1_11comp_targetILNS1_3genE5ELNS1_11target_archE942ELNS1_3gpuE9ELNS1_3repE0EEENS1_30default_config_static_selectorELNS0_4arch9wavefront6targetE0EEEvT1_,@function
_ZN7rocprim17ROCPRIM_400000_NS6detail17trampoline_kernelINS0_14default_configENS1_20scan_config_selectorIfEEZZNS1_9scan_implILNS1_25lookback_scan_determinismE0ELb0ELb0ES3_PKfPffZZZN2at6native31launch_logcumsumexp_cuda_kernelERKNSB_10TensorBaseESF_lENKUlvE_clEvENKUlvE0_clEvEUlffE_fEEDaPvRmT3_T4_T5_mT6_P12ihipStream_tbENKUlT_T0_E_clISt17integral_constantIbLb1EESW_EEDaSR_SS_EUlSR_E0_NS1_11comp_targetILNS1_3genE5ELNS1_11target_archE942ELNS1_3gpuE9ELNS1_3repE0EEENS1_30default_config_static_selectorELNS0_4arch9wavefront6targetE0EEEvT1_: ; @_ZN7rocprim17ROCPRIM_400000_NS6detail17trampoline_kernelINS0_14default_configENS1_20scan_config_selectorIfEEZZNS1_9scan_implILNS1_25lookback_scan_determinismE0ELb0ELb0ES3_PKfPffZZZN2at6native31launch_logcumsumexp_cuda_kernelERKNSB_10TensorBaseESF_lENKUlvE_clEvENKUlvE0_clEvEUlffE_fEEDaPvRmT3_T4_T5_mT6_P12ihipStream_tbENKUlT_T0_E_clISt17integral_constantIbLb1EESW_EEDaSR_SS_EUlSR_E0_NS1_11comp_targetILNS1_3genE5ELNS1_11target_archE942ELNS1_3gpuE9ELNS1_3repE0EEENS1_30default_config_static_selectorELNS0_4arch9wavefront6targetE0EEEvT1_
; %bb.0:
	.section	.rodata,"a",@progbits
	.p2align	6, 0x0
	.amdhsa_kernel _ZN7rocprim17ROCPRIM_400000_NS6detail17trampoline_kernelINS0_14default_configENS1_20scan_config_selectorIfEEZZNS1_9scan_implILNS1_25lookback_scan_determinismE0ELb0ELb0ES3_PKfPffZZZN2at6native31launch_logcumsumexp_cuda_kernelERKNSB_10TensorBaseESF_lENKUlvE_clEvENKUlvE0_clEvEUlffE_fEEDaPvRmT3_T4_T5_mT6_P12ihipStream_tbENKUlT_T0_E_clISt17integral_constantIbLb1EESW_EEDaSR_SS_EUlSR_E0_NS1_11comp_targetILNS1_3genE5ELNS1_11target_archE942ELNS1_3gpuE9ELNS1_3repE0EEENS1_30default_config_static_selectorELNS0_4arch9wavefront6targetE0EEEvT1_
		.amdhsa_group_segment_fixed_size 0
		.amdhsa_private_segment_fixed_size 0
		.amdhsa_kernarg_size 32
		.amdhsa_user_sgpr_count 6
		.amdhsa_user_sgpr_private_segment_buffer 1
		.amdhsa_user_sgpr_dispatch_ptr 0
		.amdhsa_user_sgpr_queue_ptr 0
		.amdhsa_user_sgpr_kernarg_segment_ptr 1
		.amdhsa_user_sgpr_dispatch_id 0
		.amdhsa_user_sgpr_flat_scratch_init 0
		.amdhsa_user_sgpr_private_segment_size 0
		.amdhsa_wavefront_size32 1
		.amdhsa_uses_dynamic_stack 0
		.amdhsa_system_sgpr_private_segment_wavefront_offset 0
		.amdhsa_system_sgpr_workgroup_id_x 1
		.amdhsa_system_sgpr_workgroup_id_y 0
		.amdhsa_system_sgpr_workgroup_id_z 0
		.amdhsa_system_sgpr_workgroup_info 0
		.amdhsa_system_vgpr_workitem_id 0
		.amdhsa_next_free_vgpr 1
		.amdhsa_next_free_sgpr 1
		.amdhsa_reserve_vcc 0
		.amdhsa_reserve_flat_scratch 0
		.amdhsa_float_round_mode_32 0
		.amdhsa_float_round_mode_16_64 0
		.amdhsa_float_denorm_mode_32 3
		.amdhsa_float_denorm_mode_16_64 3
		.amdhsa_dx10_clamp 1
		.amdhsa_ieee_mode 1
		.amdhsa_fp16_overflow 0
		.amdhsa_workgroup_processor_mode 1
		.amdhsa_memory_ordered 1
		.amdhsa_forward_progress 1
		.amdhsa_shared_vgpr_count 0
		.amdhsa_exception_fp_ieee_invalid_op 0
		.amdhsa_exception_fp_denorm_src 0
		.amdhsa_exception_fp_ieee_div_zero 0
		.amdhsa_exception_fp_ieee_overflow 0
		.amdhsa_exception_fp_ieee_underflow 0
		.amdhsa_exception_fp_ieee_inexact 0
		.amdhsa_exception_int_div_zero 0
	.end_amdhsa_kernel
	.section	.text._ZN7rocprim17ROCPRIM_400000_NS6detail17trampoline_kernelINS0_14default_configENS1_20scan_config_selectorIfEEZZNS1_9scan_implILNS1_25lookback_scan_determinismE0ELb0ELb0ES3_PKfPffZZZN2at6native31launch_logcumsumexp_cuda_kernelERKNSB_10TensorBaseESF_lENKUlvE_clEvENKUlvE0_clEvEUlffE_fEEDaPvRmT3_T4_T5_mT6_P12ihipStream_tbENKUlT_T0_E_clISt17integral_constantIbLb1EESW_EEDaSR_SS_EUlSR_E0_NS1_11comp_targetILNS1_3genE5ELNS1_11target_archE942ELNS1_3gpuE9ELNS1_3repE0EEENS1_30default_config_static_selectorELNS0_4arch9wavefront6targetE0EEEvT1_,"axG",@progbits,_ZN7rocprim17ROCPRIM_400000_NS6detail17trampoline_kernelINS0_14default_configENS1_20scan_config_selectorIfEEZZNS1_9scan_implILNS1_25lookback_scan_determinismE0ELb0ELb0ES3_PKfPffZZZN2at6native31launch_logcumsumexp_cuda_kernelERKNSB_10TensorBaseESF_lENKUlvE_clEvENKUlvE0_clEvEUlffE_fEEDaPvRmT3_T4_T5_mT6_P12ihipStream_tbENKUlT_T0_E_clISt17integral_constantIbLb1EESW_EEDaSR_SS_EUlSR_E0_NS1_11comp_targetILNS1_3genE5ELNS1_11target_archE942ELNS1_3gpuE9ELNS1_3repE0EEENS1_30default_config_static_selectorELNS0_4arch9wavefront6targetE0EEEvT1_,comdat
.Lfunc_end125:
	.size	_ZN7rocprim17ROCPRIM_400000_NS6detail17trampoline_kernelINS0_14default_configENS1_20scan_config_selectorIfEEZZNS1_9scan_implILNS1_25lookback_scan_determinismE0ELb0ELb0ES3_PKfPffZZZN2at6native31launch_logcumsumexp_cuda_kernelERKNSB_10TensorBaseESF_lENKUlvE_clEvENKUlvE0_clEvEUlffE_fEEDaPvRmT3_T4_T5_mT6_P12ihipStream_tbENKUlT_T0_E_clISt17integral_constantIbLb1EESW_EEDaSR_SS_EUlSR_E0_NS1_11comp_targetILNS1_3genE5ELNS1_11target_archE942ELNS1_3gpuE9ELNS1_3repE0EEENS1_30default_config_static_selectorELNS0_4arch9wavefront6targetE0EEEvT1_, .Lfunc_end125-_ZN7rocprim17ROCPRIM_400000_NS6detail17trampoline_kernelINS0_14default_configENS1_20scan_config_selectorIfEEZZNS1_9scan_implILNS1_25lookback_scan_determinismE0ELb0ELb0ES3_PKfPffZZZN2at6native31launch_logcumsumexp_cuda_kernelERKNSB_10TensorBaseESF_lENKUlvE_clEvENKUlvE0_clEvEUlffE_fEEDaPvRmT3_T4_T5_mT6_P12ihipStream_tbENKUlT_T0_E_clISt17integral_constantIbLb1EESW_EEDaSR_SS_EUlSR_E0_NS1_11comp_targetILNS1_3genE5ELNS1_11target_archE942ELNS1_3gpuE9ELNS1_3repE0EEENS1_30default_config_static_selectorELNS0_4arch9wavefront6targetE0EEEvT1_
                                        ; -- End function
	.set _ZN7rocprim17ROCPRIM_400000_NS6detail17trampoline_kernelINS0_14default_configENS1_20scan_config_selectorIfEEZZNS1_9scan_implILNS1_25lookback_scan_determinismE0ELb0ELb0ES3_PKfPffZZZN2at6native31launch_logcumsumexp_cuda_kernelERKNSB_10TensorBaseESF_lENKUlvE_clEvENKUlvE0_clEvEUlffE_fEEDaPvRmT3_T4_T5_mT6_P12ihipStream_tbENKUlT_T0_E_clISt17integral_constantIbLb1EESW_EEDaSR_SS_EUlSR_E0_NS1_11comp_targetILNS1_3genE5ELNS1_11target_archE942ELNS1_3gpuE9ELNS1_3repE0EEENS1_30default_config_static_selectorELNS0_4arch9wavefront6targetE0EEEvT1_.num_vgpr, 0
	.set _ZN7rocprim17ROCPRIM_400000_NS6detail17trampoline_kernelINS0_14default_configENS1_20scan_config_selectorIfEEZZNS1_9scan_implILNS1_25lookback_scan_determinismE0ELb0ELb0ES3_PKfPffZZZN2at6native31launch_logcumsumexp_cuda_kernelERKNSB_10TensorBaseESF_lENKUlvE_clEvENKUlvE0_clEvEUlffE_fEEDaPvRmT3_T4_T5_mT6_P12ihipStream_tbENKUlT_T0_E_clISt17integral_constantIbLb1EESW_EEDaSR_SS_EUlSR_E0_NS1_11comp_targetILNS1_3genE5ELNS1_11target_archE942ELNS1_3gpuE9ELNS1_3repE0EEENS1_30default_config_static_selectorELNS0_4arch9wavefront6targetE0EEEvT1_.num_agpr, 0
	.set _ZN7rocprim17ROCPRIM_400000_NS6detail17trampoline_kernelINS0_14default_configENS1_20scan_config_selectorIfEEZZNS1_9scan_implILNS1_25lookback_scan_determinismE0ELb0ELb0ES3_PKfPffZZZN2at6native31launch_logcumsumexp_cuda_kernelERKNSB_10TensorBaseESF_lENKUlvE_clEvENKUlvE0_clEvEUlffE_fEEDaPvRmT3_T4_T5_mT6_P12ihipStream_tbENKUlT_T0_E_clISt17integral_constantIbLb1EESW_EEDaSR_SS_EUlSR_E0_NS1_11comp_targetILNS1_3genE5ELNS1_11target_archE942ELNS1_3gpuE9ELNS1_3repE0EEENS1_30default_config_static_selectorELNS0_4arch9wavefront6targetE0EEEvT1_.numbered_sgpr, 0
	.set _ZN7rocprim17ROCPRIM_400000_NS6detail17trampoline_kernelINS0_14default_configENS1_20scan_config_selectorIfEEZZNS1_9scan_implILNS1_25lookback_scan_determinismE0ELb0ELb0ES3_PKfPffZZZN2at6native31launch_logcumsumexp_cuda_kernelERKNSB_10TensorBaseESF_lENKUlvE_clEvENKUlvE0_clEvEUlffE_fEEDaPvRmT3_T4_T5_mT6_P12ihipStream_tbENKUlT_T0_E_clISt17integral_constantIbLb1EESW_EEDaSR_SS_EUlSR_E0_NS1_11comp_targetILNS1_3genE5ELNS1_11target_archE942ELNS1_3gpuE9ELNS1_3repE0EEENS1_30default_config_static_selectorELNS0_4arch9wavefront6targetE0EEEvT1_.num_named_barrier, 0
	.set _ZN7rocprim17ROCPRIM_400000_NS6detail17trampoline_kernelINS0_14default_configENS1_20scan_config_selectorIfEEZZNS1_9scan_implILNS1_25lookback_scan_determinismE0ELb0ELb0ES3_PKfPffZZZN2at6native31launch_logcumsumexp_cuda_kernelERKNSB_10TensorBaseESF_lENKUlvE_clEvENKUlvE0_clEvEUlffE_fEEDaPvRmT3_T4_T5_mT6_P12ihipStream_tbENKUlT_T0_E_clISt17integral_constantIbLb1EESW_EEDaSR_SS_EUlSR_E0_NS1_11comp_targetILNS1_3genE5ELNS1_11target_archE942ELNS1_3gpuE9ELNS1_3repE0EEENS1_30default_config_static_selectorELNS0_4arch9wavefront6targetE0EEEvT1_.private_seg_size, 0
	.set _ZN7rocprim17ROCPRIM_400000_NS6detail17trampoline_kernelINS0_14default_configENS1_20scan_config_selectorIfEEZZNS1_9scan_implILNS1_25lookback_scan_determinismE0ELb0ELb0ES3_PKfPffZZZN2at6native31launch_logcumsumexp_cuda_kernelERKNSB_10TensorBaseESF_lENKUlvE_clEvENKUlvE0_clEvEUlffE_fEEDaPvRmT3_T4_T5_mT6_P12ihipStream_tbENKUlT_T0_E_clISt17integral_constantIbLb1EESW_EEDaSR_SS_EUlSR_E0_NS1_11comp_targetILNS1_3genE5ELNS1_11target_archE942ELNS1_3gpuE9ELNS1_3repE0EEENS1_30default_config_static_selectorELNS0_4arch9wavefront6targetE0EEEvT1_.uses_vcc, 0
	.set _ZN7rocprim17ROCPRIM_400000_NS6detail17trampoline_kernelINS0_14default_configENS1_20scan_config_selectorIfEEZZNS1_9scan_implILNS1_25lookback_scan_determinismE0ELb0ELb0ES3_PKfPffZZZN2at6native31launch_logcumsumexp_cuda_kernelERKNSB_10TensorBaseESF_lENKUlvE_clEvENKUlvE0_clEvEUlffE_fEEDaPvRmT3_T4_T5_mT6_P12ihipStream_tbENKUlT_T0_E_clISt17integral_constantIbLb1EESW_EEDaSR_SS_EUlSR_E0_NS1_11comp_targetILNS1_3genE5ELNS1_11target_archE942ELNS1_3gpuE9ELNS1_3repE0EEENS1_30default_config_static_selectorELNS0_4arch9wavefront6targetE0EEEvT1_.uses_flat_scratch, 0
	.set _ZN7rocprim17ROCPRIM_400000_NS6detail17trampoline_kernelINS0_14default_configENS1_20scan_config_selectorIfEEZZNS1_9scan_implILNS1_25lookback_scan_determinismE0ELb0ELb0ES3_PKfPffZZZN2at6native31launch_logcumsumexp_cuda_kernelERKNSB_10TensorBaseESF_lENKUlvE_clEvENKUlvE0_clEvEUlffE_fEEDaPvRmT3_T4_T5_mT6_P12ihipStream_tbENKUlT_T0_E_clISt17integral_constantIbLb1EESW_EEDaSR_SS_EUlSR_E0_NS1_11comp_targetILNS1_3genE5ELNS1_11target_archE942ELNS1_3gpuE9ELNS1_3repE0EEENS1_30default_config_static_selectorELNS0_4arch9wavefront6targetE0EEEvT1_.has_dyn_sized_stack, 0
	.set _ZN7rocprim17ROCPRIM_400000_NS6detail17trampoline_kernelINS0_14default_configENS1_20scan_config_selectorIfEEZZNS1_9scan_implILNS1_25lookback_scan_determinismE0ELb0ELb0ES3_PKfPffZZZN2at6native31launch_logcumsumexp_cuda_kernelERKNSB_10TensorBaseESF_lENKUlvE_clEvENKUlvE0_clEvEUlffE_fEEDaPvRmT3_T4_T5_mT6_P12ihipStream_tbENKUlT_T0_E_clISt17integral_constantIbLb1EESW_EEDaSR_SS_EUlSR_E0_NS1_11comp_targetILNS1_3genE5ELNS1_11target_archE942ELNS1_3gpuE9ELNS1_3repE0EEENS1_30default_config_static_selectorELNS0_4arch9wavefront6targetE0EEEvT1_.has_recursion, 0
	.set _ZN7rocprim17ROCPRIM_400000_NS6detail17trampoline_kernelINS0_14default_configENS1_20scan_config_selectorIfEEZZNS1_9scan_implILNS1_25lookback_scan_determinismE0ELb0ELb0ES3_PKfPffZZZN2at6native31launch_logcumsumexp_cuda_kernelERKNSB_10TensorBaseESF_lENKUlvE_clEvENKUlvE0_clEvEUlffE_fEEDaPvRmT3_T4_T5_mT6_P12ihipStream_tbENKUlT_T0_E_clISt17integral_constantIbLb1EESW_EEDaSR_SS_EUlSR_E0_NS1_11comp_targetILNS1_3genE5ELNS1_11target_archE942ELNS1_3gpuE9ELNS1_3repE0EEENS1_30default_config_static_selectorELNS0_4arch9wavefront6targetE0EEEvT1_.has_indirect_call, 0
	.section	.AMDGPU.csdata,"",@progbits
; Kernel info:
; codeLenInByte = 0
; TotalNumSgprs: 0
; NumVgprs: 0
; ScratchSize: 0
; MemoryBound: 0
; FloatMode: 240
; IeeeMode: 1
; LDSByteSize: 0 bytes/workgroup (compile time only)
; SGPRBlocks: 0
; VGPRBlocks: 0
; NumSGPRsForWavesPerEU: 1
; NumVGPRsForWavesPerEU: 1
; Occupancy: 16
; WaveLimiterHint : 0
; COMPUTE_PGM_RSRC2:SCRATCH_EN: 0
; COMPUTE_PGM_RSRC2:USER_SGPR: 6
; COMPUTE_PGM_RSRC2:TRAP_HANDLER: 0
; COMPUTE_PGM_RSRC2:TGID_X_EN: 1
; COMPUTE_PGM_RSRC2:TGID_Y_EN: 0
; COMPUTE_PGM_RSRC2:TGID_Z_EN: 0
; COMPUTE_PGM_RSRC2:TIDIG_COMP_CNT: 0
	.section	.text._ZN7rocprim17ROCPRIM_400000_NS6detail17trampoline_kernelINS0_14default_configENS1_20scan_config_selectorIfEEZZNS1_9scan_implILNS1_25lookback_scan_determinismE0ELb0ELb0ES3_PKfPffZZZN2at6native31launch_logcumsumexp_cuda_kernelERKNSB_10TensorBaseESF_lENKUlvE_clEvENKUlvE0_clEvEUlffE_fEEDaPvRmT3_T4_T5_mT6_P12ihipStream_tbENKUlT_T0_E_clISt17integral_constantIbLb1EESW_EEDaSR_SS_EUlSR_E0_NS1_11comp_targetILNS1_3genE4ELNS1_11target_archE910ELNS1_3gpuE8ELNS1_3repE0EEENS1_30default_config_static_selectorELNS0_4arch9wavefront6targetE0EEEvT1_,"axG",@progbits,_ZN7rocprim17ROCPRIM_400000_NS6detail17trampoline_kernelINS0_14default_configENS1_20scan_config_selectorIfEEZZNS1_9scan_implILNS1_25lookback_scan_determinismE0ELb0ELb0ES3_PKfPffZZZN2at6native31launch_logcumsumexp_cuda_kernelERKNSB_10TensorBaseESF_lENKUlvE_clEvENKUlvE0_clEvEUlffE_fEEDaPvRmT3_T4_T5_mT6_P12ihipStream_tbENKUlT_T0_E_clISt17integral_constantIbLb1EESW_EEDaSR_SS_EUlSR_E0_NS1_11comp_targetILNS1_3genE4ELNS1_11target_archE910ELNS1_3gpuE8ELNS1_3repE0EEENS1_30default_config_static_selectorELNS0_4arch9wavefront6targetE0EEEvT1_,comdat
	.globl	_ZN7rocprim17ROCPRIM_400000_NS6detail17trampoline_kernelINS0_14default_configENS1_20scan_config_selectorIfEEZZNS1_9scan_implILNS1_25lookback_scan_determinismE0ELb0ELb0ES3_PKfPffZZZN2at6native31launch_logcumsumexp_cuda_kernelERKNSB_10TensorBaseESF_lENKUlvE_clEvENKUlvE0_clEvEUlffE_fEEDaPvRmT3_T4_T5_mT6_P12ihipStream_tbENKUlT_T0_E_clISt17integral_constantIbLb1EESW_EEDaSR_SS_EUlSR_E0_NS1_11comp_targetILNS1_3genE4ELNS1_11target_archE910ELNS1_3gpuE8ELNS1_3repE0EEENS1_30default_config_static_selectorELNS0_4arch9wavefront6targetE0EEEvT1_ ; -- Begin function _ZN7rocprim17ROCPRIM_400000_NS6detail17trampoline_kernelINS0_14default_configENS1_20scan_config_selectorIfEEZZNS1_9scan_implILNS1_25lookback_scan_determinismE0ELb0ELb0ES3_PKfPffZZZN2at6native31launch_logcumsumexp_cuda_kernelERKNSB_10TensorBaseESF_lENKUlvE_clEvENKUlvE0_clEvEUlffE_fEEDaPvRmT3_T4_T5_mT6_P12ihipStream_tbENKUlT_T0_E_clISt17integral_constantIbLb1EESW_EEDaSR_SS_EUlSR_E0_NS1_11comp_targetILNS1_3genE4ELNS1_11target_archE910ELNS1_3gpuE8ELNS1_3repE0EEENS1_30default_config_static_selectorELNS0_4arch9wavefront6targetE0EEEvT1_
	.p2align	8
	.type	_ZN7rocprim17ROCPRIM_400000_NS6detail17trampoline_kernelINS0_14default_configENS1_20scan_config_selectorIfEEZZNS1_9scan_implILNS1_25lookback_scan_determinismE0ELb0ELb0ES3_PKfPffZZZN2at6native31launch_logcumsumexp_cuda_kernelERKNSB_10TensorBaseESF_lENKUlvE_clEvENKUlvE0_clEvEUlffE_fEEDaPvRmT3_T4_T5_mT6_P12ihipStream_tbENKUlT_T0_E_clISt17integral_constantIbLb1EESW_EEDaSR_SS_EUlSR_E0_NS1_11comp_targetILNS1_3genE4ELNS1_11target_archE910ELNS1_3gpuE8ELNS1_3repE0EEENS1_30default_config_static_selectorELNS0_4arch9wavefront6targetE0EEEvT1_,@function
_ZN7rocprim17ROCPRIM_400000_NS6detail17trampoline_kernelINS0_14default_configENS1_20scan_config_selectorIfEEZZNS1_9scan_implILNS1_25lookback_scan_determinismE0ELb0ELb0ES3_PKfPffZZZN2at6native31launch_logcumsumexp_cuda_kernelERKNSB_10TensorBaseESF_lENKUlvE_clEvENKUlvE0_clEvEUlffE_fEEDaPvRmT3_T4_T5_mT6_P12ihipStream_tbENKUlT_T0_E_clISt17integral_constantIbLb1EESW_EEDaSR_SS_EUlSR_E0_NS1_11comp_targetILNS1_3genE4ELNS1_11target_archE910ELNS1_3gpuE8ELNS1_3repE0EEENS1_30default_config_static_selectorELNS0_4arch9wavefront6targetE0EEEvT1_: ; @_ZN7rocprim17ROCPRIM_400000_NS6detail17trampoline_kernelINS0_14default_configENS1_20scan_config_selectorIfEEZZNS1_9scan_implILNS1_25lookback_scan_determinismE0ELb0ELb0ES3_PKfPffZZZN2at6native31launch_logcumsumexp_cuda_kernelERKNSB_10TensorBaseESF_lENKUlvE_clEvENKUlvE0_clEvEUlffE_fEEDaPvRmT3_T4_T5_mT6_P12ihipStream_tbENKUlT_T0_E_clISt17integral_constantIbLb1EESW_EEDaSR_SS_EUlSR_E0_NS1_11comp_targetILNS1_3genE4ELNS1_11target_archE910ELNS1_3gpuE8ELNS1_3repE0EEENS1_30default_config_static_selectorELNS0_4arch9wavefront6targetE0EEEvT1_
; %bb.0:
	.section	.rodata,"a",@progbits
	.p2align	6, 0x0
	.amdhsa_kernel _ZN7rocprim17ROCPRIM_400000_NS6detail17trampoline_kernelINS0_14default_configENS1_20scan_config_selectorIfEEZZNS1_9scan_implILNS1_25lookback_scan_determinismE0ELb0ELb0ES3_PKfPffZZZN2at6native31launch_logcumsumexp_cuda_kernelERKNSB_10TensorBaseESF_lENKUlvE_clEvENKUlvE0_clEvEUlffE_fEEDaPvRmT3_T4_T5_mT6_P12ihipStream_tbENKUlT_T0_E_clISt17integral_constantIbLb1EESW_EEDaSR_SS_EUlSR_E0_NS1_11comp_targetILNS1_3genE4ELNS1_11target_archE910ELNS1_3gpuE8ELNS1_3repE0EEENS1_30default_config_static_selectorELNS0_4arch9wavefront6targetE0EEEvT1_
		.amdhsa_group_segment_fixed_size 0
		.amdhsa_private_segment_fixed_size 0
		.amdhsa_kernarg_size 32
		.amdhsa_user_sgpr_count 6
		.amdhsa_user_sgpr_private_segment_buffer 1
		.amdhsa_user_sgpr_dispatch_ptr 0
		.amdhsa_user_sgpr_queue_ptr 0
		.amdhsa_user_sgpr_kernarg_segment_ptr 1
		.amdhsa_user_sgpr_dispatch_id 0
		.amdhsa_user_sgpr_flat_scratch_init 0
		.amdhsa_user_sgpr_private_segment_size 0
		.amdhsa_wavefront_size32 1
		.amdhsa_uses_dynamic_stack 0
		.amdhsa_system_sgpr_private_segment_wavefront_offset 0
		.amdhsa_system_sgpr_workgroup_id_x 1
		.amdhsa_system_sgpr_workgroup_id_y 0
		.amdhsa_system_sgpr_workgroup_id_z 0
		.amdhsa_system_sgpr_workgroup_info 0
		.amdhsa_system_vgpr_workitem_id 0
		.amdhsa_next_free_vgpr 1
		.amdhsa_next_free_sgpr 1
		.amdhsa_reserve_vcc 0
		.amdhsa_reserve_flat_scratch 0
		.amdhsa_float_round_mode_32 0
		.amdhsa_float_round_mode_16_64 0
		.amdhsa_float_denorm_mode_32 3
		.amdhsa_float_denorm_mode_16_64 3
		.amdhsa_dx10_clamp 1
		.amdhsa_ieee_mode 1
		.amdhsa_fp16_overflow 0
		.amdhsa_workgroup_processor_mode 1
		.amdhsa_memory_ordered 1
		.amdhsa_forward_progress 1
		.amdhsa_shared_vgpr_count 0
		.amdhsa_exception_fp_ieee_invalid_op 0
		.amdhsa_exception_fp_denorm_src 0
		.amdhsa_exception_fp_ieee_div_zero 0
		.amdhsa_exception_fp_ieee_overflow 0
		.amdhsa_exception_fp_ieee_underflow 0
		.amdhsa_exception_fp_ieee_inexact 0
		.amdhsa_exception_int_div_zero 0
	.end_amdhsa_kernel
	.section	.text._ZN7rocprim17ROCPRIM_400000_NS6detail17trampoline_kernelINS0_14default_configENS1_20scan_config_selectorIfEEZZNS1_9scan_implILNS1_25lookback_scan_determinismE0ELb0ELb0ES3_PKfPffZZZN2at6native31launch_logcumsumexp_cuda_kernelERKNSB_10TensorBaseESF_lENKUlvE_clEvENKUlvE0_clEvEUlffE_fEEDaPvRmT3_T4_T5_mT6_P12ihipStream_tbENKUlT_T0_E_clISt17integral_constantIbLb1EESW_EEDaSR_SS_EUlSR_E0_NS1_11comp_targetILNS1_3genE4ELNS1_11target_archE910ELNS1_3gpuE8ELNS1_3repE0EEENS1_30default_config_static_selectorELNS0_4arch9wavefront6targetE0EEEvT1_,"axG",@progbits,_ZN7rocprim17ROCPRIM_400000_NS6detail17trampoline_kernelINS0_14default_configENS1_20scan_config_selectorIfEEZZNS1_9scan_implILNS1_25lookback_scan_determinismE0ELb0ELb0ES3_PKfPffZZZN2at6native31launch_logcumsumexp_cuda_kernelERKNSB_10TensorBaseESF_lENKUlvE_clEvENKUlvE0_clEvEUlffE_fEEDaPvRmT3_T4_T5_mT6_P12ihipStream_tbENKUlT_T0_E_clISt17integral_constantIbLb1EESW_EEDaSR_SS_EUlSR_E0_NS1_11comp_targetILNS1_3genE4ELNS1_11target_archE910ELNS1_3gpuE8ELNS1_3repE0EEENS1_30default_config_static_selectorELNS0_4arch9wavefront6targetE0EEEvT1_,comdat
.Lfunc_end126:
	.size	_ZN7rocprim17ROCPRIM_400000_NS6detail17trampoline_kernelINS0_14default_configENS1_20scan_config_selectorIfEEZZNS1_9scan_implILNS1_25lookback_scan_determinismE0ELb0ELb0ES3_PKfPffZZZN2at6native31launch_logcumsumexp_cuda_kernelERKNSB_10TensorBaseESF_lENKUlvE_clEvENKUlvE0_clEvEUlffE_fEEDaPvRmT3_T4_T5_mT6_P12ihipStream_tbENKUlT_T0_E_clISt17integral_constantIbLb1EESW_EEDaSR_SS_EUlSR_E0_NS1_11comp_targetILNS1_3genE4ELNS1_11target_archE910ELNS1_3gpuE8ELNS1_3repE0EEENS1_30default_config_static_selectorELNS0_4arch9wavefront6targetE0EEEvT1_, .Lfunc_end126-_ZN7rocprim17ROCPRIM_400000_NS6detail17trampoline_kernelINS0_14default_configENS1_20scan_config_selectorIfEEZZNS1_9scan_implILNS1_25lookback_scan_determinismE0ELb0ELb0ES3_PKfPffZZZN2at6native31launch_logcumsumexp_cuda_kernelERKNSB_10TensorBaseESF_lENKUlvE_clEvENKUlvE0_clEvEUlffE_fEEDaPvRmT3_T4_T5_mT6_P12ihipStream_tbENKUlT_T0_E_clISt17integral_constantIbLb1EESW_EEDaSR_SS_EUlSR_E0_NS1_11comp_targetILNS1_3genE4ELNS1_11target_archE910ELNS1_3gpuE8ELNS1_3repE0EEENS1_30default_config_static_selectorELNS0_4arch9wavefront6targetE0EEEvT1_
                                        ; -- End function
	.set _ZN7rocprim17ROCPRIM_400000_NS6detail17trampoline_kernelINS0_14default_configENS1_20scan_config_selectorIfEEZZNS1_9scan_implILNS1_25lookback_scan_determinismE0ELb0ELb0ES3_PKfPffZZZN2at6native31launch_logcumsumexp_cuda_kernelERKNSB_10TensorBaseESF_lENKUlvE_clEvENKUlvE0_clEvEUlffE_fEEDaPvRmT3_T4_T5_mT6_P12ihipStream_tbENKUlT_T0_E_clISt17integral_constantIbLb1EESW_EEDaSR_SS_EUlSR_E0_NS1_11comp_targetILNS1_3genE4ELNS1_11target_archE910ELNS1_3gpuE8ELNS1_3repE0EEENS1_30default_config_static_selectorELNS0_4arch9wavefront6targetE0EEEvT1_.num_vgpr, 0
	.set _ZN7rocprim17ROCPRIM_400000_NS6detail17trampoline_kernelINS0_14default_configENS1_20scan_config_selectorIfEEZZNS1_9scan_implILNS1_25lookback_scan_determinismE0ELb0ELb0ES3_PKfPffZZZN2at6native31launch_logcumsumexp_cuda_kernelERKNSB_10TensorBaseESF_lENKUlvE_clEvENKUlvE0_clEvEUlffE_fEEDaPvRmT3_T4_T5_mT6_P12ihipStream_tbENKUlT_T0_E_clISt17integral_constantIbLb1EESW_EEDaSR_SS_EUlSR_E0_NS1_11comp_targetILNS1_3genE4ELNS1_11target_archE910ELNS1_3gpuE8ELNS1_3repE0EEENS1_30default_config_static_selectorELNS0_4arch9wavefront6targetE0EEEvT1_.num_agpr, 0
	.set _ZN7rocprim17ROCPRIM_400000_NS6detail17trampoline_kernelINS0_14default_configENS1_20scan_config_selectorIfEEZZNS1_9scan_implILNS1_25lookback_scan_determinismE0ELb0ELb0ES3_PKfPffZZZN2at6native31launch_logcumsumexp_cuda_kernelERKNSB_10TensorBaseESF_lENKUlvE_clEvENKUlvE0_clEvEUlffE_fEEDaPvRmT3_T4_T5_mT6_P12ihipStream_tbENKUlT_T0_E_clISt17integral_constantIbLb1EESW_EEDaSR_SS_EUlSR_E0_NS1_11comp_targetILNS1_3genE4ELNS1_11target_archE910ELNS1_3gpuE8ELNS1_3repE0EEENS1_30default_config_static_selectorELNS0_4arch9wavefront6targetE0EEEvT1_.numbered_sgpr, 0
	.set _ZN7rocprim17ROCPRIM_400000_NS6detail17trampoline_kernelINS0_14default_configENS1_20scan_config_selectorIfEEZZNS1_9scan_implILNS1_25lookback_scan_determinismE0ELb0ELb0ES3_PKfPffZZZN2at6native31launch_logcumsumexp_cuda_kernelERKNSB_10TensorBaseESF_lENKUlvE_clEvENKUlvE0_clEvEUlffE_fEEDaPvRmT3_T4_T5_mT6_P12ihipStream_tbENKUlT_T0_E_clISt17integral_constantIbLb1EESW_EEDaSR_SS_EUlSR_E0_NS1_11comp_targetILNS1_3genE4ELNS1_11target_archE910ELNS1_3gpuE8ELNS1_3repE0EEENS1_30default_config_static_selectorELNS0_4arch9wavefront6targetE0EEEvT1_.num_named_barrier, 0
	.set _ZN7rocprim17ROCPRIM_400000_NS6detail17trampoline_kernelINS0_14default_configENS1_20scan_config_selectorIfEEZZNS1_9scan_implILNS1_25lookback_scan_determinismE0ELb0ELb0ES3_PKfPffZZZN2at6native31launch_logcumsumexp_cuda_kernelERKNSB_10TensorBaseESF_lENKUlvE_clEvENKUlvE0_clEvEUlffE_fEEDaPvRmT3_T4_T5_mT6_P12ihipStream_tbENKUlT_T0_E_clISt17integral_constantIbLb1EESW_EEDaSR_SS_EUlSR_E0_NS1_11comp_targetILNS1_3genE4ELNS1_11target_archE910ELNS1_3gpuE8ELNS1_3repE0EEENS1_30default_config_static_selectorELNS0_4arch9wavefront6targetE0EEEvT1_.private_seg_size, 0
	.set _ZN7rocprim17ROCPRIM_400000_NS6detail17trampoline_kernelINS0_14default_configENS1_20scan_config_selectorIfEEZZNS1_9scan_implILNS1_25lookback_scan_determinismE0ELb0ELb0ES3_PKfPffZZZN2at6native31launch_logcumsumexp_cuda_kernelERKNSB_10TensorBaseESF_lENKUlvE_clEvENKUlvE0_clEvEUlffE_fEEDaPvRmT3_T4_T5_mT6_P12ihipStream_tbENKUlT_T0_E_clISt17integral_constantIbLb1EESW_EEDaSR_SS_EUlSR_E0_NS1_11comp_targetILNS1_3genE4ELNS1_11target_archE910ELNS1_3gpuE8ELNS1_3repE0EEENS1_30default_config_static_selectorELNS0_4arch9wavefront6targetE0EEEvT1_.uses_vcc, 0
	.set _ZN7rocprim17ROCPRIM_400000_NS6detail17trampoline_kernelINS0_14default_configENS1_20scan_config_selectorIfEEZZNS1_9scan_implILNS1_25lookback_scan_determinismE0ELb0ELb0ES3_PKfPffZZZN2at6native31launch_logcumsumexp_cuda_kernelERKNSB_10TensorBaseESF_lENKUlvE_clEvENKUlvE0_clEvEUlffE_fEEDaPvRmT3_T4_T5_mT6_P12ihipStream_tbENKUlT_T0_E_clISt17integral_constantIbLb1EESW_EEDaSR_SS_EUlSR_E0_NS1_11comp_targetILNS1_3genE4ELNS1_11target_archE910ELNS1_3gpuE8ELNS1_3repE0EEENS1_30default_config_static_selectorELNS0_4arch9wavefront6targetE0EEEvT1_.uses_flat_scratch, 0
	.set _ZN7rocprim17ROCPRIM_400000_NS6detail17trampoline_kernelINS0_14default_configENS1_20scan_config_selectorIfEEZZNS1_9scan_implILNS1_25lookback_scan_determinismE0ELb0ELb0ES3_PKfPffZZZN2at6native31launch_logcumsumexp_cuda_kernelERKNSB_10TensorBaseESF_lENKUlvE_clEvENKUlvE0_clEvEUlffE_fEEDaPvRmT3_T4_T5_mT6_P12ihipStream_tbENKUlT_T0_E_clISt17integral_constantIbLb1EESW_EEDaSR_SS_EUlSR_E0_NS1_11comp_targetILNS1_3genE4ELNS1_11target_archE910ELNS1_3gpuE8ELNS1_3repE0EEENS1_30default_config_static_selectorELNS0_4arch9wavefront6targetE0EEEvT1_.has_dyn_sized_stack, 0
	.set _ZN7rocprim17ROCPRIM_400000_NS6detail17trampoline_kernelINS0_14default_configENS1_20scan_config_selectorIfEEZZNS1_9scan_implILNS1_25lookback_scan_determinismE0ELb0ELb0ES3_PKfPffZZZN2at6native31launch_logcumsumexp_cuda_kernelERKNSB_10TensorBaseESF_lENKUlvE_clEvENKUlvE0_clEvEUlffE_fEEDaPvRmT3_T4_T5_mT6_P12ihipStream_tbENKUlT_T0_E_clISt17integral_constantIbLb1EESW_EEDaSR_SS_EUlSR_E0_NS1_11comp_targetILNS1_3genE4ELNS1_11target_archE910ELNS1_3gpuE8ELNS1_3repE0EEENS1_30default_config_static_selectorELNS0_4arch9wavefront6targetE0EEEvT1_.has_recursion, 0
	.set _ZN7rocprim17ROCPRIM_400000_NS6detail17trampoline_kernelINS0_14default_configENS1_20scan_config_selectorIfEEZZNS1_9scan_implILNS1_25lookback_scan_determinismE0ELb0ELb0ES3_PKfPffZZZN2at6native31launch_logcumsumexp_cuda_kernelERKNSB_10TensorBaseESF_lENKUlvE_clEvENKUlvE0_clEvEUlffE_fEEDaPvRmT3_T4_T5_mT6_P12ihipStream_tbENKUlT_T0_E_clISt17integral_constantIbLb1EESW_EEDaSR_SS_EUlSR_E0_NS1_11comp_targetILNS1_3genE4ELNS1_11target_archE910ELNS1_3gpuE8ELNS1_3repE0EEENS1_30default_config_static_selectorELNS0_4arch9wavefront6targetE0EEEvT1_.has_indirect_call, 0
	.section	.AMDGPU.csdata,"",@progbits
; Kernel info:
; codeLenInByte = 0
; TotalNumSgprs: 0
; NumVgprs: 0
; ScratchSize: 0
; MemoryBound: 0
; FloatMode: 240
; IeeeMode: 1
; LDSByteSize: 0 bytes/workgroup (compile time only)
; SGPRBlocks: 0
; VGPRBlocks: 0
; NumSGPRsForWavesPerEU: 1
; NumVGPRsForWavesPerEU: 1
; Occupancy: 16
; WaveLimiterHint : 0
; COMPUTE_PGM_RSRC2:SCRATCH_EN: 0
; COMPUTE_PGM_RSRC2:USER_SGPR: 6
; COMPUTE_PGM_RSRC2:TRAP_HANDLER: 0
; COMPUTE_PGM_RSRC2:TGID_X_EN: 1
; COMPUTE_PGM_RSRC2:TGID_Y_EN: 0
; COMPUTE_PGM_RSRC2:TGID_Z_EN: 0
; COMPUTE_PGM_RSRC2:TIDIG_COMP_CNT: 0
	.section	.text._ZN7rocprim17ROCPRIM_400000_NS6detail17trampoline_kernelINS0_14default_configENS1_20scan_config_selectorIfEEZZNS1_9scan_implILNS1_25lookback_scan_determinismE0ELb0ELb0ES3_PKfPffZZZN2at6native31launch_logcumsumexp_cuda_kernelERKNSB_10TensorBaseESF_lENKUlvE_clEvENKUlvE0_clEvEUlffE_fEEDaPvRmT3_T4_T5_mT6_P12ihipStream_tbENKUlT_T0_E_clISt17integral_constantIbLb1EESW_EEDaSR_SS_EUlSR_E0_NS1_11comp_targetILNS1_3genE3ELNS1_11target_archE908ELNS1_3gpuE7ELNS1_3repE0EEENS1_30default_config_static_selectorELNS0_4arch9wavefront6targetE0EEEvT1_,"axG",@progbits,_ZN7rocprim17ROCPRIM_400000_NS6detail17trampoline_kernelINS0_14default_configENS1_20scan_config_selectorIfEEZZNS1_9scan_implILNS1_25lookback_scan_determinismE0ELb0ELb0ES3_PKfPffZZZN2at6native31launch_logcumsumexp_cuda_kernelERKNSB_10TensorBaseESF_lENKUlvE_clEvENKUlvE0_clEvEUlffE_fEEDaPvRmT3_T4_T5_mT6_P12ihipStream_tbENKUlT_T0_E_clISt17integral_constantIbLb1EESW_EEDaSR_SS_EUlSR_E0_NS1_11comp_targetILNS1_3genE3ELNS1_11target_archE908ELNS1_3gpuE7ELNS1_3repE0EEENS1_30default_config_static_selectorELNS0_4arch9wavefront6targetE0EEEvT1_,comdat
	.globl	_ZN7rocprim17ROCPRIM_400000_NS6detail17trampoline_kernelINS0_14default_configENS1_20scan_config_selectorIfEEZZNS1_9scan_implILNS1_25lookback_scan_determinismE0ELb0ELb0ES3_PKfPffZZZN2at6native31launch_logcumsumexp_cuda_kernelERKNSB_10TensorBaseESF_lENKUlvE_clEvENKUlvE0_clEvEUlffE_fEEDaPvRmT3_T4_T5_mT6_P12ihipStream_tbENKUlT_T0_E_clISt17integral_constantIbLb1EESW_EEDaSR_SS_EUlSR_E0_NS1_11comp_targetILNS1_3genE3ELNS1_11target_archE908ELNS1_3gpuE7ELNS1_3repE0EEENS1_30default_config_static_selectorELNS0_4arch9wavefront6targetE0EEEvT1_ ; -- Begin function _ZN7rocprim17ROCPRIM_400000_NS6detail17trampoline_kernelINS0_14default_configENS1_20scan_config_selectorIfEEZZNS1_9scan_implILNS1_25lookback_scan_determinismE0ELb0ELb0ES3_PKfPffZZZN2at6native31launch_logcumsumexp_cuda_kernelERKNSB_10TensorBaseESF_lENKUlvE_clEvENKUlvE0_clEvEUlffE_fEEDaPvRmT3_T4_T5_mT6_P12ihipStream_tbENKUlT_T0_E_clISt17integral_constantIbLb1EESW_EEDaSR_SS_EUlSR_E0_NS1_11comp_targetILNS1_3genE3ELNS1_11target_archE908ELNS1_3gpuE7ELNS1_3repE0EEENS1_30default_config_static_selectorELNS0_4arch9wavefront6targetE0EEEvT1_
	.p2align	8
	.type	_ZN7rocprim17ROCPRIM_400000_NS6detail17trampoline_kernelINS0_14default_configENS1_20scan_config_selectorIfEEZZNS1_9scan_implILNS1_25lookback_scan_determinismE0ELb0ELb0ES3_PKfPffZZZN2at6native31launch_logcumsumexp_cuda_kernelERKNSB_10TensorBaseESF_lENKUlvE_clEvENKUlvE0_clEvEUlffE_fEEDaPvRmT3_T4_T5_mT6_P12ihipStream_tbENKUlT_T0_E_clISt17integral_constantIbLb1EESW_EEDaSR_SS_EUlSR_E0_NS1_11comp_targetILNS1_3genE3ELNS1_11target_archE908ELNS1_3gpuE7ELNS1_3repE0EEENS1_30default_config_static_selectorELNS0_4arch9wavefront6targetE0EEEvT1_,@function
_ZN7rocprim17ROCPRIM_400000_NS6detail17trampoline_kernelINS0_14default_configENS1_20scan_config_selectorIfEEZZNS1_9scan_implILNS1_25lookback_scan_determinismE0ELb0ELb0ES3_PKfPffZZZN2at6native31launch_logcumsumexp_cuda_kernelERKNSB_10TensorBaseESF_lENKUlvE_clEvENKUlvE0_clEvEUlffE_fEEDaPvRmT3_T4_T5_mT6_P12ihipStream_tbENKUlT_T0_E_clISt17integral_constantIbLb1EESW_EEDaSR_SS_EUlSR_E0_NS1_11comp_targetILNS1_3genE3ELNS1_11target_archE908ELNS1_3gpuE7ELNS1_3repE0EEENS1_30default_config_static_selectorELNS0_4arch9wavefront6targetE0EEEvT1_: ; @_ZN7rocprim17ROCPRIM_400000_NS6detail17trampoline_kernelINS0_14default_configENS1_20scan_config_selectorIfEEZZNS1_9scan_implILNS1_25lookback_scan_determinismE0ELb0ELb0ES3_PKfPffZZZN2at6native31launch_logcumsumexp_cuda_kernelERKNSB_10TensorBaseESF_lENKUlvE_clEvENKUlvE0_clEvEUlffE_fEEDaPvRmT3_T4_T5_mT6_P12ihipStream_tbENKUlT_T0_E_clISt17integral_constantIbLb1EESW_EEDaSR_SS_EUlSR_E0_NS1_11comp_targetILNS1_3genE3ELNS1_11target_archE908ELNS1_3gpuE7ELNS1_3repE0EEENS1_30default_config_static_selectorELNS0_4arch9wavefront6targetE0EEEvT1_
; %bb.0:
	.section	.rodata,"a",@progbits
	.p2align	6, 0x0
	.amdhsa_kernel _ZN7rocprim17ROCPRIM_400000_NS6detail17trampoline_kernelINS0_14default_configENS1_20scan_config_selectorIfEEZZNS1_9scan_implILNS1_25lookback_scan_determinismE0ELb0ELb0ES3_PKfPffZZZN2at6native31launch_logcumsumexp_cuda_kernelERKNSB_10TensorBaseESF_lENKUlvE_clEvENKUlvE0_clEvEUlffE_fEEDaPvRmT3_T4_T5_mT6_P12ihipStream_tbENKUlT_T0_E_clISt17integral_constantIbLb1EESW_EEDaSR_SS_EUlSR_E0_NS1_11comp_targetILNS1_3genE3ELNS1_11target_archE908ELNS1_3gpuE7ELNS1_3repE0EEENS1_30default_config_static_selectorELNS0_4arch9wavefront6targetE0EEEvT1_
		.amdhsa_group_segment_fixed_size 0
		.amdhsa_private_segment_fixed_size 0
		.amdhsa_kernarg_size 32
		.amdhsa_user_sgpr_count 6
		.amdhsa_user_sgpr_private_segment_buffer 1
		.amdhsa_user_sgpr_dispatch_ptr 0
		.amdhsa_user_sgpr_queue_ptr 0
		.amdhsa_user_sgpr_kernarg_segment_ptr 1
		.amdhsa_user_sgpr_dispatch_id 0
		.amdhsa_user_sgpr_flat_scratch_init 0
		.amdhsa_user_sgpr_private_segment_size 0
		.amdhsa_wavefront_size32 1
		.amdhsa_uses_dynamic_stack 0
		.amdhsa_system_sgpr_private_segment_wavefront_offset 0
		.amdhsa_system_sgpr_workgroup_id_x 1
		.amdhsa_system_sgpr_workgroup_id_y 0
		.amdhsa_system_sgpr_workgroup_id_z 0
		.amdhsa_system_sgpr_workgroup_info 0
		.amdhsa_system_vgpr_workitem_id 0
		.amdhsa_next_free_vgpr 1
		.amdhsa_next_free_sgpr 1
		.amdhsa_reserve_vcc 0
		.amdhsa_reserve_flat_scratch 0
		.amdhsa_float_round_mode_32 0
		.amdhsa_float_round_mode_16_64 0
		.amdhsa_float_denorm_mode_32 3
		.amdhsa_float_denorm_mode_16_64 3
		.amdhsa_dx10_clamp 1
		.amdhsa_ieee_mode 1
		.amdhsa_fp16_overflow 0
		.amdhsa_workgroup_processor_mode 1
		.amdhsa_memory_ordered 1
		.amdhsa_forward_progress 1
		.amdhsa_shared_vgpr_count 0
		.amdhsa_exception_fp_ieee_invalid_op 0
		.amdhsa_exception_fp_denorm_src 0
		.amdhsa_exception_fp_ieee_div_zero 0
		.amdhsa_exception_fp_ieee_overflow 0
		.amdhsa_exception_fp_ieee_underflow 0
		.amdhsa_exception_fp_ieee_inexact 0
		.amdhsa_exception_int_div_zero 0
	.end_amdhsa_kernel
	.section	.text._ZN7rocprim17ROCPRIM_400000_NS6detail17trampoline_kernelINS0_14default_configENS1_20scan_config_selectorIfEEZZNS1_9scan_implILNS1_25lookback_scan_determinismE0ELb0ELb0ES3_PKfPffZZZN2at6native31launch_logcumsumexp_cuda_kernelERKNSB_10TensorBaseESF_lENKUlvE_clEvENKUlvE0_clEvEUlffE_fEEDaPvRmT3_T4_T5_mT6_P12ihipStream_tbENKUlT_T0_E_clISt17integral_constantIbLb1EESW_EEDaSR_SS_EUlSR_E0_NS1_11comp_targetILNS1_3genE3ELNS1_11target_archE908ELNS1_3gpuE7ELNS1_3repE0EEENS1_30default_config_static_selectorELNS0_4arch9wavefront6targetE0EEEvT1_,"axG",@progbits,_ZN7rocprim17ROCPRIM_400000_NS6detail17trampoline_kernelINS0_14default_configENS1_20scan_config_selectorIfEEZZNS1_9scan_implILNS1_25lookback_scan_determinismE0ELb0ELb0ES3_PKfPffZZZN2at6native31launch_logcumsumexp_cuda_kernelERKNSB_10TensorBaseESF_lENKUlvE_clEvENKUlvE0_clEvEUlffE_fEEDaPvRmT3_T4_T5_mT6_P12ihipStream_tbENKUlT_T0_E_clISt17integral_constantIbLb1EESW_EEDaSR_SS_EUlSR_E0_NS1_11comp_targetILNS1_3genE3ELNS1_11target_archE908ELNS1_3gpuE7ELNS1_3repE0EEENS1_30default_config_static_selectorELNS0_4arch9wavefront6targetE0EEEvT1_,comdat
.Lfunc_end127:
	.size	_ZN7rocprim17ROCPRIM_400000_NS6detail17trampoline_kernelINS0_14default_configENS1_20scan_config_selectorIfEEZZNS1_9scan_implILNS1_25lookback_scan_determinismE0ELb0ELb0ES3_PKfPffZZZN2at6native31launch_logcumsumexp_cuda_kernelERKNSB_10TensorBaseESF_lENKUlvE_clEvENKUlvE0_clEvEUlffE_fEEDaPvRmT3_T4_T5_mT6_P12ihipStream_tbENKUlT_T0_E_clISt17integral_constantIbLb1EESW_EEDaSR_SS_EUlSR_E0_NS1_11comp_targetILNS1_3genE3ELNS1_11target_archE908ELNS1_3gpuE7ELNS1_3repE0EEENS1_30default_config_static_selectorELNS0_4arch9wavefront6targetE0EEEvT1_, .Lfunc_end127-_ZN7rocprim17ROCPRIM_400000_NS6detail17trampoline_kernelINS0_14default_configENS1_20scan_config_selectorIfEEZZNS1_9scan_implILNS1_25lookback_scan_determinismE0ELb0ELb0ES3_PKfPffZZZN2at6native31launch_logcumsumexp_cuda_kernelERKNSB_10TensorBaseESF_lENKUlvE_clEvENKUlvE0_clEvEUlffE_fEEDaPvRmT3_T4_T5_mT6_P12ihipStream_tbENKUlT_T0_E_clISt17integral_constantIbLb1EESW_EEDaSR_SS_EUlSR_E0_NS1_11comp_targetILNS1_3genE3ELNS1_11target_archE908ELNS1_3gpuE7ELNS1_3repE0EEENS1_30default_config_static_selectorELNS0_4arch9wavefront6targetE0EEEvT1_
                                        ; -- End function
	.set _ZN7rocprim17ROCPRIM_400000_NS6detail17trampoline_kernelINS0_14default_configENS1_20scan_config_selectorIfEEZZNS1_9scan_implILNS1_25lookback_scan_determinismE0ELb0ELb0ES3_PKfPffZZZN2at6native31launch_logcumsumexp_cuda_kernelERKNSB_10TensorBaseESF_lENKUlvE_clEvENKUlvE0_clEvEUlffE_fEEDaPvRmT3_T4_T5_mT6_P12ihipStream_tbENKUlT_T0_E_clISt17integral_constantIbLb1EESW_EEDaSR_SS_EUlSR_E0_NS1_11comp_targetILNS1_3genE3ELNS1_11target_archE908ELNS1_3gpuE7ELNS1_3repE0EEENS1_30default_config_static_selectorELNS0_4arch9wavefront6targetE0EEEvT1_.num_vgpr, 0
	.set _ZN7rocprim17ROCPRIM_400000_NS6detail17trampoline_kernelINS0_14default_configENS1_20scan_config_selectorIfEEZZNS1_9scan_implILNS1_25lookback_scan_determinismE0ELb0ELb0ES3_PKfPffZZZN2at6native31launch_logcumsumexp_cuda_kernelERKNSB_10TensorBaseESF_lENKUlvE_clEvENKUlvE0_clEvEUlffE_fEEDaPvRmT3_T4_T5_mT6_P12ihipStream_tbENKUlT_T0_E_clISt17integral_constantIbLb1EESW_EEDaSR_SS_EUlSR_E0_NS1_11comp_targetILNS1_3genE3ELNS1_11target_archE908ELNS1_3gpuE7ELNS1_3repE0EEENS1_30default_config_static_selectorELNS0_4arch9wavefront6targetE0EEEvT1_.num_agpr, 0
	.set _ZN7rocprim17ROCPRIM_400000_NS6detail17trampoline_kernelINS0_14default_configENS1_20scan_config_selectorIfEEZZNS1_9scan_implILNS1_25lookback_scan_determinismE0ELb0ELb0ES3_PKfPffZZZN2at6native31launch_logcumsumexp_cuda_kernelERKNSB_10TensorBaseESF_lENKUlvE_clEvENKUlvE0_clEvEUlffE_fEEDaPvRmT3_T4_T5_mT6_P12ihipStream_tbENKUlT_T0_E_clISt17integral_constantIbLb1EESW_EEDaSR_SS_EUlSR_E0_NS1_11comp_targetILNS1_3genE3ELNS1_11target_archE908ELNS1_3gpuE7ELNS1_3repE0EEENS1_30default_config_static_selectorELNS0_4arch9wavefront6targetE0EEEvT1_.numbered_sgpr, 0
	.set _ZN7rocprim17ROCPRIM_400000_NS6detail17trampoline_kernelINS0_14default_configENS1_20scan_config_selectorIfEEZZNS1_9scan_implILNS1_25lookback_scan_determinismE0ELb0ELb0ES3_PKfPffZZZN2at6native31launch_logcumsumexp_cuda_kernelERKNSB_10TensorBaseESF_lENKUlvE_clEvENKUlvE0_clEvEUlffE_fEEDaPvRmT3_T4_T5_mT6_P12ihipStream_tbENKUlT_T0_E_clISt17integral_constantIbLb1EESW_EEDaSR_SS_EUlSR_E0_NS1_11comp_targetILNS1_3genE3ELNS1_11target_archE908ELNS1_3gpuE7ELNS1_3repE0EEENS1_30default_config_static_selectorELNS0_4arch9wavefront6targetE0EEEvT1_.num_named_barrier, 0
	.set _ZN7rocprim17ROCPRIM_400000_NS6detail17trampoline_kernelINS0_14default_configENS1_20scan_config_selectorIfEEZZNS1_9scan_implILNS1_25lookback_scan_determinismE0ELb0ELb0ES3_PKfPffZZZN2at6native31launch_logcumsumexp_cuda_kernelERKNSB_10TensorBaseESF_lENKUlvE_clEvENKUlvE0_clEvEUlffE_fEEDaPvRmT3_T4_T5_mT6_P12ihipStream_tbENKUlT_T0_E_clISt17integral_constantIbLb1EESW_EEDaSR_SS_EUlSR_E0_NS1_11comp_targetILNS1_3genE3ELNS1_11target_archE908ELNS1_3gpuE7ELNS1_3repE0EEENS1_30default_config_static_selectorELNS0_4arch9wavefront6targetE0EEEvT1_.private_seg_size, 0
	.set _ZN7rocprim17ROCPRIM_400000_NS6detail17trampoline_kernelINS0_14default_configENS1_20scan_config_selectorIfEEZZNS1_9scan_implILNS1_25lookback_scan_determinismE0ELb0ELb0ES3_PKfPffZZZN2at6native31launch_logcumsumexp_cuda_kernelERKNSB_10TensorBaseESF_lENKUlvE_clEvENKUlvE0_clEvEUlffE_fEEDaPvRmT3_T4_T5_mT6_P12ihipStream_tbENKUlT_T0_E_clISt17integral_constantIbLb1EESW_EEDaSR_SS_EUlSR_E0_NS1_11comp_targetILNS1_3genE3ELNS1_11target_archE908ELNS1_3gpuE7ELNS1_3repE0EEENS1_30default_config_static_selectorELNS0_4arch9wavefront6targetE0EEEvT1_.uses_vcc, 0
	.set _ZN7rocprim17ROCPRIM_400000_NS6detail17trampoline_kernelINS0_14default_configENS1_20scan_config_selectorIfEEZZNS1_9scan_implILNS1_25lookback_scan_determinismE0ELb0ELb0ES3_PKfPffZZZN2at6native31launch_logcumsumexp_cuda_kernelERKNSB_10TensorBaseESF_lENKUlvE_clEvENKUlvE0_clEvEUlffE_fEEDaPvRmT3_T4_T5_mT6_P12ihipStream_tbENKUlT_T0_E_clISt17integral_constantIbLb1EESW_EEDaSR_SS_EUlSR_E0_NS1_11comp_targetILNS1_3genE3ELNS1_11target_archE908ELNS1_3gpuE7ELNS1_3repE0EEENS1_30default_config_static_selectorELNS0_4arch9wavefront6targetE0EEEvT1_.uses_flat_scratch, 0
	.set _ZN7rocprim17ROCPRIM_400000_NS6detail17trampoline_kernelINS0_14default_configENS1_20scan_config_selectorIfEEZZNS1_9scan_implILNS1_25lookback_scan_determinismE0ELb0ELb0ES3_PKfPffZZZN2at6native31launch_logcumsumexp_cuda_kernelERKNSB_10TensorBaseESF_lENKUlvE_clEvENKUlvE0_clEvEUlffE_fEEDaPvRmT3_T4_T5_mT6_P12ihipStream_tbENKUlT_T0_E_clISt17integral_constantIbLb1EESW_EEDaSR_SS_EUlSR_E0_NS1_11comp_targetILNS1_3genE3ELNS1_11target_archE908ELNS1_3gpuE7ELNS1_3repE0EEENS1_30default_config_static_selectorELNS0_4arch9wavefront6targetE0EEEvT1_.has_dyn_sized_stack, 0
	.set _ZN7rocprim17ROCPRIM_400000_NS6detail17trampoline_kernelINS0_14default_configENS1_20scan_config_selectorIfEEZZNS1_9scan_implILNS1_25lookback_scan_determinismE0ELb0ELb0ES3_PKfPffZZZN2at6native31launch_logcumsumexp_cuda_kernelERKNSB_10TensorBaseESF_lENKUlvE_clEvENKUlvE0_clEvEUlffE_fEEDaPvRmT3_T4_T5_mT6_P12ihipStream_tbENKUlT_T0_E_clISt17integral_constantIbLb1EESW_EEDaSR_SS_EUlSR_E0_NS1_11comp_targetILNS1_3genE3ELNS1_11target_archE908ELNS1_3gpuE7ELNS1_3repE0EEENS1_30default_config_static_selectorELNS0_4arch9wavefront6targetE0EEEvT1_.has_recursion, 0
	.set _ZN7rocprim17ROCPRIM_400000_NS6detail17trampoline_kernelINS0_14default_configENS1_20scan_config_selectorIfEEZZNS1_9scan_implILNS1_25lookback_scan_determinismE0ELb0ELb0ES3_PKfPffZZZN2at6native31launch_logcumsumexp_cuda_kernelERKNSB_10TensorBaseESF_lENKUlvE_clEvENKUlvE0_clEvEUlffE_fEEDaPvRmT3_T4_T5_mT6_P12ihipStream_tbENKUlT_T0_E_clISt17integral_constantIbLb1EESW_EEDaSR_SS_EUlSR_E0_NS1_11comp_targetILNS1_3genE3ELNS1_11target_archE908ELNS1_3gpuE7ELNS1_3repE0EEENS1_30default_config_static_selectorELNS0_4arch9wavefront6targetE0EEEvT1_.has_indirect_call, 0
	.section	.AMDGPU.csdata,"",@progbits
; Kernel info:
; codeLenInByte = 0
; TotalNumSgprs: 0
; NumVgprs: 0
; ScratchSize: 0
; MemoryBound: 0
; FloatMode: 240
; IeeeMode: 1
; LDSByteSize: 0 bytes/workgroup (compile time only)
; SGPRBlocks: 0
; VGPRBlocks: 0
; NumSGPRsForWavesPerEU: 1
; NumVGPRsForWavesPerEU: 1
; Occupancy: 16
; WaveLimiterHint : 0
; COMPUTE_PGM_RSRC2:SCRATCH_EN: 0
; COMPUTE_PGM_RSRC2:USER_SGPR: 6
; COMPUTE_PGM_RSRC2:TRAP_HANDLER: 0
; COMPUTE_PGM_RSRC2:TGID_X_EN: 1
; COMPUTE_PGM_RSRC2:TGID_Y_EN: 0
; COMPUTE_PGM_RSRC2:TGID_Z_EN: 0
; COMPUTE_PGM_RSRC2:TIDIG_COMP_CNT: 0
	.section	.text._ZN7rocprim17ROCPRIM_400000_NS6detail17trampoline_kernelINS0_14default_configENS1_20scan_config_selectorIfEEZZNS1_9scan_implILNS1_25lookback_scan_determinismE0ELb0ELb0ES3_PKfPffZZZN2at6native31launch_logcumsumexp_cuda_kernelERKNSB_10TensorBaseESF_lENKUlvE_clEvENKUlvE0_clEvEUlffE_fEEDaPvRmT3_T4_T5_mT6_P12ihipStream_tbENKUlT_T0_E_clISt17integral_constantIbLb1EESW_EEDaSR_SS_EUlSR_E0_NS1_11comp_targetILNS1_3genE2ELNS1_11target_archE906ELNS1_3gpuE6ELNS1_3repE0EEENS1_30default_config_static_selectorELNS0_4arch9wavefront6targetE0EEEvT1_,"axG",@progbits,_ZN7rocprim17ROCPRIM_400000_NS6detail17trampoline_kernelINS0_14default_configENS1_20scan_config_selectorIfEEZZNS1_9scan_implILNS1_25lookback_scan_determinismE0ELb0ELb0ES3_PKfPffZZZN2at6native31launch_logcumsumexp_cuda_kernelERKNSB_10TensorBaseESF_lENKUlvE_clEvENKUlvE0_clEvEUlffE_fEEDaPvRmT3_T4_T5_mT6_P12ihipStream_tbENKUlT_T0_E_clISt17integral_constantIbLb1EESW_EEDaSR_SS_EUlSR_E0_NS1_11comp_targetILNS1_3genE2ELNS1_11target_archE906ELNS1_3gpuE6ELNS1_3repE0EEENS1_30default_config_static_selectorELNS0_4arch9wavefront6targetE0EEEvT1_,comdat
	.globl	_ZN7rocprim17ROCPRIM_400000_NS6detail17trampoline_kernelINS0_14default_configENS1_20scan_config_selectorIfEEZZNS1_9scan_implILNS1_25lookback_scan_determinismE0ELb0ELb0ES3_PKfPffZZZN2at6native31launch_logcumsumexp_cuda_kernelERKNSB_10TensorBaseESF_lENKUlvE_clEvENKUlvE0_clEvEUlffE_fEEDaPvRmT3_T4_T5_mT6_P12ihipStream_tbENKUlT_T0_E_clISt17integral_constantIbLb1EESW_EEDaSR_SS_EUlSR_E0_NS1_11comp_targetILNS1_3genE2ELNS1_11target_archE906ELNS1_3gpuE6ELNS1_3repE0EEENS1_30default_config_static_selectorELNS0_4arch9wavefront6targetE0EEEvT1_ ; -- Begin function _ZN7rocprim17ROCPRIM_400000_NS6detail17trampoline_kernelINS0_14default_configENS1_20scan_config_selectorIfEEZZNS1_9scan_implILNS1_25lookback_scan_determinismE0ELb0ELb0ES3_PKfPffZZZN2at6native31launch_logcumsumexp_cuda_kernelERKNSB_10TensorBaseESF_lENKUlvE_clEvENKUlvE0_clEvEUlffE_fEEDaPvRmT3_T4_T5_mT6_P12ihipStream_tbENKUlT_T0_E_clISt17integral_constantIbLb1EESW_EEDaSR_SS_EUlSR_E0_NS1_11comp_targetILNS1_3genE2ELNS1_11target_archE906ELNS1_3gpuE6ELNS1_3repE0EEENS1_30default_config_static_selectorELNS0_4arch9wavefront6targetE0EEEvT1_
	.p2align	8
	.type	_ZN7rocprim17ROCPRIM_400000_NS6detail17trampoline_kernelINS0_14default_configENS1_20scan_config_selectorIfEEZZNS1_9scan_implILNS1_25lookback_scan_determinismE0ELb0ELb0ES3_PKfPffZZZN2at6native31launch_logcumsumexp_cuda_kernelERKNSB_10TensorBaseESF_lENKUlvE_clEvENKUlvE0_clEvEUlffE_fEEDaPvRmT3_T4_T5_mT6_P12ihipStream_tbENKUlT_T0_E_clISt17integral_constantIbLb1EESW_EEDaSR_SS_EUlSR_E0_NS1_11comp_targetILNS1_3genE2ELNS1_11target_archE906ELNS1_3gpuE6ELNS1_3repE0EEENS1_30default_config_static_selectorELNS0_4arch9wavefront6targetE0EEEvT1_,@function
_ZN7rocprim17ROCPRIM_400000_NS6detail17trampoline_kernelINS0_14default_configENS1_20scan_config_selectorIfEEZZNS1_9scan_implILNS1_25lookback_scan_determinismE0ELb0ELb0ES3_PKfPffZZZN2at6native31launch_logcumsumexp_cuda_kernelERKNSB_10TensorBaseESF_lENKUlvE_clEvENKUlvE0_clEvEUlffE_fEEDaPvRmT3_T4_T5_mT6_P12ihipStream_tbENKUlT_T0_E_clISt17integral_constantIbLb1EESW_EEDaSR_SS_EUlSR_E0_NS1_11comp_targetILNS1_3genE2ELNS1_11target_archE906ELNS1_3gpuE6ELNS1_3repE0EEENS1_30default_config_static_selectorELNS0_4arch9wavefront6targetE0EEEvT1_: ; @_ZN7rocprim17ROCPRIM_400000_NS6detail17trampoline_kernelINS0_14default_configENS1_20scan_config_selectorIfEEZZNS1_9scan_implILNS1_25lookback_scan_determinismE0ELb0ELb0ES3_PKfPffZZZN2at6native31launch_logcumsumexp_cuda_kernelERKNSB_10TensorBaseESF_lENKUlvE_clEvENKUlvE0_clEvEUlffE_fEEDaPvRmT3_T4_T5_mT6_P12ihipStream_tbENKUlT_T0_E_clISt17integral_constantIbLb1EESW_EEDaSR_SS_EUlSR_E0_NS1_11comp_targetILNS1_3genE2ELNS1_11target_archE906ELNS1_3gpuE6ELNS1_3repE0EEENS1_30default_config_static_selectorELNS0_4arch9wavefront6targetE0EEEvT1_
; %bb.0:
	.section	.rodata,"a",@progbits
	.p2align	6, 0x0
	.amdhsa_kernel _ZN7rocprim17ROCPRIM_400000_NS6detail17trampoline_kernelINS0_14default_configENS1_20scan_config_selectorIfEEZZNS1_9scan_implILNS1_25lookback_scan_determinismE0ELb0ELb0ES3_PKfPffZZZN2at6native31launch_logcumsumexp_cuda_kernelERKNSB_10TensorBaseESF_lENKUlvE_clEvENKUlvE0_clEvEUlffE_fEEDaPvRmT3_T4_T5_mT6_P12ihipStream_tbENKUlT_T0_E_clISt17integral_constantIbLb1EESW_EEDaSR_SS_EUlSR_E0_NS1_11comp_targetILNS1_3genE2ELNS1_11target_archE906ELNS1_3gpuE6ELNS1_3repE0EEENS1_30default_config_static_selectorELNS0_4arch9wavefront6targetE0EEEvT1_
		.amdhsa_group_segment_fixed_size 0
		.amdhsa_private_segment_fixed_size 0
		.amdhsa_kernarg_size 32
		.amdhsa_user_sgpr_count 6
		.amdhsa_user_sgpr_private_segment_buffer 1
		.amdhsa_user_sgpr_dispatch_ptr 0
		.amdhsa_user_sgpr_queue_ptr 0
		.amdhsa_user_sgpr_kernarg_segment_ptr 1
		.amdhsa_user_sgpr_dispatch_id 0
		.amdhsa_user_sgpr_flat_scratch_init 0
		.amdhsa_user_sgpr_private_segment_size 0
		.amdhsa_wavefront_size32 1
		.amdhsa_uses_dynamic_stack 0
		.amdhsa_system_sgpr_private_segment_wavefront_offset 0
		.amdhsa_system_sgpr_workgroup_id_x 1
		.amdhsa_system_sgpr_workgroup_id_y 0
		.amdhsa_system_sgpr_workgroup_id_z 0
		.amdhsa_system_sgpr_workgroup_info 0
		.amdhsa_system_vgpr_workitem_id 0
		.amdhsa_next_free_vgpr 1
		.amdhsa_next_free_sgpr 1
		.amdhsa_reserve_vcc 0
		.amdhsa_reserve_flat_scratch 0
		.amdhsa_float_round_mode_32 0
		.amdhsa_float_round_mode_16_64 0
		.amdhsa_float_denorm_mode_32 3
		.amdhsa_float_denorm_mode_16_64 3
		.amdhsa_dx10_clamp 1
		.amdhsa_ieee_mode 1
		.amdhsa_fp16_overflow 0
		.amdhsa_workgroup_processor_mode 1
		.amdhsa_memory_ordered 1
		.amdhsa_forward_progress 1
		.amdhsa_shared_vgpr_count 0
		.amdhsa_exception_fp_ieee_invalid_op 0
		.amdhsa_exception_fp_denorm_src 0
		.amdhsa_exception_fp_ieee_div_zero 0
		.amdhsa_exception_fp_ieee_overflow 0
		.amdhsa_exception_fp_ieee_underflow 0
		.amdhsa_exception_fp_ieee_inexact 0
		.amdhsa_exception_int_div_zero 0
	.end_amdhsa_kernel
	.section	.text._ZN7rocprim17ROCPRIM_400000_NS6detail17trampoline_kernelINS0_14default_configENS1_20scan_config_selectorIfEEZZNS1_9scan_implILNS1_25lookback_scan_determinismE0ELb0ELb0ES3_PKfPffZZZN2at6native31launch_logcumsumexp_cuda_kernelERKNSB_10TensorBaseESF_lENKUlvE_clEvENKUlvE0_clEvEUlffE_fEEDaPvRmT3_T4_T5_mT6_P12ihipStream_tbENKUlT_T0_E_clISt17integral_constantIbLb1EESW_EEDaSR_SS_EUlSR_E0_NS1_11comp_targetILNS1_3genE2ELNS1_11target_archE906ELNS1_3gpuE6ELNS1_3repE0EEENS1_30default_config_static_selectorELNS0_4arch9wavefront6targetE0EEEvT1_,"axG",@progbits,_ZN7rocprim17ROCPRIM_400000_NS6detail17trampoline_kernelINS0_14default_configENS1_20scan_config_selectorIfEEZZNS1_9scan_implILNS1_25lookback_scan_determinismE0ELb0ELb0ES3_PKfPffZZZN2at6native31launch_logcumsumexp_cuda_kernelERKNSB_10TensorBaseESF_lENKUlvE_clEvENKUlvE0_clEvEUlffE_fEEDaPvRmT3_T4_T5_mT6_P12ihipStream_tbENKUlT_T0_E_clISt17integral_constantIbLb1EESW_EEDaSR_SS_EUlSR_E0_NS1_11comp_targetILNS1_3genE2ELNS1_11target_archE906ELNS1_3gpuE6ELNS1_3repE0EEENS1_30default_config_static_selectorELNS0_4arch9wavefront6targetE0EEEvT1_,comdat
.Lfunc_end128:
	.size	_ZN7rocprim17ROCPRIM_400000_NS6detail17trampoline_kernelINS0_14default_configENS1_20scan_config_selectorIfEEZZNS1_9scan_implILNS1_25lookback_scan_determinismE0ELb0ELb0ES3_PKfPffZZZN2at6native31launch_logcumsumexp_cuda_kernelERKNSB_10TensorBaseESF_lENKUlvE_clEvENKUlvE0_clEvEUlffE_fEEDaPvRmT3_T4_T5_mT6_P12ihipStream_tbENKUlT_T0_E_clISt17integral_constantIbLb1EESW_EEDaSR_SS_EUlSR_E0_NS1_11comp_targetILNS1_3genE2ELNS1_11target_archE906ELNS1_3gpuE6ELNS1_3repE0EEENS1_30default_config_static_selectorELNS0_4arch9wavefront6targetE0EEEvT1_, .Lfunc_end128-_ZN7rocprim17ROCPRIM_400000_NS6detail17trampoline_kernelINS0_14default_configENS1_20scan_config_selectorIfEEZZNS1_9scan_implILNS1_25lookback_scan_determinismE0ELb0ELb0ES3_PKfPffZZZN2at6native31launch_logcumsumexp_cuda_kernelERKNSB_10TensorBaseESF_lENKUlvE_clEvENKUlvE0_clEvEUlffE_fEEDaPvRmT3_T4_T5_mT6_P12ihipStream_tbENKUlT_T0_E_clISt17integral_constantIbLb1EESW_EEDaSR_SS_EUlSR_E0_NS1_11comp_targetILNS1_3genE2ELNS1_11target_archE906ELNS1_3gpuE6ELNS1_3repE0EEENS1_30default_config_static_selectorELNS0_4arch9wavefront6targetE0EEEvT1_
                                        ; -- End function
	.set _ZN7rocprim17ROCPRIM_400000_NS6detail17trampoline_kernelINS0_14default_configENS1_20scan_config_selectorIfEEZZNS1_9scan_implILNS1_25lookback_scan_determinismE0ELb0ELb0ES3_PKfPffZZZN2at6native31launch_logcumsumexp_cuda_kernelERKNSB_10TensorBaseESF_lENKUlvE_clEvENKUlvE0_clEvEUlffE_fEEDaPvRmT3_T4_T5_mT6_P12ihipStream_tbENKUlT_T0_E_clISt17integral_constantIbLb1EESW_EEDaSR_SS_EUlSR_E0_NS1_11comp_targetILNS1_3genE2ELNS1_11target_archE906ELNS1_3gpuE6ELNS1_3repE0EEENS1_30default_config_static_selectorELNS0_4arch9wavefront6targetE0EEEvT1_.num_vgpr, 0
	.set _ZN7rocprim17ROCPRIM_400000_NS6detail17trampoline_kernelINS0_14default_configENS1_20scan_config_selectorIfEEZZNS1_9scan_implILNS1_25lookback_scan_determinismE0ELb0ELb0ES3_PKfPffZZZN2at6native31launch_logcumsumexp_cuda_kernelERKNSB_10TensorBaseESF_lENKUlvE_clEvENKUlvE0_clEvEUlffE_fEEDaPvRmT3_T4_T5_mT6_P12ihipStream_tbENKUlT_T0_E_clISt17integral_constantIbLb1EESW_EEDaSR_SS_EUlSR_E0_NS1_11comp_targetILNS1_3genE2ELNS1_11target_archE906ELNS1_3gpuE6ELNS1_3repE0EEENS1_30default_config_static_selectorELNS0_4arch9wavefront6targetE0EEEvT1_.num_agpr, 0
	.set _ZN7rocprim17ROCPRIM_400000_NS6detail17trampoline_kernelINS0_14default_configENS1_20scan_config_selectorIfEEZZNS1_9scan_implILNS1_25lookback_scan_determinismE0ELb0ELb0ES3_PKfPffZZZN2at6native31launch_logcumsumexp_cuda_kernelERKNSB_10TensorBaseESF_lENKUlvE_clEvENKUlvE0_clEvEUlffE_fEEDaPvRmT3_T4_T5_mT6_P12ihipStream_tbENKUlT_T0_E_clISt17integral_constantIbLb1EESW_EEDaSR_SS_EUlSR_E0_NS1_11comp_targetILNS1_3genE2ELNS1_11target_archE906ELNS1_3gpuE6ELNS1_3repE0EEENS1_30default_config_static_selectorELNS0_4arch9wavefront6targetE0EEEvT1_.numbered_sgpr, 0
	.set _ZN7rocprim17ROCPRIM_400000_NS6detail17trampoline_kernelINS0_14default_configENS1_20scan_config_selectorIfEEZZNS1_9scan_implILNS1_25lookback_scan_determinismE0ELb0ELb0ES3_PKfPffZZZN2at6native31launch_logcumsumexp_cuda_kernelERKNSB_10TensorBaseESF_lENKUlvE_clEvENKUlvE0_clEvEUlffE_fEEDaPvRmT3_T4_T5_mT6_P12ihipStream_tbENKUlT_T0_E_clISt17integral_constantIbLb1EESW_EEDaSR_SS_EUlSR_E0_NS1_11comp_targetILNS1_3genE2ELNS1_11target_archE906ELNS1_3gpuE6ELNS1_3repE0EEENS1_30default_config_static_selectorELNS0_4arch9wavefront6targetE0EEEvT1_.num_named_barrier, 0
	.set _ZN7rocprim17ROCPRIM_400000_NS6detail17trampoline_kernelINS0_14default_configENS1_20scan_config_selectorIfEEZZNS1_9scan_implILNS1_25lookback_scan_determinismE0ELb0ELb0ES3_PKfPffZZZN2at6native31launch_logcumsumexp_cuda_kernelERKNSB_10TensorBaseESF_lENKUlvE_clEvENKUlvE0_clEvEUlffE_fEEDaPvRmT3_T4_T5_mT6_P12ihipStream_tbENKUlT_T0_E_clISt17integral_constantIbLb1EESW_EEDaSR_SS_EUlSR_E0_NS1_11comp_targetILNS1_3genE2ELNS1_11target_archE906ELNS1_3gpuE6ELNS1_3repE0EEENS1_30default_config_static_selectorELNS0_4arch9wavefront6targetE0EEEvT1_.private_seg_size, 0
	.set _ZN7rocprim17ROCPRIM_400000_NS6detail17trampoline_kernelINS0_14default_configENS1_20scan_config_selectorIfEEZZNS1_9scan_implILNS1_25lookback_scan_determinismE0ELb0ELb0ES3_PKfPffZZZN2at6native31launch_logcumsumexp_cuda_kernelERKNSB_10TensorBaseESF_lENKUlvE_clEvENKUlvE0_clEvEUlffE_fEEDaPvRmT3_T4_T5_mT6_P12ihipStream_tbENKUlT_T0_E_clISt17integral_constantIbLb1EESW_EEDaSR_SS_EUlSR_E0_NS1_11comp_targetILNS1_3genE2ELNS1_11target_archE906ELNS1_3gpuE6ELNS1_3repE0EEENS1_30default_config_static_selectorELNS0_4arch9wavefront6targetE0EEEvT1_.uses_vcc, 0
	.set _ZN7rocprim17ROCPRIM_400000_NS6detail17trampoline_kernelINS0_14default_configENS1_20scan_config_selectorIfEEZZNS1_9scan_implILNS1_25lookback_scan_determinismE0ELb0ELb0ES3_PKfPffZZZN2at6native31launch_logcumsumexp_cuda_kernelERKNSB_10TensorBaseESF_lENKUlvE_clEvENKUlvE0_clEvEUlffE_fEEDaPvRmT3_T4_T5_mT6_P12ihipStream_tbENKUlT_T0_E_clISt17integral_constantIbLb1EESW_EEDaSR_SS_EUlSR_E0_NS1_11comp_targetILNS1_3genE2ELNS1_11target_archE906ELNS1_3gpuE6ELNS1_3repE0EEENS1_30default_config_static_selectorELNS0_4arch9wavefront6targetE0EEEvT1_.uses_flat_scratch, 0
	.set _ZN7rocprim17ROCPRIM_400000_NS6detail17trampoline_kernelINS0_14default_configENS1_20scan_config_selectorIfEEZZNS1_9scan_implILNS1_25lookback_scan_determinismE0ELb0ELb0ES3_PKfPffZZZN2at6native31launch_logcumsumexp_cuda_kernelERKNSB_10TensorBaseESF_lENKUlvE_clEvENKUlvE0_clEvEUlffE_fEEDaPvRmT3_T4_T5_mT6_P12ihipStream_tbENKUlT_T0_E_clISt17integral_constantIbLb1EESW_EEDaSR_SS_EUlSR_E0_NS1_11comp_targetILNS1_3genE2ELNS1_11target_archE906ELNS1_3gpuE6ELNS1_3repE0EEENS1_30default_config_static_selectorELNS0_4arch9wavefront6targetE0EEEvT1_.has_dyn_sized_stack, 0
	.set _ZN7rocprim17ROCPRIM_400000_NS6detail17trampoline_kernelINS0_14default_configENS1_20scan_config_selectorIfEEZZNS1_9scan_implILNS1_25lookback_scan_determinismE0ELb0ELb0ES3_PKfPffZZZN2at6native31launch_logcumsumexp_cuda_kernelERKNSB_10TensorBaseESF_lENKUlvE_clEvENKUlvE0_clEvEUlffE_fEEDaPvRmT3_T4_T5_mT6_P12ihipStream_tbENKUlT_T0_E_clISt17integral_constantIbLb1EESW_EEDaSR_SS_EUlSR_E0_NS1_11comp_targetILNS1_3genE2ELNS1_11target_archE906ELNS1_3gpuE6ELNS1_3repE0EEENS1_30default_config_static_selectorELNS0_4arch9wavefront6targetE0EEEvT1_.has_recursion, 0
	.set _ZN7rocprim17ROCPRIM_400000_NS6detail17trampoline_kernelINS0_14default_configENS1_20scan_config_selectorIfEEZZNS1_9scan_implILNS1_25lookback_scan_determinismE0ELb0ELb0ES3_PKfPffZZZN2at6native31launch_logcumsumexp_cuda_kernelERKNSB_10TensorBaseESF_lENKUlvE_clEvENKUlvE0_clEvEUlffE_fEEDaPvRmT3_T4_T5_mT6_P12ihipStream_tbENKUlT_T0_E_clISt17integral_constantIbLb1EESW_EEDaSR_SS_EUlSR_E0_NS1_11comp_targetILNS1_3genE2ELNS1_11target_archE906ELNS1_3gpuE6ELNS1_3repE0EEENS1_30default_config_static_selectorELNS0_4arch9wavefront6targetE0EEEvT1_.has_indirect_call, 0
	.section	.AMDGPU.csdata,"",@progbits
; Kernel info:
; codeLenInByte = 0
; TotalNumSgprs: 0
; NumVgprs: 0
; ScratchSize: 0
; MemoryBound: 0
; FloatMode: 240
; IeeeMode: 1
; LDSByteSize: 0 bytes/workgroup (compile time only)
; SGPRBlocks: 0
; VGPRBlocks: 0
; NumSGPRsForWavesPerEU: 1
; NumVGPRsForWavesPerEU: 1
; Occupancy: 16
; WaveLimiterHint : 0
; COMPUTE_PGM_RSRC2:SCRATCH_EN: 0
; COMPUTE_PGM_RSRC2:USER_SGPR: 6
; COMPUTE_PGM_RSRC2:TRAP_HANDLER: 0
; COMPUTE_PGM_RSRC2:TGID_X_EN: 1
; COMPUTE_PGM_RSRC2:TGID_Y_EN: 0
; COMPUTE_PGM_RSRC2:TGID_Z_EN: 0
; COMPUTE_PGM_RSRC2:TIDIG_COMP_CNT: 0
	.section	.text._ZN7rocprim17ROCPRIM_400000_NS6detail17trampoline_kernelINS0_14default_configENS1_20scan_config_selectorIfEEZZNS1_9scan_implILNS1_25lookback_scan_determinismE0ELb0ELb0ES3_PKfPffZZZN2at6native31launch_logcumsumexp_cuda_kernelERKNSB_10TensorBaseESF_lENKUlvE_clEvENKUlvE0_clEvEUlffE_fEEDaPvRmT3_T4_T5_mT6_P12ihipStream_tbENKUlT_T0_E_clISt17integral_constantIbLb1EESW_EEDaSR_SS_EUlSR_E0_NS1_11comp_targetILNS1_3genE10ELNS1_11target_archE1201ELNS1_3gpuE5ELNS1_3repE0EEENS1_30default_config_static_selectorELNS0_4arch9wavefront6targetE0EEEvT1_,"axG",@progbits,_ZN7rocprim17ROCPRIM_400000_NS6detail17trampoline_kernelINS0_14default_configENS1_20scan_config_selectorIfEEZZNS1_9scan_implILNS1_25lookback_scan_determinismE0ELb0ELb0ES3_PKfPffZZZN2at6native31launch_logcumsumexp_cuda_kernelERKNSB_10TensorBaseESF_lENKUlvE_clEvENKUlvE0_clEvEUlffE_fEEDaPvRmT3_T4_T5_mT6_P12ihipStream_tbENKUlT_T0_E_clISt17integral_constantIbLb1EESW_EEDaSR_SS_EUlSR_E0_NS1_11comp_targetILNS1_3genE10ELNS1_11target_archE1201ELNS1_3gpuE5ELNS1_3repE0EEENS1_30default_config_static_selectorELNS0_4arch9wavefront6targetE0EEEvT1_,comdat
	.globl	_ZN7rocprim17ROCPRIM_400000_NS6detail17trampoline_kernelINS0_14default_configENS1_20scan_config_selectorIfEEZZNS1_9scan_implILNS1_25lookback_scan_determinismE0ELb0ELb0ES3_PKfPffZZZN2at6native31launch_logcumsumexp_cuda_kernelERKNSB_10TensorBaseESF_lENKUlvE_clEvENKUlvE0_clEvEUlffE_fEEDaPvRmT3_T4_T5_mT6_P12ihipStream_tbENKUlT_T0_E_clISt17integral_constantIbLb1EESW_EEDaSR_SS_EUlSR_E0_NS1_11comp_targetILNS1_3genE10ELNS1_11target_archE1201ELNS1_3gpuE5ELNS1_3repE0EEENS1_30default_config_static_selectorELNS0_4arch9wavefront6targetE0EEEvT1_ ; -- Begin function _ZN7rocprim17ROCPRIM_400000_NS6detail17trampoline_kernelINS0_14default_configENS1_20scan_config_selectorIfEEZZNS1_9scan_implILNS1_25lookback_scan_determinismE0ELb0ELb0ES3_PKfPffZZZN2at6native31launch_logcumsumexp_cuda_kernelERKNSB_10TensorBaseESF_lENKUlvE_clEvENKUlvE0_clEvEUlffE_fEEDaPvRmT3_T4_T5_mT6_P12ihipStream_tbENKUlT_T0_E_clISt17integral_constantIbLb1EESW_EEDaSR_SS_EUlSR_E0_NS1_11comp_targetILNS1_3genE10ELNS1_11target_archE1201ELNS1_3gpuE5ELNS1_3repE0EEENS1_30default_config_static_selectorELNS0_4arch9wavefront6targetE0EEEvT1_
	.p2align	8
	.type	_ZN7rocprim17ROCPRIM_400000_NS6detail17trampoline_kernelINS0_14default_configENS1_20scan_config_selectorIfEEZZNS1_9scan_implILNS1_25lookback_scan_determinismE0ELb0ELb0ES3_PKfPffZZZN2at6native31launch_logcumsumexp_cuda_kernelERKNSB_10TensorBaseESF_lENKUlvE_clEvENKUlvE0_clEvEUlffE_fEEDaPvRmT3_T4_T5_mT6_P12ihipStream_tbENKUlT_T0_E_clISt17integral_constantIbLb1EESW_EEDaSR_SS_EUlSR_E0_NS1_11comp_targetILNS1_3genE10ELNS1_11target_archE1201ELNS1_3gpuE5ELNS1_3repE0EEENS1_30default_config_static_selectorELNS0_4arch9wavefront6targetE0EEEvT1_,@function
_ZN7rocprim17ROCPRIM_400000_NS6detail17trampoline_kernelINS0_14default_configENS1_20scan_config_selectorIfEEZZNS1_9scan_implILNS1_25lookback_scan_determinismE0ELb0ELb0ES3_PKfPffZZZN2at6native31launch_logcumsumexp_cuda_kernelERKNSB_10TensorBaseESF_lENKUlvE_clEvENKUlvE0_clEvEUlffE_fEEDaPvRmT3_T4_T5_mT6_P12ihipStream_tbENKUlT_T0_E_clISt17integral_constantIbLb1EESW_EEDaSR_SS_EUlSR_E0_NS1_11comp_targetILNS1_3genE10ELNS1_11target_archE1201ELNS1_3gpuE5ELNS1_3repE0EEENS1_30default_config_static_selectorELNS0_4arch9wavefront6targetE0EEEvT1_: ; @_ZN7rocprim17ROCPRIM_400000_NS6detail17trampoline_kernelINS0_14default_configENS1_20scan_config_selectorIfEEZZNS1_9scan_implILNS1_25lookback_scan_determinismE0ELb0ELb0ES3_PKfPffZZZN2at6native31launch_logcumsumexp_cuda_kernelERKNSB_10TensorBaseESF_lENKUlvE_clEvENKUlvE0_clEvEUlffE_fEEDaPvRmT3_T4_T5_mT6_P12ihipStream_tbENKUlT_T0_E_clISt17integral_constantIbLb1EESW_EEDaSR_SS_EUlSR_E0_NS1_11comp_targetILNS1_3genE10ELNS1_11target_archE1201ELNS1_3gpuE5ELNS1_3repE0EEENS1_30default_config_static_selectorELNS0_4arch9wavefront6targetE0EEEvT1_
; %bb.0:
	.section	.rodata,"a",@progbits
	.p2align	6, 0x0
	.amdhsa_kernel _ZN7rocprim17ROCPRIM_400000_NS6detail17trampoline_kernelINS0_14default_configENS1_20scan_config_selectorIfEEZZNS1_9scan_implILNS1_25lookback_scan_determinismE0ELb0ELb0ES3_PKfPffZZZN2at6native31launch_logcumsumexp_cuda_kernelERKNSB_10TensorBaseESF_lENKUlvE_clEvENKUlvE0_clEvEUlffE_fEEDaPvRmT3_T4_T5_mT6_P12ihipStream_tbENKUlT_T0_E_clISt17integral_constantIbLb1EESW_EEDaSR_SS_EUlSR_E0_NS1_11comp_targetILNS1_3genE10ELNS1_11target_archE1201ELNS1_3gpuE5ELNS1_3repE0EEENS1_30default_config_static_selectorELNS0_4arch9wavefront6targetE0EEEvT1_
		.amdhsa_group_segment_fixed_size 0
		.amdhsa_private_segment_fixed_size 0
		.amdhsa_kernarg_size 32
		.amdhsa_user_sgpr_count 6
		.amdhsa_user_sgpr_private_segment_buffer 1
		.amdhsa_user_sgpr_dispatch_ptr 0
		.amdhsa_user_sgpr_queue_ptr 0
		.amdhsa_user_sgpr_kernarg_segment_ptr 1
		.amdhsa_user_sgpr_dispatch_id 0
		.amdhsa_user_sgpr_flat_scratch_init 0
		.amdhsa_user_sgpr_private_segment_size 0
		.amdhsa_wavefront_size32 1
		.amdhsa_uses_dynamic_stack 0
		.amdhsa_system_sgpr_private_segment_wavefront_offset 0
		.amdhsa_system_sgpr_workgroup_id_x 1
		.amdhsa_system_sgpr_workgroup_id_y 0
		.amdhsa_system_sgpr_workgroup_id_z 0
		.amdhsa_system_sgpr_workgroup_info 0
		.amdhsa_system_vgpr_workitem_id 0
		.amdhsa_next_free_vgpr 1
		.amdhsa_next_free_sgpr 1
		.amdhsa_reserve_vcc 0
		.amdhsa_reserve_flat_scratch 0
		.amdhsa_float_round_mode_32 0
		.amdhsa_float_round_mode_16_64 0
		.amdhsa_float_denorm_mode_32 3
		.amdhsa_float_denorm_mode_16_64 3
		.amdhsa_dx10_clamp 1
		.amdhsa_ieee_mode 1
		.amdhsa_fp16_overflow 0
		.amdhsa_workgroup_processor_mode 1
		.amdhsa_memory_ordered 1
		.amdhsa_forward_progress 1
		.amdhsa_shared_vgpr_count 0
		.amdhsa_exception_fp_ieee_invalid_op 0
		.amdhsa_exception_fp_denorm_src 0
		.amdhsa_exception_fp_ieee_div_zero 0
		.amdhsa_exception_fp_ieee_overflow 0
		.amdhsa_exception_fp_ieee_underflow 0
		.amdhsa_exception_fp_ieee_inexact 0
		.amdhsa_exception_int_div_zero 0
	.end_amdhsa_kernel
	.section	.text._ZN7rocprim17ROCPRIM_400000_NS6detail17trampoline_kernelINS0_14default_configENS1_20scan_config_selectorIfEEZZNS1_9scan_implILNS1_25lookback_scan_determinismE0ELb0ELb0ES3_PKfPffZZZN2at6native31launch_logcumsumexp_cuda_kernelERKNSB_10TensorBaseESF_lENKUlvE_clEvENKUlvE0_clEvEUlffE_fEEDaPvRmT3_T4_T5_mT6_P12ihipStream_tbENKUlT_T0_E_clISt17integral_constantIbLb1EESW_EEDaSR_SS_EUlSR_E0_NS1_11comp_targetILNS1_3genE10ELNS1_11target_archE1201ELNS1_3gpuE5ELNS1_3repE0EEENS1_30default_config_static_selectorELNS0_4arch9wavefront6targetE0EEEvT1_,"axG",@progbits,_ZN7rocprim17ROCPRIM_400000_NS6detail17trampoline_kernelINS0_14default_configENS1_20scan_config_selectorIfEEZZNS1_9scan_implILNS1_25lookback_scan_determinismE0ELb0ELb0ES3_PKfPffZZZN2at6native31launch_logcumsumexp_cuda_kernelERKNSB_10TensorBaseESF_lENKUlvE_clEvENKUlvE0_clEvEUlffE_fEEDaPvRmT3_T4_T5_mT6_P12ihipStream_tbENKUlT_T0_E_clISt17integral_constantIbLb1EESW_EEDaSR_SS_EUlSR_E0_NS1_11comp_targetILNS1_3genE10ELNS1_11target_archE1201ELNS1_3gpuE5ELNS1_3repE0EEENS1_30default_config_static_selectorELNS0_4arch9wavefront6targetE0EEEvT1_,comdat
.Lfunc_end129:
	.size	_ZN7rocprim17ROCPRIM_400000_NS6detail17trampoline_kernelINS0_14default_configENS1_20scan_config_selectorIfEEZZNS1_9scan_implILNS1_25lookback_scan_determinismE0ELb0ELb0ES3_PKfPffZZZN2at6native31launch_logcumsumexp_cuda_kernelERKNSB_10TensorBaseESF_lENKUlvE_clEvENKUlvE0_clEvEUlffE_fEEDaPvRmT3_T4_T5_mT6_P12ihipStream_tbENKUlT_T0_E_clISt17integral_constantIbLb1EESW_EEDaSR_SS_EUlSR_E0_NS1_11comp_targetILNS1_3genE10ELNS1_11target_archE1201ELNS1_3gpuE5ELNS1_3repE0EEENS1_30default_config_static_selectorELNS0_4arch9wavefront6targetE0EEEvT1_, .Lfunc_end129-_ZN7rocprim17ROCPRIM_400000_NS6detail17trampoline_kernelINS0_14default_configENS1_20scan_config_selectorIfEEZZNS1_9scan_implILNS1_25lookback_scan_determinismE0ELb0ELb0ES3_PKfPffZZZN2at6native31launch_logcumsumexp_cuda_kernelERKNSB_10TensorBaseESF_lENKUlvE_clEvENKUlvE0_clEvEUlffE_fEEDaPvRmT3_T4_T5_mT6_P12ihipStream_tbENKUlT_T0_E_clISt17integral_constantIbLb1EESW_EEDaSR_SS_EUlSR_E0_NS1_11comp_targetILNS1_3genE10ELNS1_11target_archE1201ELNS1_3gpuE5ELNS1_3repE0EEENS1_30default_config_static_selectorELNS0_4arch9wavefront6targetE0EEEvT1_
                                        ; -- End function
	.set _ZN7rocprim17ROCPRIM_400000_NS6detail17trampoline_kernelINS0_14default_configENS1_20scan_config_selectorIfEEZZNS1_9scan_implILNS1_25lookback_scan_determinismE0ELb0ELb0ES3_PKfPffZZZN2at6native31launch_logcumsumexp_cuda_kernelERKNSB_10TensorBaseESF_lENKUlvE_clEvENKUlvE0_clEvEUlffE_fEEDaPvRmT3_T4_T5_mT6_P12ihipStream_tbENKUlT_T0_E_clISt17integral_constantIbLb1EESW_EEDaSR_SS_EUlSR_E0_NS1_11comp_targetILNS1_3genE10ELNS1_11target_archE1201ELNS1_3gpuE5ELNS1_3repE0EEENS1_30default_config_static_selectorELNS0_4arch9wavefront6targetE0EEEvT1_.num_vgpr, 0
	.set _ZN7rocprim17ROCPRIM_400000_NS6detail17trampoline_kernelINS0_14default_configENS1_20scan_config_selectorIfEEZZNS1_9scan_implILNS1_25lookback_scan_determinismE0ELb0ELb0ES3_PKfPffZZZN2at6native31launch_logcumsumexp_cuda_kernelERKNSB_10TensorBaseESF_lENKUlvE_clEvENKUlvE0_clEvEUlffE_fEEDaPvRmT3_T4_T5_mT6_P12ihipStream_tbENKUlT_T0_E_clISt17integral_constantIbLb1EESW_EEDaSR_SS_EUlSR_E0_NS1_11comp_targetILNS1_3genE10ELNS1_11target_archE1201ELNS1_3gpuE5ELNS1_3repE0EEENS1_30default_config_static_selectorELNS0_4arch9wavefront6targetE0EEEvT1_.num_agpr, 0
	.set _ZN7rocprim17ROCPRIM_400000_NS6detail17trampoline_kernelINS0_14default_configENS1_20scan_config_selectorIfEEZZNS1_9scan_implILNS1_25lookback_scan_determinismE0ELb0ELb0ES3_PKfPffZZZN2at6native31launch_logcumsumexp_cuda_kernelERKNSB_10TensorBaseESF_lENKUlvE_clEvENKUlvE0_clEvEUlffE_fEEDaPvRmT3_T4_T5_mT6_P12ihipStream_tbENKUlT_T0_E_clISt17integral_constantIbLb1EESW_EEDaSR_SS_EUlSR_E0_NS1_11comp_targetILNS1_3genE10ELNS1_11target_archE1201ELNS1_3gpuE5ELNS1_3repE0EEENS1_30default_config_static_selectorELNS0_4arch9wavefront6targetE0EEEvT1_.numbered_sgpr, 0
	.set _ZN7rocprim17ROCPRIM_400000_NS6detail17trampoline_kernelINS0_14default_configENS1_20scan_config_selectorIfEEZZNS1_9scan_implILNS1_25lookback_scan_determinismE0ELb0ELb0ES3_PKfPffZZZN2at6native31launch_logcumsumexp_cuda_kernelERKNSB_10TensorBaseESF_lENKUlvE_clEvENKUlvE0_clEvEUlffE_fEEDaPvRmT3_T4_T5_mT6_P12ihipStream_tbENKUlT_T0_E_clISt17integral_constantIbLb1EESW_EEDaSR_SS_EUlSR_E0_NS1_11comp_targetILNS1_3genE10ELNS1_11target_archE1201ELNS1_3gpuE5ELNS1_3repE0EEENS1_30default_config_static_selectorELNS0_4arch9wavefront6targetE0EEEvT1_.num_named_barrier, 0
	.set _ZN7rocprim17ROCPRIM_400000_NS6detail17trampoline_kernelINS0_14default_configENS1_20scan_config_selectorIfEEZZNS1_9scan_implILNS1_25lookback_scan_determinismE0ELb0ELb0ES3_PKfPffZZZN2at6native31launch_logcumsumexp_cuda_kernelERKNSB_10TensorBaseESF_lENKUlvE_clEvENKUlvE0_clEvEUlffE_fEEDaPvRmT3_T4_T5_mT6_P12ihipStream_tbENKUlT_T0_E_clISt17integral_constantIbLb1EESW_EEDaSR_SS_EUlSR_E0_NS1_11comp_targetILNS1_3genE10ELNS1_11target_archE1201ELNS1_3gpuE5ELNS1_3repE0EEENS1_30default_config_static_selectorELNS0_4arch9wavefront6targetE0EEEvT1_.private_seg_size, 0
	.set _ZN7rocprim17ROCPRIM_400000_NS6detail17trampoline_kernelINS0_14default_configENS1_20scan_config_selectorIfEEZZNS1_9scan_implILNS1_25lookback_scan_determinismE0ELb0ELb0ES3_PKfPffZZZN2at6native31launch_logcumsumexp_cuda_kernelERKNSB_10TensorBaseESF_lENKUlvE_clEvENKUlvE0_clEvEUlffE_fEEDaPvRmT3_T4_T5_mT6_P12ihipStream_tbENKUlT_T0_E_clISt17integral_constantIbLb1EESW_EEDaSR_SS_EUlSR_E0_NS1_11comp_targetILNS1_3genE10ELNS1_11target_archE1201ELNS1_3gpuE5ELNS1_3repE0EEENS1_30default_config_static_selectorELNS0_4arch9wavefront6targetE0EEEvT1_.uses_vcc, 0
	.set _ZN7rocprim17ROCPRIM_400000_NS6detail17trampoline_kernelINS0_14default_configENS1_20scan_config_selectorIfEEZZNS1_9scan_implILNS1_25lookback_scan_determinismE0ELb0ELb0ES3_PKfPffZZZN2at6native31launch_logcumsumexp_cuda_kernelERKNSB_10TensorBaseESF_lENKUlvE_clEvENKUlvE0_clEvEUlffE_fEEDaPvRmT3_T4_T5_mT6_P12ihipStream_tbENKUlT_T0_E_clISt17integral_constantIbLb1EESW_EEDaSR_SS_EUlSR_E0_NS1_11comp_targetILNS1_3genE10ELNS1_11target_archE1201ELNS1_3gpuE5ELNS1_3repE0EEENS1_30default_config_static_selectorELNS0_4arch9wavefront6targetE0EEEvT1_.uses_flat_scratch, 0
	.set _ZN7rocprim17ROCPRIM_400000_NS6detail17trampoline_kernelINS0_14default_configENS1_20scan_config_selectorIfEEZZNS1_9scan_implILNS1_25lookback_scan_determinismE0ELb0ELb0ES3_PKfPffZZZN2at6native31launch_logcumsumexp_cuda_kernelERKNSB_10TensorBaseESF_lENKUlvE_clEvENKUlvE0_clEvEUlffE_fEEDaPvRmT3_T4_T5_mT6_P12ihipStream_tbENKUlT_T0_E_clISt17integral_constantIbLb1EESW_EEDaSR_SS_EUlSR_E0_NS1_11comp_targetILNS1_3genE10ELNS1_11target_archE1201ELNS1_3gpuE5ELNS1_3repE0EEENS1_30default_config_static_selectorELNS0_4arch9wavefront6targetE0EEEvT1_.has_dyn_sized_stack, 0
	.set _ZN7rocprim17ROCPRIM_400000_NS6detail17trampoline_kernelINS0_14default_configENS1_20scan_config_selectorIfEEZZNS1_9scan_implILNS1_25lookback_scan_determinismE0ELb0ELb0ES3_PKfPffZZZN2at6native31launch_logcumsumexp_cuda_kernelERKNSB_10TensorBaseESF_lENKUlvE_clEvENKUlvE0_clEvEUlffE_fEEDaPvRmT3_T4_T5_mT6_P12ihipStream_tbENKUlT_T0_E_clISt17integral_constantIbLb1EESW_EEDaSR_SS_EUlSR_E0_NS1_11comp_targetILNS1_3genE10ELNS1_11target_archE1201ELNS1_3gpuE5ELNS1_3repE0EEENS1_30default_config_static_selectorELNS0_4arch9wavefront6targetE0EEEvT1_.has_recursion, 0
	.set _ZN7rocprim17ROCPRIM_400000_NS6detail17trampoline_kernelINS0_14default_configENS1_20scan_config_selectorIfEEZZNS1_9scan_implILNS1_25lookback_scan_determinismE0ELb0ELb0ES3_PKfPffZZZN2at6native31launch_logcumsumexp_cuda_kernelERKNSB_10TensorBaseESF_lENKUlvE_clEvENKUlvE0_clEvEUlffE_fEEDaPvRmT3_T4_T5_mT6_P12ihipStream_tbENKUlT_T0_E_clISt17integral_constantIbLb1EESW_EEDaSR_SS_EUlSR_E0_NS1_11comp_targetILNS1_3genE10ELNS1_11target_archE1201ELNS1_3gpuE5ELNS1_3repE0EEENS1_30default_config_static_selectorELNS0_4arch9wavefront6targetE0EEEvT1_.has_indirect_call, 0
	.section	.AMDGPU.csdata,"",@progbits
; Kernel info:
; codeLenInByte = 0
; TotalNumSgprs: 0
; NumVgprs: 0
; ScratchSize: 0
; MemoryBound: 0
; FloatMode: 240
; IeeeMode: 1
; LDSByteSize: 0 bytes/workgroup (compile time only)
; SGPRBlocks: 0
; VGPRBlocks: 0
; NumSGPRsForWavesPerEU: 1
; NumVGPRsForWavesPerEU: 1
; Occupancy: 16
; WaveLimiterHint : 0
; COMPUTE_PGM_RSRC2:SCRATCH_EN: 0
; COMPUTE_PGM_RSRC2:USER_SGPR: 6
; COMPUTE_PGM_RSRC2:TRAP_HANDLER: 0
; COMPUTE_PGM_RSRC2:TGID_X_EN: 1
; COMPUTE_PGM_RSRC2:TGID_Y_EN: 0
; COMPUTE_PGM_RSRC2:TGID_Z_EN: 0
; COMPUTE_PGM_RSRC2:TIDIG_COMP_CNT: 0
	.section	.text._ZN7rocprim17ROCPRIM_400000_NS6detail17trampoline_kernelINS0_14default_configENS1_20scan_config_selectorIfEEZZNS1_9scan_implILNS1_25lookback_scan_determinismE0ELb0ELb0ES3_PKfPffZZZN2at6native31launch_logcumsumexp_cuda_kernelERKNSB_10TensorBaseESF_lENKUlvE_clEvENKUlvE0_clEvEUlffE_fEEDaPvRmT3_T4_T5_mT6_P12ihipStream_tbENKUlT_T0_E_clISt17integral_constantIbLb1EESW_EEDaSR_SS_EUlSR_E0_NS1_11comp_targetILNS1_3genE10ELNS1_11target_archE1200ELNS1_3gpuE4ELNS1_3repE0EEENS1_30default_config_static_selectorELNS0_4arch9wavefront6targetE0EEEvT1_,"axG",@progbits,_ZN7rocprim17ROCPRIM_400000_NS6detail17trampoline_kernelINS0_14default_configENS1_20scan_config_selectorIfEEZZNS1_9scan_implILNS1_25lookback_scan_determinismE0ELb0ELb0ES3_PKfPffZZZN2at6native31launch_logcumsumexp_cuda_kernelERKNSB_10TensorBaseESF_lENKUlvE_clEvENKUlvE0_clEvEUlffE_fEEDaPvRmT3_T4_T5_mT6_P12ihipStream_tbENKUlT_T0_E_clISt17integral_constantIbLb1EESW_EEDaSR_SS_EUlSR_E0_NS1_11comp_targetILNS1_3genE10ELNS1_11target_archE1200ELNS1_3gpuE4ELNS1_3repE0EEENS1_30default_config_static_selectorELNS0_4arch9wavefront6targetE0EEEvT1_,comdat
	.globl	_ZN7rocprim17ROCPRIM_400000_NS6detail17trampoline_kernelINS0_14default_configENS1_20scan_config_selectorIfEEZZNS1_9scan_implILNS1_25lookback_scan_determinismE0ELb0ELb0ES3_PKfPffZZZN2at6native31launch_logcumsumexp_cuda_kernelERKNSB_10TensorBaseESF_lENKUlvE_clEvENKUlvE0_clEvEUlffE_fEEDaPvRmT3_T4_T5_mT6_P12ihipStream_tbENKUlT_T0_E_clISt17integral_constantIbLb1EESW_EEDaSR_SS_EUlSR_E0_NS1_11comp_targetILNS1_3genE10ELNS1_11target_archE1200ELNS1_3gpuE4ELNS1_3repE0EEENS1_30default_config_static_selectorELNS0_4arch9wavefront6targetE0EEEvT1_ ; -- Begin function _ZN7rocprim17ROCPRIM_400000_NS6detail17trampoline_kernelINS0_14default_configENS1_20scan_config_selectorIfEEZZNS1_9scan_implILNS1_25lookback_scan_determinismE0ELb0ELb0ES3_PKfPffZZZN2at6native31launch_logcumsumexp_cuda_kernelERKNSB_10TensorBaseESF_lENKUlvE_clEvENKUlvE0_clEvEUlffE_fEEDaPvRmT3_T4_T5_mT6_P12ihipStream_tbENKUlT_T0_E_clISt17integral_constantIbLb1EESW_EEDaSR_SS_EUlSR_E0_NS1_11comp_targetILNS1_3genE10ELNS1_11target_archE1200ELNS1_3gpuE4ELNS1_3repE0EEENS1_30default_config_static_selectorELNS0_4arch9wavefront6targetE0EEEvT1_
	.p2align	8
	.type	_ZN7rocprim17ROCPRIM_400000_NS6detail17trampoline_kernelINS0_14default_configENS1_20scan_config_selectorIfEEZZNS1_9scan_implILNS1_25lookback_scan_determinismE0ELb0ELb0ES3_PKfPffZZZN2at6native31launch_logcumsumexp_cuda_kernelERKNSB_10TensorBaseESF_lENKUlvE_clEvENKUlvE0_clEvEUlffE_fEEDaPvRmT3_T4_T5_mT6_P12ihipStream_tbENKUlT_T0_E_clISt17integral_constantIbLb1EESW_EEDaSR_SS_EUlSR_E0_NS1_11comp_targetILNS1_3genE10ELNS1_11target_archE1200ELNS1_3gpuE4ELNS1_3repE0EEENS1_30default_config_static_selectorELNS0_4arch9wavefront6targetE0EEEvT1_,@function
_ZN7rocprim17ROCPRIM_400000_NS6detail17trampoline_kernelINS0_14default_configENS1_20scan_config_selectorIfEEZZNS1_9scan_implILNS1_25lookback_scan_determinismE0ELb0ELb0ES3_PKfPffZZZN2at6native31launch_logcumsumexp_cuda_kernelERKNSB_10TensorBaseESF_lENKUlvE_clEvENKUlvE0_clEvEUlffE_fEEDaPvRmT3_T4_T5_mT6_P12ihipStream_tbENKUlT_T0_E_clISt17integral_constantIbLb1EESW_EEDaSR_SS_EUlSR_E0_NS1_11comp_targetILNS1_3genE10ELNS1_11target_archE1200ELNS1_3gpuE4ELNS1_3repE0EEENS1_30default_config_static_selectorELNS0_4arch9wavefront6targetE0EEEvT1_: ; @_ZN7rocprim17ROCPRIM_400000_NS6detail17trampoline_kernelINS0_14default_configENS1_20scan_config_selectorIfEEZZNS1_9scan_implILNS1_25lookback_scan_determinismE0ELb0ELb0ES3_PKfPffZZZN2at6native31launch_logcumsumexp_cuda_kernelERKNSB_10TensorBaseESF_lENKUlvE_clEvENKUlvE0_clEvEUlffE_fEEDaPvRmT3_T4_T5_mT6_P12ihipStream_tbENKUlT_T0_E_clISt17integral_constantIbLb1EESW_EEDaSR_SS_EUlSR_E0_NS1_11comp_targetILNS1_3genE10ELNS1_11target_archE1200ELNS1_3gpuE4ELNS1_3repE0EEENS1_30default_config_static_selectorELNS0_4arch9wavefront6targetE0EEEvT1_
; %bb.0:
	.section	.rodata,"a",@progbits
	.p2align	6, 0x0
	.amdhsa_kernel _ZN7rocprim17ROCPRIM_400000_NS6detail17trampoline_kernelINS0_14default_configENS1_20scan_config_selectorIfEEZZNS1_9scan_implILNS1_25lookback_scan_determinismE0ELb0ELb0ES3_PKfPffZZZN2at6native31launch_logcumsumexp_cuda_kernelERKNSB_10TensorBaseESF_lENKUlvE_clEvENKUlvE0_clEvEUlffE_fEEDaPvRmT3_T4_T5_mT6_P12ihipStream_tbENKUlT_T0_E_clISt17integral_constantIbLb1EESW_EEDaSR_SS_EUlSR_E0_NS1_11comp_targetILNS1_3genE10ELNS1_11target_archE1200ELNS1_3gpuE4ELNS1_3repE0EEENS1_30default_config_static_selectorELNS0_4arch9wavefront6targetE0EEEvT1_
		.amdhsa_group_segment_fixed_size 0
		.amdhsa_private_segment_fixed_size 0
		.amdhsa_kernarg_size 32
		.amdhsa_user_sgpr_count 6
		.amdhsa_user_sgpr_private_segment_buffer 1
		.amdhsa_user_sgpr_dispatch_ptr 0
		.amdhsa_user_sgpr_queue_ptr 0
		.amdhsa_user_sgpr_kernarg_segment_ptr 1
		.amdhsa_user_sgpr_dispatch_id 0
		.amdhsa_user_sgpr_flat_scratch_init 0
		.amdhsa_user_sgpr_private_segment_size 0
		.amdhsa_wavefront_size32 1
		.amdhsa_uses_dynamic_stack 0
		.amdhsa_system_sgpr_private_segment_wavefront_offset 0
		.amdhsa_system_sgpr_workgroup_id_x 1
		.amdhsa_system_sgpr_workgroup_id_y 0
		.amdhsa_system_sgpr_workgroup_id_z 0
		.amdhsa_system_sgpr_workgroup_info 0
		.amdhsa_system_vgpr_workitem_id 0
		.amdhsa_next_free_vgpr 1
		.amdhsa_next_free_sgpr 1
		.amdhsa_reserve_vcc 0
		.amdhsa_reserve_flat_scratch 0
		.amdhsa_float_round_mode_32 0
		.amdhsa_float_round_mode_16_64 0
		.amdhsa_float_denorm_mode_32 3
		.amdhsa_float_denorm_mode_16_64 3
		.amdhsa_dx10_clamp 1
		.amdhsa_ieee_mode 1
		.amdhsa_fp16_overflow 0
		.amdhsa_workgroup_processor_mode 1
		.amdhsa_memory_ordered 1
		.amdhsa_forward_progress 1
		.amdhsa_shared_vgpr_count 0
		.amdhsa_exception_fp_ieee_invalid_op 0
		.amdhsa_exception_fp_denorm_src 0
		.amdhsa_exception_fp_ieee_div_zero 0
		.amdhsa_exception_fp_ieee_overflow 0
		.amdhsa_exception_fp_ieee_underflow 0
		.amdhsa_exception_fp_ieee_inexact 0
		.amdhsa_exception_int_div_zero 0
	.end_amdhsa_kernel
	.section	.text._ZN7rocprim17ROCPRIM_400000_NS6detail17trampoline_kernelINS0_14default_configENS1_20scan_config_selectorIfEEZZNS1_9scan_implILNS1_25lookback_scan_determinismE0ELb0ELb0ES3_PKfPffZZZN2at6native31launch_logcumsumexp_cuda_kernelERKNSB_10TensorBaseESF_lENKUlvE_clEvENKUlvE0_clEvEUlffE_fEEDaPvRmT3_T4_T5_mT6_P12ihipStream_tbENKUlT_T0_E_clISt17integral_constantIbLb1EESW_EEDaSR_SS_EUlSR_E0_NS1_11comp_targetILNS1_3genE10ELNS1_11target_archE1200ELNS1_3gpuE4ELNS1_3repE0EEENS1_30default_config_static_selectorELNS0_4arch9wavefront6targetE0EEEvT1_,"axG",@progbits,_ZN7rocprim17ROCPRIM_400000_NS6detail17trampoline_kernelINS0_14default_configENS1_20scan_config_selectorIfEEZZNS1_9scan_implILNS1_25lookback_scan_determinismE0ELb0ELb0ES3_PKfPffZZZN2at6native31launch_logcumsumexp_cuda_kernelERKNSB_10TensorBaseESF_lENKUlvE_clEvENKUlvE0_clEvEUlffE_fEEDaPvRmT3_T4_T5_mT6_P12ihipStream_tbENKUlT_T0_E_clISt17integral_constantIbLb1EESW_EEDaSR_SS_EUlSR_E0_NS1_11comp_targetILNS1_3genE10ELNS1_11target_archE1200ELNS1_3gpuE4ELNS1_3repE0EEENS1_30default_config_static_selectorELNS0_4arch9wavefront6targetE0EEEvT1_,comdat
.Lfunc_end130:
	.size	_ZN7rocprim17ROCPRIM_400000_NS6detail17trampoline_kernelINS0_14default_configENS1_20scan_config_selectorIfEEZZNS1_9scan_implILNS1_25lookback_scan_determinismE0ELb0ELb0ES3_PKfPffZZZN2at6native31launch_logcumsumexp_cuda_kernelERKNSB_10TensorBaseESF_lENKUlvE_clEvENKUlvE0_clEvEUlffE_fEEDaPvRmT3_T4_T5_mT6_P12ihipStream_tbENKUlT_T0_E_clISt17integral_constantIbLb1EESW_EEDaSR_SS_EUlSR_E0_NS1_11comp_targetILNS1_3genE10ELNS1_11target_archE1200ELNS1_3gpuE4ELNS1_3repE0EEENS1_30default_config_static_selectorELNS0_4arch9wavefront6targetE0EEEvT1_, .Lfunc_end130-_ZN7rocprim17ROCPRIM_400000_NS6detail17trampoline_kernelINS0_14default_configENS1_20scan_config_selectorIfEEZZNS1_9scan_implILNS1_25lookback_scan_determinismE0ELb0ELb0ES3_PKfPffZZZN2at6native31launch_logcumsumexp_cuda_kernelERKNSB_10TensorBaseESF_lENKUlvE_clEvENKUlvE0_clEvEUlffE_fEEDaPvRmT3_T4_T5_mT6_P12ihipStream_tbENKUlT_T0_E_clISt17integral_constantIbLb1EESW_EEDaSR_SS_EUlSR_E0_NS1_11comp_targetILNS1_3genE10ELNS1_11target_archE1200ELNS1_3gpuE4ELNS1_3repE0EEENS1_30default_config_static_selectorELNS0_4arch9wavefront6targetE0EEEvT1_
                                        ; -- End function
	.set _ZN7rocprim17ROCPRIM_400000_NS6detail17trampoline_kernelINS0_14default_configENS1_20scan_config_selectorIfEEZZNS1_9scan_implILNS1_25lookback_scan_determinismE0ELb0ELb0ES3_PKfPffZZZN2at6native31launch_logcumsumexp_cuda_kernelERKNSB_10TensorBaseESF_lENKUlvE_clEvENKUlvE0_clEvEUlffE_fEEDaPvRmT3_T4_T5_mT6_P12ihipStream_tbENKUlT_T0_E_clISt17integral_constantIbLb1EESW_EEDaSR_SS_EUlSR_E0_NS1_11comp_targetILNS1_3genE10ELNS1_11target_archE1200ELNS1_3gpuE4ELNS1_3repE0EEENS1_30default_config_static_selectorELNS0_4arch9wavefront6targetE0EEEvT1_.num_vgpr, 0
	.set _ZN7rocprim17ROCPRIM_400000_NS6detail17trampoline_kernelINS0_14default_configENS1_20scan_config_selectorIfEEZZNS1_9scan_implILNS1_25lookback_scan_determinismE0ELb0ELb0ES3_PKfPffZZZN2at6native31launch_logcumsumexp_cuda_kernelERKNSB_10TensorBaseESF_lENKUlvE_clEvENKUlvE0_clEvEUlffE_fEEDaPvRmT3_T4_T5_mT6_P12ihipStream_tbENKUlT_T0_E_clISt17integral_constantIbLb1EESW_EEDaSR_SS_EUlSR_E0_NS1_11comp_targetILNS1_3genE10ELNS1_11target_archE1200ELNS1_3gpuE4ELNS1_3repE0EEENS1_30default_config_static_selectorELNS0_4arch9wavefront6targetE0EEEvT1_.num_agpr, 0
	.set _ZN7rocprim17ROCPRIM_400000_NS6detail17trampoline_kernelINS0_14default_configENS1_20scan_config_selectorIfEEZZNS1_9scan_implILNS1_25lookback_scan_determinismE0ELb0ELb0ES3_PKfPffZZZN2at6native31launch_logcumsumexp_cuda_kernelERKNSB_10TensorBaseESF_lENKUlvE_clEvENKUlvE0_clEvEUlffE_fEEDaPvRmT3_T4_T5_mT6_P12ihipStream_tbENKUlT_T0_E_clISt17integral_constantIbLb1EESW_EEDaSR_SS_EUlSR_E0_NS1_11comp_targetILNS1_3genE10ELNS1_11target_archE1200ELNS1_3gpuE4ELNS1_3repE0EEENS1_30default_config_static_selectorELNS0_4arch9wavefront6targetE0EEEvT1_.numbered_sgpr, 0
	.set _ZN7rocprim17ROCPRIM_400000_NS6detail17trampoline_kernelINS0_14default_configENS1_20scan_config_selectorIfEEZZNS1_9scan_implILNS1_25lookback_scan_determinismE0ELb0ELb0ES3_PKfPffZZZN2at6native31launch_logcumsumexp_cuda_kernelERKNSB_10TensorBaseESF_lENKUlvE_clEvENKUlvE0_clEvEUlffE_fEEDaPvRmT3_T4_T5_mT6_P12ihipStream_tbENKUlT_T0_E_clISt17integral_constantIbLb1EESW_EEDaSR_SS_EUlSR_E0_NS1_11comp_targetILNS1_3genE10ELNS1_11target_archE1200ELNS1_3gpuE4ELNS1_3repE0EEENS1_30default_config_static_selectorELNS0_4arch9wavefront6targetE0EEEvT1_.num_named_barrier, 0
	.set _ZN7rocprim17ROCPRIM_400000_NS6detail17trampoline_kernelINS0_14default_configENS1_20scan_config_selectorIfEEZZNS1_9scan_implILNS1_25lookback_scan_determinismE0ELb0ELb0ES3_PKfPffZZZN2at6native31launch_logcumsumexp_cuda_kernelERKNSB_10TensorBaseESF_lENKUlvE_clEvENKUlvE0_clEvEUlffE_fEEDaPvRmT3_T4_T5_mT6_P12ihipStream_tbENKUlT_T0_E_clISt17integral_constantIbLb1EESW_EEDaSR_SS_EUlSR_E0_NS1_11comp_targetILNS1_3genE10ELNS1_11target_archE1200ELNS1_3gpuE4ELNS1_3repE0EEENS1_30default_config_static_selectorELNS0_4arch9wavefront6targetE0EEEvT1_.private_seg_size, 0
	.set _ZN7rocprim17ROCPRIM_400000_NS6detail17trampoline_kernelINS0_14default_configENS1_20scan_config_selectorIfEEZZNS1_9scan_implILNS1_25lookback_scan_determinismE0ELb0ELb0ES3_PKfPffZZZN2at6native31launch_logcumsumexp_cuda_kernelERKNSB_10TensorBaseESF_lENKUlvE_clEvENKUlvE0_clEvEUlffE_fEEDaPvRmT3_T4_T5_mT6_P12ihipStream_tbENKUlT_T0_E_clISt17integral_constantIbLb1EESW_EEDaSR_SS_EUlSR_E0_NS1_11comp_targetILNS1_3genE10ELNS1_11target_archE1200ELNS1_3gpuE4ELNS1_3repE0EEENS1_30default_config_static_selectorELNS0_4arch9wavefront6targetE0EEEvT1_.uses_vcc, 0
	.set _ZN7rocprim17ROCPRIM_400000_NS6detail17trampoline_kernelINS0_14default_configENS1_20scan_config_selectorIfEEZZNS1_9scan_implILNS1_25lookback_scan_determinismE0ELb0ELb0ES3_PKfPffZZZN2at6native31launch_logcumsumexp_cuda_kernelERKNSB_10TensorBaseESF_lENKUlvE_clEvENKUlvE0_clEvEUlffE_fEEDaPvRmT3_T4_T5_mT6_P12ihipStream_tbENKUlT_T0_E_clISt17integral_constantIbLb1EESW_EEDaSR_SS_EUlSR_E0_NS1_11comp_targetILNS1_3genE10ELNS1_11target_archE1200ELNS1_3gpuE4ELNS1_3repE0EEENS1_30default_config_static_selectorELNS0_4arch9wavefront6targetE0EEEvT1_.uses_flat_scratch, 0
	.set _ZN7rocprim17ROCPRIM_400000_NS6detail17trampoline_kernelINS0_14default_configENS1_20scan_config_selectorIfEEZZNS1_9scan_implILNS1_25lookback_scan_determinismE0ELb0ELb0ES3_PKfPffZZZN2at6native31launch_logcumsumexp_cuda_kernelERKNSB_10TensorBaseESF_lENKUlvE_clEvENKUlvE0_clEvEUlffE_fEEDaPvRmT3_T4_T5_mT6_P12ihipStream_tbENKUlT_T0_E_clISt17integral_constantIbLb1EESW_EEDaSR_SS_EUlSR_E0_NS1_11comp_targetILNS1_3genE10ELNS1_11target_archE1200ELNS1_3gpuE4ELNS1_3repE0EEENS1_30default_config_static_selectorELNS0_4arch9wavefront6targetE0EEEvT1_.has_dyn_sized_stack, 0
	.set _ZN7rocprim17ROCPRIM_400000_NS6detail17trampoline_kernelINS0_14default_configENS1_20scan_config_selectorIfEEZZNS1_9scan_implILNS1_25lookback_scan_determinismE0ELb0ELb0ES3_PKfPffZZZN2at6native31launch_logcumsumexp_cuda_kernelERKNSB_10TensorBaseESF_lENKUlvE_clEvENKUlvE0_clEvEUlffE_fEEDaPvRmT3_T4_T5_mT6_P12ihipStream_tbENKUlT_T0_E_clISt17integral_constantIbLb1EESW_EEDaSR_SS_EUlSR_E0_NS1_11comp_targetILNS1_3genE10ELNS1_11target_archE1200ELNS1_3gpuE4ELNS1_3repE0EEENS1_30default_config_static_selectorELNS0_4arch9wavefront6targetE0EEEvT1_.has_recursion, 0
	.set _ZN7rocprim17ROCPRIM_400000_NS6detail17trampoline_kernelINS0_14default_configENS1_20scan_config_selectorIfEEZZNS1_9scan_implILNS1_25lookback_scan_determinismE0ELb0ELb0ES3_PKfPffZZZN2at6native31launch_logcumsumexp_cuda_kernelERKNSB_10TensorBaseESF_lENKUlvE_clEvENKUlvE0_clEvEUlffE_fEEDaPvRmT3_T4_T5_mT6_P12ihipStream_tbENKUlT_T0_E_clISt17integral_constantIbLb1EESW_EEDaSR_SS_EUlSR_E0_NS1_11comp_targetILNS1_3genE10ELNS1_11target_archE1200ELNS1_3gpuE4ELNS1_3repE0EEENS1_30default_config_static_selectorELNS0_4arch9wavefront6targetE0EEEvT1_.has_indirect_call, 0
	.section	.AMDGPU.csdata,"",@progbits
; Kernel info:
; codeLenInByte = 0
; TotalNumSgprs: 0
; NumVgprs: 0
; ScratchSize: 0
; MemoryBound: 0
; FloatMode: 240
; IeeeMode: 1
; LDSByteSize: 0 bytes/workgroup (compile time only)
; SGPRBlocks: 0
; VGPRBlocks: 0
; NumSGPRsForWavesPerEU: 1
; NumVGPRsForWavesPerEU: 1
; Occupancy: 16
; WaveLimiterHint : 0
; COMPUTE_PGM_RSRC2:SCRATCH_EN: 0
; COMPUTE_PGM_RSRC2:USER_SGPR: 6
; COMPUTE_PGM_RSRC2:TRAP_HANDLER: 0
; COMPUTE_PGM_RSRC2:TGID_X_EN: 1
; COMPUTE_PGM_RSRC2:TGID_Y_EN: 0
; COMPUTE_PGM_RSRC2:TGID_Z_EN: 0
; COMPUTE_PGM_RSRC2:TIDIG_COMP_CNT: 0
	.section	.text._ZN7rocprim17ROCPRIM_400000_NS6detail17trampoline_kernelINS0_14default_configENS1_20scan_config_selectorIfEEZZNS1_9scan_implILNS1_25lookback_scan_determinismE0ELb0ELb0ES3_PKfPffZZZN2at6native31launch_logcumsumexp_cuda_kernelERKNSB_10TensorBaseESF_lENKUlvE_clEvENKUlvE0_clEvEUlffE_fEEDaPvRmT3_T4_T5_mT6_P12ihipStream_tbENKUlT_T0_E_clISt17integral_constantIbLb1EESW_EEDaSR_SS_EUlSR_E0_NS1_11comp_targetILNS1_3genE9ELNS1_11target_archE1100ELNS1_3gpuE3ELNS1_3repE0EEENS1_30default_config_static_selectorELNS0_4arch9wavefront6targetE0EEEvT1_,"axG",@progbits,_ZN7rocprim17ROCPRIM_400000_NS6detail17trampoline_kernelINS0_14default_configENS1_20scan_config_selectorIfEEZZNS1_9scan_implILNS1_25lookback_scan_determinismE0ELb0ELb0ES3_PKfPffZZZN2at6native31launch_logcumsumexp_cuda_kernelERKNSB_10TensorBaseESF_lENKUlvE_clEvENKUlvE0_clEvEUlffE_fEEDaPvRmT3_T4_T5_mT6_P12ihipStream_tbENKUlT_T0_E_clISt17integral_constantIbLb1EESW_EEDaSR_SS_EUlSR_E0_NS1_11comp_targetILNS1_3genE9ELNS1_11target_archE1100ELNS1_3gpuE3ELNS1_3repE0EEENS1_30default_config_static_selectorELNS0_4arch9wavefront6targetE0EEEvT1_,comdat
	.globl	_ZN7rocprim17ROCPRIM_400000_NS6detail17trampoline_kernelINS0_14default_configENS1_20scan_config_selectorIfEEZZNS1_9scan_implILNS1_25lookback_scan_determinismE0ELb0ELb0ES3_PKfPffZZZN2at6native31launch_logcumsumexp_cuda_kernelERKNSB_10TensorBaseESF_lENKUlvE_clEvENKUlvE0_clEvEUlffE_fEEDaPvRmT3_T4_T5_mT6_P12ihipStream_tbENKUlT_T0_E_clISt17integral_constantIbLb1EESW_EEDaSR_SS_EUlSR_E0_NS1_11comp_targetILNS1_3genE9ELNS1_11target_archE1100ELNS1_3gpuE3ELNS1_3repE0EEENS1_30default_config_static_selectorELNS0_4arch9wavefront6targetE0EEEvT1_ ; -- Begin function _ZN7rocprim17ROCPRIM_400000_NS6detail17trampoline_kernelINS0_14default_configENS1_20scan_config_selectorIfEEZZNS1_9scan_implILNS1_25lookback_scan_determinismE0ELb0ELb0ES3_PKfPffZZZN2at6native31launch_logcumsumexp_cuda_kernelERKNSB_10TensorBaseESF_lENKUlvE_clEvENKUlvE0_clEvEUlffE_fEEDaPvRmT3_T4_T5_mT6_P12ihipStream_tbENKUlT_T0_E_clISt17integral_constantIbLb1EESW_EEDaSR_SS_EUlSR_E0_NS1_11comp_targetILNS1_3genE9ELNS1_11target_archE1100ELNS1_3gpuE3ELNS1_3repE0EEENS1_30default_config_static_selectorELNS0_4arch9wavefront6targetE0EEEvT1_
	.p2align	8
	.type	_ZN7rocprim17ROCPRIM_400000_NS6detail17trampoline_kernelINS0_14default_configENS1_20scan_config_selectorIfEEZZNS1_9scan_implILNS1_25lookback_scan_determinismE0ELb0ELb0ES3_PKfPffZZZN2at6native31launch_logcumsumexp_cuda_kernelERKNSB_10TensorBaseESF_lENKUlvE_clEvENKUlvE0_clEvEUlffE_fEEDaPvRmT3_T4_T5_mT6_P12ihipStream_tbENKUlT_T0_E_clISt17integral_constantIbLb1EESW_EEDaSR_SS_EUlSR_E0_NS1_11comp_targetILNS1_3genE9ELNS1_11target_archE1100ELNS1_3gpuE3ELNS1_3repE0EEENS1_30default_config_static_selectorELNS0_4arch9wavefront6targetE0EEEvT1_,@function
_ZN7rocprim17ROCPRIM_400000_NS6detail17trampoline_kernelINS0_14default_configENS1_20scan_config_selectorIfEEZZNS1_9scan_implILNS1_25lookback_scan_determinismE0ELb0ELb0ES3_PKfPffZZZN2at6native31launch_logcumsumexp_cuda_kernelERKNSB_10TensorBaseESF_lENKUlvE_clEvENKUlvE0_clEvEUlffE_fEEDaPvRmT3_T4_T5_mT6_P12ihipStream_tbENKUlT_T0_E_clISt17integral_constantIbLb1EESW_EEDaSR_SS_EUlSR_E0_NS1_11comp_targetILNS1_3genE9ELNS1_11target_archE1100ELNS1_3gpuE3ELNS1_3repE0EEENS1_30default_config_static_selectorELNS0_4arch9wavefront6targetE0EEEvT1_: ; @_ZN7rocprim17ROCPRIM_400000_NS6detail17trampoline_kernelINS0_14default_configENS1_20scan_config_selectorIfEEZZNS1_9scan_implILNS1_25lookback_scan_determinismE0ELb0ELb0ES3_PKfPffZZZN2at6native31launch_logcumsumexp_cuda_kernelERKNSB_10TensorBaseESF_lENKUlvE_clEvENKUlvE0_clEvEUlffE_fEEDaPvRmT3_T4_T5_mT6_P12ihipStream_tbENKUlT_T0_E_clISt17integral_constantIbLb1EESW_EEDaSR_SS_EUlSR_E0_NS1_11comp_targetILNS1_3genE9ELNS1_11target_archE1100ELNS1_3gpuE3ELNS1_3repE0EEENS1_30default_config_static_selectorELNS0_4arch9wavefront6targetE0EEEvT1_
; %bb.0:
	.section	.rodata,"a",@progbits
	.p2align	6, 0x0
	.amdhsa_kernel _ZN7rocprim17ROCPRIM_400000_NS6detail17trampoline_kernelINS0_14default_configENS1_20scan_config_selectorIfEEZZNS1_9scan_implILNS1_25lookback_scan_determinismE0ELb0ELb0ES3_PKfPffZZZN2at6native31launch_logcumsumexp_cuda_kernelERKNSB_10TensorBaseESF_lENKUlvE_clEvENKUlvE0_clEvEUlffE_fEEDaPvRmT3_T4_T5_mT6_P12ihipStream_tbENKUlT_T0_E_clISt17integral_constantIbLb1EESW_EEDaSR_SS_EUlSR_E0_NS1_11comp_targetILNS1_3genE9ELNS1_11target_archE1100ELNS1_3gpuE3ELNS1_3repE0EEENS1_30default_config_static_selectorELNS0_4arch9wavefront6targetE0EEEvT1_
		.amdhsa_group_segment_fixed_size 0
		.amdhsa_private_segment_fixed_size 0
		.amdhsa_kernarg_size 32
		.amdhsa_user_sgpr_count 6
		.amdhsa_user_sgpr_private_segment_buffer 1
		.amdhsa_user_sgpr_dispatch_ptr 0
		.amdhsa_user_sgpr_queue_ptr 0
		.amdhsa_user_sgpr_kernarg_segment_ptr 1
		.amdhsa_user_sgpr_dispatch_id 0
		.amdhsa_user_sgpr_flat_scratch_init 0
		.amdhsa_user_sgpr_private_segment_size 0
		.amdhsa_wavefront_size32 1
		.amdhsa_uses_dynamic_stack 0
		.amdhsa_system_sgpr_private_segment_wavefront_offset 0
		.amdhsa_system_sgpr_workgroup_id_x 1
		.amdhsa_system_sgpr_workgroup_id_y 0
		.amdhsa_system_sgpr_workgroup_id_z 0
		.amdhsa_system_sgpr_workgroup_info 0
		.amdhsa_system_vgpr_workitem_id 0
		.amdhsa_next_free_vgpr 1
		.amdhsa_next_free_sgpr 1
		.amdhsa_reserve_vcc 0
		.amdhsa_reserve_flat_scratch 0
		.amdhsa_float_round_mode_32 0
		.amdhsa_float_round_mode_16_64 0
		.amdhsa_float_denorm_mode_32 3
		.amdhsa_float_denorm_mode_16_64 3
		.amdhsa_dx10_clamp 1
		.amdhsa_ieee_mode 1
		.amdhsa_fp16_overflow 0
		.amdhsa_workgroup_processor_mode 1
		.amdhsa_memory_ordered 1
		.amdhsa_forward_progress 1
		.amdhsa_shared_vgpr_count 0
		.amdhsa_exception_fp_ieee_invalid_op 0
		.amdhsa_exception_fp_denorm_src 0
		.amdhsa_exception_fp_ieee_div_zero 0
		.amdhsa_exception_fp_ieee_overflow 0
		.amdhsa_exception_fp_ieee_underflow 0
		.amdhsa_exception_fp_ieee_inexact 0
		.amdhsa_exception_int_div_zero 0
	.end_amdhsa_kernel
	.section	.text._ZN7rocprim17ROCPRIM_400000_NS6detail17trampoline_kernelINS0_14default_configENS1_20scan_config_selectorIfEEZZNS1_9scan_implILNS1_25lookback_scan_determinismE0ELb0ELb0ES3_PKfPffZZZN2at6native31launch_logcumsumexp_cuda_kernelERKNSB_10TensorBaseESF_lENKUlvE_clEvENKUlvE0_clEvEUlffE_fEEDaPvRmT3_T4_T5_mT6_P12ihipStream_tbENKUlT_T0_E_clISt17integral_constantIbLb1EESW_EEDaSR_SS_EUlSR_E0_NS1_11comp_targetILNS1_3genE9ELNS1_11target_archE1100ELNS1_3gpuE3ELNS1_3repE0EEENS1_30default_config_static_selectorELNS0_4arch9wavefront6targetE0EEEvT1_,"axG",@progbits,_ZN7rocprim17ROCPRIM_400000_NS6detail17trampoline_kernelINS0_14default_configENS1_20scan_config_selectorIfEEZZNS1_9scan_implILNS1_25lookback_scan_determinismE0ELb0ELb0ES3_PKfPffZZZN2at6native31launch_logcumsumexp_cuda_kernelERKNSB_10TensorBaseESF_lENKUlvE_clEvENKUlvE0_clEvEUlffE_fEEDaPvRmT3_T4_T5_mT6_P12ihipStream_tbENKUlT_T0_E_clISt17integral_constantIbLb1EESW_EEDaSR_SS_EUlSR_E0_NS1_11comp_targetILNS1_3genE9ELNS1_11target_archE1100ELNS1_3gpuE3ELNS1_3repE0EEENS1_30default_config_static_selectorELNS0_4arch9wavefront6targetE0EEEvT1_,comdat
.Lfunc_end131:
	.size	_ZN7rocprim17ROCPRIM_400000_NS6detail17trampoline_kernelINS0_14default_configENS1_20scan_config_selectorIfEEZZNS1_9scan_implILNS1_25lookback_scan_determinismE0ELb0ELb0ES3_PKfPffZZZN2at6native31launch_logcumsumexp_cuda_kernelERKNSB_10TensorBaseESF_lENKUlvE_clEvENKUlvE0_clEvEUlffE_fEEDaPvRmT3_T4_T5_mT6_P12ihipStream_tbENKUlT_T0_E_clISt17integral_constantIbLb1EESW_EEDaSR_SS_EUlSR_E0_NS1_11comp_targetILNS1_3genE9ELNS1_11target_archE1100ELNS1_3gpuE3ELNS1_3repE0EEENS1_30default_config_static_selectorELNS0_4arch9wavefront6targetE0EEEvT1_, .Lfunc_end131-_ZN7rocprim17ROCPRIM_400000_NS6detail17trampoline_kernelINS0_14default_configENS1_20scan_config_selectorIfEEZZNS1_9scan_implILNS1_25lookback_scan_determinismE0ELb0ELb0ES3_PKfPffZZZN2at6native31launch_logcumsumexp_cuda_kernelERKNSB_10TensorBaseESF_lENKUlvE_clEvENKUlvE0_clEvEUlffE_fEEDaPvRmT3_T4_T5_mT6_P12ihipStream_tbENKUlT_T0_E_clISt17integral_constantIbLb1EESW_EEDaSR_SS_EUlSR_E0_NS1_11comp_targetILNS1_3genE9ELNS1_11target_archE1100ELNS1_3gpuE3ELNS1_3repE0EEENS1_30default_config_static_selectorELNS0_4arch9wavefront6targetE0EEEvT1_
                                        ; -- End function
	.set _ZN7rocprim17ROCPRIM_400000_NS6detail17trampoline_kernelINS0_14default_configENS1_20scan_config_selectorIfEEZZNS1_9scan_implILNS1_25lookback_scan_determinismE0ELb0ELb0ES3_PKfPffZZZN2at6native31launch_logcumsumexp_cuda_kernelERKNSB_10TensorBaseESF_lENKUlvE_clEvENKUlvE0_clEvEUlffE_fEEDaPvRmT3_T4_T5_mT6_P12ihipStream_tbENKUlT_T0_E_clISt17integral_constantIbLb1EESW_EEDaSR_SS_EUlSR_E0_NS1_11comp_targetILNS1_3genE9ELNS1_11target_archE1100ELNS1_3gpuE3ELNS1_3repE0EEENS1_30default_config_static_selectorELNS0_4arch9wavefront6targetE0EEEvT1_.num_vgpr, 0
	.set _ZN7rocprim17ROCPRIM_400000_NS6detail17trampoline_kernelINS0_14default_configENS1_20scan_config_selectorIfEEZZNS1_9scan_implILNS1_25lookback_scan_determinismE0ELb0ELb0ES3_PKfPffZZZN2at6native31launch_logcumsumexp_cuda_kernelERKNSB_10TensorBaseESF_lENKUlvE_clEvENKUlvE0_clEvEUlffE_fEEDaPvRmT3_T4_T5_mT6_P12ihipStream_tbENKUlT_T0_E_clISt17integral_constantIbLb1EESW_EEDaSR_SS_EUlSR_E0_NS1_11comp_targetILNS1_3genE9ELNS1_11target_archE1100ELNS1_3gpuE3ELNS1_3repE0EEENS1_30default_config_static_selectorELNS0_4arch9wavefront6targetE0EEEvT1_.num_agpr, 0
	.set _ZN7rocprim17ROCPRIM_400000_NS6detail17trampoline_kernelINS0_14default_configENS1_20scan_config_selectorIfEEZZNS1_9scan_implILNS1_25lookback_scan_determinismE0ELb0ELb0ES3_PKfPffZZZN2at6native31launch_logcumsumexp_cuda_kernelERKNSB_10TensorBaseESF_lENKUlvE_clEvENKUlvE0_clEvEUlffE_fEEDaPvRmT3_T4_T5_mT6_P12ihipStream_tbENKUlT_T0_E_clISt17integral_constantIbLb1EESW_EEDaSR_SS_EUlSR_E0_NS1_11comp_targetILNS1_3genE9ELNS1_11target_archE1100ELNS1_3gpuE3ELNS1_3repE0EEENS1_30default_config_static_selectorELNS0_4arch9wavefront6targetE0EEEvT1_.numbered_sgpr, 0
	.set _ZN7rocprim17ROCPRIM_400000_NS6detail17trampoline_kernelINS0_14default_configENS1_20scan_config_selectorIfEEZZNS1_9scan_implILNS1_25lookback_scan_determinismE0ELb0ELb0ES3_PKfPffZZZN2at6native31launch_logcumsumexp_cuda_kernelERKNSB_10TensorBaseESF_lENKUlvE_clEvENKUlvE0_clEvEUlffE_fEEDaPvRmT3_T4_T5_mT6_P12ihipStream_tbENKUlT_T0_E_clISt17integral_constantIbLb1EESW_EEDaSR_SS_EUlSR_E0_NS1_11comp_targetILNS1_3genE9ELNS1_11target_archE1100ELNS1_3gpuE3ELNS1_3repE0EEENS1_30default_config_static_selectorELNS0_4arch9wavefront6targetE0EEEvT1_.num_named_barrier, 0
	.set _ZN7rocprim17ROCPRIM_400000_NS6detail17trampoline_kernelINS0_14default_configENS1_20scan_config_selectorIfEEZZNS1_9scan_implILNS1_25lookback_scan_determinismE0ELb0ELb0ES3_PKfPffZZZN2at6native31launch_logcumsumexp_cuda_kernelERKNSB_10TensorBaseESF_lENKUlvE_clEvENKUlvE0_clEvEUlffE_fEEDaPvRmT3_T4_T5_mT6_P12ihipStream_tbENKUlT_T0_E_clISt17integral_constantIbLb1EESW_EEDaSR_SS_EUlSR_E0_NS1_11comp_targetILNS1_3genE9ELNS1_11target_archE1100ELNS1_3gpuE3ELNS1_3repE0EEENS1_30default_config_static_selectorELNS0_4arch9wavefront6targetE0EEEvT1_.private_seg_size, 0
	.set _ZN7rocprim17ROCPRIM_400000_NS6detail17trampoline_kernelINS0_14default_configENS1_20scan_config_selectorIfEEZZNS1_9scan_implILNS1_25lookback_scan_determinismE0ELb0ELb0ES3_PKfPffZZZN2at6native31launch_logcumsumexp_cuda_kernelERKNSB_10TensorBaseESF_lENKUlvE_clEvENKUlvE0_clEvEUlffE_fEEDaPvRmT3_T4_T5_mT6_P12ihipStream_tbENKUlT_T0_E_clISt17integral_constantIbLb1EESW_EEDaSR_SS_EUlSR_E0_NS1_11comp_targetILNS1_3genE9ELNS1_11target_archE1100ELNS1_3gpuE3ELNS1_3repE0EEENS1_30default_config_static_selectorELNS0_4arch9wavefront6targetE0EEEvT1_.uses_vcc, 0
	.set _ZN7rocprim17ROCPRIM_400000_NS6detail17trampoline_kernelINS0_14default_configENS1_20scan_config_selectorIfEEZZNS1_9scan_implILNS1_25lookback_scan_determinismE0ELb0ELb0ES3_PKfPffZZZN2at6native31launch_logcumsumexp_cuda_kernelERKNSB_10TensorBaseESF_lENKUlvE_clEvENKUlvE0_clEvEUlffE_fEEDaPvRmT3_T4_T5_mT6_P12ihipStream_tbENKUlT_T0_E_clISt17integral_constantIbLb1EESW_EEDaSR_SS_EUlSR_E0_NS1_11comp_targetILNS1_3genE9ELNS1_11target_archE1100ELNS1_3gpuE3ELNS1_3repE0EEENS1_30default_config_static_selectorELNS0_4arch9wavefront6targetE0EEEvT1_.uses_flat_scratch, 0
	.set _ZN7rocprim17ROCPRIM_400000_NS6detail17trampoline_kernelINS0_14default_configENS1_20scan_config_selectorIfEEZZNS1_9scan_implILNS1_25lookback_scan_determinismE0ELb0ELb0ES3_PKfPffZZZN2at6native31launch_logcumsumexp_cuda_kernelERKNSB_10TensorBaseESF_lENKUlvE_clEvENKUlvE0_clEvEUlffE_fEEDaPvRmT3_T4_T5_mT6_P12ihipStream_tbENKUlT_T0_E_clISt17integral_constantIbLb1EESW_EEDaSR_SS_EUlSR_E0_NS1_11comp_targetILNS1_3genE9ELNS1_11target_archE1100ELNS1_3gpuE3ELNS1_3repE0EEENS1_30default_config_static_selectorELNS0_4arch9wavefront6targetE0EEEvT1_.has_dyn_sized_stack, 0
	.set _ZN7rocprim17ROCPRIM_400000_NS6detail17trampoline_kernelINS0_14default_configENS1_20scan_config_selectorIfEEZZNS1_9scan_implILNS1_25lookback_scan_determinismE0ELb0ELb0ES3_PKfPffZZZN2at6native31launch_logcumsumexp_cuda_kernelERKNSB_10TensorBaseESF_lENKUlvE_clEvENKUlvE0_clEvEUlffE_fEEDaPvRmT3_T4_T5_mT6_P12ihipStream_tbENKUlT_T0_E_clISt17integral_constantIbLb1EESW_EEDaSR_SS_EUlSR_E0_NS1_11comp_targetILNS1_3genE9ELNS1_11target_archE1100ELNS1_3gpuE3ELNS1_3repE0EEENS1_30default_config_static_selectorELNS0_4arch9wavefront6targetE0EEEvT1_.has_recursion, 0
	.set _ZN7rocprim17ROCPRIM_400000_NS6detail17trampoline_kernelINS0_14default_configENS1_20scan_config_selectorIfEEZZNS1_9scan_implILNS1_25lookback_scan_determinismE0ELb0ELb0ES3_PKfPffZZZN2at6native31launch_logcumsumexp_cuda_kernelERKNSB_10TensorBaseESF_lENKUlvE_clEvENKUlvE0_clEvEUlffE_fEEDaPvRmT3_T4_T5_mT6_P12ihipStream_tbENKUlT_T0_E_clISt17integral_constantIbLb1EESW_EEDaSR_SS_EUlSR_E0_NS1_11comp_targetILNS1_3genE9ELNS1_11target_archE1100ELNS1_3gpuE3ELNS1_3repE0EEENS1_30default_config_static_selectorELNS0_4arch9wavefront6targetE0EEEvT1_.has_indirect_call, 0
	.section	.AMDGPU.csdata,"",@progbits
; Kernel info:
; codeLenInByte = 0
; TotalNumSgprs: 0
; NumVgprs: 0
; ScratchSize: 0
; MemoryBound: 0
; FloatMode: 240
; IeeeMode: 1
; LDSByteSize: 0 bytes/workgroup (compile time only)
; SGPRBlocks: 0
; VGPRBlocks: 0
; NumSGPRsForWavesPerEU: 1
; NumVGPRsForWavesPerEU: 1
; Occupancy: 16
; WaveLimiterHint : 0
; COMPUTE_PGM_RSRC2:SCRATCH_EN: 0
; COMPUTE_PGM_RSRC2:USER_SGPR: 6
; COMPUTE_PGM_RSRC2:TRAP_HANDLER: 0
; COMPUTE_PGM_RSRC2:TGID_X_EN: 1
; COMPUTE_PGM_RSRC2:TGID_Y_EN: 0
; COMPUTE_PGM_RSRC2:TGID_Z_EN: 0
; COMPUTE_PGM_RSRC2:TIDIG_COMP_CNT: 0
	.section	.text._ZN7rocprim17ROCPRIM_400000_NS6detail17trampoline_kernelINS0_14default_configENS1_20scan_config_selectorIfEEZZNS1_9scan_implILNS1_25lookback_scan_determinismE0ELb0ELb0ES3_PKfPffZZZN2at6native31launch_logcumsumexp_cuda_kernelERKNSB_10TensorBaseESF_lENKUlvE_clEvENKUlvE0_clEvEUlffE_fEEDaPvRmT3_T4_T5_mT6_P12ihipStream_tbENKUlT_T0_E_clISt17integral_constantIbLb1EESW_EEDaSR_SS_EUlSR_E0_NS1_11comp_targetILNS1_3genE8ELNS1_11target_archE1030ELNS1_3gpuE2ELNS1_3repE0EEENS1_30default_config_static_selectorELNS0_4arch9wavefront6targetE0EEEvT1_,"axG",@progbits,_ZN7rocprim17ROCPRIM_400000_NS6detail17trampoline_kernelINS0_14default_configENS1_20scan_config_selectorIfEEZZNS1_9scan_implILNS1_25lookback_scan_determinismE0ELb0ELb0ES3_PKfPffZZZN2at6native31launch_logcumsumexp_cuda_kernelERKNSB_10TensorBaseESF_lENKUlvE_clEvENKUlvE0_clEvEUlffE_fEEDaPvRmT3_T4_T5_mT6_P12ihipStream_tbENKUlT_T0_E_clISt17integral_constantIbLb1EESW_EEDaSR_SS_EUlSR_E0_NS1_11comp_targetILNS1_3genE8ELNS1_11target_archE1030ELNS1_3gpuE2ELNS1_3repE0EEENS1_30default_config_static_selectorELNS0_4arch9wavefront6targetE0EEEvT1_,comdat
	.globl	_ZN7rocprim17ROCPRIM_400000_NS6detail17trampoline_kernelINS0_14default_configENS1_20scan_config_selectorIfEEZZNS1_9scan_implILNS1_25lookback_scan_determinismE0ELb0ELb0ES3_PKfPffZZZN2at6native31launch_logcumsumexp_cuda_kernelERKNSB_10TensorBaseESF_lENKUlvE_clEvENKUlvE0_clEvEUlffE_fEEDaPvRmT3_T4_T5_mT6_P12ihipStream_tbENKUlT_T0_E_clISt17integral_constantIbLb1EESW_EEDaSR_SS_EUlSR_E0_NS1_11comp_targetILNS1_3genE8ELNS1_11target_archE1030ELNS1_3gpuE2ELNS1_3repE0EEENS1_30default_config_static_selectorELNS0_4arch9wavefront6targetE0EEEvT1_ ; -- Begin function _ZN7rocprim17ROCPRIM_400000_NS6detail17trampoline_kernelINS0_14default_configENS1_20scan_config_selectorIfEEZZNS1_9scan_implILNS1_25lookback_scan_determinismE0ELb0ELb0ES3_PKfPffZZZN2at6native31launch_logcumsumexp_cuda_kernelERKNSB_10TensorBaseESF_lENKUlvE_clEvENKUlvE0_clEvEUlffE_fEEDaPvRmT3_T4_T5_mT6_P12ihipStream_tbENKUlT_T0_E_clISt17integral_constantIbLb1EESW_EEDaSR_SS_EUlSR_E0_NS1_11comp_targetILNS1_3genE8ELNS1_11target_archE1030ELNS1_3gpuE2ELNS1_3repE0EEENS1_30default_config_static_selectorELNS0_4arch9wavefront6targetE0EEEvT1_
	.p2align	8
	.type	_ZN7rocprim17ROCPRIM_400000_NS6detail17trampoline_kernelINS0_14default_configENS1_20scan_config_selectorIfEEZZNS1_9scan_implILNS1_25lookback_scan_determinismE0ELb0ELb0ES3_PKfPffZZZN2at6native31launch_logcumsumexp_cuda_kernelERKNSB_10TensorBaseESF_lENKUlvE_clEvENKUlvE0_clEvEUlffE_fEEDaPvRmT3_T4_T5_mT6_P12ihipStream_tbENKUlT_T0_E_clISt17integral_constantIbLb1EESW_EEDaSR_SS_EUlSR_E0_NS1_11comp_targetILNS1_3genE8ELNS1_11target_archE1030ELNS1_3gpuE2ELNS1_3repE0EEENS1_30default_config_static_selectorELNS0_4arch9wavefront6targetE0EEEvT1_,@function
_ZN7rocprim17ROCPRIM_400000_NS6detail17trampoline_kernelINS0_14default_configENS1_20scan_config_selectorIfEEZZNS1_9scan_implILNS1_25lookback_scan_determinismE0ELb0ELb0ES3_PKfPffZZZN2at6native31launch_logcumsumexp_cuda_kernelERKNSB_10TensorBaseESF_lENKUlvE_clEvENKUlvE0_clEvEUlffE_fEEDaPvRmT3_T4_T5_mT6_P12ihipStream_tbENKUlT_T0_E_clISt17integral_constantIbLb1EESW_EEDaSR_SS_EUlSR_E0_NS1_11comp_targetILNS1_3genE8ELNS1_11target_archE1030ELNS1_3gpuE2ELNS1_3repE0EEENS1_30default_config_static_selectorELNS0_4arch9wavefront6targetE0EEEvT1_: ; @_ZN7rocprim17ROCPRIM_400000_NS6detail17trampoline_kernelINS0_14default_configENS1_20scan_config_selectorIfEEZZNS1_9scan_implILNS1_25lookback_scan_determinismE0ELb0ELb0ES3_PKfPffZZZN2at6native31launch_logcumsumexp_cuda_kernelERKNSB_10TensorBaseESF_lENKUlvE_clEvENKUlvE0_clEvEUlffE_fEEDaPvRmT3_T4_T5_mT6_P12ihipStream_tbENKUlT_T0_E_clISt17integral_constantIbLb1EESW_EEDaSR_SS_EUlSR_E0_NS1_11comp_targetILNS1_3genE8ELNS1_11target_archE1030ELNS1_3gpuE2ELNS1_3repE0EEENS1_30default_config_static_selectorELNS0_4arch9wavefront6targetE0EEEvT1_
; %bb.0:
	s_load_dwordx4 s[16:19], s[4:5], 0x0
	v_lshlrev_b32_e32 v7, 2, v0
	s_waitcnt lgkmcnt(0)
	s_load_dword s8, s[16:17], 0x0
	v_cmp_gt_u32_e32 vcc_lo, s18, v0
	s_waitcnt lgkmcnt(0)
	s_mov_b32 s9, s8
	s_mov_b32 s10, s8
	;; [unrolled: 1-line block ×4, first 2 shown]
	v_mov_b32_e32 v1, s8
	v_mov_b32_e32 v6, s8
	;; [unrolled: 1-line block ×6, first 2 shown]
	s_and_saveexec_b32 s0, vcc_lo
	s_cbranch_execz .LBB132_2
; %bb.1:
	global_load_dword v6, v7, s[16:17]
	v_mov_b32_e32 v1, s8
	v_mov_b32_e32 v2, s9
	;; [unrolled: 1-line block ×5, first 2 shown]
.LBB132_2:
	s_or_b32 exec_lo, exec_lo, s0
	v_or_b32_e32 v1, 64, v0
	v_cmp_gt_u32_e64 s0, s18, v1
	s_and_saveexec_b32 s1, s0
	s_cbranch_execz .LBB132_4
; %bb.3:
	global_load_dword v2, v7, s[16:17] offset:256
.LBB132_4:
	s_or_b32 exec_lo, exec_lo, s1
	v_or_b32_e32 v1, 0x80, v0
	v_cmp_gt_u32_e64 s1, s18, v1
	s_and_saveexec_b32 s2, s1
	s_cbranch_execz .LBB132_6
; %bb.5:
	global_load_dword v3, v7, s[16:17] offset:512
.LBB132_6:
	;; [unrolled: 8-line block ×3, first 2 shown]
	s_or_b32 exec_lo, exec_lo, s3
	v_or_b32_e32 v1, 0x100, v0
	v_cmp_gt_u32_e64 s3, s18, v1
	v_cmp_le_u32_e64 s6, s18, v1
	s_and_saveexec_b32 s7, s6
	s_xor_b32 s6, exec_lo, s7
	s_andn2_saveexec_b32 s6, s6
	s_cbranch_execz .LBB132_10
; %bb.9:
	v_lshlrev_b32_e32 v1, 2, v0
	global_load_dword v5, v1, s[16:17] offset:1024
.LBB132_10:
	s_or_b32 exec_lo, exec_lo, s6
	v_lshlrev_b32_e32 v1, 4, v0
	s_waitcnt vmcnt(0)
	ds_write2st64_b32 v7, v6, v2 offset1:1
	ds_write2st64_b32 v7, v3, v4 offset0:2 offset1:3
	ds_write_b32 v7, v5 offset:1024
	s_waitcnt lgkmcnt(0)
	s_barrier
	v_add_nc_u32_e32 v8, v7, v1
	buffer_gl0_inv
	ds_read2_b32 v[1:2], v8 offset1:1
	ds_read2_b32 v[3:4], v8 offset0:2 offset1:3
	ds_read_b32 v9, v8 offset:16
	s_waitcnt lgkmcnt(0)
	s_barrier
	buffer_gl0_inv
	v_max_f32_e32 v13, v2, v2
	v_max_f32_e32 v15, v1, v1
	v_cmp_u_f32_e64 s10, v1, v1
	v_cmp_u_f32_e64 s6, v2, v2
	v_mov_b32_e32 v18, v1
	v_min_f32_e32 v14, v15, v13
	v_max_f32_e32 v16, v15, v13
	v_cndmask_b32_e64 v5, v14, v1, s10
	v_cndmask_b32_e64 v10, v16, v1, s10
	;; [unrolled: 1-line block ×4, first 2 shown]
	v_cmp_class_f32_e64 s8, v6, 0x1f8
	v_cmp_neq_f32_e64 s7, v6, v5
	s_or_b32 s7, s7, s8
	s_and_saveexec_b32 s8, s7
	s_cbranch_execz .LBB132_12
; %bb.11:
	v_sub_f32_e32 v6, v6, v5
	v_mul_f32_e32 v10, 0x3fb8aa3b, v6
	v_cmp_ngt_f32_e64 s7, 0xc2ce8ed0, v6
	v_fma_f32 v11, 0x3fb8aa3b, v6, -v10
	v_rndne_f32_e32 v12, v10
	v_fmamk_f32 v11, v6, 0x32a5705f, v11
	v_sub_f32_e32 v10, v10, v12
	v_add_f32_e32 v10, v10, v11
	v_cvt_i32_f32_e32 v11, v12
	v_exp_f32_e32 v10, v10
	v_ldexp_f32 v10, v10, v11
	v_cndmask_b32_e64 v10, 0, v10, s7
	v_cmp_nlt_f32_e64 s7, 0x42b17218, v6
	v_cndmask_b32_e64 v6, 0x7f800000, v10, s7
	v_add_f32_e32 v12, 1.0, v6
	v_cvt_f64_f32_e32 v[10:11], v12
	v_frexp_exp_i32_f64_e32 v10, v[10:11]
	v_frexp_mant_f32_e32 v11, v12
	v_cmp_gt_f32_e64 s7, 0x3f2aaaab, v11
	v_add_f32_e32 v11, -1.0, v12
	v_sub_f32_e32 v18, v11, v12
	v_sub_f32_e32 v11, v6, v11
	v_add_f32_e32 v18, 1.0, v18
	v_add_f32_e32 v11, v11, v18
	v_subrev_co_ci_u32_e64 v10, null, 0, v10, s7
	s_mov_b32 s7, 0x3e9b6dac
	v_sub_nc_u32_e32 v17, 0, v10
	v_cvt_f32_i32_e32 v10, v10
	v_ldexp_f32 v12, v12, v17
	v_ldexp_f32 v11, v11, v17
	v_add_f32_e32 v19, 1.0, v12
	v_add_f32_e32 v17, -1.0, v12
	v_add_f32_e32 v18, -1.0, v19
	v_add_f32_e32 v20, 1.0, v17
	v_sub_f32_e32 v18, v12, v18
	v_sub_f32_e32 v12, v12, v20
	v_add_f32_e32 v18, v11, v18
	v_add_f32_e32 v11, v11, v12
	;; [unrolled: 1-line block ×4, first 2 shown]
	v_rcp_f32_e32 v12, v20
	v_sub_f32_e32 v19, v19, v20
	v_sub_f32_e32 v17, v17, v21
	v_add_f32_e32 v18, v18, v19
	v_add_f32_e32 v11, v11, v17
	v_mul_f32_e32 v22, v21, v12
	v_mul_f32_e32 v23, v20, v22
	v_fma_f32 v19, v22, v20, -v23
	v_fmac_f32_e32 v19, v22, v18
	v_add_f32_e32 v24, v23, v19
	v_sub_f32_e32 v25, v21, v24
	v_sub_f32_e32 v17, v24, v23
	;; [unrolled: 1-line block ×5, first 2 shown]
	v_add_f32_e32 v11, v11, v21
	v_add_f32_e32 v11, v17, v11
	;; [unrolled: 1-line block ×3, first 2 shown]
	v_mul_f32_e32 v19, v12, v17
	v_sub_f32_e32 v24, v25, v17
	v_mul_f32_e32 v21, v20, v19
	v_add_f32_e32 v11, v11, v24
	v_fma_f32 v20, v19, v20, -v21
	v_fmac_f32_e32 v20, v19, v18
	v_add_f32_e32 v18, v21, v20
	v_sub_f32_e32 v23, v17, v18
	v_sub_f32_e32 v21, v18, v21
	;; [unrolled: 1-line block ×5, first 2 shown]
	v_add_f32_e32 v11, v11, v17
	v_add_f32_e32 v17, v22, v19
	;; [unrolled: 1-line block ×3, first 2 shown]
	v_sub_f32_e32 v18, v17, v22
	v_add_f32_e32 v11, v23, v11
	v_sub_f32_e32 v18, v19, v18
	v_mul_f32_e32 v11, v12, v11
	v_add_f32_e32 v11, v18, v11
	v_add_f32_e32 v12, v17, v11
	v_mul_f32_e32 v18, v12, v12
	v_fmaak_f32 v19, s7, v18, 0x3ecc95a3
	v_mul_f32_e32 v20, v12, v18
	v_cmp_neq_f32_e64 s7, 0x7f800000, v6
	v_fmaak_f32 v18, v18, v19, 0x3f2aaada
	v_ldexp_f32 v19, v12, 1
	v_sub_f32_e32 v12, v12, v17
	v_mul_f32_e32 v18, v20, v18
	v_mul_f32_e32 v20, 0x3f317218, v10
	v_sub_f32_e32 v11, v11, v12
	v_add_f32_e32 v17, v19, v18
	v_ldexp_f32 v11, v11, 1
	v_sub_f32_e32 v12, v17, v19
	v_fma_f32 v19, 0x3f317218, v10, -v20
	v_sub_f32_e32 v12, v18, v12
	v_fmamk_f32 v10, v10, 0xb102e308, v19
	v_add_f32_e32 v11, v11, v12
	v_add_f32_e32 v12, v20, v10
	;; [unrolled: 1-line block ×3, first 2 shown]
	v_sub_f32_e32 v20, v12, v20
	v_add_f32_e32 v19, v12, v18
	v_sub_f32_e32 v17, v18, v17
	v_sub_f32_e32 v10, v10, v20
	v_sub_f32_e32 v21, v19, v12
	v_sub_f32_e32 v11, v11, v17
	v_sub_f32_e32 v22, v19, v21
	v_sub_f32_e32 v17, v18, v21
	v_add_f32_e32 v18, v10, v11
	v_sub_f32_e32 v12, v12, v22
	v_add_f32_e32 v12, v17, v12
	v_sub_f32_e32 v17, v18, v10
	;; [unrolled: 2-line block ×3, first 2 shown]
	v_sub_f32_e32 v11, v11, v17
	v_add_f32_e32 v20, v19, v12
	v_sub_f32_e32 v10, v10, v18
	v_sub_f32_e32 v17, v20, v19
	v_add_f32_e32 v10, v11, v10
	v_sub_f32_e32 v11, v12, v17
	v_add_f32_e32 v10, v10, v11
	v_add_f32_e32 v10, v20, v10
	v_cndmask_b32_e64 v10, 0x7f800000, v10, s7
	v_cmp_gt_f32_e64 s7, 0x33800000, |v6|
	v_cndmask_b32_e64 v6, v10, v6, s7
	v_add_f32_e32 v18, v5, v6
.LBB132_12:
	s_or_b32 exec_lo, exec_lo, s8
	v_max_f32_e32 v5, v18, v18
	v_max_f32_e32 v10, v3, v3
	v_cmp_u_f32_e64 s7, v18, v18
	v_min_f32_e32 v6, v5, v10
	v_max_f32_e32 v5, v5, v10
	v_cndmask_b32_e64 v6, v6, v18, s7
	v_cndmask_b32_e64 v5, v5, v18, s7
	v_cmp_u_f32_e64 s7, v3, v3
	v_cndmask_b32_e64 v6, v6, v3, s7
	v_cndmask_b32_e64 v5, v5, v3, s7
	v_cmp_class_f32_e64 s9, v6, 0x1f8
	v_cmp_neq_f32_e64 s8, v6, v5
	s_or_b32 s8, s8, s9
	s_and_saveexec_b32 s9, s8
	s_cbranch_execz .LBB132_14
; %bb.13:
	v_sub_f32_e32 v6, v6, v5
	v_mul_f32_e32 v11, 0x3fb8aa3b, v6
	v_cmp_ngt_f32_e64 s8, 0xc2ce8ed0, v6
	v_fma_f32 v12, 0x3fb8aa3b, v6, -v11
	v_rndne_f32_e32 v17, v11
	v_fmamk_f32 v12, v6, 0x32a5705f, v12
	v_sub_f32_e32 v11, v11, v17
	v_add_f32_e32 v11, v11, v12
	v_cvt_i32_f32_e32 v12, v17
	v_exp_f32_e32 v11, v11
	v_ldexp_f32 v11, v11, v12
	v_cndmask_b32_e64 v11, 0, v11, s8
	v_cmp_nlt_f32_e64 s8, 0x42b17218, v6
	v_cndmask_b32_e64 v6, 0x7f800000, v11, s8
	v_add_f32_e32 v17, 1.0, v6
	v_cvt_f64_f32_e32 v[11:12], v17
	v_frexp_exp_i32_f64_e32 v11, v[11:12]
	v_frexp_mant_f32_e32 v12, v17
	v_cmp_gt_f32_e64 s8, 0x3f2aaaab, v12
	v_add_f32_e32 v12, -1.0, v17
	v_sub_f32_e32 v19, v12, v17
	v_sub_f32_e32 v12, v6, v12
	v_add_f32_e32 v19, 1.0, v19
	v_add_f32_e32 v12, v12, v19
	v_subrev_co_ci_u32_e64 v11, null, 0, v11, s8
	s_mov_b32 s8, 0x3e9b6dac
	v_sub_nc_u32_e32 v18, 0, v11
	v_cvt_f32_i32_e32 v11, v11
	v_ldexp_f32 v17, v17, v18
	v_ldexp_f32 v12, v12, v18
	v_add_f32_e32 v20, 1.0, v17
	v_add_f32_e32 v18, -1.0, v17
	v_add_f32_e32 v19, -1.0, v20
	v_add_f32_e32 v21, 1.0, v18
	v_sub_f32_e32 v19, v17, v19
	v_sub_f32_e32 v17, v17, v21
	v_add_f32_e32 v19, v12, v19
	v_add_f32_e32 v12, v12, v17
	;; [unrolled: 1-line block ×4, first 2 shown]
	v_rcp_f32_e32 v17, v21
	v_sub_f32_e32 v20, v20, v21
	v_sub_f32_e32 v18, v18, v22
	v_add_f32_e32 v19, v19, v20
	v_add_f32_e32 v12, v12, v18
	v_mul_f32_e32 v23, v22, v17
	v_mul_f32_e32 v24, v21, v23
	v_fma_f32 v20, v23, v21, -v24
	v_fmac_f32_e32 v20, v23, v19
	v_add_f32_e32 v25, v24, v20
	v_sub_f32_e32 v26, v22, v25
	v_sub_f32_e32 v18, v25, v24
	;; [unrolled: 1-line block ×5, first 2 shown]
	v_add_f32_e32 v12, v12, v22
	v_add_f32_e32 v12, v18, v12
	;; [unrolled: 1-line block ×3, first 2 shown]
	v_mul_f32_e32 v20, v17, v18
	v_sub_f32_e32 v25, v26, v18
	v_mul_f32_e32 v22, v21, v20
	v_add_f32_e32 v12, v12, v25
	v_fma_f32 v21, v20, v21, -v22
	v_fmac_f32_e32 v21, v20, v19
	v_add_f32_e32 v19, v22, v21
	v_sub_f32_e32 v24, v18, v19
	v_sub_f32_e32 v22, v19, v22
	;; [unrolled: 1-line block ×5, first 2 shown]
	v_add_f32_e32 v12, v12, v18
	v_add_f32_e32 v18, v23, v20
	;; [unrolled: 1-line block ×3, first 2 shown]
	v_sub_f32_e32 v19, v18, v23
	v_add_f32_e32 v12, v24, v12
	v_sub_f32_e32 v19, v20, v19
	v_mul_f32_e32 v12, v17, v12
	v_add_f32_e32 v12, v19, v12
	v_add_f32_e32 v17, v18, v12
	v_mul_f32_e32 v19, v17, v17
	v_fmaak_f32 v20, s8, v19, 0x3ecc95a3
	v_mul_f32_e32 v21, v17, v19
	v_cmp_neq_f32_e64 s8, 0x7f800000, v6
	v_fmaak_f32 v19, v19, v20, 0x3f2aaada
	v_ldexp_f32 v20, v17, 1
	v_sub_f32_e32 v17, v17, v18
	v_mul_f32_e32 v19, v21, v19
	v_mul_f32_e32 v21, 0x3f317218, v11
	v_sub_f32_e32 v12, v12, v17
	v_add_f32_e32 v18, v20, v19
	v_ldexp_f32 v12, v12, 1
	v_sub_f32_e32 v17, v18, v20
	v_fma_f32 v20, 0x3f317218, v11, -v21
	v_sub_f32_e32 v17, v19, v17
	v_fmamk_f32 v11, v11, 0xb102e308, v20
	v_add_f32_e32 v12, v12, v17
	v_add_f32_e32 v17, v21, v11
	;; [unrolled: 1-line block ×3, first 2 shown]
	v_sub_f32_e32 v21, v17, v21
	v_add_f32_e32 v20, v17, v19
	v_sub_f32_e32 v18, v19, v18
	v_sub_f32_e32 v11, v11, v21
	;; [unrolled: 1-line block ×6, first 2 shown]
	v_add_f32_e32 v19, v11, v12
	v_sub_f32_e32 v17, v17, v23
	v_add_f32_e32 v17, v18, v17
	v_sub_f32_e32 v18, v19, v11
	;; [unrolled: 2-line block ×3, first 2 shown]
	v_sub_f32_e32 v12, v12, v18
	v_add_f32_e32 v21, v20, v17
	v_sub_f32_e32 v11, v11, v19
	v_sub_f32_e32 v18, v21, v20
	v_add_f32_e32 v11, v12, v11
	v_sub_f32_e32 v12, v17, v18
	v_add_f32_e32 v11, v11, v12
	v_add_f32_e32 v11, v21, v11
	v_cndmask_b32_e64 v11, 0x7f800000, v11, s8
	v_cmp_gt_f32_e64 s8, 0x33800000, |v6|
	v_cndmask_b32_e64 v6, v11, v6, s8
	v_add_f32_e32 v18, v5, v6
.LBB132_14:
	s_or_b32 exec_lo, exec_lo, s9
	v_max_f32_e32 v5, v18, v18
	v_max_f32_e32 v11, v4, v4
	v_cmp_u_f32_e64 s8, v18, v18
	v_min_f32_e32 v6, v5, v11
	v_max_f32_e32 v5, v5, v11
	v_cndmask_b32_e64 v6, v6, v18, s8
	v_cndmask_b32_e64 v5, v5, v18, s8
	v_cmp_u_f32_e64 s8, v4, v4
	v_cndmask_b32_e64 v6, v6, v4, s8
	v_cndmask_b32_e64 v5, v5, v4, s8
	v_cmp_class_f32_e64 s11, v6, 0x1f8
	v_cmp_neq_f32_e64 s9, v6, v5
	s_or_b32 s9, s9, s11
	s_and_saveexec_b32 s11, s9
	s_cbranch_execz .LBB132_16
; %bb.15:
	v_sub_f32_e32 v6, v6, v5
	v_mul_f32_e32 v12, 0x3fb8aa3b, v6
	v_cmp_ngt_f32_e64 s9, 0xc2ce8ed0, v6
	v_fma_f32 v17, 0x3fb8aa3b, v6, -v12
	v_rndne_f32_e32 v18, v12
	v_fmamk_f32 v17, v6, 0x32a5705f, v17
	v_sub_f32_e32 v12, v12, v18
	v_add_f32_e32 v12, v12, v17
	v_cvt_i32_f32_e32 v17, v18
	v_exp_f32_e32 v12, v12
	v_ldexp_f32 v12, v12, v17
	v_cndmask_b32_e64 v12, 0, v12, s9
	v_cmp_nlt_f32_e64 s9, 0x42b17218, v6
	v_cndmask_b32_e64 v6, 0x7f800000, v12, s9
	v_add_f32_e32 v12, 1.0, v6
	v_cvt_f64_f32_e32 v[17:18], v12
	v_frexp_exp_i32_f64_e32 v17, v[17:18]
	v_frexp_mant_f32_e32 v18, v12
	v_cmp_gt_f32_e64 s9, 0x3f2aaaab, v18
	v_add_f32_e32 v18, -1.0, v12
	v_sub_f32_e32 v20, v18, v12
	v_sub_f32_e32 v18, v6, v18
	v_add_f32_e32 v20, 1.0, v20
	v_add_f32_e32 v18, v18, v20
	v_subrev_co_ci_u32_e64 v17, null, 0, v17, s9
	s_mov_b32 s9, 0x3e9b6dac
	v_sub_nc_u32_e32 v19, 0, v17
	v_cvt_f32_i32_e32 v17, v17
	v_ldexp_f32 v12, v12, v19
	v_ldexp_f32 v18, v18, v19
	v_add_f32_e32 v21, 1.0, v12
	v_add_f32_e32 v19, -1.0, v12
	v_add_f32_e32 v20, -1.0, v21
	v_add_f32_e32 v22, 1.0, v19
	v_sub_f32_e32 v20, v12, v20
	v_sub_f32_e32 v12, v12, v22
	v_add_f32_e32 v20, v18, v20
	v_add_f32_e32 v12, v18, v12
	;; [unrolled: 1-line block ×4, first 2 shown]
	v_rcp_f32_e32 v18, v22
	v_sub_f32_e32 v21, v21, v22
	v_sub_f32_e32 v19, v19, v23
	v_add_f32_e32 v20, v20, v21
	v_add_f32_e32 v12, v12, v19
	v_mul_f32_e32 v24, v23, v18
	v_mul_f32_e32 v25, v22, v24
	v_fma_f32 v21, v24, v22, -v25
	v_fmac_f32_e32 v21, v24, v20
	v_add_f32_e32 v26, v25, v21
	v_sub_f32_e32 v27, v23, v26
	v_sub_f32_e32 v19, v26, v25
	;; [unrolled: 1-line block ×5, first 2 shown]
	v_add_f32_e32 v12, v12, v23
	v_add_f32_e32 v12, v19, v12
	;; [unrolled: 1-line block ×3, first 2 shown]
	v_mul_f32_e32 v21, v18, v19
	v_sub_f32_e32 v26, v27, v19
	v_mul_f32_e32 v23, v22, v21
	v_add_f32_e32 v12, v12, v26
	v_fma_f32 v22, v21, v22, -v23
	v_fmac_f32_e32 v22, v21, v20
	v_add_f32_e32 v20, v23, v22
	v_sub_f32_e32 v25, v19, v20
	v_sub_f32_e32 v23, v20, v23
	;; [unrolled: 1-line block ×5, first 2 shown]
	v_add_f32_e32 v12, v12, v19
	v_add_f32_e32 v19, v24, v21
	;; [unrolled: 1-line block ×3, first 2 shown]
	v_sub_f32_e32 v20, v19, v24
	v_add_f32_e32 v12, v25, v12
	v_sub_f32_e32 v20, v21, v20
	v_mul_f32_e32 v12, v18, v12
	v_add_f32_e32 v12, v20, v12
	v_add_f32_e32 v18, v19, v12
	v_mul_f32_e32 v20, v18, v18
	v_fmaak_f32 v21, s9, v20, 0x3ecc95a3
	v_mul_f32_e32 v22, v18, v20
	v_cmp_neq_f32_e64 s9, 0x7f800000, v6
	v_fmaak_f32 v20, v20, v21, 0x3f2aaada
	v_ldexp_f32 v21, v18, 1
	v_sub_f32_e32 v18, v18, v19
	v_mul_f32_e32 v20, v22, v20
	v_mul_f32_e32 v22, 0x3f317218, v17
	v_sub_f32_e32 v12, v12, v18
	v_add_f32_e32 v19, v21, v20
	v_ldexp_f32 v12, v12, 1
	v_sub_f32_e32 v18, v19, v21
	v_fma_f32 v21, 0x3f317218, v17, -v22
	v_sub_f32_e32 v18, v20, v18
	v_fmamk_f32 v17, v17, 0xb102e308, v21
	v_add_f32_e32 v12, v12, v18
	v_add_f32_e32 v18, v22, v17
	;; [unrolled: 1-line block ×3, first 2 shown]
	v_sub_f32_e32 v22, v18, v22
	v_add_f32_e32 v21, v18, v20
	v_sub_f32_e32 v19, v20, v19
	v_sub_f32_e32 v17, v17, v22
	;; [unrolled: 1-line block ×6, first 2 shown]
	v_add_f32_e32 v20, v17, v12
	v_sub_f32_e32 v18, v18, v24
	v_add_f32_e32 v18, v19, v18
	v_sub_f32_e32 v19, v20, v17
	;; [unrolled: 2-line block ×3, first 2 shown]
	v_sub_f32_e32 v12, v12, v19
	v_add_f32_e32 v22, v21, v18
	v_sub_f32_e32 v17, v17, v20
	v_sub_f32_e32 v19, v22, v21
	v_add_f32_e32 v12, v12, v17
	v_sub_f32_e32 v17, v18, v19
	v_add_f32_e32 v12, v12, v17
	v_add_f32_e32 v12, v22, v12
	v_cndmask_b32_e64 v12, 0x7f800000, v12, s9
	v_cmp_gt_f32_e64 s9, 0x33800000, |v6|
	v_cndmask_b32_e64 v6, v12, v6, s9
	v_add_f32_e32 v18, v5, v6
.LBB132_16:
	s_or_b32 exec_lo, exec_lo, s11
	v_max_f32_e32 v12, v9, v9
	v_max_f32_e32 v5, v18, v18
	v_cmp_u_f32_e64 s9, v18, v18
	v_min_f32_e32 v6, v5, v12
	v_max_f32_e32 v5, v5, v12
	v_cndmask_b32_e64 v6, v6, v18, s9
	v_cndmask_b32_e64 v5, v5, v18, s9
	v_cmp_u_f32_e64 s9, v9, v9
	v_cndmask_b32_e64 v6, v6, v9, s9
	v_cndmask_b32_e64 v5, v5, v9, s9
	v_cmp_class_f32_e64 s12, v6, 0x1f8
	v_cmp_neq_f32_e64 s11, v6, v5
	s_or_b32 s11, s11, s12
	s_and_saveexec_b32 s12, s11
	s_cbranch_execz .LBB132_18
; %bb.17:
	v_sub_f32_e32 v6, v6, v5
	v_mul_f32_e32 v17, 0x3fb8aa3b, v6
	v_cmp_ngt_f32_e64 s11, 0xc2ce8ed0, v6
	v_fma_f32 v18, 0x3fb8aa3b, v6, -v17
	v_rndne_f32_e32 v19, v17
	v_fmamk_f32 v18, v6, 0x32a5705f, v18
	v_sub_f32_e32 v17, v17, v19
	v_add_f32_e32 v17, v17, v18
	v_cvt_i32_f32_e32 v18, v19
	v_exp_f32_e32 v17, v17
	v_ldexp_f32 v17, v17, v18
	v_cndmask_b32_e64 v17, 0, v17, s11
	v_cmp_nlt_f32_e64 s11, 0x42b17218, v6
	v_cndmask_b32_e64 v6, 0x7f800000, v17, s11
	v_add_f32_e32 v19, 1.0, v6
	v_cvt_f64_f32_e32 v[17:18], v19
	v_frexp_exp_i32_f64_e32 v17, v[17:18]
	v_frexp_mant_f32_e32 v18, v19
	v_cmp_gt_f32_e64 s11, 0x3f2aaaab, v18
	v_add_f32_e32 v18, -1.0, v19
	v_sub_f32_e32 v21, v18, v19
	v_sub_f32_e32 v18, v6, v18
	v_add_f32_e32 v21, 1.0, v21
	v_add_f32_e32 v18, v18, v21
	v_subrev_co_ci_u32_e64 v17, null, 0, v17, s11
	s_mov_b32 s11, 0x3e9b6dac
	v_sub_nc_u32_e32 v20, 0, v17
	v_cvt_f32_i32_e32 v17, v17
	v_ldexp_f32 v19, v19, v20
	v_ldexp_f32 v18, v18, v20
	v_add_f32_e32 v22, 1.0, v19
	v_add_f32_e32 v20, -1.0, v19
	v_add_f32_e32 v21, -1.0, v22
	v_add_f32_e32 v23, 1.0, v20
	v_sub_f32_e32 v21, v19, v21
	v_sub_f32_e32 v19, v19, v23
	v_add_f32_e32 v21, v18, v21
	v_add_f32_e32 v18, v18, v19
	;; [unrolled: 1-line block ×4, first 2 shown]
	v_rcp_f32_e32 v19, v23
	v_sub_f32_e32 v22, v22, v23
	v_sub_f32_e32 v20, v20, v24
	v_add_f32_e32 v21, v21, v22
	v_add_f32_e32 v18, v18, v20
	v_mul_f32_e32 v25, v24, v19
	v_mul_f32_e32 v26, v23, v25
	v_fma_f32 v22, v25, v23, -v26
	v_fmac_f32_e32 v22, v25, v21
	v_add_f32_e32 v27, v26, v22
	v_sub_f32_e32 v28, v24, v27
	v_sub_f32_e32 v20, v27, v26
	;; [unrolled: 1-line block ×5, first 2 shown]
	v_add_f32_e32 v18, v18, v24
	v_add_f32_e32 v18, v20, v18
	;; [unrolled: 1-line block ×3, first 2 shown]
	v_mul_f32_e32 v22, v19, v20
	v_sub_f32_e32 v27, v28, v20
	v_mul_f32_e32 v24, v23, v22
	v_add_f32_e32 v18, v18, v27
	v_fma_f32 v23, v22, v23, -v24
	v_fmac_f32_e32 v23, v22, v21
	v_add_f32_e32 v21, v24, v23
	v_sub_f32_e32 v26, v20, v21
	v_sub_f32_e32 v24, v21, v24
	;; [unrolled: 1-line block ×5, first 2 shown]
	v_add_f32_e32 v18, v18, v20
	v_add_f32_e32 v20, v25, v22
	;; [unrolled: 1-line block ×3, first 2 shown]
	v_sub_f32_e32 v21, v20, v25
	v_add_f32_e32 v18, v26, v18
	v_sub_f32_e32 v21, v22, v21
	v_mul_f32_e32 v18, v19, v18
	v_add_f32_e32 v18, v21, v18
	v_add_f32_e32 v19, v20, v18
	v_mul_f32_e32 v21, v19, v19
	v_fmaak_f32 v22, s11, v21, 0x3ecc95a3
	v_mul_f32_e32 v23, v19, v21
	v_cmp_neq_f32_e64 s11, 0x7f800000, v6
	v_fmaak_f32 v21, v21, v22, 0x3f2aaada
	v_ldexp_f32 v22, v19, 1
	v_sub_f32_e32 v19, v19, v20
	v_mul_f32_e32 v21, v23, v21
	v_mul_f32_e32 v23, 0x3f317218, v17
	v_sub_f32_e32 v18, v18, v19
	v_add_f32_e32 v20, v22, v21
	v_ldexp_f32 v18, v18, 1
	v_sub_f32_e32 v19, v20, v22
	v_fma_f32 v22, 0x3f317218, v17, -v23
	v_sub_f32_e32 v19, v21, v19
	v_fmamk_f32 v17, v17, 0xb102e308, v22
	v_add_f32_e32 v18, v18, v19
	v_add_f32_e32 v19, v23, v17
	;; [unrolled: 1-line block ×3, first 2 shown]
	v_sub_f32_e32 v23, v19, v23
	v_add_f32_e32 v22, v19, v21
	v_sub_f32_e32 v20, v21, v20
	v_sub_f32_e32 v17, v17, v23
	;; [unrolled: 1-line block ×6, first 2 shown]
	v_add_f32_e32 v21, v17, v18
	v_sub_f32_e32 v19, v19, v25
	v_add_f32_e32 v19, v20, v19
	v_sub_f32_e32 v20, v21, v17
	;; [unrolled: 2-line block ×3, first 2 shown]
	v_sub_f32_e32 v18, v18, v20
	v_add_f32_e32 v23, v22, v19
	v_sub_f32_e32 v17, v17, v21
	v_sub_f32_e32 v20, v23, v22
	v_add_f32_e32 v17, v18, v17
	v_sub_f32_e32 v18, v19, v20
	v_add_f32_e32 v17, v17, v18
	v_add_f32_e32 v17, v23, v17
	v_cndmask_b32_e64 v17, 0x7f800000, v17, s11
	v_cmp_gt_f32_e64 s11, 0x33800000, |v6|
	v_cndmask_b32_e64 v6, v17, v6, s11
	v_add_f32_e32 v18, v5, v6
.LBB132_18:
	s_or_b32 exec_lo, exec_lo, s12
	s_load_dwordx2 s[12:13], s[4:5], 0x18
	v_lshrrev_b32_e32 v5, 3, v0
	s_mov_b32 s11, exec_lo
	v_and_b32_e32 v5, 4, v5
	v_lshl_add_u32 v5, v0, 2, v5
	ds_write_b32 v5, v18
	s_waitcnt lgkmcnt(0)
	s_barrier
	buffer_gl0_inv
	v_cmpx_gt_u32_e32 32, v0
	s_cbranch_execz .LBB132_46
; %bb.19:
	v_lshrrev_b32_e32 v5, 2, v0
	v_lshlrev_b32_e32 v6, 3, v0
	v_and_b32_e32 v5, 12, v5
	v_add_nc_u32_e32 v17, v5, v6
	ds_read2_b32 v[5:6], v17 offset1:1
	s_waitcnt lgkmcnt(0)
	v_max_f32_e32 v20, v6, v6
	v_max_f32_e32 v19, v5, v5
	v_cmp_u_f32_e64 s4, v5, v5
	v_cmp_u_f32_e64 s5, v6, v6
	v_min_f32_e32 v21, v19, v20
	v_max_f32_e32 v20, v19, v20
	v_cndmask_b32_e64 v21, v21, v5, s4
	v_cndmask_b32_e64 v22, v20, v5, s4
	;; [unrolled: 1-line block ×4, first 2 shown]
	v_mov_b32_e32 v21, v5
	v_cmp_class_f32_e64 s14, v20, 0x1f8
	v_cmp_neq_f32_e64 s5, v20, v6
	s_or_b32 s5, s5, s14
	s_and_saveexec_b32 s14, s5
	s_cbranch_execz .LBB132_21
; %bb.20:
	v_sub_f32_e32 v20, v20, v6
	v_mul_f32_e32 v21, 0x3fb8aa3b, v20
	v_cmp_ngt_f32_e64 s5, 0xc2ce8ed0, v20
	v_fma_f32 v22, 0x3fb8aa3b, v20, -v21
	v_rndne_f32_e32 v23, v21
	v_fmamk_f32 v22, v20, 0x32a5705f, v22
	v_sub_f32_e32 v21, v21, v23
	v_add_f32_e32 v21, v21, v22
	v_cvt_i32_f32_e32 v22, v23
	v_exp_f32_e32 v21, v21
	v_ldexp_f32 v21, v21, v22
	v_cndmask_b32_e64 v21, 0, v21, s5
	v_cmp_nlt_f32_e64 s5, 0x42b17218, v20
	v_cndmask_b32_e64 v22, 0x7f800000, v21, s5
	v_add_f32_e32 v23, 1.0, v22
	v_cvt_f64_f32_e32 v[20:21], v23
	v_frexp_exp_i32_f64_e32 v20, v[20:21]
	v_frexp_mant_f32_e32 v21, v23
	v_cmp_gt_f32_e64 s5, 0x3f2aaaab, v21
	v_add_f32_e32 v21, -1.0, v23
	v_sub_f32_e32 v25, v21, v23
	v_sub_f32_e32 v21, v22, v21
	v_add_f32_e32 v25, 1.0, v25
	v_add_f32_e32 v21, v21, v25
	v_subrev_co_ci_u32_e64 v20, null, 0, v20, s5
	s_mov_b32 s5, 0x3e9b6dac
	v_sub_nc_u32_e32 v24, 0, v20
	v_cvt_f32_i32_e32 v20, v20
	v_ldexp_f32 v23, v23, v24
	v_ldexp_f32 v21, v21, v24
	v_add_f32_e32 v26, 1.0, v23
	v_add_f32_e32 v24, -1.0, v23
	v_add_f32_e32 v25, -1.0, v26
	v_add_f32_e32 v27, 1.0, v24
	v_sub_f32_e32 v25, v23, v25
	v_sub_f32_e32 v23, v23, v27
	v_add_f32_e32 v25, v21, v25
	v_add_f32_e32 v21, v21, v23
	;; [unrolled: 1-line block ×4, first 2 shown]
	v_rcp_f32_e32 v23, v27
	v_sub_f32_e32 v26, v26, v27
	v_sub_f32_e32 v24, v24, v28
	v_add_f32_e32 v25, v25, v26
	v_add_f32_e32 v21, v21, v24
	v_mul_f32_e32 v29, v28, v23
	v_mul_f32_e32 v30, v27, v29
	v_fma_f32 v26, v29, v27, -v30
	v_fmac_f32_e32 v26, v29, v25
	v_add_f32_e32 v31, v30, v26
	v_sub_f32_e32 v32, v28, v31
	v_sub_f32_e32 v24, v31, v30
	;; [unrolled: 1-line block ×5, first 2 shown]
	v_add_f32_e32 v21, v21, v28
	v_add_f32_e32 v21, v24, v21
	;; [unrolled: 1-line block ×3, first 2 shown]
	v_mul_f32_e32 v26, v23, v24
	v_sub_f32_e32 v31, v32, v24
	v_mul_f32_e32 v28, v27, v26
	v_add_f32_e32 v21, v21, v31
	v_fma_f32 v27, v26, v27, -v28
	v_fmac_f32_e32 v27, v26, v25
	v_add_f32_e32 v25, v28, v27
	v_sub_f32_e32 v30, v24, v25
	v_sub_f32_e32 v28, v25, v28
	;; [unrolled: 1-line block ×5, first 2 shown]
	v_add_f32_e32 v21, v21, v24
	v_add_f32_e32 v24, v29, v26
	;; [unrolled: 1-line block ×3, first 2 shown]
	v_sub_f32_e32 v25, v24, v29
	v_add_f32_e32 v21, v30, v21
	v_sub_f32_e32 v25, v26, v25
	v_mul_f32_e32 v21, v23, v21
	v_add_f32_e32 v21, v25, v21
	v_add_f32_e32 v23, v24, v21
	v_mul_f32_e32 v25, v23, v23
	v_fmaak_f32 v26, s5, v25, 0x3ecc95a3
	v_mul_f32_e32 v27, v23, v25
	v_cmp_neq_f32_e64 s5, 0x7f800000, v22
	v_fmaak_f32 v25, v25, v26, 0x3f2aaada
	v_ldexp_f32 v26, v23, 1
	v_sub_f32_e32 v23, v23, v24
	v_mul_f32_e32 v25, v27, v25
	v_mul_f32_e32 v27, 0x3f317218, v20
	v_sub_f32_e32 v21, v21, v23
	v_add_f32_e32 v24, v26, v25
	v_ldexp_f32 v21, v21, 1
	v_sub_f32_e32 v23, v24, v26
	v_fma_f32 v26, 0x3f317218, v20, -v27
	v_sub_f32_e32 v23, v25, v23
	v_fmamk_f32 v20, v20, 0xb102e308, v26
	v_add_f32_e32 v21, v21, v23
	v_add_f32_e32 v23, v27, v20
	;; [unrolled: 1-line block ×3, first 2 shown]
	v_sub_f32_e32 v27, v23, v27
	v_add_f32_e32 v26, v23, v25
	v_sub_f32_e32 v24, v25, v24
	v_sub_f32_e32 v20, v20, v27
	;; [unrolled: 1-line block ×6, first 2 shown]
	v_add_f32_e32 v25, v20, v21
	v_sub_f32_e32 v23, v23, v29
	v_add_f32_e32 v23, v24, v23
	v_sub_f32_e32 v24, v25, v20
	;; [unrolled: 2-line block ×3, first 2 shown]
	v_sub_f32_e32 v21, v21, v24
	v_add_f32_e32 v27, v26, v23
	v_sub_f32_e32 v20, v20, v25
	v_sub_f32_e32 v24, v27, v26
	v_add_f32_e32 v20, v21, v20
	v_sub_f32_e32 v21, v23, v24
	v_add_f32_e32 v20, v20, v21
	v_add_f32_e32 v20, v27, v20
	v_cndmask_b32_e64 v20, 0x7f800000, v20, s5
	v_cmp_gt_f32_e64 s5, 0x33800000, |v22|
	v_cndmask_b32_e64 v20, v20, v22, s5
	v_add_f32_e32 v21, v6, v20
.LBB132_21:
	s_or_b32 exec_lo, exec_lo, s14
	v_mbcnt_lo_u32_b32 v6, -1, 0
	v_mov_b32_dpp v22, v21 row_shr:1 row_mask:0xf bank_mask:0xf
	s_mov_b32 s14, exec_lo
	v_and_b32_e32 v20, 15, v6
	v_cmpx_ne_u32_e32 0, v20
	s_xor_b32 s14, exec_lo, s14
	s_cbranch_execz .LBB132_25
; %bb.22:
	v_max_f32_e32 v23, v21, v21
	v_max_f32_e32 v24, v22, v22
	v_cmp_u_f32_e64 s5, v22, v22
	v_min_f32_e32 v25, v24, v23
	v_max_f32_e32 v23, v24, v23
	v_cndmask_b32_e64 v24, v25, v22, s5
	v_cndmask_b32_e64 v25, v23, v22, s5
	v_cmp_u_f32_e64 s5, v21, v21
	v_cndmask_b32_e64 v23, v24, v21, s5
	v_cndmask_b32_e64 v21, v25, v21, s5
	v_cmp_class_f32_e64 s15, v23, 0x1f8
	v_cmp_neq_f32_e64 s5, v23, v21
	s_or_b32 s5, s5, s15
	s_and_saveexec_b32 s15, s5
	s_cbranch_execz .LBB132_24
; %bb.23:
	v_sub_f32_e32 v22, v23, v21
	v_mul_f32_e32 v23, 0x3fb8aa3b, v22
	v_cmp_ngt_f32_e64 s5, 0xc2ce8ed0, v22
	v_fma_f32 v24, 0x3fb8aa3b, v22, -v23
	v_rndne_f32_e32 v25, v23
	v_fmamk_f32 v24, v22, 0x32a5705f, v24
	v_sub_f32_e32 v23, v23, v25
	v_add_f32_e32 v23, v23, v24
	v_cvt_i32_f32_e32 v24, v25
	v_exp_f32_e32 v23, v23
	v_ldexp_f32 v23, v23, v24
	v_cndmask_b32_e64 v23, 0, v23, s5
	v_cmp_nlt_f32_e64 s5, 0x42b17218, v22
	v_cndmask_b32_e64 v24, 0x7f800000, v23, s5
	v_add_f32_e32 v25, 1.0, v24
	v_cvt_f64_f32_e32 v[22:23], v25
	v_frexp_exp_i32_f64_e32 v22, v[22:23]
	v_frexp_mant_f32_e32 v23, v25
	v_cmp_gt_f32_e64 s5, 0x3f2aaaab, v23
	v_add_f32_e32 v23, -1.0, v25
	v_sub_f32_e32 v27, v23, v25
	v_sub_f32_e32 v23, v24, v23
	v_add_f32_e32 v27, 1.0, v27
	v_add_f32_e32 v23, v23, v27
	v_subrev_co_ci_u32_e64 v22, null, 0, v22, s5
	s_mov_b32 s5, 0x3e9b6dac
	v_sub_nc_u32_e32 v26, 0, v22
	v_cvt_f32_i32_e32 v22, v22
	v_ldexp_f32 v25, v25, v26
	v_ldexp_f32 v23, v23, v26
	v_add_f32_e32 v28, 1.0, v25
	v_add_f32_e32 v26, -1.0, v25
	v_add_f32_e32 v27, -1.0, v28
	v_add_f32_e32 v29, 1.0, v26
	v_sub_f32_e32 v27, v25, v27
	v_sub_f32_e32 v25, v25, v29
	v_add_f32_e32 v27, v23, v27
	v_add_f32_e32 v23, v23, v25
	;; [unrolled: 1-line block ×4, first 2 shown]
	v_rcp_f32_e32 v25, v29
	v_sub_f32_e32 v28, v28, v29
	v_sub_f32_e32 v26, v26, v30
	v_add_f32_e32 v27, v27, v28
	v_add_f32_e32 v23, v23, v26
	v_mul_f32_e32 v31, v30, v25
	v_mul_f32_e32 v32, v29, v31
	v_fma_f32 v28, v31, v29, -v32
	v_fmac_f32_e32 v28, v31, v27
	v_add_f32_e32 v33, v32, v28
	v_sub_f32_e32 v34, v30, v33
	v_sub_f32_e32 v26, v33, v32
	;; [unrolled: 1-line block ×5, first 2 shown]
	v_add_f32_e32 v23, v23, v30
	v_add_f32_e32 v23, v26, v23
	;; [unrolled: 1-line block ×3, first 2 shown]
	v_mul_f32_e32 v28, v25, v26
	v_sub_f32_e32 v33, v34, v26
	v_mul_f32_e32 v30, v29, v28
	v_add_f32_e32 v23, v23, v33
	v_fma_f32 v29, v28, v29, -v30
	v_fmac_f32_e32 v29, v28, v27
	v_add_f32_e32 v27, v30, v29
	v_sub_f32_e32 v32, v26, v27
	v_sub_f32_e32 v30, v27, v30
	;; [unrolled: 1-line block ×5, first 2 shown]
	v_add_f32_e32 v23, v23, v26
	v_add_f32_e32 v26, v31, v28
	;; [unrolled: 1-line block ×3, first 2 shown]
	v_sub_f32_e32 v27, v26, v31
	v_add_f32_e32 v23, v32, v23
	v_sub_f32_e32 v27, v28, v27
	v_mul_f32_e32 v23, v25, v23
	v_add_f32_e32 v23, v27, v23
	v_add_f32_e32 v25, v26, v23
	v_mul_f32_e32 v27, v25, v25
	v_fmaak_f32 v28, s5, v27, 0x3ecc95a3
	v_mul_f32_e32 v29, v25, v27
	v_cmp_neq_f32_e64 s5, 0x7f800000, v24
	v_fmaak_f32 v27, v27, v28, 0x3f2aaada
	v_ldexp_f32 v28, v25, 1
	v_sub_f32_e32 v25, v25, v26
	v_mul_f32_e32 v27, v29, v27
	v_mul_f32_e32 v29, 0x3f317218, v22
	v_sub_f32_e32 v23, v23, v25
	v_add_f32_e32 v26, v28, v27
	v_ldexp_f32 v23, v23, 1
	v_sub_f32_e32 v25, v26, v28
	v_fma_f32 v28, 0x3f317218, v22, -v29
	v_sub_f32_e32 v25, v27, v25
	v_fmamk_f32 v22, v22, 0xb102e308, v28
	v_add_f32_e32 v23, v23, v25
	v_add_f32_e32 v25, v29, v22
	;; [unrolled: 1-line block ×3, first 2 shown]
	v_sub_f32_e32 v29, v25, v29
	v_add_f32_e32 v28, v25, v27
	v_sub_f32_e32 v26, v27, v26
	v_sub_f32_e32 v22, v22, v29
	;; [unrolled: 1-line block ×6, first 2 shown]
	v_add_f32_e32 v27, v22, v23
	v_sub_f32_e32 v25, v25, v31
	v_add_f32_e32 v25, v26, v25
	v_sub_f32_e32 v26, v27, v22
	;; [unrolled: 2-line block ×3, first 2 shown]
	v_sub_f32_e32 v23, v23, v26
	v_add_f32_e32 v29, v28, v25
	v_sub_f32_e32 v22, v22, v27
	v_sub_f32_e32 v26, v29, v28
	v_add_f32_e32 v22, v23, v22
	v_sub_f32_e32 v23, v25, v26
	v_add_f32_e32 v22, v22, v23
	v_add_f32_e32 v22, v29, v22
	v_cndmask_b32_e64 v22, 0x7f800000, v22, s5
	v_cmp_gt_f32_e64 s5, 0x33800000, |v24|
	v_cndmask_b32_e64 v22, v22, v24, s5
	v_add_f32_e32 v22, v21, v22
.LBB132_24:
	s_or_b32 exec_lo, exec_lo, s15
	v_mov_b32_e32 v21, v22
.LBB132_25:
	s_or_b32 exec_lo, exec_lo, s14
	v_mov_b32_dpp v22, v21 row_shr:2 row_mask:0xf bank_mask:0xf
	s_mov_b32 s14, exec_lo
	v_cmpx_lt_u32_e32 1, v20
	s_cbranch_execz .LBB132_29
; %bb.26:
	v_max_f32_e32 v23, v21, v21
	v_max_f32_e32 v24, v22, v22
	v_cmp_u_f32_e64 s5, v22, v22
	v_min_f32_e32 v25, v24, v23
	v_max_f32_e32 v23, v24, v23
	v_cndmask_b32_e64 v24, v25, v22, s5
	v_cndmask_b32_e64 v25, v23, v22, s5
	v_cmp_u_f32_e64 s5, v21, v21
	v_cndmask_b32_e64 v23, v24, v21, s5
	v_cndmask_b32_e64 v21, v25, v21, s5
	v_cmp_class_f32_e64 s15, v23, 0x1f8
	v_cmp_neq_f32_e64 s5, v23, v21
	s_or_b32 s5, s5, s15
	s_and_saveexec_b32 s15, s5
	s_cbranch_execz .LBB132_28
; %bb.27:
	v_sub_f32_e32 v22, v23, v21
	v_mul_f32_e32 v23, 0x3fb8aa3b, v22
	v_cmp_ngt_f32_e64 s5, 0xc2ce8ed0, v22
	v_fma_f32 v24, 0x3fb8aa3b, v22, -v23
	v_rndne_f32_e32 v25, v23
	v_fmamk_f32 v24, v22, 0x32a5705f, v24
	v_sub_f32_e32 v23, v23, v25
	v_add_f32_e32 v23, v23, v24
	v_cvt_i32_f32_e32 v24, v25
	v_exp_f32_e32 v23, v23
	v_ldexp_f32 v23, v23, v24
	v_cndmask_b32_e64 v23, 0, v23, s5
	v_cmp_nlt_f32_e64 s5, 0x42b17218, v22
	v_cndmask_b32_e64 v24, 0x7f800000, v23, s5
	v_add_f32_e32 v25, 1.0, v24
	v_cvt_f64_f32_e32 v[22:23], v25
	v_frexp_exp_i32_f64_e32 v22, v[22:23]
	v_frexp_mant_f32_e32 v23, v25
	v_cmp_gt_f32_e64 s5, 0x3f2aaaab, v23
	v_add_f32_e32 v23, -1.0, v25
	v_sub_f32_e32 v27, v23, v25
	v_sub_f32_e32 v23, v24, v23
	v_add_f32_e32 v27, 1.0, v27
	v_add_f32_e32 v23, v23, v27
	v_subrev_co_ci_u32_e64 v22, null, 0, v22, s5
	s_mov_b32 s5, 0x3e9b6dac
	v_sub_nc_u32_e32 v26, 0, v22
	v_cvt_f32_i32_e32 v22, v22
	v_ldexp_f32 v25, v25, v26
	v_ldexp_f32 v23, v23, v26
	v_add_f32_e32 v28, 1.0, v25
	v_add_f32_e32 v26, -1.0, v25
	v_add_f32_e32 v27, -1.0, v28
	v_add_f32_e32 v29, 1.0, v26
	v_sub_f32_e32 v27, v25, v27
	v_sub_f32_e32 v25, v25, v29
	v_add_f32_e32 v27, v23, v27
	v_add_f32_e32 v23, v23, v25
	;; [unrolled: 1-line block ×4, first 2 shown]
	v_rcp_f32_e32 v25, v29
	v_sub_f32_e32 v28, v28, v29
	v_sub_f32_e32 v26, v26, v30
	v_add_f32_e32 v27, v27, v28
	v_add_f32_e32 v23, v23, v26
	v_mul_f32_e32 v31, v30, v25
	v_mul_f32_e32 v32, v29, v31
	v_fma_f32 v28, v31, v29, -v32
	v_fmac_f32_e32 v28, v31, v27
	v_add_f32_e32 v33, v32, v28
	v_sub_f32_e32 v34, v30, v33
	v_sub_f32_e32 v26, v33, v32
	;; [unrolled: 1-line block ×5, first 2 shown]
	v_add_f32_e32 v23, v23, v30
	v_add_f32_e32 v23, v26, v23
	;; [unrolled: 1-line block ×3, first 2 shown]
	v_mul_f32_e32 v28, v25, v26
	v_sub_f32_e32 v33, v34, v26
	v_mul_f32_e32 v30, v29, v28
	v_add_f32_e32 v23, v23, v33
	v_fma_f32 v29, v28, v29, -v30
	v_fmac_f32_e32 v29, v28, v27
	v_add_f32_e32 v27, v30, v29
	v_sub_f32_e32 v32, v26, v27
	v_sub_f32_e32 v30, v27, v30
	;; [unrolled: 1-line block ×5, first 2 shown]
	v_add_f32_e32 v23, v23, v26
	v_add_f32_e32 v26, v31, v28
	;; [unrolled: 1-line block ×3, first 2 shown]
	v_sub_f32_e32 v27, v26, v31
	v_add_f32_e32 v23, v32, v23
	v_sub_f32_e32 v27, v28, v27
	v_mul_f32_e32 v23, v25, v23
	v_add_f32_e32 v23, v27, v23
	v_add_f32_e32 v25, v26, v23
	v_mul_f32_e32 v27, v25, v25
	v_fmaak_f32 v28, s5, v27, 0x3ecc95a3
	v_mul_f32_e32 v29, v25, v27
	v_cmp_neq_f32_e64 s5, 0x7f800000, v24
	v_fmaak_f32 v27, v27, v28, 0x3f2aaada
	v_ldexp_f32 v28, v25, 1
	v_sub_f32_e32 v25, v25, v26
	v_mul_f32_e32 v27, v29, v27
	v_mul_f32_e32 v29, 0x3f317218, v22
	v_sub_f32_e32 v23, v23, v25
	v_add_f32_e32 v26, v28, v27
	v_ldexp_f32 v23, v23, 1
	v_sub_f32_e32 v25, v26, v28
	v_fma_f32 v28, 0x3f317218, v22, -v29
	v_sub_f32_e32 v25, v27, v25
	v_fmamk_f32 v22, v22, 0xb102e308, v28
	v_add_f32_e32 v23, v23, v25
	v_add_f32_e32 v25, v29, v22
	;; [unrolled: 1-line block ×3, first 2 shown]
	v_sub_f32_e32 v29, v25, v29
	v_add_f32_e32 v28, v25, v27
	v_sub_f32_e32 v26, v27, v26
	v_sub_f32_e32 v22, v22, v29
	;; [unrolled: 1-line block ×6, first 2 shown]
	v_add_f32_e32 v27, v22, v23
	v_sub_f32_e32 v25, v25, v31
	v_add_f32_e32 v25, v26, v25
	v_sub_f32_e32 v26, v27, v22
	;; [unrolled: 2-line block ×3, first 2 shown]
	v_sub_f32_e32 v23, v23, v26
	v_add_f32_e32 v29, v28, v25
	v_sub_f32_e32 v22, v22, v27
	v_sub_f32_e32 v26, v29, v28
	v_add_f32_e32 v22, v23, v22
	v_sub_f32_e32 v23, v25, v26
	v_add_f32_e32 v22, v22, v23
	v_add_f32_e32 v22, v29, v22
	v_cndmask_b32_e64 v22, 0x7f800000, v22, s5
	v_cmp_gt_f32_e64 s5, 0x33800000, |v24|
	v_cndmask_b32_e64 v22, v22, v24, s5
	v_add_f32_e32 v22, v21, v22
.LBB132_28:
	s_or_b32 exec_lo, exec_lo, s15
	v_mov_b32_e32 v21, v22
.LBB132_29:
	s_or_b32 exec_lo, exec_lo, s14
	v_mov_b32_dpp v22, v21 row_shr:4 row_mask:0xf bank_mask:0xf
	s_mov_b32 s14, exec_lo
	v_cmpx_lt_u32_e32 3, v20
	s_cbranch_execz .LBB132_33
; %bb.30:
	v_max_f32_e32 v23, v21, v21
	v_max_f32_e32 v24, v22, v22
	v_cmp_u_f32_e64 s5, v22, v22
	v_min_f32_e32 v25, v24, v23
	v_max_f32_e32 v23, v24, v23
	v_cndmask_b32_e64 v24, v25, v22, s5
	v_cndmask_b32_e64 v25, v23, v22, s5
	v_cmp_u_f32_e64 s5, v21, v21
	v_cndmask_b32_e64 v23, v24, v21, s5
	v_cndmask_b32_e64 v21, v25, v21, s5
	v_cmp_class_f32_e64 s15, v23, 0x1f8
	v_cmp_neq_f32_e64 s5, v23, v21
	s_or_b32 s5, s5, s15
	s_and_saveexec_b32 s15, s5
	s_cbranch_execz .LBB132_32
; %bb.31:
	v_sub_f32_e32 v22, v23, v21
	v_mul_f32_e32 v23, 0x3fb8aa3b, v22
	v_cmp_ngt_f32_e64 s5, 0xc2ce8ed0, v22
	v_fma_f32 v24, 0x3fb8aa3b, v22, -v23
	v_rndne_f32_e32 v25, v23
	v_fmamk_f32 v24, v22, 0x32a5705f, v24
	v_sub_f32_e32 v23, v23, v25
	v_add_f32_e32 v23, v23, v24
	v_cvt_i32_f32_e32 v24, v25
	v_exp_f32_e32 v23, v23
	v_ldexp_f32 v23, v23, v24
	v_cndmask_b32_e64 v23, 0, v23, s5
	v_cmp_nlt_f32_e64 s5, 0x42b17218, v22
	v_cndmask_b32_e64 v24, 0x7f800000, v23, s5
	v_add_f32_e32 v25, 1.0, v24
	v_cvt_f64_f32_e32 v[22:23], v25
	v_frexp_exp_i32_f64_e32 v22, v[22:23]
	v_frexp_mant_f32_e32 v23, v25
	v_cmp_gt_f32_e64 s5, 0x3f2aaaab, v23
	v_add_f32_e32 v23, -1.0, v25
	v_sub_f32_e32 v27, v23, v25
	v_sub_f32_e32 v23, v24, v23
	v_add_f32_e32 v27, 1.0, v27
	v_add_f32_e32 v23, v23, v27
	v_subrev_co_ci_u32_e64 v22, null, 0, v22, s5
	s_mov_b32 s5, 0x3e9b6dac
	v_sub_nc_u32_e32 v26, 0, v22
	v_cvt_f32_i32_e32 v22, v22
	v_ldexp_f32 v25, v25, v26
	v_ldexp_f32 v23, v23, v26
	v_add_f32_e32 v28, 1.0, v25
	v_add_f32_e32 v26, -1.0, v25
	v_add_f32_e32 v27, -1.0, v28
	v_add_f32_e32 v29, 1.0, v26
	v_sub_f32_e32 v27, v25, v27
	v_sub_f32_e32 v25, v25, v29
	v_add_f32_e32 v27, v23, v27
	v_add_f32_e32 v23, v23, v25
	;; [unrolled: 1-line block ×4, first 2 shown]
	v_rcp_f32_e32 v25, v29
	v_sub_f32_e32 v28, v28, v29
	v_sub_f32_e32 v26, v26, v30
	v_add_f32_e32 v27, v27, v28
	v_add_f32_e32 v23, v23, v26
	v_mul_f32_e32 v31, v30, v25
	v_mul_f32_e32 v32, v29, v31
	v_fma_f32 v28, v31, v29, -v32
	v_fmac_f32_e32 v28, v31, v27
	v_add_f32_e32 v33, v32, v28
	v_sub_f32_e32 v34, v30, v33
	v_sub_f32_e32 v26, v33, v32
	;; [unrolled: 1-line block ×5, first 2 shown]
	v_add_f32_e32 v23, v23, v30
	v_add_f32_e32 v23, v26, v23
	;; [unrolled: 1-line block ×3, first 2 shown]
	v_mul_f32_e32 v28, v25, v26
	v_sub_f32_e32 v33, v34, v26
	v_mul_f32_e32 v30, v29, v28
	v_add_f32_e32 v23, v23, v33
	v_fma_f32 v29, v28, v29, -v30
	v_fmac_f32_e32 v29, v28, v27
	v_add_f32_e32 v27, v30, v29
	v_sub_f32_e32 v32, v26, v27
	v_sub_f32_e32 v30, v27, v30
	;; [unrolled: 1-line block ×5, first 2 shown]
	v_add_f32_e32 v23, v23, v26
	v_add_f32_e32 v26, v31, v28
	;; [unrolled: 1-line block ×3, first 2 shown]
	v_sub_f32_e32 v27, v26, v31
	v_add_f32_e32 v23, v32, v23
	v_sub_f32_e32 v27, v28, v27
	v_mul_f32_e32 v23, v25, v23
	v_add_f32_e32 v23, v27, v23
	v_add_f32_e32 v25, v26, v23
	v_mul_f32_e32 v27, v25, v25
	v_fmaak_f32 v28, s5, v27, 0x3ecc95a3
	v_mul_f32_e32 v29, v25, v27
	v_cmp_neq_f32_e64 s5, 0x7f800000, v24
	v_fmaak_f32 v27, v27, v28, 0x3f2aaada
	v_ldexp_f32 v28, v25, 1
	v_sub_f32_e32 v25, v25, v26
	v_mul_f32_e32 v27, v29, v27
	v_mul_f32_e32 v29, 0x3f317218, v22
	v_sub_f32_e32 v23, v23, v25
	v_add_f32_e32 v26, v28, v27
	v_ldexp_f32 v23, v23, 1
	v_sub_f32_e32 v25, v26, v28
	v_fma_f32 v28, 0x3f317218, v22, -v29
	v_sub_f32_e32 v25, v27, v25
	v_fmamk_f32 v22, v22, 0xb102e308, v28
	v_add_f32_e32 v23, v23, v25
	v_add_f32_e32 v25, v29, v22
	;; [unrolled: 1-line block ×3, first 2 shown]
	v_sub_f32_e32 v29, v25, v29
	v_add_f32_e32 v28, v25, v27
	v_sub_f32_e32 v26, v27, v26
	v_sub_f32_e32 v22, v22, v29
	;; [unrolled: 1-line block ×6, first 2 shown]
	v_add_f32_e32 v27, v22, v23
	v_sub_f32_e32 v25, v25, v31
	v_add_f32_e32 v25, v26, v25
	v_sub_f32_e32 v26, v27, v22
	;; [unrolled: 2-line block ×3, first 2 shown]
	v_sub_f32_e32 v23, v23, v26
	v_add_f32_e32 v29, v28, v25
	v_sub_f32_e32 v22, v22, v27
	v_sub_f32_e32 v26, v29, v28
	v_add_f32_e32 v22, v23, v22
	v_sub_f32_e32 v23, v25, v26
	v_add_f32_e32 v22, v22, v23
	v_add_f32_e32 v22, v29, v22
	v_cndmask_b32_e64 v22, 0x7f800000, v22, s5
	v_cmp_gt_f32_e64 s5, 0x33800000, |v24|
	v_cndmask_b32_e64 v22, v22, v24, s5
	v_add_f32_e32 v22, v21, v22
.LBB132_32:
	s_or_b32 exec_lo, exec_lo, s15
	v_mov_b32_e32 v21, v22
.LBB132_33:
	s_or_b32 exec_lo, exec_lo, s14
	v_mov_b32_dpp v22, v21 row_shr:8 row_mask:0xf bank_mask:0xf
	s_mov_b32 s14, exec_lo
	v_cmpx_lt_u32_e32 7, v20
	s_cbranch_execz .LBB132_37
; %bb.34:
	v_max_f32_e32 v20, v21, v21
	v_max_f32_e32 v23, v22, v22
	v_cmp_u_f32_e64 s5, v22, v22
	v_min_f32_e32 v24, v23, v20
	v_max_f32_e32 v20, v23, v20
	v_cndmask_b32_e64 v23, v24, v22, s5
	v_cndmask_b32_e64 v20, v20, v22, s5
	v_cmp_u_f32_e64 s5, v21, v21
	v_cndmask_b32_e64 v23, v23, v21, s5
	v_cndmask_b32_e64 v20, v20, v21, s5
	v_cmp_class_f32_e64 s15, v23, 0x1f8
	v_cmp_neq_f32_e64 s5, v23, v20
	s_or_b32 s5, s5, s15
	s_and_saveexec_b32 s15, s5
	s_cbranch_execz .LBB132_36
; %bb.35:
	v_sub_f32_e32 v21, v23, v20
	v_mul_f32_e32 v22, 0x3fb8aa3b, v21
	v_cmp_ngt_f32_e64 s5, 0xc2ce8ed0, v21
	v_fma_f32 v23, 0x3fb8aa3b, v21, -v22
	v_rndne_f32_e32 v24, v22
	v_fmamk_f32 v23, v21, 0x32a5705f, v23
	v_sub_f32_e32 v22, v22, v24
	v_add_f32_e32 v22, v22, v23
	v_cvt_i32_f32_e32 v23, v24
	v_exp_f32_e32 v22, v22
	v_ldexp_f32 v22, v22, v23
	v_cndmask_b32_e64 v22, 0, v22, s5
	v_cmp_nlt_f32_e64 s5, 0x42b17218, v21
	v_cndmask_b32_e64 v23, 0x7f800000, v22, s5
	v_add_f32_e32 v24, 1.0, v23
	v_cvt_f64_f32_e32 v[21:22], v24
	v_frexp_exp_i32_f64_e32 v21, v[21:22]
	v_frexp_mant_f32_e32 v22, v24
	v_cmp_gt_f32_e64 s5, 0x3f2aaaab, v22
	v_add_f32_e32 v22, -1.0, v24
	v_sub_f32_e32 v26, v22, v24
	v_sub_f32_e32 v22, v23, v22
	v_add_f32_e32 v26, 1.0, v26
	v_add_f32_e32 v22, v22, v26
	v_subrev_co_ci_u32_e64 v21, null, 0, v21, s5
	s_mov_b32 s5, 0x3e9b6dac
	v_sub_nc_u32_e32 v25, 0, v21
	v_cvt_f32_i32_e32 v21, v21
	v_ldexp_f32 v24, v24, v25
	v_ldexp_f32 v22, v22, v25
	v_add_f32_e32 v27, 1.0, v24
	v_add_f32_e32 v25, -1.0, v24
	v_add_f32_e32 v26, -1.0, v27
	v_add_f32_e32 v28, 1.0, v25
	v_sub_f32_e32 v26, v24, v26
	v_sub_f32_e32 v24, v24, v28
	v_add_f32_e32 v26, v22, v26
	v_add_f32_e32 v22, v22, v24
	;; [unrolled: 1-line block ×4, first 2 shown]
	v_rcp_f32_e32 v24, v28
	v_sub_f32_e32 v27, v27, v28
	v_sub_f32_e32 v25, v25, v29
	v_add_f32_e32 v26, v26, v27
	v_add_f32_e32 v22, v22, v25
	v_mul_f32_e32 v30, v29, v24
	v_mul_f32_e32 v31, v28, v30
	v_fma_f32 v27, v30, v28, -v31
	v_fmac_f32_e32 v27, v30, v26
	v_add_f32_e32 v32, v31, v27
	v_sub_f32_e32 v33, v29, v32
	v_sub_f32_e32 v25, v32, v31
	;; [unrolled: 1-line block ×5, first 2 shown]
	v_add_f32_e32 v22, v22, v29
	v_add_f32_e32 v22, v25, v22
	;; [unrolled: 1-line block ×3, first 2 shown]
	v_mul_f32_e32 v27, v24, v25
	v_sub_f32_e32 v32, v33, v25
	v_mul_f32_e32 v29, v28, v27
	v_add_f32_e32 v22, v22, v32
	v_fma_f32 v28, v27, v28, -v29
	v_fmac_f32_e32 v28, v27, v26
	v_add_f32_e32 v26, v29, v28
	v_sub_f32_e32 v31, v25, v26
	v_sub_f32_e32 v29, v26, v29
	;; [unrolled: 1-line block ×5, first 2 shown]
	v_add_f32_e32 v22, v22, v25
	v_add_f32_e32 v25, v30, v27
	;; [unrolled: 1-line block ×3, first 2 shown]
	v_sub_f32_e32 v26, v25, v30
	v_add_f32_e32 v22, v31, v22
	v_sub_f32_e32 v26, v27, v26
	v_mul_f32_e32 v22, v24, v22
	v_add_f32_e32 v22, v26, v22
	v_add_f32_e32 v24, v25, v22
	v_mul_f32_e32 v26, v24, v24
	v_fmaak_f32 v27, s5, v26, 0x3ecc95a3
	v_mul_f32_e32 v28, v24, v26
	v_cmp_neq_f32_e64 s5, 0x7f800000, v23
	v_fmaak_f32 v26, v26, v27, 0x3f2aaada
	v_ldexp_f32 v27, v24, 1
	v_sub_f32_e32 v24, v24, v25
	v_mul_f32_e32 v26, v28, v26
	v_mul_f32_e32 v28, 0x3f317218, v21
	v_sub_f32_e32 v22, v22, v24
	v_add_f32_e32 v25, v27, v26
	v_ldexp_f32 v22, v22, 1
	v_sub_f32_e32 v24, v25, v27
	v_fma_f32 v27, 0x3f317218, v21, -v28
	v_sub_f32_e32 v24, v26, v24
	v_fmamk_f32 v21, v21, 0xb102e308, v27
	v_add_f32_e32 v22, v22, v24
	v_add_f32_e32 v24, v28, v21
	;; [unrolled: 1-line block ×3, first 2 shown]
	v_sub_f32_e32 v28, v24, v28
	v_add_f32_e32 v27, v24, v26
	v_sub_f32_e32 v25, v26, v25
	v_sub_f32_e32 v21, v21, v28
	v_sub_f32_e32 v29, v27, v24
	v_sub_f32_e32 v22, v22, v25
	v_sub_f32_e32 v30, v27, v29
	v_sub_f32_e32 v25, v26, v29
	v_add_f32_e32 v26, v21, v22
	v_sub_f32_e32 v24, v24, v30
	v_add_f32_e32 v24, v25, v24
	v_sub_f32_e32 v25, v26, v21
	;; [unrolled: 2-line block ×3, first 2 shown]
	v_sub_f32_e32 v22, v22, v25
	v_add_f32_e32 v28, v27, v24
	v_sub_f32_e32 v21, v21, v26
	v_sub_f32_e32 v25, v28, v27
	v_add_f32_e32 v21, v22, v21
	v_sub_f32_e32 v22, v24, v25
	v_add_f32_e32 v21, v21, v22
	v_add_f32_e32 v21, v28, v21
	v_cndmask_b32_e64 v21, 0x7f800000, v21, s5
	v_cmp_gt_f32_e64 s5, 0x33800000, |v23|
	v_cndmask_b32_e64 v21, v21, v23, s5
	v_add_f32_e32 v22, v20, v21
.LBB132_36:
	s_or_b32 exec_lo, exec_lo, s15
	v_mov_b32_e32 v21, v22
.LBB132_37:
	s_or_b32 exec_lo, exec_lo, s14
	ds_swizzle_b32 v22, v21 offset:swizzle(BROADCAST,32,15)
	v_and_b32_e32 v20, 16, v6
	s_mov_b32 s14, exec_lo
	v_cmpx_ne_u32_e32 0, v20
	s_cbranch_execz .LBB132_41
; %bb.38:
	v_max_f32_e32 v20, v21, v21
	s_waitcnt lgkmcnt(0)
	v_max_f32_e32 v23, v22, v22
	v_cmp_u_f32_e64 s5, v22, v22
	v_min_f32_e32 v24, v23, v20
	v_max_f32_e32 v20, v23, v20
	v_cndmask_b32_e64 v23, v24, v22, s5
	v_cndmask_b32_e64 v20, v20, v22, s5
	v_cmp_u_f32_e64 s5, v21, v21
	v_cndmask_b32_e64 v23, v23, v21, s5
	v_cndmask_b32_e64 v20, v20, v21, s5
	v_cmp_class_f32_e64 s15, v23, 0x1f8
	v_cmp_neq_f32_e64 s5, v23, v20
	s_or_b32 s5, s5, s15
	s_and_saveexec_b32 s15, s5
	s_cbranch_execz .LBB132_40
; %bb.39:
	v_sub_f32_e32 v21, v23, v20
	v_mul_f32_e32 v22, 0x3fb8aa3b, v21
	v_cmp_ngt_f32_e64 s5, 0xc2ce8ed0, v21
	v_fma_f32 v23, 0x3fb8aa3b, v21, -v22
	v_rndne_f32_e32 v24, v22
	v_fmamk_f32 v23, v21, 0x32a5705f, v23
	v_sub_f32_e32 v22, v22, v24
	v_add_f32_e32 v22, v22, v23
	v_cvt_i32_f32_e32 v23, v24
	v_exp_f32_e32 v22, v22
	v_ldexp_f32 v22, v22, v23
	v_cndmask_b32_e64 v22, 0, v22, s5
	v_cmp_nlt_f32_e64 s5, 0x42b17218, v21
	v_cndmask_b32_e64 v23, 0x7f800000, v22, s5
	v_add_f32_e32 v24, 1.0, v23
	v_cvt_f64_f32_e32 v[21:22], v24
	v_frexp_exp_i32_f64_e32 v21, v[21:22]
	v_frexp_mant_f32_e32 v22, v24
	v_cmp_gt_f32_e64 s5, 0x3f2aaaab, v22
	v_add_f32_e32 v22, -1.0, v24
	v_sub_f32_e32 v26, v22, v24
	v_sub_f32_e32 v22, v23, v22
	v_add_f32_e32 v26, 1.0, v26
	v_add_f32_e32 v22, v22, v26
	v_subrev_co_ci_u32_e64 v21, null, 0, v21, s5
	s_mov_b32 s5, 0x3e9b6dac
	v_sub_nc_u32_e32 v25, 0, v21
	v_cvt_f32_i32_e32 v21, v21
	v_ldexp_f32 v24, v24, v25
	v_ldexp_f32 v22, v22, v25
	v_add_f32_e32 v27, 1.0, v24
	v_add_f32_e32 v25, -1.0, v24
	v_add_f32_e32 v26, -1.0, v27
	v_add_f32_e32 v28, 1.0, v25
	v_sub_f32_e32 v26, v24, v26
	v_sub_f32_e32 v24, v24, v28
	v_add_f32_e32 v26, v22, v26
	v_add_f32_e32 v22, v22, v24
	;; [unrolled: 1-line block ×4, first 2 shown]
	v_rcp_f32_e32 v24, v28
	v_sub_f32_e32 v27, v27, v28
	v_sub_f32_e32 v25, v25, v29
	v_add_f32_e32 v26, v26, v27
	v_add_f32_e32 v22, v22, v25
	v_mul_f32_e32 v30, v29, v24
	v_mul_f32_e32 v31, v28, v30
	v_fma_f32 v27, v30, v28, -v31
	v_fmac_f32_e32 v27, v30, v26
	v_add_f32_e32 v32, v31, v27
	v_sub_f32_e32 v33, v29, v32
	v_sub_f32_e32 v25, v32, v31
	;; [unrolled: 1-line block ×5, first 2 shown]
	v_add_f32_e32 v22, v22, v29
	v_add_f32_e32 v22, v25, v22
	;; [unrolled: 1-line block ×3, first 2 shown]
	v_mul_f32_e32 v27, v24, v25
	v_sub_f32_e32 v32, v33, v25
	v_mul_f32_e32 v29, v28, v27
	v_add_f32_e32 v22, v22, v32
	v_fma_f32 v28, v27, v28, -v29
	v_fmac_f32_e32 v28, v27, v26
	v_add_f32_e32 v26, v29, v28
	v_sub_f32_e32 v31, v25, v26
	v_sub_f32_e32 v29, v26, v29
	;; [unrolled: 1-line block ×5, first 2 shown]
	v_add_f32_e32 v22, v22, v25
	v_add_f32_e32 v25, v30, v27
	;; [unrolled: 1-line block ×3, first 2 shown]
	v_sub_f32_e32 v26, v25, v30
	v_add_f32_e32 v22, v31, v22
	v_sub_f32_e32 v26, v27, v26
	v_mul_f32_e32 v22, v24, v22
	v_add_f32_e32 v22, v26, v22
	v_add_f32_e32 v24, v25, v22
	v_mul_f32_e32 v26, v24, v24
	v_fmaak_f32 v27, s5, v26, 0x3ecc95a3
	v_mul_f32_e32 v28, v24, v26
	v_cmp_neq_f32_e64 s5, 0x7f800000, v23
	v_fmaak_f32 v26, v26, v27, 0x3f2aaada
	v_ldexp_f32 v27, v24, 1
	v_sub_f32_e32 v24, v24, v25
	v_mul_f32_e32 v26, v28, v26
	v_mul_f32_e32 v28, 0x3f317218, v21
	v_sub_f32_e32 v22, v22, v24
	v_add_f32_e32 v25, v27, v26
	v_ldexp_f32 v22, v22, 1
	v_sub_f32_e32 v24, v25, v27
	v_fma_f32 v27, 0x3f317218, v21, -v28
	v_sub_f32_e32 v24, v26, v24
	v_fmamk_f32 v21, v21, 0xb102e308, v27
	v_add_f32_e32 v22, v22, v24
	v_add_f32_e32 v24, v28, v21
	;; [unrolled: 1-line block ×3, first 2 shown]
	v_sub_f32_e32 v28, v24, v28
	v_add_f32_e32 v27, v24, v26
	v_sub_f32_e32 v25, v26, v25
	v_sub_f32_e32 v21, v21, v28
	;; [unrolled: 1-line block ×6, first 2 shown]
	v_add_f32_e32 v26, v21, v22
	v_sub_f32_e32 v24, v24, v30
	v_add_f32_e32 v24, v25, v24
	v_sub_f32_e32 v25, v26, v21
	;; [unrolled: 2-line block ×3, first 2 shown]
	v_sub_f32_e32 v22, v22, v25
	v_add_f32_e32 v28, v27, v24
	v_sub_f32_e32 v21, v21, v26
	v_sub_f32_e32 v25, v28, v27
	v_add_f32_e32 v21, v22, v21
	v_sub_f32_e32 v22, v24, v25
	v_add_f32_e32 v21, v21, v22
	v_add_f32_e32 v21, v28, v21
	v_cndmask_b32_e64 v21, 0x7f800000, v21, s5
	v_cmp_gt_f32_e64 s5, 0x33800000, |v23|
	v_cndmask_b32_e64 v21, v21, v23, s5
	v_add_f32_e32 v22, v20, v21
.LBB132_40:
	s_or_b32 exec_lo, exec_lo, s15
	v_mov_b32_e32 v21, v22
.LBB132_41:
	s_or_b32 exec_lo, exec_lo, s14
	v_add_nc_u32_e32 v20, -1, v6
	v_cmp_gt_i32_e64 s5, 0, v20
	v_cndmask_b32_e64 v6, v20, v6, s5
	v_lshlrev_b32_e32 v6, 2, v6
	ds_bpermute_b32 v6, v6, v21
	s_waitcnt lgkmcnt(0)
	v_max_f32_e32 v20, v6, v6
	v_cmp_u_f32_e64 s5, v6, v6
	v_min_f32_e32 v21, v20, v19
	v_max_f32_e32 v19, v20, v19
	v_cndmask_b32_e64 v20, v21, v6, s5
	v_cndmask_b32_e64 v21, v19, v6, s5
	;; [unrolled: 1-line block ×4, first 2 shown]
	v_cmp_class_f32_e64 s5, v19, 0x1f8
	v_cmp_neq_f32_e64 s4, v19, v5
	s_or_b32 s4, s4, s5
	s_and_saveexec_b32 s5, s4
	s_cbranch_execz .LBB132_43
; %bb.42:
	v_sub_f32_e32 v6, v19, v5
	v_mul_f32_e32 v19, 0x3fb8aa3b, v6
	v_cmp_ngt_f32_e64 s4, 0xc2ce8ed0, v6
	v_fma_f32 v20, 0x3fb8aa3b, v6, -v19
	v_rndne_f32_e32 v21, v19
	v_fmamk_f32 v20, v6, 0x32a5705f, v20
	v_sub_f32_e32 v19, v19, v21
	v_add_f32_e32 v19, v19, v20
	v_cvt_i32_f32_e32 v20, v21
	v_exp_f32_e32 v19, v19
	v_ldexp_f32 v19, v19, v20
	v_cndmask_b32_e64 v19, 0, v19, s4
	v_cmp_nlt_f32_e64 s4, 0x42b17218, v6
	v_cndmask_b32_e64 v6, 0x7f800000, v19, s4
	v_add_f32_e32 v21, 1.0, v6
	v_cvt_f64_f32_e32 v[19:20], v21
	v_frexp_exp_i32_f64_e32 v19, v[19:20]
	v_frexp_mant_f32_e32 v20, v21
	v_cmp_gt_f32_e64 s4, 0x3f2aaaab, v20
	v_add_f32_e32 v20, -1.0, v21
	v_sub_f32_e32 v23, v20, v21
	v_sub_f32_e32 v20, v6, v20
	v_add_f32_e32 v23, 1.0, v23
	v_add_f32_e32 v20, v20, v23
	v_subrev_co_ci_u32_e64 v19, null, 0, v19, s4
	s_mov_b32 s4, 0x3e9b6dac
	v_sub_nc_u32_e32 v22, 0, v19
	v_cvt_f32_i32_e32 v19, v19
	v_ldexp_f32 v21, v21, v22
	v_ldexp_f32 v20, v20, v22
	v_add_f32_e32 v24, 1.0, v21
	v_add_f32_e32 v22, -1.0, v21
	v_add_f32_e32 v23, -1.0, v24
	v_add_f32_e32 v25, 1.0, v22
	v_sub_f32_e32 v23, v21, v23
	v_sub_f32_e32 v21, v21, v25
	v_add_f32_e32 v23, v20, v23
	v_add_f32_e32 v20, v20, v21
	;; [unrolled: 1-line block ×4, first 2 shown]
	v_rcp_f32_e32 v21, v25
	v_sub_f32_e32 v24, v24, v25
	v_sub_f32_e32 v22, v22, v26
	v_add_f32_e32 v23, v23, v24
	v_add_f32_e32 v20, v20, v22
	v_mul_f32_e32 v27, v26, v21
	v_mul_f32_e32 v28, v25, v27
	v_fma_f32 v24, v27, v25, -v28
	v_fmac_f32_e32 v24, v27, v23
	v_add_f32_e32 v29, v28, v24
	v_sub_f32_e32 v30, v26, v29
	v_sub_f32_e32 v22, v29, v28
	;; [unrolled: 1-line block ×5, first 2 shown]
	v_add_f32_e32 v20, v20, v26
	v_add_f32_e32 v20, v22, v20
	;; [unrolled: 1-line block ×3, first 2 shown]
	v_mul_f32_e32 v24, v21, v22
	v_sub_f32_e32 v29, v30, v22
	v_mul_f32_e32 v26, v25, v24
	v_add_f32_e32 v20, v20, v29
	v_fma_f32 v25, v24, v25, -v26
	v_fmac_f32_e32 v25, v24, v23
	v_add_f32_e32 v23, v26, v25
	v_sub_f32_e32 v28, v22, v23
	v_sub_f32_e32 v26, v23, v26
	;; [unrolled: 1-line block ×5, first 2 shown]
	v_add_f32_e32 v20, v20, v22
	v_add_f32_e32 v22, v27, v24
	;; [unrolled: 1-line block ×3, first 2 shown]
	v_sub_f32_e32 v23, v22, v27
	v_add_f32_e32 v20, v28, v20
	v_sub_f32_e32 v23, v24, v23
	v_mul_f32_e32 v20, v21, v20
	v_add_f32_e32 v20, v23, v20
	v_add_f32_e32 v21, v22, v20
	v_mul_f32_e32 v23, v21, v21
	v_fmaak_f32 v24, s4, v23, 0x3ecc95a3
	v_mul_f32_e32 v25, v21, v23
	v_cmp_neq_f32_e64 s4, 0x7f800000, v6
	v_fmaak_f32 v23, v23, v24, 0x3f2aaada
	v_ldexp_f32 v24, v21, 1
	v_sub_f32_e32 v21, v21, v22
	v_mul_f32_e32 v23, v25, v23
	v_mul_f32_e32 v25, 0x3f317218, v19
	v_sub_f32_e32 v20, v20, v21
	v_add_f32_e32 v22, v24, v23
	v_ldexp_f32 v20, v20, 1
	v_sub_f32_e32 v21, v22, v24
	v_fma_f32 v24, 0x3f317218, v19, -v25
	v_sub_f32_e32 v21, v23, v21
	v_fmamk_f32 v19, v19, 0xb102e308, v24
	v_add_f32_e32 v20, v20, v21
	v_add_f32_e32 v21, v25, v19
	;; [unrolled: 1-line block ×3, first 2 shown]
	v_sub_f32_e32 v25, v21, v25
	v_add_f32_e32 v24, v21, v23
	v_sub_f32_e32 v22, v23, v22
	v_sub_f32_e32 v19, v19, v25
	;; [unrolled: 1-line block ×6, first 2 shown]
	v_add_f32_e32 v23, v19, v20
	v_sub_f32_e32 v21, v21, v27
	v_add_f32_e32 v21, v22, v21
	v_sub_f32_e32 v22, v23, v19
	;; [unrolled: 2-line block ×3, first 2 shown]
	v_sub_f32_e32 v20, v20, v22
	v_add_f32_e32 v25, v24, v21
	v_sub_f32_e32 v19, v19, v23
	v_sub_f32_e32 v22, v25, v24
	v_add_f32_e32 v19, v20, v19
	v_sub_f32_e32 v20, v21, v22
	v_add_f32_e32 v19, v19, v20
	v_add_f32_e32 v19, v25, v19
	v_cndmask_b32_e64 v19, 0x7f800000, v19, s4
	v_cmp_gt_f32_e64 s4, 0x33800000, |v6|
	v_cndmask_b32_e64 v6, v19, v6, s4
	v_add_f32_e32 v6, v5, v6
.LBB132_43:
	s_or_b32 exec_lo, exec_lo, s5
	v_cmp_eq_u32_e64 s4, 0, v0
	; wave barrier
	v_cndmask_b32_e64 v6, v6, v18, s4
	ds_write_b32 v17, v6
	; wave barrier
	ds_read_b32 v5, v17 offset:4
	v_max_f32_e32 v18, v6, v6
	v_cmp_u_f32_e64 s4, v6, v6
	s_waitcnt lgkmcnt(0)
	v_max_f32_e32 v19, v5, v5
	v_min_f32_e32 v20, v18, v19
	v_max_f32_e32 v18, v18, v19
	v_cndmask_b32_e64 v19, v20, v6, s4
	v_cndmask_b32_e64 v20, v18, v6, s4
	v_cmp_u_f32_e64 s4, v5, v5
	v_cndmask_b32_e64 v18, v19, v5, s4
	v_cndmask_b32_e64 v5, v20, v5, s4
	v_cmp_class_f32_e64 s5, v18, 0x1f8
	v_cmp_neq_f32_e64 s4, v18, v5
	s_or_b32 s4, s4, s5
	s_and_saveexec_b32 s5, s4
	s_cbranch_execz .LBB132_45
; %bb.44:
	v_sub_f32_e32 v6, v18, v5
	v_mul_f32_e32 v18, 0x3fb8aa3b, v6
	v_cmp_ngt_f32_e64 s4, 0xc2ce8ed0, v6
	v_fma_f32 v19, 0x3fb8aa3b, v6, -v18
	v_rndne_f32_e32 v20, v18
	v_fmamk_f32 v19, v6, 0x32a5705f, v19
	v_sub_f32_e32 v18, v18, v20
	v_add_f32_e32 v18, v18, v19
	v_cvt_i32_f32_e32 v19, v20
	v_exp_f32_e32 v18, v18
	v_ldexp_f32 v18, v18, v19
	v_cndmask_b32_e64 v18, 0, v18, s4
	v_cmp_nlt_f32_e64 s4, 0x42b17218, v6
	v_cndmask_b32_e64 v6, 0x7f800000, v18, s4
	v_add_f32_e32 v20, 1.0, v6
	v_cvt_f64_f32_e32 v[18:19], v20
	v_frexp_exp_i32_f64_e32 v18, v[18:19]
	v_frexp_mant_f32_e32 v19, v20
	v_cmp_gt_f32_e64 s4, 0x3f2aaaab, v19
	v_add_f32_e32 v19, -1.0, v20
	v_sub_f32_e32 v22, v19, v20
	v_sub_f32_e32 v19, v6, v19
	v_add_f32_e32 v22, 1.0, v22
	v_add_f32_e32 v19, v19, v22
	v_subrev_co_ci_u32_e64 v18, null, 0, v18, s4
	s_mov_b32 s4, 0x3e9b6dac
	v_sub_nc_u32_e32 v21, 0, v18
	v_cvt_f32_i32_e32 v18, v18
	v_ldexp_f32 v20, v20, v21
	v_ldexp_f32 v19, v19, v21
	v_add_f32_e32 v23, 1.0, v20
	v_add_f32_e32 v21, -1.0, v20
	v_add_f32_e32 v22, -1.0, v23
	v_add_f32_e32 v24, 1.0, v21
	v_sub_f32_e32 v22, v20, v22
	v_sub_f32_e32 v20, v20, v24
	v_add_f32_e32 v22, v19, v22
	v_add_f32_e32 v19, v19, v20
	;; [unrolled: 1-line block ×4, first 2 shown]
	v_rcp_f32_e32 v20, v24
	v_sub_f32_e32 v23, v23, v24
	v_sub_f32_e32 v21, v21, v25
	v_add_f32_e32 v22, v22, v23
	v_add_f32_e32 v19, v19, v21
	v_mul_f32_e32 v26, v25, v20
	v_mul_f32_e32 v27, v24, v26
	v_fma_f32 v23, v26, v24, -v27
	v_fmac_f32_e32 v23, v26, v22
	v_add_f32_e32 v28, v27, v23
	v_sub_f32_e32 v29, v25, v28
	v_sub_f32_e32 v21, v28, v27
	;; [unrolled: 1-line block ×5, first 2 shown]
	v_add_f32_e32 v19, v19, v25
	v_add_f32_e32 v19, v21, v19
	v_add_f32_e32 v21, v29, v19
	v_mul_f32_e32 v23, v20, v21
	v_sub_f32_e32 v28, v29, v21
	v_mul_f32_e32 v25, v24, v23
	v_add_f32_e32 v19, v19, v28
	v_fma_f32 v24, v23, v24, -v25
	v_fmac_f32_e32 v24, v23, v22
	v_add_f32_e32 v22, v25, v24
	v_sub_f32_e32 v27, v21, v22
	v_sub_f32_e32 v25, v22, v25
	;; [unrolled: 1-line block ×5, first 2 shown]
	v_add_f32_e32 v19, v19, v21
	v_add_f32_e32 v21, v26, v23
	;; [unrolled: 1-line block ×3, first 2 shown]
	v_sub_f32_e32 v22, v21, v26
	v_add_f32_e32 v19, v27, v19
	v_sub_f32_e32 v22, v23, v22
	v_mul_f32_e32 v19, v20, v19
	v_add_f32_e32 v19, v22, v19
	v_add_f32_e32 v20, v21, v19
	v_mul_f32_e32 v22, v20, v20
	v_fmaak_f32 v23, s4, v22, 0x3ecc95a3
	v_mul_f32_e32 v24, v20, v22
	v_cmp_neq_f32_e64 s4, 0x7f800000, v6
	v_fmaak_f32 v22, v22, v23, 0x3f2aaada
	v_ldexp_f32 v23, v20, 1
	v_sub_f32_e32 v20, v20, v21
	v_mul_f32_e32 v22, v24, v22
	v_mul_f32_e32 v24, 0x3f317218, v18
	v_sub_f32_e32 v19, v19, v20
	v_add_f32_e32 v21, v23, v22
	v_ldexp_f32 v19, v19, 1
	v_sub_f32_e32 v20, v21, v23
	v_fma_f32 v23, 0x3f317218, v18, -v24
	v_sub_f32_e32 v20, v22, v20
	v_fmamk_f32 v18, v18, 0xb102e308, v23
	v_add_f32_e32 v19, v19, v20
	v_add_f32_e32 v20, v24, v18
	;; [unrolled: 1-line block ×3, first 2 shown]
	v_sub_f32_e32 v24, v20, v24
	v_add_f32_e32 v23, v20, v22
	v_sub_f32_e32 v21, v22, v21
	v_sub_f32_e32 v18, v18, v24
	;; [unrolled: 1-line block ×6, first 2 shown]
	v_add_f32_e32 v22, v18, v19
	v_sub_f32_e32 v20, v20, v26
	v_add_f32_e32 v20, v21, v20
	v_sub_f32_e32 v21, v22, v18
	;; [unrolled: 2-line block ×3, first 2 shown]
	v_sub_f32_e32 v19, v19, v21
	v_add_f32_e32 v24, v23, v20
	v_sub_f32_e32 v18, v18, v22
	v_sub_f32_e32 v21, v24, v23
	v_add_f32_e32 v18, v19, v18
	v_sub_f32_e32 v19, v20, v21
	v_add_f32_e32 v18, v18, v19
	v_add_f32_e32 v18, v24, v18
	v_cndmask_b32_e64 v18, 0x7f800000, v18, s4
	v_cmp_gt_f32_e64 s4, 0x33800000, |v6|
	v_cndmask_b32_e64 v6, v18, v6, s4
	v_add_f32_e32 v6, v5, v6
.LBB132_45:
	s_or_b32 exec_lo, exec_lo, s5
	ds_write_b32 v17, v6 offset:4
.LBB132_46:
	s_or_b32 exec_lo, exec_lo, s11
	s_mov_b32 s5, exec_lo
	s_waitcnt lgkmcnt(0)
	s_barrier
	buffer_gl0_inv
	v_cmpx_ne_u32_e32 0, v0
	s_cbranch_execz .LBB132_50
; %bb.47:
	v_add_nc_u32_e32 v5, -1, v0
	v_lshrrev_b32_e32 v6, 3, v5
	v_and_b32_e32 v6, 0x1ffffffc, v6
	v_lshl_add_u32 v5, v5, 2, v6
	ds_read_b32 v5, v5
	s_waitcnt lgkmcnt(0)
	v_max_f32_e32 v6, v5, v5
	v_cmp_u_f32_e64 s4, v5, v5
	v_min_f32_e32 v14, v6, v15
	v_max_f32_e32 v6, v6, v15
	v_cndmask_b32_e64 v14, v14, v5, s4
	v_cndmask_b32_e64 v15, v6, v5, s4
	;; [unrolled: 1-line block ×4, first 2 shown]
	v_cmp_class_f32_e64 s10, v6, 0x1f8
	v_cmp_neq_f32_e64 s4, v6, v1
	s_or_b32 s4, s4, s10
	s_and_saveexec_b32 s10, s4
	s_cbranch_execz .LBB132_49
; %bb.48:
	v_sub_f32_e32 v5, v6, v1
	v_mul_f32_e32 v6, 0x3fb8aa3b, v5
	v_cmp_ngt_f32_e64 s4, 0xc2ce8ed0, v5
	v_fma_f32 v14, 0x3fb8aa3b, v5, -v6
	v_rndne_f32_e32 v15, v6
	v_fmamk_f32 v14, v5, 0x32a5705f, v14
	v_sub_f32_e32 v6, v6, v15
	v_add_f32_e32 v6, v6, v14
	v_cvt_i32_f32_e32 v14, v15
	v_exp_f32_e32 v6, v6
	v_ldexp_f32 v6, v6, v14
	v_cndmask_b32_e64 v6, 0, v6, s4
	v_cmp_nlt_f32_e64 s4, 0x42b17218, v5
	v_cndmask_b32_e64 v14, 0x7f800000, v6, s4
	v_add_f32_e32 v15, 1.0, v14
	v_cvt_f64_f32_e32 v[5:6], v15
	v_frexp_exp_i32_f64_e32 v5, v[5:6]
	v_frexp_mant_f32_e32 v6, v15
	v_cmp_gt_f32_e64 s4, 0x3f2aaaab, v6
	v_add_f32_e32 v6, -1.0, v15
	v_sub_f32_e32 v17, v6, v15
	v_sub_f32_e32 v6, v14, v6
	v_add_f32_e32 v17, 1.0, v17
	v_add_f32_e32 v6, v6, v17
	v_subrev_co_ci_u32_e64 v5, null, 0, v5, s4
	s_mov_b32 s4, 0x3e9b6dac
	v_sub_nc_u32_e32 v16, 0, v5
	v_cvt_f32_i32_e32 v5, v5
	v_ldexp_f32 v15, v15, v16
	v_ldexp_f32 v6, v6, v16
	v_add_f32_e32 v18, 1.0, v15
	v_add_f32_e32 v16, -1.0, v15
	v_add_f32_e32 v17, -1.0, v18
	v_add_f32_e32 v19, 1.0, v16
	v_sub_f32_e32 v17, v15, v17
	v_sub_f32_e32 v15, v15, v19
	v_add_f32_e32 v17, v6, v17
	v_add_f32_e32 v6, v6, v15
	;; [unrolled: 1-line block ×4, first 2 shown]
	v_rcp_f32_e32 v15, v19
	v_sub_f32_e32 v18, v18, v19
	v_sub_f32_e32 v16, v16, v20
	v_add_f32_e32 v17, v17, v18
	v_add_f32_e32 v6, v6, v16
	v_mul_f32_e32 v21, v20, v15
	v_mul_f32_e32 v22, v19, v21
	v_fma_f32 v18, v21, v19, -v22
	v_fmac_f32_e32 v18, v21, v17
	v_add_f32_e32 v23, v22, v18
	v_sub_f32_e32 v24, v20, v23
	v_sub_f32_e32 v16, v23, v22
	;; [unrolled: 1-line block ×5, first 2 shown]
	v_add_f32_e32 v6, v6, v20
	v_add_f32_e32 v6, v16, v6
	;; [unrolled: 1-line block ×3, first 2 shown]
	v_mul_f32_e32 v18, v15, v16
	v_sub_f32_e32 v23, v24, v16
	v_mul_f32_e32 v20, v19, v18
	v_add_f32_e32 v6, v6, v23
	v_fma_f32 v19, v18, v19, -v20
	v_fmac_f32_e32 v19, v18, v17
	v_add_f32_e32 v17, v20, v19
	v_sub_f32_e32 v22, v16, v17
	v_sub_f32_e32 v20, v17, v20
	;; [unrolled: 1-line block ×5, first 2 shown]
	v_add_f32_e32 v6, v6, v16
	v_add_f32_e32 v16, v21, v18
	;; [unrolled: 1-line block ×3, first 2 shown]
	v_sub_f32_e32 v17, v16, v21
	v_add_f32_e32 v6, v22, v6
	v_sub_f32_e32 v17, v18, v17
	v_mul_f32_e32 v6, v15, v6
	v_add_f32_e32 v6, v17, v6
	v_add_f32_e32 v15, v16, v6
	v_mul_f32_e32 v17, v15, v15
	v_fmaak_f32 v18, s4, v17, 0x3ecc95a3
	v_mul_f32_e32 v19, v15, v17
	v_cmp_neq_f32_e64 s4, 0x7f800000, v14
	v_fmaak_f32 v17, v17, v18, 0x3f2aaada
	v_ldexp_f32 v18, v15, 1
	v_sub_f32_e32 v15, v15, v16
	v_mul_f32_e32 v17, v19, v17
	v_mul_f32_e32 v19, 0x3f317218, v5
	v_sub_f32_e32 v6, v6, v15
	v_add_f32_e32 v16, v18, v17
	v_ldexp_f32 v6, v6, 1
	v_sub_f32_e32 v15, v16, v18
	v_fma_f32 v18, 0x3f317218, v5, -v19
	v_sub_f32_e32 v15, v17, v15
	v_fmamk_f32 v5, v5, 0xb102e308, v18
	v_add_f32_e32 v6, v6, v15
	v_add_f32_e32 v15, v19, v5
	;; [unrolled: 1-line block ×3, first 2 shown]
	v_sub_f32_e32 v19, v15, v19
	v_add_f32_e32 v18, v15, v17
	v_sub_f32_e32 v16, v17, v16
	v_sub_f32_e32 v5, v5, v19
	;; [unrolled: 1-line block ×6, first 2 shown]
	v_add_f32_e32 v17, v5, v6
	v_sub_f32_e32 v15, v15, v21
	v_add_f32_e32 v15, v16, v15
	v_sub_f32_e32 v16, v17, v5
	;; [unrolled: 2-line block ×3, first 2 shown]
	v_sub_f32_e32 v6, v6, v16
	v_add_f32_e32 v19, v18, v15
	v_sub_f32_e32 v5, v5, v17
	v_sub_f32_e32 v16, v19, v18
	v_add_f32_e32 v5, v6, v5
	v_sub_f32_e32 v6, v15, v16
	v_add_f32_e32 v5, v5, v6
	v_add_f32_e32 v5, v19, v5
	v_cndmask_b32_e64 v5, 0x7f800000, v5, s4
	v_cmp_gt_f32_e64 s4, 0x33800000, |v14|
	v_cndmask_b32_e64 v5, v5, v14, s4
	v_add_f32_e32 v5, v1, v5
.LBB132_49:
	s_or_b32 exec_lo, exec_lo, s10
	v_max_f32_e32 v1, v5, v5
	;;#ASMSTART
	;;#ASMEND
	v_min_f32_e32 v14, v1, v13
	v_max_f32_e32 v16, v1, v13
	v_mov_b32_e32 v1, v5
.LBB132_50:
	s_or_b32 exec_lo, exec_lo, s5
	v_cmp_u_f32_e64 s4, v1, v1
	v_cndmask_b32_e64 v5, v14, v1, s4
	v_cndmask_b32_e64 v13, v16, v1, s4
	;; [unrolled: 1-line block ×4, first 2 shown]
	v_mov_b32_e32 v2, v1
	v_cmp_class_f32_e64 s5, v6, 0x1f8
	v_cmp_neq_f32_e64 s4, v6, v5
	s_or_b32 s4, s4, s5
	s_and_saveexec_b32 s5, s4
	s_cbranch_execz .LBB132_52
; %bb.51:
	v_sub_f32_e32 v2, v6, v5
	v_mul_f32_e32 v6, 0x3fb8aa3b, v2
	v_cmp_ngt_f32_e64 s4, 0xc2ce8ed0, v2
	v_fma_f32 v13, 0x3fb8aa3b, v2, -v6
	v_rndne_f32_e32 v14, v6
	v_fmamk_f32 v13, v2, 0x32a5705f, v13
	v_sub_f32_e32 v6, v6, v14
	v_add_f32_e32 v6, v6, v13
	v_cvt_i32_f32_e32 v13, v14
	v_exp_f32_e32 v6, v6
	v_ldexp_f32 v6, v6, v13
	v_cndmask_b32_e64 v6, 0, v6, s4
	v_cmp_nlt_f32_e64 s4, 0x42b17218, v2
	v_cndmask_b32_e64 v2, 0x7f800000, v6, s4
	v_add_f32_e32 v6, 1.0, v2
	v_cvt_f64_f32_e32 v[13:14], v6
	v_frexp_exp_i32_f64_e32 v13, v[13:14]
	v_frexp_mant_f32_e32 v14, v6
	v_cmp_gt_f32_e64 s4, 0x3f2aaaab, v14
	v_add_f32_e32 v14, -1.0, v6
	v_sub_f32_e32 v16, v14, v6
	v_sub_f32_e32 v14, v2, v14
	v_add_f32_e32 v16, 1.0, v16
	v_add_f32_e32 v14, v14, v16
	v_subrev_co_ci_u32_e64 v13, null, 0, v13, s4
	s_mov_b32 s4, 0x3e9b6dac
	v_sub_nc_u32_e32 v15, 0, v13
	v_cvt_f32_i32_e32 v13, v13
	v_ldexp_f32 v6, v6, v15
	v_ldexp_f32 v14, v14, v15
	v_add_f32_e32 v17, 1.0, v6
	v_add_f32_e32 v15, -1.0, v6
	v_add_f32_e32 v16, -1.0, v17
	v_add_f32_e32 v18, 1.0, v15
	v_sub_f32_e32 v16, v6, v16
	v_sub_f32_e32 v6, v6, v18
	v_add_f32_e32 v16, v14, v16
	v_add_f32_e32 v6, v14, v6
	;; [unrolled: 1-line block ×4, first 2 shown]
	v_rcp_f32_e32 v14, v18
	v_sub_f32_e32 v17, v17, v18
	v_sub_f32_e32 v15, v15, v19
	v_add_f32_e32 v16, v16, v17
	v_add_f32_e32 v6, v6, v15
	v_mul_f32_e32 v20, v19, v14
	v_mul_f32_e32 v21, v18, v20
	v_fma_f32 v17, v20, v18, -v21
	v_fmac_f32_e32 v17, v20, v16
	v_add_f32_e32 v22, v21, v17
	v_sub_f32_e32 v23, v19, v22
	v_sub_f32_e32 v15, v22, v21
	;; [unrolled: 1-line block ×5, first 2 shown]
	v_add_f32_e32 v6, v6, v19
	v_add_f32_e32 v6, v15, v6
	;; [unrolled: 1-line block ×3, first 2 shown]
	v_mul_f32_e32 v17, v14, v15
	v_sub_f32_e32 v22, v23, v15
	v_mul_f32_e32 v19, v18, v17
	v_add_f32_e32 v6, v6, v22
	v_fma_f32 v18, v17, v18, -v19
	v_fmac_f32_e32 v18, v17, v16
	v_add_f32_e32 v16, v19, v18
	v_sub_f32_e32 v21, v15, v16
	v_sub_f32_e32 v19, v16, v19
	;; [unrolled: 1-line block ×5, first 2 shown]
	v_add_f32_e32 v6, v6, v15
	v_add_f32_e32 v15, v20, v17
	;; [unrolled: 1-line block ×3, first 2 shown]
	v_sub_f32_e32 v16, v15, v20
	v_add_f32_e32 v6, v21, v6
	v_sub_f32_e32 v16, v17, v16
	v_mul_f32_e32 v6, v14, v6
	v_add_f32_e32 v6, v16, v6
	v_add_f32_e32 v14, v15, v6
	v_mul_f32_e32 v16, v14, v14
	v_fmaak_f32 v17, s4, v16, 0x3ecc95a3
	v_mul_f32_e32 v18, v14, v16
	v_cmp_neq_f32_e64 s4, 0x7f800000, v2
	v_fmaak_f32 v16, v16, v17, 0x3f2aaada
	v_ldexp_f32 v17, v14, 1
	v_sub_f32_e32 v14, v14, v15
	v_mul_f32_e32 v16, v18, v16
	v_mul_f32_e32 v18, 0x3f317218, v13
	v_sub_f32_e32 v6, v6, v14
	v_add_f32_e32 v15, v17, v16
	v_ldexp_f32 v6, v6, 1
	v_sub_f32_e32 v14, v15, v17
	v_fma_f32 v17, 0x3f317218, v13, -v18
	v_sub_f32_e32 v14, v16, v14
	v_fmamk_f32 v13, v13, 0xb102e308, v17
	v_add_f32_e32 v6, v6, v14
	v_add_f32_e32 v14, v18, v13
	;; [unrolled: 1-line block ×3, first 2 shown]
	v_sub_f32_e32 v18, v14, v18
	v_add_f32_e32 v17, v14, v16
	v_sub_f32_e32 v15, v16, v15
	v_sub_f32_e32 v13, v13, v18
	;; [unrolled: 1-line block ×6, first 2 shown]
	v_add_f32_e32 v16, v13, v6
	v_sub_f32_e32 v14, v14, v20
	v_add_f32_e32 v14, v15, v14
	v_sub_f32_e32 v15, v16, v13
	;; [unrolled: 2-line block ×3, first 2 shown]
	v_sub_f32_e32 v6, v6, v15
	v_add_f32_e32 v18, v17, v14
	v_sub_f32_e32 v13, v13, v16
	v_sub_f32_e32 v15, v18, v17
	v_add_f32_e32 v6, v6, v13
	v_sub_f32_e32 v13, v14, v15
	v_add_f32_e32 v6, v6, v13
	v_add_f32_e32 v6, v18, v6
	v_cndmask_b32_e64 v6, 0x7f800000, v6, s4
	v_cmp_gt_f32_e64 s4, 0x33800000, |v2|
	v_cndmask_b32_e64 v2, v6, v2, s4
	v_add_f32_e32 v2, v5, v2
.LBB132_52:
	s_or_b32 exec_lo, exec_lo, s5
	v_max_f32_e32 v5, v2, v2
	v_cmp_u_f32_e64 s4, v2, v2
	v_min_f32_e32 v6, v5, v10
	v_max_f32_e32 v5, v5, v10
	v_cndmask_b32_e64 v6, v6, v2, s4
	v_cndmask_b32_e64 v5, v5, v2, s4
	;; [unrolled: 1-line block ×4, first 2 shown]
	v_mov_b32_e32 v3, v2
	v_cmp_class_f32_e64 s5, v6, 0x1f8
	v_cmp_neq_f32_e64 s4, v6, v5
	s_or_b32 s4, s4, s5
	s_and_saveexec_b32 s5, s4
	s_cbranch_execz .LBB132_54
; %bb.53:
	v_sub_f32_e32 v3, v6, v5
	v_mul_f32_e32 v6, 0x3fb8aa3b, v3
	v_cmp_ngt_f32_e64 s4, 0xc2ce8ed0, v3
	v_fma_f32 v10, 0x3fb8aa3b, v3, -v6
	v_rndne_f32_e32 v13, v6
	v_fmamk_f32 v10, v3, 0x32a5705f, v10
	v_sub_f32_e32 v6, v6, v13
	v_add_f32_e32 v6, v6, v10
	v_cvt_i32_f32_e32 v10, v13
	v_exp_f32_e32 v6, v6
	v_ldexp_f32 v6, v6, v10
	v_cndmask_b32_e64 v6, 0, v6, s4
	v_cmp_nlt_f32_e64 s4, 0x42b17218, v3
	v_cndmask_b32_e64 v3, 0x7f800000, v6, s4
	v_add_f32_e32 v6, 1.0, v3
	v_cvt_f64_f32_e32 v[13:14], v6
	v_frexp_exp_i32_f64_e32 v10, v[13:14]
	v_frexp_mant_f32_e32 v13, v6
	v_cmp_gt_f32_e64 s4, 0x3f2aaaab, v13
	v_add_f32_e32 v13, -1.0, v6
	v_sub_f32_e32 v15, v13, v6
	v_sub_f32_e32 v13, v3, v13
	v_add_f32_e32 v15, 1.0, v15
	v_add_f32_e32 v13, v13, v15
	v_subrev_co_ci_u32_e64 v10, null, 0, v10, s4
	s_mov_b32 s4, 0x3e9b6dac
	v_sub_nc_u32_e32 v14, 0, v10
	v_cvt_f32_i32_e32 v10, v10
	v_ldexp_f32 v6, v6, v14
	v_ldexp_f32 v13, v13, v14
	v_add_f32_e32 v16, 1.0, v6
	v_add_f32_e32 v14, -1.0, v6
	v_add_f32_e32 v15, -1.0, v16
	v_add_f32_e32 v17, 1.0, v14
	v_sub_f32_e32 v15, v6, v15
	v_sub_f32_e32 v6, v6, v17
	v_add_f32_e32 v15, v13, v15
	v_add_f32_e32 v6, v13, v6
	;; [unrolled: 1-line block ×4, first 2 shown]
	v_rcp_f32_e32 v13, v17
	v_sub_f32_e32 v16, v16, v17
	v_sub_f32_e32 v14, v14, v18
	v_add_f32_e32 v15, v15, v16
	v_add_f32_e32 v6, v6, v14
	v_mul_f32_e32 v19, v18, v13
	v_mul_f32_e32 v20, v17, v19
	v_fma_f32 v16, v19, v17, -v20
	v_fmac_f32_e32 v16, v19, v15
	v_add_f32_e32 v21, v20, v16
	v_sub_f32_e32 v22, v18, v21
	v_sub_f32_e32 v14, v21, v20
	;; [unrolled: 1-line block ×5, first 2 shown]
	v_add_f32_e32 v6, v6, v18
	v_add_f32_e32 v6, v14, v6
	;; [unrolled: 1-line block ×3, first 2 shown]
	v_mul_f32_e32 v16, v13, v14
	v_sub_f32_e32 v21, v22, v14
	v_mul_f32_e32 v18, v17, v16
	v_add_f32_e32 v6, v6, v21
	v_fma_f32 v17, v16, v17, -v18
	v_fmac_f32_e32 v17, v16, v15
	v_add_f32_e32 v15, v18, v17
	v_sub_f32_e32 v20, v14, v15
	v_sub_f32_e32 v18, v15, v18
	;; [unrolled: 1-line block ×5, first 2 shown]
	v_add_f32_e32 v6, v6, v14
	v_add_f32_e32 v14, v19, v16
	;; [unrolled: 1-line block ×3, first 2 shown]
	v_sub_f32_e32 v15, v14, v19
	v_add_f32_e32 v6, v20, v6
	v_sub_f32_e32 v15, v16, v15
	v_mul_f32_e32 v6, v13, v6
	v_add_f32_e32 v6, v15, v6
	v_add_f32_e32 v13, v14, v6
	v_mul_f32_e32 v15, v13, v13
	v_fmaak_f32 v16, s4, v15, 0x3ecc95a3
	v_mul_f32_e32 v17, v13, v15
	v_cmp_neq_f32_e64 s4, 0x7f800000, v3
	v_fmaak_f32 v15, v15, v16, 0x3f2aaada
	v_ldexp_f32 v16, v13, 1
	v_sub_f32_e32 v13, v13, v14
	v_mul_f32_e32 v15, v17, v15
	v_mul_f32_e32 v17, 0x3f317218, v10
	v_sub_f32_e32 v6, v6, v13
	v_add_f32_e32 v14, v16, v15
	v_ldexp_f32 v6, v6, 1
	v_sub_f32_e32 v13, v14, v16
	v_fma_f32 v16, 0x3f317218, v10, -v17
	v_sub_f32_e32 v13, v15, v13
	v_fmamk_f32 v10, v10, 0xb102e308, v16
	v_add_f32_e32 v6, v6, v13
	v_add_f32_e32 v13, v17, v10
	;; [unrolled: 1-line block ×3, first 2 shown]
	v_sub_f32_e32 v17, v13, v17
	v_add_f32_e32 v16, v13, v15
	v_sub_f32_e32 v14, v15, v14
	v_sub_f32_e32 v10, v10, v17
	;; [unrolled: 1-line block ×6, first 2 shown]
	v_add_f32_e32 v15, v10, v6
	v_sub_f32_e32 v13, v13, v19
	v_add_f32_e32 v13, v14, v13
	v_sub_f32_e32 v14, v15, v10
	;; [unrolled: 2-line block ×3, first 2 shown]
	v_sub_f32_e32 v6, v6, v14
	v_add_f32_e32 v17, v16, v13
	v_sub_f32_e32 v10, v10, v15
	v_sub_f32_e32 v14, v17, v16
	v_add_f32_e32 v6, v6, v10
	v_sub_f32_e32 v10, v13, v14
	v_add_f32_e32 v6, v6, v10
	v_add_f32_e32 v6, v17, v6
	v_cndmask_b32_e64 v6, 0x7f800000, v6, s4
	v_cmp_gt_f32_e64 s4, 0x33800000, |v3|
	v_cndmask_b32_e64 v3, v6, v3, s4
	v_add_f32_e32 v3, v5, v3
.LBB132_54:
	s_or_b32 exec_lo, exec_lo, s5
	v_max_f32_e32 v5, v3, v3
	v_cmp_u_f32_e64 s4, v3, v3
	v_min_f32_e32 v6, v5, v11
	v_max_f32_e32 v5, v5, v11
	v_cndmask_b32_e64 v6, v6, v3, s4
	v_cndmask_b32_e64 v5, v5, v3, s4
	;; [unrolled: 1-line block ×4, first 2 shown]
	v_mov_b32_e32 v4, v3
	v_cmp_class_f32_e64 s5, v6, 0x1f8
	v_cmp_neq_f32_e64 s4, v6, v5
	s_or_b32 s4, s4, s5
	s_and_saveexec_b32 s5, s4
	s_cbranch_execz .LBB132_56
; %bb.55:
	v_sub_f32_e32 v4, v6, v5
	v_mul_f32_e32 v6, 0x3fb8aa3b, v4
	v_cmp_ngt_f32_e64 s4, 0xc2ce8ed0, v4
	v_fma_f32 v10, 0x3fb8aa3b, v4, -v6
	v_rndne_f32_e32 v11, v6
	v_fmamk_f32 v10, v4, 0x32a5705f, v10
	v_sub_f32_e32 v6, v6, v11
	v_add_f32_e32 v6, v6, v10
	v_cvt_i32_f32_e32 v10, v11
	v_exp_f32_e32 v6, v6
	v_ldexp_f32 v6, v6, v10
	v_cndmask_b32_e64 v6, 0, v6, s4
	v_cmp_nlt_f32_e64 s4, 0x42b17218, v4
	v_cndmask_b32_e64 v4, 0x7f800000, v6, s4
	v_add_f32_e32 v6, 1.0, v4
	v_cvt_f64_f32_e32 v[10:11], v6
	v_frexp_exp_i32_f64_e32 v10, v[10:11]
	v_frexp_mant_f32_e32 v11, v6
	v_cmp_gt_f32_e64 s4, 0x3f2aaaab, v11
	v_add_f32_e32 v11, -1.0, v6
	v_sub_f32_e32 v14, v11, v6
	v_sub_f32_e32 v11, v4, v11
	v_add_f32_e32 v14, 1.0, v14
	v_add_f32_e32 v11, v11, v14
	v_subrev_co_ci_u32_e64 v10, null, 0, v10, s4
	s_mov_b32 s4, 0x3e9b6dac
	v_sub_nc_u32_e32 v13, 0, v10
	v_cvt_f32_i32_e32 v10, v10
	v_ldexp_f32 v6, v6, v13
	v_ldexp_f32 v11, v11, v13
	v_add_f32_e32 v15, 1.0, v6
	v_add_f32_e32 v13, -1.0, v6
	v_add_f32_e32 v14, -1.0, v15
	v_add_f32_e32 v16, 1.0, v13
	v_sub_f32_e32 v14, v6, v14
	v_sub_f32_e32 v6, v6, v16
	v_add_f32_e32 v14, v11, v14
	v_add_f32_e32 v6, v11, v6
	;; [unrolled: 1-line block ×4, first 2 shown]
	v_rcp_f32_e32 v11, v16
	v_sub_f32_e32 v15, v15, v16
	v_sub_f32_e32 v13, v13, v17
	v_add_f32_e32 v14, v14, v15
	v_add_f32_e32 v6, v6, v13
	v_mul_f32_e32 v18, v17, v11
	v_mul_f32_e32 v19, v16, v18
	v_fma_f32 v15, v18, v16, -v19
	v_fmac_f32_e32 v15, v18, v14
	v_add_f32_e32 v20, v19, v15
	v_sub_f32_e32 v21, v17, v20
	v_sub_f32_e32 v13, v20, v19
	;; [unrolled: 1-line block ×5, first 2 shown]
	v_add_f32_e32 v6, v6, v17
	v_add_f32_e32 v6, v13, v6
	;; [unrolled: 1-line block ×3, first 2 shown]
	v_mul_f32_e32 v15, v11, v13
	v_sub_f32_e32 v20, v21, v13
	v_mul_f32_e32 v17, v16, v15
	v_add_f32_e32 v6, v6, v20
	v_fma_f32 v16, v15, v16, -v17
	v_fmac_f32_e32 v16, v15, v14
	v_add_f32_e32 v14, v17, v16
	v_sub_f32_e32 v19, v13, v14
	v_sub_f32_e32 v17, v14, v17
	;; [unrolled: 1-line block ×5, first 2 shown]
	v_add_f32_e32 v6, v6, v13
	v_add_f32_e32 v13, v18, v15
	;; [unrolled: 1-line block ×3, first 2 shown]
	v_sub_f32_e32 v14, v13, v18
	v_add_f32_e32 v6, v19, v6
	v_sub_f32_e32 v14, v15, v14
	v_mul_f32_e32 v6, v11, v6
	v_add_f32_e32 v6, v14, v6
	v_add_f32_e32 v11, v13, v6
	v_mul_f32_e32 v14, v11, v11
	v_fmaak_f32 v15, s4, v14, 0x3ecc95a3
	v_mul_f32_e32 v16, v11, v14
	v_cmp_neq_f32_e64 s4, 0x7f800000, v4
	v_fmaak_f32 v14, v14, v15, 0x3f2aaada
	v_ldexp_f32 v15, v11, 1
	v_sub_f32_e32 v11, v11, v13
	v_mul_f32_e32 v14, v16, v14
	v_mul_f32_e32 v16, 0x3f317218, v10
	v_sub_f32_e32 v6, v6, v11
	v_add_f32_e32 v13, v15, v14
	v_ldexp_f32 v6, v6, 1
	v_sub_f32_e32 v11, v13, v15
	v_fma_f32 v15, 0x3f317218, v10, -v16
	v_sub_f32_e32 v11, v14, v11
	v_fmamk_f32 v10, v10, 0xb102e308, v15
	v_add_f32_e32 v6, v6, v11
	v_add_f32_e32 v11, v16, v10
	;; [unrolled: 1-line block ×3, first 2 shown]
	v_sub_f32_e32 v16, v11, v16
	v_add_f32_e32 v15, v11, v14
	v_sub_f32_e32 v13, v14, v13
	v_sub_f32_e32 v10, v10, v16
	;; [unrolled: 1-line block ×6, first 2 shown]
	v_add_f32_e32 v14, v10, v6
	v_sub_f32_e32 v11, v11, v18
	v_add_f32_e32 v11, v13, v11
	v_sub_f32_e32 v13, v14, v10
	;; [unrolled: 2-line block ×3, first 2 shown]
	v_sub_f32_e32 v6, v6, v13
	v_add_f32_e32 v16, v15, v11
	v_sub_f32_e32 v10, v10, v14
	v_sub_f32_e32 v13, v16, v15
	v_add_f32_e32 v6, v6, v10
	v_sub_f32_e32 v10, v11, v13
	v_add_f32_e32 v6, v6, v10
	v_add_f32_e32 v6, v16, v6
	v_cndmask_b32_e64 v6, 0x7f800000, v6, s4
	v_cmp_gt_f32_e64 s4, 0x33800000, |v4|
	v_cndmask_b32_e64 v4, v6, v4, s4
	v_add_f32_e32 v4, v5, v4
.LBB132_56:
	s_or_b32 exec_lo, exec_lo, s5
	v_max_f32_e32 v5, v4, v4
	v_cmp_u_f32_e64 s4, v4, v4
	v_min_f32_e32 v6, v5, v12
	v_max_f32_e32 v5, v5, v12
	v_cndmask_b32_e64 v6, v6, v4, s4
	v_cndmask_b32_e64 v5, v5, v4, s4
	;; [unrolled: 1-line block ×4, first 2 shown]
	v_mov_b32_e32 v6, v4
	v_cmp_class_f32_e64 s5, v10, 0x1f8
	v_cmp_neq_f32_e64 s4, v10, v5
	s_or_b32 s4, s4, s5
	s_and_saveexec_b32 s5, s4
	s_cbranch_execz .LBB132_58
; %bb.57:
	v_sub_f32_e32 v6, v10, v5
	v_mul_f32_e32 v9, 0x3fb8aa3b, v6
	v_cmp_ngt_f32_e64 s4, 0xc2ce8ed0, v6
	v_fma_f32 v10, 0x3fb8aa3b, v6, -v9
	v_rndne_f32_e32 v11, v9
	v_fmamk_f32 v10, v6, 0x32a5705f, v10
	v_sub_f32_e32 v9, v9, v11
	v_add_f32_e32 v9, v9, v10
	v_cvt_i32_f32_e32 v10, v11
	v_exp_f32_e32 v9, v9
	v_ldexp_f32 v9, v9, v10
	v_cndmask_b32_e64 v9, 0, v9, s4
	v_cmp_nlt_f32_e64 s4, 0x42b17218, v6
	v_cndmask_b32_e64 v6, 0x7f800000, v9, s4
	v_add_f32_e32 v11, 1.0, v6
	v_cvt_f64_f32_e32 v[9:10], v11
	v_frexp_exp_i32_f64_e32 v9, v[9:10]
	v_frexp_mant_f32_e32 v10, v11
	v_cmp_gt_f32_e64 s4, 0x3f2aaaab, v10
	v_add_f32_e32 v10, -1.0, v11
	v_sub_f32_e32 v13, v10, v11
	v_sub_f32_e32 v10, v6, v10
	v_add_f32_e32 v13, 1.0, v13
	v_add_f32_e32 v10, v10, v13
	v_subrev_co_ci_u32_e64 v9, null, 0, v9, s4
	s_mov_b32 s4, 0x3e9b6dac
	v_sub_nc_u32_e32 v12, 0, v9
	v_cvt_f32_i32_e32 v9, v9
	v_ldexp_f32 v11, v11, v12
	v_ldexp_f32 v10, v10, v12
	v_add_f32_e32 v14, 1.0, v11
	v_add_f32_e32 v12, -1.0, v11
	v_add_f32_e32 v13, -1.0, v14
	v_add_f32_e32 v15, 1.0, v12
	v_sub_f32_e32 v13, v11, v13
	v_sub_f32_e32 v11, v11, v15
	v_add_f32_e32 v13, v10, v13
	v_add_f32_e32 v10, v10, v11
	v_add_f32_e32 v15, v14, v13
	v_add_f32_e32 v16, v12, v10
	v_rcp_f32_e32 v11, v15
	v_sub_f32_e32 v14, v14, v15
	v_sub_f32_e32 v12, v12, v16
	v_add_f32_e32 v13, v13, v14
	v_add_f32_e32 v10, v10, v12
	v_mul_f32_e32 v17, v16, v11
	v_mul_f32_e32 v18, v15, v17
	v_fma_f32 v14, v17, v15, -v18
	v_fmac_f32_e32 v14, v17, v13
	v_add_f32_e32 v19, v18, v14
	v_sub_f32_e32 v20, v16, v19
	v_sub_f32_e32 v12, v19, v18
	;; [unrolled: 1-line block ×5, first 2 shown]
	v_add_f32_e32 v10, v10, v16
	v_add_f32_e32 v10, v12, v10
	;; [unrolled: 1-line block ×3, first 2 shown]
	v_mul_f32_e32 v14, v11, v12
	v_sub_f32_e32 v19, v20, v12
	v_mul_f32_e32 v16, v15, v14
	v_add_f32_e32 v10, v10, v19
	v_fma_f32 v15, v14, v15, -v16
	v_fmac_f32_e32 v15, v14, v13
	v_add_f32_e32 v13, v16, v15
	v_sub_f32_e32 v18, v12, v13
	v_sub_f32_e32 v16, v13, v16
	;; [unrolled: 1-line block ×5, first 2 shown]
	v_add_f32_e32 v10, v10, v12
	v_add_f32_e32 v12, v17, v14
	;; [unrolled: 1-line block ×3, first 2 shown]
	v_sub_f32_e32 v13, v12, v17
	v_add_f32_e32 v10, v18, v10
	v_sub_f32_e32 v13, v14, v13
	v_mul_f32_e32 v10, v11, v10
	v_add_f32_e32 v10, v13, v10
	v_add_f32_e32 v11, v12, v10
	v_mul_f32_e32 v13, v11, v11
	v_fmaak_f32 v14, s4, v13, 0x3ecc95a3
	v_mul_f32_e32 v15, v11, v13
	v_cmp_neq_f32_e64 s4, 0x7f800000, v6
	v_fmaak_f32 v13, v13, v14, 0x3f2aaada
	v_ldexp_f32 v14, v11, 1
	v_sub_f32_e32 v11, v11, v12
	v_mul_f32_e32 v13, v15, v13
	v_mul_f32_e32 v15, 0x3f317218, v9
	v_sub_f32_e32 v10, v10, v11
	v_add_f32_e32 v12, v14, v13
	v_ldexp_f32 v10, v10, 1
	v_sub_f32_e32 v11, v12, v14
	v_fma_f32 v14, 0x3f317218, v9, -v15
	v_sub_f32_e32 v11, v13, v11
	v_fmamk_f32 v9, v9, 0xb102e308, v14
	v_add_f32_e32 v10, v10, v11
	v_add_f32_e32 v11, v15, v9
	v_add_f32_e32 v13, v12, v10
	v_sub_f32_e32 v15, v11, v15
	v_add_f32_e32 v14, v11, v13
	v_sub_f32_e32 v12, v13, v12
	v_sub_f32_e32 v9, v9, v15
	;; [unrolled: 1-line block ×6, first 2 shown]
	v_add_f32_e32 v13, v9, v10
	v_sub_f32_e32 v11, v11, v17
	v_add_f32_e32 v11, v12, v11
	v_sub_f32_e32 v12, v13, v9
	v_add_f32_e32 v11, v13, v11
	v_sub_f32_e32 v13, v13, v12
	v_sub_f32_e32 v10, v10, v12
	v_add_f32_e32 v15, v14, v11
	v_sub_f32_e32 v9, v9, v13
	v_sub_f32_e32 v12, v15, v14
	v_add_f32_e32 v9, v10, v9
	v_sub_f32_e32 v10, v11, v12
	v_add_f32_e32 v9, v9, v10
	v_add_f32_e32 v9, v15, v9
	v_cndmask_b32_e64 v9, 0x7f800000, v9, s4
	v_cmp_gt_f32_e64 s4, 0x33800000, |v6|
	v_cndmask_b32_e64 v6, v9, v6, s4
	v_add_f32_e32 v6, v5, v6
.LBB132_58:
	s_or_b32 exec_lo, exec_lo, s5
	s_barrier
	buffer_gl0_inv
	ds_write2_b32 v8, v1, v2 offset1:1
	ds_write2_b32 v8, v3, v4 offset0:2 offset1:3
	ds_write_b32 v8, v6 offset:16
	s_waitcnt lgkmcnt(0)
	s_barrier
	buffer_gl0_inv
	ds_read2st64_b32 v[5:6], v7 offset0:1 offset1:2
	ds_read2st64_b32 v[1:2], v7 offset0:3 offset1:4
	v_lshlrev_b32_e32 v0, 2, v0
	v_add_co_u32 v3, s4, s12, v0
	v_add_co_ci_u32_e64 v4, null, s13, 0, s4
	s_and_saveexec_b32 s4, vcc_lo
	s_cbranch_execnz .LBB132_64
; %bb.59:
	s_or_b32 exec_lo, exec_lo, s4
	s_and_saveexec_b32 s4, s0
	s_cbranch_execnz .LBB132_65
.LBB132_60:
	s_or_b32 exec_lo, exec_lo, s4
	s_and_saveexec_b32 s0, s1
	s_cbranch_execnz .LBB132_66
.LBB132_61:
	s_or_b32 exec_lo, exec_lo, s0
	s_and_saveexec_b32 s0, s2
	s_cbranch_execnz .LBB132_67
.LBB132_62:
	s_or_b32 exec_lo, exec_lo, s0
	s_and_saveexec_b32 s0, s3
	s_cbranch_execnz .LBB132_68
.LBB132_63:
	s_endpgm
.LBB132_64:
	ds_read_b32 v0, v7
	s_waitcnt lgkmcnt(0)
	global_store_dword v[3:4], v0, off
	s_or_b32 exec_lo, exec_lo, s4
	s_and_saveexec_b32 s4, s0
	s_cbranch_execz .LBB132_60
.LBB132_65:
	s_waitcnt lgkmcnt(1)
	global_store_dword v[3:4], v5, off offset:256
	s_or_b32 exec_lo, exec_lo, s4
	s_and_saveexec_b32 s0, s1
	s_cbranch_execz .LBB132_61
.LBB132_66:
	s_waitcnt lgkmcnt(1)
	global_store_dword v[3:4], v6, off offset:512
	s_or_b32 exec_lo, exec_lo, s0
	s_and_saveexec_b32 s0, s2
	s_cbranch_execz .LBB132_62
.LBB132_67:
	s_waitcnt lgkmcnt(0)
	global_store_dword v[3:4], v1, off offset:768
	s_or_b32 exec_lo, exec_lo, s0
	s_and_saveexec_b32 s0, s3
	s_cbranch_execz .LBB132_63
.LBB132_68:
	s_waitcnt lgkmcnt(0)
	global_store_dword v[3:4], v2, off offset:1024
	s_endpgm
	.section	.rodata,"a",@progbits
	.p2align	6, 0x0
	.amdhsa_kernel _ZN7rocprim17ROCPRIM_400000_NS6detail17trampoline_kernelINS0_14default_configENS1_20scan_config_selectorIfEEZZNS1_9scan_implILNS1_25lookback_scan_determinismE0ELb0ELb0ES3_PKfPffZZZN2at6native31launch_logcumsumexp_cuda_kernelERKNSB_10TensorBaseESF_lENKUlvE_clEvENKUlvE0_clEvEUlffE_fEEDaPvRmT3_T4_T5_mT6_P12ihipStream_tbENKUlT_T0_E_clISt17integral_constantIbLb1EESW_EEDaSR_SS_EUlSR_E0_NS1_11comp_targetILNS1_3genE8ELNS1_11target_archE1030ELNS1_3gpuE2ELNS1_3repE0EEENS1_30default_config_static_selectorELNS0_4arch9wavefront6targetE0EEEvT1_
		.amdhsa_group_segment_fixed_size 1280
		.amdhsa_private_segment_fixed_size 0
		.amdhsa_kernarg_size 32
		.amdhsa_user_sgpr_count 6
		.amdhsa_user_sgpr_private_segment_buffer 1
		.amdhsa_user_sgpr_dispatch_ptr 0
		.amdhsa_user_sgpr_queue_ptr 0
		.amdhsa_user_sgpr_kernarg_segment_ptr 1
		.amdhsa_user_sgpr_dispatch_id 0
		.amdhsa_user_sgpr_flat_scratch_init 0
		.amdhsa_user_sgpr_private_segment_size 0
		.amdhsa_wavefront_size32 1
		.amdhsa_uses_dynamic_stack 0
		.amdhsa_system_sgpr_private_segment_wavefront_offset 0
		.amdhsa_system_sgpr_workgroup_id_x 1
		.amdhsa_system_sgpr_workgroup_id_y 0
		.amdhsa_system_sgpr_workgroup_id_z 0
		.amdhsa_system_sgpr_workgroup_info 0
		.amdhsa_system_vgpr_workitem_id 0
		.amdhsa_next_free_vgpr 35
		.amdhsa_next_free_sgpr 20
		.amdhsa_reserve_vcc 1
		.amdhsa_reserve_flat_scratch 0
		.amdhsa_float_round_mode_32 0
		.amdhsa_float_round_mode_16_64 0
		.amdhsa_float_denorm_mode_32 3
		.amdhsa_float_denorm_mode_16_64 3
		.amdhsa_dx10_clamp 1
		.amdhsa_ieee_mode 1
		.amdhsa_fp16_overflow 0
		.amdhsa_workgroup_processor_mode 1
		.amdhsa_memory_ordered 1
		.amdhsa_forward_progress 1
		.amdhsa_shared_vgpr_count 0
		.amdhsa_exception_fp_ieee_invalid_op 0
		.amdhsa_exception_fp_denorm_src 0
		.amdhsa_exception_fp_ieee_div_zero 0
		.amdhsa_exception_fp_ieee_overflow 0
		.amdhsa_exception_fp_ieee_underflow 0
		.amdhsa_exception_fp_ieee_inexact 0
		.amdhsa_exception_int_div_zero 0
	.end_amdhsa_kernel
	.section	.text._ZN7rocprim17ROCPRIM_400000_NS6detail17trampoline_kernelINS0_14default_configENS1_20scan_config_selectorIfEEZZNS1_9scan_implILNS1_25lookback_scan_determinismE0ELb0ELb0ES3_PKfPffZZZN2at6native31launch_logcumsumexp_cuda_kernelERKNSB_10TensorBaseESF_lENKUlvE_clEvENKUlvE0_clEvEUlffE_fEEDaPvRmT3_T4_T5_mT6_P12ihipStream_tbENKUlT_T0_E_clISt17integral_constantIbLb1EESW_EEDaSR_SS_EUlSR_E0_NS1_11comp_targetILNS1_3genE8ELNS1_11target_archE1030ELNS1_3gpuE2ELNS1_3repE0EEENS1_30default_config_static_selectorELNS0_4arch9wavefront6targetE0EEEvT1_,"axG",@progbits,_ZN7rocprim17ROCPRIM_400000_NS6detail17trampoline_kernelINS0_14default_configENS1_20scan_config_selectorIfEEZZNS1_9scan_implILNS1_25lookback_scan_determinismE0ELb0ELb0ES3_PKfPffZZZN2at6native31launch_logcumsumexp_cuda_kernelERKNSB_10TensorBaseESF_lENKUlvE_clEvENKUlvE0_clEvEUlffE_fEEDaPvRmT3_T4_T5_mT6_P12ihipStream_tbENKUlT_T0_E_clISt17integral_constantIbLb1EESW_EEDaSR_SS_EUlSR_E0_NS1_11comp_targetILNS1_3genE8ELNS1_11target_archE1030ELNS1_3gpuE2ELNS1_3repE0EEENS1_30default_config_static_selectorELNS0_4arch9wavefront6targetE0EEEvT1_,comdat
.Lfunc_end132:
	.size	_ZN7rocprim17ROCPRIM_400000_NS6detail17trampoline_kernelINS0_14default_configENS1_20scan_config_selectorIfEEZZNS1_9scan_implILNS1_25lookback_scan_determinismE0ELb0ELb0ES3_PKfPffZZZN2at6native31launch_logcumsumexp_cuda_kernelERKNSB_10TensorBaseESF_lENKUlvE_clEvENKUlvE0_clEvEUlffE_fEEDaPvRmT3_T4_T5_mT6_P12ihipStream_tbENKUlT_T0_E_clISt17integral_constantIbLb1EESW_EEDaSR_SS_EUlSR_E0_NS1_11comp_targetILNS1_3genE8ELNS1_11target_archE1030ELNS1_3gpuE2ELNS1_3repE0EEENS1_30default_config_static_selectorELNS0_4arch9wavefront6targetE0EEEvT1_, .Lfunc_end132-_ZN7rocprim17ROCPRIM_400000_NS6detail17trampoline_kernelINS0_14default_configENS1_20scan_config_selectorIfEEZZNS1_9scan_implILNS1_25lookback_scan_determinismE0ELb0ELb0ES3_PKfPffZZZN2at6native31launch_logcumsumexp_cuda_kernelERKNSB_10TensorBaseESF_lENKUlvE_clEvENKUlvE0_clEvEUlffE_fEEDaPvRmT3_T4_T5_mT6_P12ihipStream_tbENKUlT_T0_E_clISt17integral_constantIbLb1EESW_EEDaSR_SS_EUlSR_E0_NS1_11comp_targetILNS1_3genE8ELNS1_11target_archE1030ELNS1_3gpuE2ELNS1_3repE0EEENS1_30default_config_static_selectorELNS0_4arch9wavefront6targetE0EEEvT1_
                                        ; -- End function
	.set _ZN7rocprim17ROCPRIM_400000_NS6detail17trampoline_kernelINS0_14default_configENS1_20scan_config_selectorIfEEZZNS1_9scan_implILNS1_25lookback_scan_determinismE0ELb0ELb0ES3_PKfPffZZZN2at6native31launch_logcumsumexp_cuda_kernelERKNSB_10TensorBaseESF_lENKUlvE_clEvENKUlvE0_clEvEUlffE_fEEDaPvRmT3_T4_T5_mT6_P12ihipStream_tbENKUlT_T0_E_clISt17integral_constantIbLb1EESW_EEDaSR_SS_EUlSR_E0_NS1_11comp_targetILNS1_3genE8ELNS1_11target_archE1030ELNS1_3gpuE2ELNS1_3repE0EEENS1_30default_config_static_selectorELNS0_4arch9wavefront6targetE0EEEvT1_.num_vgpr, 35
	.set _ZN7rocprim17ROCPRIM_400000_NS6detail17trampoline_kernelINS0_14default_configENS1_20scan_config_selectorIfEEZZNS1_9scan_implILNS1_25lookback_scan_determinismE0ELb0ELb0ES3_PKfPffZZZN2at6native31launch_logcumsumexp_cuda_kernelERKNSB_10TensorBaseESF_lENKUlvE_clEvENKUlvE0_clEvEUlffE_fEEDaPvRmT3_T4_T5_mT6_P12ihipStream_tbENKUlT_T0_E_clISt17integral_constantIbLb1EESW_EEDaSR_SS_EUlSR_E0_NS1_11comp_targetILNS1_3genE8ELNS1_11target_archE1030ELNS1_3gpuE2ELNS1_3repE0EEENS1_30default_config_static_selectorELNS0_4arch9wavefront6targetE0EEEvT1_.num_agpr, 0
	.set _ZN7rocprim17ROCPRIM_400000_NS6detail17trampoline_kernelINS0_14default_configENS1_20scan_config_selectorIfEEZZNS1_9scan_implILNS1_25lookback_scan_determinismE0ELb0ELb0ES3_PKfPffZZZN2at6native31launch_logcumsumexp_cuda_kernelERKNSB_10TensorBaseESF_lENKUlvE_clEvENKUlvE0_clEvEUlffE_fEEDaPvRmT3_T4_T5_mT6_P12ihipStream_tbENKUlT_T0_E_clISt17integral_constantIbLb1EESW_EEDaSR_SS_EUlSR_E0_NS1_11comp_targetILNS1_3genE8ELNS1_11target_archE1030ELNS1_3gpuE2ELNS1_3repE0EEENS1_30default_config_static_selectorELNS0_4arch9wavefront6targetE0EEEvT1_.numbered_sgpr, 20
	.set _ZN7rocprim17ROCPRIM_400000_NS6detail17trampoline_kernelINS0_14default_configENS1_20scan_config_selectorIfEEZZNS1_9scan_implILNS1_25lookback_scan_determinismE0ELb0ELb0ES3_PKfPffZZZN2at6native31launch_logcumsumexp_cuda_kernelERKNSB_10TensorBaseESF_lENKUlvE_clEvENKUlvE0_clEvEUlffE_fEEDaPvRmT3_T4_T5_mT6_P12ihipStream_tbENKUlT_T0_E_clISt17integral_constantIbLb1EESW_EEDaSR_SS_EUlSR_E0_NS1_11comp_targetILNS1_3genE8ELNS1_11target_archE1030ELNS1_3gpuE2ELNS1_3repE0EEENS1_30default_config_static_selectorELNS0_4arch9wavefront6targetE0EEEvT1_.num_named_barrier, 0
	.set _ZN7rocprim17ROCPRIM_400000_NS6detail17trampoline_kernelINS0_14default_configENS1_20scan_config_selectorIfEEZZNS1_9scan_implILNS1_25lookback_scan_determinismE0ELb0ELb0ES3_PKfPffZZZN2at6native31launch_logcumsumexp_cuda_kernelERKNSB_10TensorBaseESF_lENKUlvE_clEvENKUlvE0_clEvEUlffE_fEEDaPvRmT3_T4_T5_mT6_P12ihipStream_tbENKUlT_T0_E_clISt17integral_constantIbLb1EESW_EEDaSR_SS_EUlSR_E0_NS1_11comp_targetILNS1_3genE8ELNS1_11target_archE1030ELNS1_3gpuE2ELNS1_3repE0EEENS1_30default_config_static_selectorELNS0_4arch9wavefront6targetE0EEEvT1_.private_seg_size, 0
	.set _ZN7rocprim17ROCPRIM_400000_NS6detail17trampoline_kernelINS0_14default_configENS1_20scan_config_selectorIfEEZZNS1_9scan_implILNS1_25lookback_scan_determinismE0ELb0ELb0ES3_PKfPffZZZN2at6native31launch_logcumsumexp_cuda_kernelERKNSB_10TensorBaseESF_lENKUlvE_clEvENKUlvE0_clEvEUlffE_fEEDaPvRmT3_T4_T5_mT6_P12ihipStream_tbENKUlT_T0_E_clISt17integral_constantIbLb1EESW_EEDaSR_SS_EUlSR_E0_NS1_11comp_targetILNS1_3genE8ELNS1_11target_archE1030ELNS1_3gpuE2ELNS1_3repE0EEENS1_30default_config_static_selectorELNS0_4arch9wavefront6targetE0EEEvT1_.uses_vcc, 1
	.set _ZN7rocprim17ROCPRIM_400000_NS6detail17trampoline_kernelINS0_14default_configENS1_20scan_config_selectorIfEEZZNS1_9scan_implILNS1_25lookback_scan_determinismE0ELb0ELb0ES3_PKfPffZZZN2at6native31launch_logcumsumexp_cuda_kernelERKNSB_10TensorBaseESF_lENKUlvE_clEvENKUlvE0_clEvEUlffE_fEEDaPvRmT3_T4_T5_mT6_P12ihipStream_tbENKUlT_T0_E_clISt17integral_constantIbLb1EESW_EEDaSR_SS_EUlSR_E0_NS1_11comp_targetILNS1_3genE8ELNS1_11target_archE1030ELNS1_3gpuE2ELNS1_3repE0EEENS1_30default_config_static_selectorELNS0_4arch9wavefront6targetE0EEEvT1_.uses_flat_scratch, 0
	.set _ZN7rocprim17ROCPRIM_400000_NS6detail17trampoline_kernelINS0_14default_configENS1_20scan_config_selectorIfEEZZNS1_9scan_implILNS1_25lookback_scan_determinismE0ELb0ELb0ES3_PKfPffZZZN2at6native31launch_logcumsumexp_cuda_kernelERKNSB_10TensorBaseESF_lENKUlvE_clEvENKUlvE0_clEvEUlffE_fEEDaPvRmT3_T4_T5_mT6_P12ihipStream_tbENKUlT_T0_E_clISt17integral_constantIbLb1EESW_EEDaSR_SS_EUlSR_E0_NS1_11comp_targetILNS1_3genE8ELNS1_11target_archE1030ELNS1_3gpuE2ELNS1_3repE0EEENS1_30default_config_static_selectorELNS0_4arch9wavefront6targetE0EEEvT1_.has_dyn_sized_stack, 0
	.set _ZN7rocprim17ROCPRIM_400000_NS6detail17trampoline_kernelINS0_14default_configENS1_20scan_config_selectorIfEEZZNS1_9scan_implILNS1_25lookback_scan_determinismE0ELb0ELb0ES3_PKfPffZZZN2at6native31launch_logcumsumexp_cuda_kernelERKNSB_10TensorBaseESF_lENKUlvE_clEvENKUlvE0_clEvEUlffE_fEEDaPvRmT3_T4_T5_mT6_P12ihipStream_tbENKUlT_T0_E_clISt17integral_constantIbLb1EESW_EEDaSR_SS_EUlSR_E0_NS1_11comp_targetILNS1_3genE8ELNS1_11target_archE1030ELNS1_3gpuE2ELNS1_3repE0EEENS1_30default_config_static_selectorELNS0_4arch9wavefront6targetE0EEEvT1_.has_recursion, 0
	.set _ZN7rocprim17ROCPRIM_400000_NS6detail17trampoline_kernelINS0_14default_configENS1_20scan_config_selectorIfEEZZNS1_9scan_implILNS1_25lookback_scan_determinismE0ELb0ELb0ES3_PKfPffZZZN2at6native31launch_logcumsumexp_cuda_kernelERKNSB_10TensorBaseESF_lENKUlvE_clEvENKUlvE0_clEvEUlffE_fEEDaPvRmT3_T4_T5_mT6_P12ihipStream_tbENKUlT_T0_E_clISt17integral_constantIbLb1EESW_EEDaSR_SS_EUlSR_E0_NS1_11comp_targetILNS1_3genE8ELNS1_11target_archE1030ELNS1_3gpuE2ELNS1_3repE0EEENS1_30default_config_static_selectorELNS0_4arch9wavefront6targetE0EEEvT1_.has_indirect_call, 0
	.section	.AMDGPU.csdata,"",@progbits
; Kernel info:
; codeLenInByte = 13504
; TotalNumSgprs: 22
; NumVgprs: 35
; ScratchSize: 0
; MemoryBound: 0
; FloatMode: 240
; IeeeMode: 1
; LDSByteSize: 1280 bytes/workgroup (compile time only)
; SGPRBlocks: 0
; VGPRBlocks: 4
; NumSGPRsForWavesPerEU: 22
; NumVGPRsForWavesPerEU: 35
; Occupancy: 16
; WaveLimiterHint : 0
; COMPUTE_PGM_RSRC2:SCRATCH_EN: 0
; COMPUTE_PGM_RSRC2:USER_SGPR: 6
; COMPUTE_PGM_RSRC2:TRAP_HANDLER: 0
; COMPUTE_PGM_RSRC2:TGID_X_EN: 1
; COMPUTE_PGM_RSRC2:TGID_Y_EN: 0
; COMPUTE_PGM_RSRC2:TGID_Z_EN: 0
; COMPUTE_PGM_RSRC2:TIDIG_COMP_CNT: 0
	.section	.text._ZN7rocprim17ROCPRIM_400000_NS6detail31init_lookback_scan_state_kernelINS1_19lookback_scan_stateIfLb1ELb1EEENS1_16block_id_wrapperIjLb0EEEEEvT_jT0_jPNS7_10value_typeE,"axG",@progbits,_ZN7rocprim17ROCPRIM_400000_NS6detail31init_lookback_scan_state_kernelINS1_19lookback_scan_stateIfLb1ELb1EEENS1_16block_id_wrapperIjLb0EEEEEvT_jT0_jPNS7_10value_typeE,comdat
	.protected	_ZN7rocprim17ROCPRIM_400000_NS6detail31init_lookback_scan_state_kernelINS1_19lookback_scan_stateIfLb1ELb1EEENS1_16block_id_wrapperIjLb0EEEEEvT_jT0_jPNS7_10value_typeE ; -- Begin function _ZN7rocprim17ROCPRIM_400000_NS6detail31init_lookback_scan_state_kernelINS1_19lookback_scan_stateIfLb1ELb1EEENS1_16block_id_wrapperIjLb0EEEEEvT_jT0_jPNS7_10value_typeE
	.globl	_ZN7rocprim17ROCPRIM_400000_NS6detail31init_lookback_scan_state_kernelINS1_19lookback_scan_stateIfLb1ELb1EEENS1_16block_id_wrapperIjLb0EEEEEvT_jT0_jPNS7_10value_typeE
	.p2align	8
	.type	_ZN7rocprim17ROCPRIM_400000_NS6detail31init_lookback_scan_state_kernelINS1_19lookback_scan_stateIfLb1ELb1EEENS1_16block_id_wrapperIjLb0EEEEEvT_jT0_jPNS7_10value_typeE,@function
_ZN7rocprim17ROCPRIM_400000_NS6detail31init_lookback_scan_state_kernelINS1_19lookback_scan_stateIfLb1ELb1EEENS1_16block_id_wrapperIjLb0EEEEEvT_jT0_jPNS7_10value_typeE: ; @_ZN7rocprim17ROCPRIM_400000_NS6detail31init_lookback_scan_state_kernelINS1_19lookback_scan_stateIfLb1ELb1EEENS1_16block_id_wrapperIjLb0EEEEEvT_jT0_jPNS7_10value_typeE
; %bb.0:
	s_clause 0x3
	s_load_dword s8, s[4:5], 0x2c
	s_load_dwordx2 s[2:3], s[4:5], 0x18
	s_load_dwordx2 s[0:1], s[4:5], 0x0
	s_load_dword s7, s[4:5], 0x8
	s_waitcnt lgkmcnt(0)
	s_and_b32 s8, s8, 0xffff
	s_cmp_eq_u64 s[2:3], 0
	v_mad_u64_u32 v[0:1], null, s6, s8, v[0:1]
	s_cbranch_scc1 .LBB133_9
; %bb.1:
	s_load_dword s4, s[4:5], 0x10
	s_waitcnt lgkmcnt(0)
	s_cmp_lt_u32 s4, s7
	s_cselect_b32 s5, s4, 0
	v_cmp_eq_u32_e32 vcc_lo, s5, v0
	s_mov_b32 s5, 0
	s_and_saveexec_b32 s6, vcc_lo
	s_cbranch_execz .LBB133_8
; %bb.2:
	s_add_i32 s4, s4, 32
	v_mov_b32_e32 v1, 0
	s_lshl_b64 s[4:5], s[4:5], 3
	s_add_u32 s4, s0, s4
	s_addc_u32 s5, s1, s5
	global_load_dwordx2 v[3:4], v1, s[4:5] glc dlc
	s_waitcnt vmcnt(0)
	v_and_b32_e32 v2, 0xff, v4
	v_cmp_ne_u64_e32 vcc_lo, 0, v[1:2]
	s_cbranch_vccnz .LBB133_7
; %bb.3:
	s_mov_b32 s8, 1
.LBB133_4:                              ; =>This Loop Header: Depth=1
                                        ;     Child Loop BB133_5 Depth 2
	s_mov_b32 s9, s8
.LBB133_5:                              ;   Parent Loop BB133_4 Depth=1
                                        ; =>  This Inner Loop Header: Depth=2
	s_add_i32 s9, s9, -1
	s_sleep 1
	s_cmp_eq_u32 s9, 0
	s_cbranch_scc0 .LBB133_5
; %bb.6:                                ;   in Loop: Header=BB133_4 Depth=1
	global_load_dwordx2 v[3:4], v1, s[4:5] glc dlc
	s_cmp_lt_u32 s8, 32
	s_cselect_b32 s9, -1, 0
	s_cmp_lg_u32 s9, 0
	s_addc_u32 s8, s8, 0
	s_waitcnt vmcnt(0)
	v_and_b32_e32 v2, 0xff, v4
	v_cmp_ne_u64_e32 vcc_lo, 0, v[1:2]
	s_cbranch_vccz .LBB133_4
.LBB133_7:
	v_mov_b32_e32 v1, 0
	global_store_dword v1, v3, s[2:3]
.LBB133_8:
	s_or_b32 exec_lo, exec_lo, s6
.LBB133_9:
	s_mov_b32 s2, exec_lo
	v_cmpx_gt_u32_e64 s7, v0
	s_cbranch_execz .LBB133_11
; %bb.10:
	v_add_nc_u32_e32 v1, 32, v0
	v_mov_b32_e32 v2, 0
	v_lshlrev_b64 v[3:4], 3, v[1:2]
	v_mov_b32_e32 v1, v2
	v_add_co_u32 v3, vcc_lo, s0, v3
	v_add_co_ci_u32_e64 v4, null, s1, v4, vcc_lo
	global_store_dwordx2 v[3:4], v[1:2], off
.LBB133_11:
	s_or_b32 exec_lo, exec_lo, s2
	s_mov_b32 s2, exec_lo
	v_cmpx_gt_u32_e32 32, v0
	s_cbranch_execz .LBB133_13
; %bb.12:
	v_mov_b32_e32 v1, 0
	v_mov_b32_e32 v4, 0xff
	v_lshlrev_b64 v[2:3], 3, v[0:1]
	v_add_co_u32 v5, vcc_lo, s0, v2
	v_add_co_ci_u32_e64 v6, null, s1, v3, vcc_lo
	v_mov_b32_e32 v3, v1
	global_store_dwordx2 v[5:6], v[3:4], off
.LBB133_13:
	s_endpgm
	.section	.rodata,"a",@progbits
	.p2align	6, 0x0
	.amdhsa_kernel _ZN7rocprim17ROCPRIM_400000_NS6detail31init_lookback_scan_state_kernelINS1_19lookback_scan_stateIfLb1ELb1EEENS1_16block_id_wrapperIjLb0EEEEEvT_jT0_jPNS7_10value_typeE
		.amdhsa_group_segment_fixed_size 0
		.amdhsa_private_segment_fixed_size 0
		.amdhsa_kernarg_size 288
		.amdhsa_user_sgpr_count 6
		.amdhsa_user_sgpr_private_segment_buffer 1
		.amdhsa_user_sgpr_dispatch_ptr 0
		.amdhsa_user_sgpr_queue_ptr 0
		.amdhsa_user_sgpr_kernarg_segment_ptr 1
		.amdhsa_user_sgpr_dispatch_id 0
		.amdhsa_user_sgpr_flat_scratch_init 0
		.amdhsa_user_sgpr_private_segment_size 0
		.amdhsa_wavefront_size32 1
		.amdhsa_uses_dynamic_stack 0
		.amdhsa_system_sgpr_private_segment_wavefront_offset 0
		.amdhsa_system_sgpr_workgroup_id_x 1
		.amdhsa_system_sgpr_workgroup_id_y 0
		.amdhsa_system_sgpr_workgroup_id_z 0
		.amdhsa_system_sgpr_workgroup_info 0
		.amdhsa_system_vgpr_workitem_id 0
		.amdhsa_next_free_vgpr 7
		.amdhsa_next_free_sgpr 10
		.amdhsa_reserve_vcc 1
		.amdhsa_reserve_flat_scratch 0
		.amdhsa_float_round_mode_32 0
		.amdhsa_float_round_mode_16_64 0
		.amdhsa_float_denorm_mode_32 3
		.amdhsa_float_denorm_mode_16_64 3
		.amdhsa_dx10_clamp 1
		.amdhsa_ieee_mode 1
		.amdhsa_fp16_overflow 0
		.amdhsa_workgroup_processor_mode 1
		.amdhsa_memory_ordered 1
		.amdhsa_forward_progress 1
		.amdhsa_shared_vgpr_count 0
		.amdhsa_exception_fp_ieee_invalid_op 0
		.amdhsa_exception_fp_denorm_src 0
		.amdhsa_exception_fp_ieee_div_zero 0
		.amdhsa_exception_fp_ieee_overflow 0
		.amdhsa_exception_fp_ieee_underflow 0
		.amdhsa_exception_fp_ieee_inexact 0
		.amdhsa_exception_int_div_zero 0
	.end_amdhsa_kernel
	.section	.text._ZN7rocprim17ROCPRIM_400000_NS6detail31init_lookback_scan_state_kernelINS1_19lookback_scan_stateIfLb1ELb1EEENS1_16block_id_wrapperIjLb0EEEEEvT_jT0_jPNS7_10value_typeE,"axG",@progbits,_ZN7rocprim17ROCPRIM_400000_NS6detail31init_lookback_scan_state_kernelINS1_19lookback_scan_stateIfLb1ELb1EEENS1_16block_id_wrapperIjLb0EEEEEvT_jT0_jPNS7_10value_typeE,comdat
.Lfunc_end133:
	.size	_ZN7rocprim17ROCPRIM_400000_NS6detail31init_lookback_scan_state_kernelINS1_19lookback_scan_stateIfLb1ELb1EEENS1_16block_id_wrapperIjLb0EEEEEvT_jT0_jPNS7_10value_typeE, .Lfunc_end133-_ZN7rocprim17ROCPRIM_400000_NS6detail31init_lookback_scan_state_kernelINS1_19lookback_scan_stateIfLb1ELb1EEENS1_16block_id_wrapperIjLb0EEEEEvT_jT0_jPNS7_10value_typeE
                                        ; -- End function
	.set _ZN7rocprim17ROCPRIM_400000_NS6detail31init_lookback_scan_state_kernelINS1_19lookback_scan_stateIfLb1ELb1EEENS1_16block_id_wrapperIjLb0EEEEEvT_jT0_jPNS7_10value_typeE.num_vgpr, 7
	.set _ZN7rocprim17ROCPRIM_400000_NS6detail31init_lookback_scan_state_kernelINS1_19lookback_scan_stateIfLb1ELb1EEENS1_16block_id_wrapperIjLb0EEEEEvT_jT0_jPNS7_10value_typeE.num_agpr, 0
	.set _ZN7rocprim17ROCPRIM_400000_NS6detail31init_lookback_scan_state_kernelINS1_19lookback_scan_stateIfLb1ELb1EEENS1_16block_id_wrapperIjLb0EEEEEvT_jT0_jPNS7_10value_typeE.numbered_sgpr, 10
	.set _ZN7rocprim17ROCPRIM_400000_NS6detail31init_lookback_scan_state_kernelINS1_19lookback_scan_stateIfLb1ELb1EEENS1_16block_id_wrapperIjLb0EEEEEvT_jT0_jPNS7_10value_typeE.num_named_barrier, 0
	.set _ZN7rocprim17ROCPRIM_400000_NS6detail31init_lookback_scan_state_kernelINS1_19lookback_scan_stateIfLb1ELb1EEENS1_16block_id_wrapperIjLb0EEEEEvT_jT0_jPNS7_10value_typeE.private_seg_size, 0
	.set _ZN7rocprim17ROCPRIM_400000_NS6detail31init_lookback_scan_state_kernelINS1_19lookback_scan_stateIfLb1ELb1EEENS1_16block_id_wrapperIjLb0EEEEEvT_jT0_jPNS7_10value_typeE.uses_vcc, 1
	.set _ZN7rocprim17ROCPRIM_400000_NS6detail31init_lookback_scan_state_kernelINS1_19lookback_scan_stateIfLb1ELb1EEENS1_16block_id_wrapperIjLb0EEEEEvT_jT0_jPNS7_10value_typeE.uses_flat_scratch, 0
	.set _ZN7rocprim17ROCPRIM_400000_NS6detail31init_lookback_scan_state_kernelINS1_19lookback_scan_stateIfLb1ELb1EEENS1_16block_id_wrapperIjLb0EEEEEvT_jT0_jPNS7_10value_typeE.has_dyn_sized_stack, 0
	.set _ZN7rocprim17ROCPRIM_400000_NS6detail31init_lookback_scan_state_kernelINS1_19lookback_scan_stateIfLb1ELb1EEENS1_16block_id_wrapperIjLb0EEEEEvT_jT0_jPNS7_10value_typeE.has_recursion, 0
	.set _ZN7rocprim17ROCPRIM_400000_NS6detail31init_lookback_scan_state_kernelINS1_19lookback_scan_stateIfLb1ELb1EEENS1_16block_id_wrapperIjLb0EEEEEvT_jT0_jPNS7_10value_typeE.has_indirect_call, 0
	.section	.AMDGPU.csdata,"",@progbits
; Kernel info:
; codeLenInByte = 360
; TotalNumSgprs: 12
; NumVgprs: 7
; ScratchSize: 0
; MemoryBound: 0
; FloatMode: 240
; IeeeMode: 1
; LDSByteSize: 0 bytes/workgroup (compile time only)
; SGPRBlocks: 0
; VGPRBlocks: 0
; NumSGPRsForWavesPerEU: 12
; NumVGPRsForWavesPerEU: 7
; Occupancy: 16
; WaveLimiterHint : 0
; COMPUTE_PGM_RSRC2:SCRATCH_EN: 0
; COMPUTE_PGM_RSRC2:USER_SGPR: 6
; COMPUTE_PGM_RSRC2:TRAP_HANDLER: 0
; COMPUTE_PGM_RSRC2:TGID_X_EN: 1
; COMPUTE_PGM_RSRC2:TGID_Y_EN: 0
; COMPUTE_PGM_RSRC2:TGID_Z_EN: 0
; COMPUTE_PGM_RSRC2:TIDIG_COMP_CNT: 0
	.section	.text._ZN7rocprim17ROCPRIM_400000_NS6detail17trampoline_kernelINS0_14default_configENS1_20scan_config_selectorIfEEZZNS1_9scan_implILNS1_25lookback_scan_determinismE0ELb0ELb0ES3_PKfPffZZZN2at6native31launch_logcumsumexp_cuda_kernelERKNSB_10TensorBaseESF_lENKUlvE_clEvENKUlvE0_clEvEUlffE_fEEDaPvRmT3_T4_T5_mT6_P12ihipStream_tbENKUlT_T0_E_clISt17integral_constantIbLb1EESV_IbLb0EEEEDaSR_SS_EUlSR_E_NS1_11comp_targetILNS1_3genE0ELNS1_11target_archE4294967295ELNS1_3gpuE0ELNS1_3repE0EEENS1_30default_config_static_selectorELNS0_4arch9wavefront6targetE0EEEvT1_,"axG",@progbits,_ZN7rocprim17ROCPRIM_400000_NS6detail17trampoline_kernelINS0_14default_configENS1_20scan_config_selectorIfEEZZNS1_9scan_implILNS1_25lookback_scan_determinismE0ELb0ELb0ES3_PKfPffZZZN2at6native31launch_logcumsumexp_cuda_kernelERKNSB_10TensorBaseESF_lENKUlvE_clEvENKUlvE0_clEvEUlffE_fEEDaPvRmT3_T4_T5_mT6_P12ihipStream_tbENKUlT_T0_E_clISt17integral_constantIbLb1EESV_IbLb0EEEEDaSR_SS_EUlSR_E_NS1_11comp_targetILNS1_3genE0ELNS1_11target_archE4294967295ELNS1_3gpuE0ELNS1_3repE0EEENS1_30default_config_static_selectorELNS0_4arch9wavefront6targetE0EEEvT1_,comdat
	.globl	_ZN7rocprim17ROCPRIM_400000_NS6detail17trampoline_kernelINS0_14default_configENS1_20scan_config_selectorIfEEZZNS1_9scan_implILNS1_25lookback_scan_determinismE0ELb0ELb0ES3_PKfPffZZZN2at6native31launch_logcumsumexp_cuda_kernelERKNSB_10TensorBaseESF_lENKUlvE_clEvENKUlvE0_clEvEUlffE_fEEDaPvRmT3_T4_T5_mT6_P12ihipStream_tbENKUlT_T0_E_clISt17integral_constantIbLb1EESV_IbLb0EEEEDaSR_SS_EUlSR_E_NS1_11comp_targetILNS1_3genE0ELNS1_11target_archE4294967295ELNS1_3gpuE0ELNS1_3repE0EEENS1_30default_config_static_selectorELNS0_4arch9wavefront6targetE0EEEvT1_ ; -- Begin function _ZN7rocprim17ROCPRIM_400000_NS6detail17trampoline_kernelINS0_14default_configENS1_20scan_config_selectorIfEEZZNS1_9scan_implILNS1_25lookback_scan_determinismE0ELb0ELb0ES3_PKfPffZZZN2at6native31launch_logcumsumexp_cuda_kernelERKNSB_10TensorBaseESF_lENKUlvE_clEvENKUlvE0_clEvEUlffE_fEEDaPvRmT3_T4_T5_mT6_P12ihipStream_tbENKUlT_T0_E_clISt17integral_constantIbLb1EESV_IbLb0EEEEDaSR_SS_EUlSR_E_NS1_11comp_targetILNS1_3genE0ELNS1_11target_archE4294967295ELNS1_3gpuE0ELNS1_3repE0EEENS1_30default_config_static_selectorELNS0_4arch9wavefront6targetE0EEEvT1_
	.p2align	8
	.type	_ZN7rocprim17ROCPRIM_400000_NS6detail17trampoline_kernelINS0_14default_configENS1_20scan_config_selectorIfEEZZNS1_9scan_implILNS1_25lookback_scan_determinismE0ELb0ELb0ES3_PKfPffZZZN2at6native31launch_logcumsumexp_cuda_kernelERKNSB_10TensorBaseESF_lENKUlvE_clEvENKUlvE0_clEvEUlffE_fEEDaPvRmT3_T4_T5_mT6_P12ihipStream_tbENKUlT_T0_E_clISt17integral_constantIbLb1EESV_IbLb0EEEEDaSR_SS_EUlSR_E_NS1_11comp_targetILNS1_3genE0ELNS1_11target_archE4294967295ELNS1_3gpuE0ELNS1_3repE0EEENS1_30default_config_static_selectorELNS0_4arch9wavefront6targetE0EEEvT1_,@function
_ZN7rocprim17ROCPRIM_400000_NS6detail17trampoline_kernelINS0_14default_configENS1_20scan_config_selectorIfEEZZNS1_9scan_implILNS1_25lookback_scan_determinismE0ELb0ELb0ES3_PKfPffZZZN2at6native31launch_logcumsumexp_cuda_kernelERKNSB_10TensorBaseESF_lENKUlvE_clEvENKUlvE0_clEvEUlffE_fEEDaPvRmT3_T4_T5_mT6_P12ihipStream_tbENKUlT_T0_E_clISt17integral_constantIbLb1EESV_IbLb0EEEEDaSR_SS_EUlSR_E_NS1_11comp_targetILNS1_3genE0ELNS1_11target_archE4294967295ELNS1_3gpuE0ELNS1_3repE0EEENS1_30default_config_static_selectorELNS0_4arch9wavefront6targetE0EEEvT1_: ; @_ZN7rocprim17ROCPRIM_400000_NS6detail17trampoline_kernelINS0_14default_configENS1_20scan_config_selectorIfEEZZNS1_9scan_implILNS1_25lookback_scan_determinismE0ELb0ELb0ES3_PKfPffZZZN2at6native31launch_logcumsumexp_cuda_kernelERKNSB_10TensorBaseESF_lENKUlvE_clEvENKUlvE0_clEvEUlffE_fEEDaPvRmT3_T4_T5_mT6_P12ihipStream_tbENKUlT_T0_E_clISt17integral_constantIbLb1EESV_IbLb0EEEEDaSR_SS_EUlSR_E_NS1_11comp_targetILNS1_3genE0ELNS1_11target_archE4294967295ELNS1_3gpuE0ELNS1_3repE0EEENS1_30default_config_static_selectorELNS0_4arch9wavefront6targetE0EEEvT1_
; %bb.0:
	.section	.rodata,"a",@progbits
	.p2align	6, 0x0
	.amdhsa_kernel _ZN7rocprim17ROCPRIM_400000_NS6detail17trampoline_kernelINS0_14default_configENS1_20scan_config_selectorIfEEZZNS1_9scan_implILNS1_25lookback_scan_determinismE0ELb0ELb0ES3_PKfPffZZZN2at6native31launch_logcumsumexp_cuda_kernelERKNSB_10TensorBaseESF_lENKUlvE_clEvENKUlvE0_clEvEUlffE_fEEDaPvRmT3_T4_T5_mT6_P12ihipStream_tbENKUlT_T0_E_clISt17integral_constantIbLb1EESV_IbLb0EEEEDaSR_SS_EUlSR_E_NS1_11comp_targetILNS1_3genE0ELNS1_11target_archE4294967295ELNS1_3gpuE0ELNS1_3repE0EEENS1_30default_config_static_selectorELNS0_4arch9wavefront6targetE0EEEvT1_
		.amdhsa_group_segment_fixed_size 0
		.amdhsa_private_segment_fixed_size 0
		.amdhsa_kernarg_size 96
		.amdhsa_user_sgpr_count 6
		.amdhsa_user_sgpr_private_segment_buffer 1
		.amdhsa_user_sgpr_dispatch_ptr 0
		.amdhsa_user_sgpr_queue_ptr 0
		.amdhsa_user_sgpr_kernarg_segment_ptr 1
		.amdhsa_user_sgpr_dispatch_id 0
		.amdhsa_user_sgpr_flat_scratch_init 0
		.amdhsa_user_sgpr_private_segment_size 0
		.amdhsa_wavefront_size32 1
		.amdhsa_uses_dynamic_stack 0
		.amdhsa_system_sgpr_private_segment_wavefront_offset 0
		.amdhsa_system_sgpr_workgroup_id_x 1
		.amdhsa_system_sgpr_workgroup_id_y 0
		.amdhsa_system_sgpr_workgroup_id_z 0
		.amdhsa_system_sgpr_workgroup_info 0
		.amdhsa_system_vgpr_workitem_id 0
		.amdhsa_next_free_vgpr 1
		.amdhsa_next_free_sgpr 1
		.amdhsa_reserve_vcc 0
		.amdhsa_reserve_flat_scratch 0
		.amdhsa_float_round_mode_32 0
		.amdhsa_float_round_mode_16_64 0
		.amdhsa_float_denorm_mode_32 3
		.amdhsa_float_denorm_mode_16_64 3
		.amdhsa_dx10_clamp 1
		.amdhsa_ieee_mode 1
		.amdhsa_fp16_overflow 0
		.amdhsa_workgroup_processor_mode 1
		.amdhsa_memory_ordered 1
		.amdhsa_forward_progress 1
		.amdhsa_shared_vgpr_count 0
		.amdhsa_exception_fp_ieee_invalid_op 0
		.amdhsa_exception_fp_denorm_src 0
		.amdhsa_exception_fp_ieee_div_zero 0
		.amdhsa_exception_fp_ieee_overflow 0
		.amdhsa_exception_fp_ieee_underflow 0
		.amdhsa_exception_fp_ieee_inexact 0
		.amdhsa_exception_int_div_zero 0
	.end_amdhsa_kernel
	.section	.text._ZN7rocprim17ROCPRIM_400000_NS6detail17trampoline_kernelINS0_14default_configENS1_20scan_config_selectorIfEEZZNS1_9scan_implILNS1_25lookback_scan_determinismE0ELb0ELb0ES3_PKfPffZZZN2at6native31launch_logcumsumexp_cuda_kernelERKNSB_10TensorBaseESF_lENKUlvE_clEvENKUlvE0_clEvEUlffE_fEEDaPvRmT3_T4_T5_mT6_P12ihipStream_tbENKUlT_T0_E_clISt17integral_constantIbLb1EESV_IbLb0EEEEDaSR_SS_EUlSR_E_NS1_11comp_targetILNS1_3genE0ELNS1_11target_archE4294967295ELNS1_3gpuE0ELNS1_3repE0EEENS1_30default_config_static_selectorELNS0_4arch9wavefront6targetE0EEEvT1_,"axG",@progbits,_ZN7rocprim17ROCPRIM_400000_NS6detail17trampoline_kernelINS0_14default_configENS1_20scan_config_selectorIfEEZZNS1_9scan_implILNS1_25lookback_scan_determinismE0ELb0ELb0ES3_PKfPffZZZN2at6native31launch_logcumsumexp_cuda_kernelERKNSB_10TensorBaseESF_lENKUlvE_clEvENKUlvE0_clEvEUlffE_fEEDaPvRmT3_T4_T5_mT6_P12ihipStream_tbENKUlT_T0_E_clISt17integral_constantIbLb1EESV_IbLb0EEEEDaSR_SS_EUlSR_E_NS1_11comp_targetILNS1_3genE0ELNS1_11target_archE4294967295ELNS1_3gpuE0ELNS1_3repE0EEENS1_30default_config_static_selectorELNS0_4arch9wavefront6targetE0EEEvT1_,comdat
.Lfunc_end134:
	.size	_ZN7rocprim17ROCPRIM_400000_NS6detail17trampoline_kernelINS0_14default_configENS1_20scan_config_selectorIfEEZZNS1_9scan_implILNS1_25lookback_scan_determinismE0ELb0ELb0ES3_PKfPffZZZN2at6native31launch_logcumsumexp_cuda_kernelERKNSB_10TensorBaseESF_lENKUlvE_clEvENKUlvE0_clEvEUlffE_fEEDaPvRmT3_T4_T5_mT6_P12ihipStream_tbENKUlT_T0_E_clISt17integral_constantIbLb1EESV_IbLb0EEEEDaSR_SS_EUlSR_E_NS1_11comp_targetILNS1_3genE0ELNS1_11target_archE4294967295ELNS1_3gpuE0ELNS1_3repE0EEENS1_30default_config_static_selectorELNS0_4arch9wavefront6targetE0EEEvT1_, .Lfunc_end134-_ZN7rocprim17ROCPRIM_400000_NS6detail17trampoline_kernelINS0_14default_configENS1_20scan_config_selectorIfEEZZNS1_9scan_implILNS1_25lookback_scan_determinismE0ELb0ELb0ES3_PKfPffZZZN2at6native31launch_logcumsumexp_cuda_kernelERKNSB_10TensorBaseESF_lENKUlvE_clEvENKUlvE0_clEvEUlffE_fEEDaPvRmT3_T4_T5_mT6_P12ihipStream_tbENKUlT_T0_E_clISt17integral_constantIbLb1EESV_IbLb0EEEEDaSR_SS_EUlSR_E_NS1_11comp_targetILNS1_3genE0ELNS1_11target_archE4294967295ELNS1_3gpuE0ELNS1_3repE0EEENS1_30default_config_static_selectorELNS0_4arch9wavefront6targetE0EEEvT1_
                                        ; -- End function
	.set _ZN7rocprim17ROCPRIM_400000_NS6detail17trampoline_kernelINS0_14default_configENS1_20scan_config_selectorIfEEZZNS1_9scan_implILNS1_25lookback_scan_determinismE0ELb0ELb0ES3_PKfPffZZZN2at6native31launch_logcumsumexp_cuda_kernelERKNSB_10TensorBaseESF_lENKUlvE_clEvENKUlvE0_clEvEUlffE_fEEDaPvRmT3_T4_T5_mT6_P12ihipStream_tbENKUlT_T0_E_clISt17integral_constantIbLb1EESV_IbLb0EEEEDaSR_SS_EUlSR_E_NS1_11comp_targetILNS1_3genE0ELNS1_11target_archE4294967295ELNS1_3gpuE0ELNS1_3repE0EEENS1_30default_config_static_selectorELNS0_4arch9wavefront6targetE0EEEvT1_.num_vgpr, 0
	.set _ZN7rocprim17ROCPRIM_400000_NS6detail17trampoline_kernelINS0_14default_configENS1_20scan_config_selectorIfEEZZNS1_9scan_implILNS1_25lookback_scan_determinismE0ELb0ELb0ES3_PKfPffZZZN2at6native31launch_logcumsumexp_cuda_kernelERKNSB_10TensorBaseESF_lENKUlvE_clEvENKUlvE0_clEvEUlffE_fEEDaPvRmT3_T4_T5_mT6_P12ihipStream_tbENKUlT_T0_E_clISt17integral_constantIbLb1EESV_IbLb0EEEEDaSR_SS_EUlSR_E_NS1_11comp_targetILNS1_3genE0ELNS1_11target_archE4294967295ELNS1_3gpuE0ELNS1_3repE0EEENS1_30default_config_static_selectorELNS0_4arch9wavefront6targetE0EEEvT1_.num_agpr, 0
	.set _ZN7rocprim17ROCPRIM_400000_NS6detail17trampoline_kernelINS0_14default_configENS1_20scan_config_selectorIfEEZZNS1_9scan_implILNS1_25lookback_scan_determinismE0ELb0ELb0ES3_PKfPffZZZN2at6native31launch_logcumsumexp_cuda_kernelERKNSB_10TensorBaseESF_lENKUlvE_clEvENKUlvE0_clEvEUlffE_fEEDaPvRmT3_T4_T5_mT6_P12ihipStream_tbENKUlT_T0_E_clISt17integral_constantIbLb1EESV_IbLb0EEEEDaSR_SS_EUlSR_E_NS1_11comp_targetILNS1_3genE0ELNS1_11target_archE4294967295ELNS1_3gpuE0ELNS1_3repE0EEENS1_30default_config_static_selectorELNS0_4arch9wavefront6targetE0EEEvT1_.numbered_sgpr, 0
	.set _ZN7rocprim17ROCPRIM_400000_NS6detail17trampoline_kernelINS0_14default_configENS1_20scan_config_selectorIfEEZZNS1_9scan_implILNS1_25lookback_scan_determinismE0ELb0ELb0ES3_PKfPffZZZN2at6native31launch_logcumsumexp_cuda_kernelERKNSB_10TensorBaseESF_lENKUlvE_clEvENKUlvE0_clEvEUlffE_fEEDaPvRmT3_T4_T5_mT6_P12ihipStream_tbENKUlT_T0_E_clISt17integral_constantIbLb1EESV_IbLb0EEEEDaSR_SS_EUlSR_E_NS1_11comp_targetILNS1_3genE0ELNS1_11target_archE4294967295ELNS1_3gpuE0ELNS1_3repE0EEENS1_30default_config_static_selectorELNS0_4arch9wavefront6targetE0EEEvT1_.num_named_barrier, 0
	.set _ZN7rocprim17ROCPRIM_400000_NS6detail17trampoline_kernelINS0_14default_configENS1_20scan_config_selectorIfEEZZNS1_9scan_implILNS1_25lookback_scan_determinismE0ELb0ELb0ES3_PKfPffZZZN2at6native31launch_logcumsumexp_cuda_kernelERKNSB_10TensorBaseESF_lENKUlvE_clEvENKUlvE0_clEvEUlffE_fEEDaPvRmT3_T4_T5_mT6_P12ihipStream_tbENKUlT_T0_E_clISt17integral_constantIbLb1EESV_IbLb0EEEEDaSR_SS_EUlSR_E_NS1_11comp_targetILNS1_3genE0ELNS1_11target_archE4294967295ELNS1_3gpuE0ELNS1_3repE0EEENS1_30default_config_static_selectorELNS0_4arch9wavefront6targetE0EEEvT1_.private_seg_size, 0
	.set _ZN7rocprim17ROCPRIM_400000_NS6detail17trampoline_kernelINS0_14default_configENS1_20scan_config_selectorIfEEZZNS1_9scan_implILNS1_25lookback_scan_determinismE0ELb0ELb0ES3_PKfPffZZZN2at6native31launch_logcumsumexp_cuda_kernelERKNSB_10TensorBaseESF_lENKUlvE_clEvENKUlvE0_clEvEUlffE_fEEDaPvRmT3_T4_T5_mT6_P12ihipStream_tbENKUlT_T0_E_clISt17integral_constantIbLb1EESV_IbLb0EEEEDaSR_SS_EUlSR_E_NS1_11comp_targetILNS1_3genE0ELNS1_11target_archE4294967295ELNS1_3gpuE0ELNS1_3repE0EEENS1_30default_config_static_selectorELNS0_4arch9wavefront6targetE0EEEvT1_.uses_vcc, 0
	.set _ZN7rocprim17ROCPRIM_400000_NS6detail17trampoline_kernelINS0_14default_configENS1_20scan_config_selectorIfEEZZNS1_9scan_implILNS1_25lookback_scan_determinismE0ELb0ELb0ES3_PKfPffZZZN2at6native31launch_logcumsumexp_cuda_kernelERKNSB_10TensorBaseESF_lENKUlvE_clEvENKUlvE0_clEvEUlffE_fEEDaPvRmT3_T4_T5_mT6_P12ihipStream_tbENKUlT_T0_E_clISt17integral_constantIbLb1EESV_IbLb0EEEEDaSR_SS_EUlSR_E_NS1_11comp_targetILNS1_3genE0ELNS1_11target_archE4294967295ELNS1_3gpuE0ELNS1_3repE0EEENS1_30default_config_static_selectorELNS0_4arch9wavefront6targetE0EEEvT1_.uses_flat_scratch, 0
	.set _ZN7rocprim17ROCPRIM_400000_NS6detail17trampoline_kernelINS0_14default_configENS1_20scan_config_selectorIfEEZZNS1_9scan_implILNS1_25lookback_scan_determinismE0ELb0ELb0ES3_PKfPffZZZN2at6native31launch_logcumsumexp_cuda_kernelERKNSB_10TensorBaseESF_lENKUlvE_clEvENKUlvE0_clEvEUlffE_fEEDaPvRmT3_T4_T5_mT6_P12ihipStream_tbENKUlT_T0_E_clISt17integral_constantIbLb1EESV_IbLb0EEEEDaSR_SS_EUlSR_E_NS1_11comp_targetILNS1_3genE0ELNS1_11target_archE4294967295ELNS1_3gpuE0ELNS1_3repE0EEENS1_30default_config_static_selectorELNS0_4arch9wavefront6targetE0EEEvT1_.has_dyn_sized_stack, 0
	.set _ZN7rocprim17ROCPRIM_400000_NS6detail17trampoline_kernelINS0_14default_configENS1_20scan_config_selectorIfEEZZNS1_9scan_implILNS1_25lookback_scan_determinismE0ELb0ELb0ES3_PKfPffZZZN2at6native31launch_logcumsumexp_cuda_kernelERKNSB_10TensorBaseESF_lENKUlvE_clEvENKUlvE0_clEvEUlffE_fEEDaPvRmT3_T4_T5_mT6_P12ihipStream_tbENKUlT_T0_E_clISt17integral_constantIbLb1EESV_IbLb0EEEEDaSR_SS_EUlSR_E_NS1_11comp_targetILNS1_3genE0ELNS1_11target_archE4294967295ELNS1_3gpuE0ELNS1_3repE0EEENS1_30default_config_static_selectorELNS0_4arch9wavefront6targetE0EEEvT1_.has_recursion, 0
	.set _ZN7rocprim17ROCPRIM_400000_NS6detail17trampoline_kernelINS0_14default_configENS1_20scan_config_selectorIfEEZZNS1_9scan_implILNS1_25lookback_scan_determinismE0ELb0ELb0ES3_PKfPffZZZN2at6native31launch_logcumsumexp_cuda_kernelERKNSB_10TensorBaseESF_lENKUlvE_clEvENKUlvE0_clEvEUlffE_fEEDaPvRmT3_T4_T5_mT6_P12ihipStream_tbENKUlT_T0_E_clISt17integral_constantIbLb1EESV_IbLb0EEEEDaSR_SS_EUlSR_E_NS1_11comp_targetILNS1_3genE0ELNS1_11target_archE4294967295ELNS1_3gpuE0ELNS1_3repE0EEENS1_30default_config_static_selectorELNS0_4arch9wavefront6targetE0EEEvT1_.has_indirect_call, 0
	.section	.AMDGPU.csdata,"",@progbits
; Kernel info:
; codeLenInByte = 0
; TotalNumSgprs: 0
; NumVgprs: 0
; ScratchSize: 0
; MemoryBound: 0
; FloatMode: 240
; IeeeMode: 1
; LDSByteSize: 0 bytes/workgroup (compile time only)
; SGPRBlocks: 0
; VGPRBlocks: 0
; NumSGPRsForWavesPerEU: 1
; NumVGPRsForWavesPerEU: 1
; Occupancy: 16
; WaveLimiterHint : 0
; COMPUTE_PGM_RSRC2:SCRATCH_EN: 0
; COMPUTE_PGM_RSRC2:USER_SGPR: 6
; COMPUTE_PGM_RSRC2:TRAP_HANDLER: 0
; COMPUTE_PGM_RSRC2:TGID_X_EN: 1
; COMPUTE_PGM_RSRC2:TGID_Y_EN: 0
; COMPUTE_PGM_RSRC2:TGID_Z_EN: 0
; COMPUTE_PGM_RSRC2:TIDIG_COMP_CNT: 0
	.section	.text._ZN7rocprim17ROCPRIM_400000_NS6detail17trampoline_kernelINS0_14default_configENS1_20scan_config_selectorIfEEZZNS1_9scan_implILNS1_25lookback_scan_determinismE0ELb0ELb0ES3_PKfPffZZZN2at6native31launch_logcumsumexp_cuda_kernelERKNSB_10TensorBaseESF_lENKUlvE_clEvENKUlvE0_clEvEUlffE_fEEDaPvRmT3_T4_T5_mT6_P12ihipStream_tbENKUlT_T0_E_clISt17integral_constantIbLb1EESV_IbLb0EEEEDaSR_SS_EUlSR_E_NS1_11comp_targetILNS1_3genE5ELNS1_11target_archE942ELNS1_3gpuE9ELNS1_3repE0EEENS1_30default_config_static_selectorELNS0_4arch9wavefront6targetE0EEEvT1_,"axG",@progbits,_ZN7rocprim17ROCPRIM_400000_NS6detail17trampoline_kernelINS0_14default_configENS1_20scan_config_selectorIfEEZZNS1_9scan_implILNS1_25lookback_scan_determinismE0ELb0ELb0ES3_PKfPffZZZN2at6native31launch_logcumsumexp_cuda_kernelERKNSB_10TensorBaseESF_lENKUlvE_clEvENKUlvE0_clEvEUlffE_fEEDaPvRmT3_T4_T5_mT6_P12ihipStream_tbENKUlT_T0_E_clISt17integral_constantIbLb1EESV_IbLb0EEEEDaSR_SS_EUlSR_E_NS1_11comp_targetILNS1_3genE5ELNS1_11target_archE942ELNS1_3gpuE9ELNS1_3repE0EEENS1_30default_config_static_selectorELNS0_4arch9wavefront6targetE0EEEvT1_,comdat
	.globl	_ZN7rocprim17ROCPRIM_400000_NS6detail17trampoline_kernelINS0_14default_configENS1_20scan_config_selectorIfEEZZNS1_9scan_implILNS1_25lookback_scan_determinismE0ELb0ELb0ES3_PKfPffZZZN2at6native31launch_logcumsumexp_cuda_kernelERKNSB_10TensorBaseESF_lENKUlvE_clEvENKUlvE0_clEvEUlffE_fEEDaPvRmT3_T4_T5_mT6_P12ihipStream_tbENKUlT_T0_E_clISt17integral_constantIbLb1EESV_IbLb0EEEEDaSR_SS_EUlSR_E_NS1_11comp_targetILNS1_3genE5ELNS1_11target_archE942ELNS1_3gpuE9ELNS1_3repE0EEENS1_30default_config_static_selectorELNS0_4arch9wavefront6targetE0EEEvT1_ ; -- Begin function _ZN7rocprim17ROCPRIM_400000_NS6detail17trampoline_kernelINS0_14default_configENS1_20scan_config_selectorIfEEZZNS1_9scan_implILNS1_25lookback_scan_determinismE0ELb0ELb0ES3_PKfPffZZZN2at6native31launch_logcumsumexp_cuda_kernelERKNSB_10TensorBaseESF_lENKUlvE_clEvENKUlvE0_clEvEUlffE_fEEDaPvRmT3_T4_T5_mT6_P12ihipStream_tbENKUlT_T0_E_clISt17integral_constantIbLb1EESV_IbLb0EEEEDaSR_SS_EUlSR_E_NS1_11comp_targetILNS1_3genE5ELNS1_11target_archE942ELNS1_3gpuE9ELNS1_3repE0EEENS1_30default_config_static_selectorELNS0_4arch9wavefront6targetE0EEEvT1_
	.p2align	8
	.type	_ZN7rocprim17ROCPRIM_400000_NS6detail17trampoline_kernelINS0_14default_configENS1_20scan_config_selectorIfEEZZNS1_9scan_implILNS1_25lookback_scan_determinismE0ELb0ELb0ES3_PKfPffZZZN2at6native31launch_logcumsumexp_cuda_kernelERKNSB_10TensorBaseESF_lENKUlvE_clEvENKUlvE0_clEvEUlffE_fEEDaPvRmT3_T4_T5_mT6_P12ihipStream_tbENKUlT_T0_E_clISt17integral_constantIbLb1EESV_IbLb0EEEEDaSR_SS_EUlSR_E_NS1_11comp_targetILNS1_3genE5ELNS1_11target_archE942ELNS1_3gpuE9ELNS1_3repE0EEENS1_30default_config_static_selectorELNS0_4arch9wavefront6targetE0EEEvT1_,@function
_ZN7rocprim17ROCPRIM_400000_NS6detail17trampoline_kernelINS0_14default_configENS1_20scan_config_selectorIfEEZZNS1_9scan_implILNS1_25lookback_scan_determinismE0ELb0ELb0ES3_PKfPffZZZN2at6native31launch_logcumsumexp_cuda_kernelERKNSB_10TensorBaseESF_lENKUlvE_clEvENKUlvE0_clEvEUlffE_fEEDaPvRmT3_T4_T5_mT6_P12ihipStream_tbENKUlT_T0_E_clISt17integral_constantIbLb1EESV_IbLb0EEEEDaSR_SS_EUlSR_E_NS1_11comp_targetILNS1_3genE5ELNS1_11target_archE942ELNS1_3gpuE9ELNS1_3repE0EEENS1_30default_config_static_selectorELNS0_4arch9wavefront6targetE0EEEvT1_: ; @_ZN7rocprim17ROCPRIM_400000_NS6detail17trampoline_kernelINS0_14default_configENS1_20scan_config_selectorIfEEZZNS1_9scan_implILNS1_25lookback_scan_determinismE0ELb0ELb0ES3_PKfPffZZZN2at6native31launch_logcumsumexp_cuda_kernelERKNSB_10TensorBaseESF_lENKUlvE_clEvENKUlvE0_clEvEUlffE_fEEDaPvRmT3_T4_T5_mT6_P12ihipStream_tbENKUlT_T0_E_clISt17integral_constantIbLb1EESV_IbLb0EEEEDaSR_SS_EUlSR_E_NS1_11comp_targetILNS1_3genE5ELNS1_11target_archE942ELNS1_3gpuE9ELNS1_3repE0EEENS1_30default_config_static_selectorELNS0_4arch9wavefront6targetE0EEEvT1_
; %bb.0:
	.section	.rodata,"a",@progbits
	.p2align	6, 0x0
	.amdhsa_kernel _ZN7rocprim17ROCPRIM_400000_NS6detail17trampoline_kernelINS0_14default_configENS1_20scan_config_selectorIfEEZZNS1_9scan_implILNS1_25lookback_scan_determinismE0ELb0ELb0ES3_PKfPffZZZN2at6native31launch_logcumsumexp_cuda_kernelERKNSB_10TensorBaseESF_lENKUlvE_clEvENKUlvE0_clEvEUlffE_fEEDaPvRmT3_T4_T5_mT6_P12ihipStream_tbENKUlT_T0_E_clISt17integral_constantIbLb1EESV_IbLb0EEEEDaSR_SS_EUlSR_E_NS1_11comp_targetILNS1_3genE5ELNS1_11target_archE942ELNS1_3gpuE9ELNS1_3repE0EEENS1_30default_config_static_selectorELNS0_4arch9wavefront6targetE0EEEvT1_
		.amdhsa_group_segment_fixed_size 0
		.amdhsa_private_segment_fixed_size 0
		.amdhsa_kernarg_size 96
		.amdhsa_user_sgpr_count 6
		.amdhsa_user_sgpr_private_segment_buffer 1
		.amdhsa_user_sgpr_dispatch_ptr 0
		.amdhsa_user_sgpr_queue_ptr 0
		.amdhsa_user_sgpr_kernarg_segment_ptr 1
		.amdhsa_user_sgpr_dispatch_id 0
		.amdhsa_user_sgpr_flat_scratch_init 0
		.amdhsa_user_sgpr_private_segment_size 0
		.amdhsa_wavefront_size32 1
		.amdhsa_uses_dynamic_stack 0
		.amdhsa_system_sgpr_private_segment_wavefront_offset 0
		.amdhsa_system_sgpr_workgroup_id_x 1
		.amdhsa_system_sgpr_workgroup_id_y 0
		.amdhsa_system_sgpr_workgroup_id_z 0
		.amdhsa_system_sgpr_workgroup_info 0
		.amdhsa_system_vgpr_workitem_id 0
		.amdhsa_next_free_vgpr 1
		.amdhsa_next_free_sgpr 1
		.amdhsa_reserve_vcc 0
		.amdhsa_reserve_flat_scratch 0
		.amdhsa_float_round_mode_32 0
		.amdhsa_float_round_mode_16_64 0
		.amdhsa_float_denorm_mode_32 3
		.amdhsa_float_denorm_mode_16_64 3
		.amdhsa_dx10_clamp 1
		.amdhsa_ieee_mode 1
		.amdhsa_fp16_overflow 0
		.amdhsa_workgroup_processor_mode 1
		.amdhsa_memory_ordered 1
		.amdhsa_forward_progress 1
		.amdhsa_shared_vgpr_count 0
		.amdhsa_exception_fp_ieee_invalid_op 0
		.amdhsa_exception_fp_denorm_src 0
		.amdhsa_exception_fp_ieee_div_zero 0
		.amdhsa_exception_fp_ieee_overflow 0
		.amdhsa_exception_fp_ieee_underflow 0
		.amdhsa_exception_fp_ieee_inexact 0
		.amdhsa_exception_int_div_zero 0
	.end_amdhsa_kernel
	.section	.text._ZN7rocprim17ROCPRIM_400000_NS6detail17trampoline_kernelINS0_14default_configENS1_20scan_config_selectorIfEEZZNS1_9scan_implILNS1_25lookback_scan_determinismE0ELb0ELb0ES3_PKfPffZZZN2at6native31launch_logcumsumexp_cuda_kernelERKNSB_10TensorBaseESF_lENKUlvE_clEvENKUlvE0_clEvEUlffE_fEEDaPvRmT3_T4_T5_mT6_P12ihipStream_tbENKUlT_T0_E_clISt17integral_constantIbLb1EESV_IbLb0EEEEDaSR_SS_EUlSR_E_NS1_11comp_targetILNS1_3genE5ELNS1_11target_archE942ELNS1_3gpuE9ELNS1_3repE0EEENS1_30default_config_static_selectorELNS0_4arch9wavefront6targetE0EEEvT1_,"axG",@progbits,_ZN7rocprim17ROCPRIM_400000_NS6detail17trampoline_kernelINS0_14default_configENS1_20scan_config_selectorIfEEZZNS1_9scan_implILNS1_25lookback_scan_determinismE0ELb0ELb0ES3_PKfPffZZZN2at6native31launch_logcumsumexp_cuda_kernelERKNSB_10TensorBaseESF_lENKUlvE_clEvENKUlvE0_clEvEUlffE_fEEDaPvRmT3_T4_T5_mT6_P12ihipStream_tbENKUlT_T0_E_clISt17integral_constantIbLb1EESV_IbLb0EEEEDaSR_SS_EUlSR_E_NS1_11comp_targetILNS1_3genE5ELNS1_11target_archE942ELNS1_3gpuE9ELNS1_3repE0EEENS1_30default_config_static_selectorELNS0_4arch9wavefront6targetE0EEEvT1_,comdat
.Lfunc_end135:
	.size	_ZN7rocprim17ROCPRIM_400000_NS6detail17trampoline_kernelINS0_14default_configENS1_20scan_config_selectorIfEEZZNS1_9scan_implILNS1_25lookback_scan_determinismE0ELb0ELb0ES3_PKfPffZZZN2at6native31launch_logcumsumexp_cuda_kernelERKNSB_10TensorBaseESF_lENKUlvE_clEvENKUlvE0_clEvEUlffE_fEEDaPvRmT3_T4_T5_mT6_P12ihipStream_tbENKUlT_T0_E_clISt17integral_constantIbLb1EESV_IbLb0EEEEDaSR_SS_EUlSR_E_NS1_11comp_targetILNS1_3genE5ELNS1_11target_archE942ELNS1_3gpuE9ELNS1_3repE0EEENS1_30default_config_static_selectorELNS0_4arch9wavefront6targetE0EEEvT1_, .Lfunc_end135-_ZN7rocprim17ROCPRIM_400000_NS6detail17trampoline_kernelINS0_14default_configENS1_20scan_config_selectorIfEEZZNS1_9scan_implILNS1_25lookback_scan_determinismE0ELb0ELb0ES3_PKfPffZZZN2at6native31launch_logcumsumexp_cuda_kernelERKNSB_10TensorBaseESF_lENKUlvE_clEvENKUlvE0_clEvEUlffE_fEEDaPvRmT3_T4_T5_mT6_P12ihipStream_tbENKUlT_T0_E_clISt17integral_constantIbLb1EESV_IbLb0EEEEDaSR_SS_EUlSR_E_NS1_11comp_targetILNS1_3genE5ELNS1_11target_archE942ELNS1_3gpuE9ELNS1_3repE0EEENS1_30default_config_static_selectorELNS0_4arch9wavefront6targetE0EEEvT1_
                                        ; -- End function
	.set _ZN7rocprim17ROCPRIM_400000_NS6detail17trampoline_kernelINS0_14default_configENS1_20scan_config_selectorIfEEZZNS1_9scan_implILNS1_25lookback_scan_determinismE0ELb0ELb0ES3_PKfPffZZZN2at6native31launch_logcumsumexp_cuda_kernelERKNSB_10TensorBaseESF_lENKUlvE_clEvENKUlvE0_clEvEUlffE_fEEDaPvRmT3_T4_T5_mT6_P12ihipStream_tbENKUlT_T0_E_clISt17integral_constantIbLb1EESV_IbLb0EEEEDaSR_SS_EUlSR_E_NS1_11comp_targetILNS1_3genE5ELNS1_11target_archE942ELNS1_3gpuE9ELNS1_3repE0EEENS1_30default_config_static_selectorELNS0_4arch9wavefront6targetE0EEEvT1_.num_vgpr, 0
	.set _ZN7rocprim17ROCPRIM_400000_NS6detail17trampoline_kernelINS0_14default_configENS1_20scan_config_selectorIfEEZZNS1_9scan_implILNS1_25lookback_scan_determinismE0ELb0ELb0ES3_PKfPffZZZN2at6native31launch_logcumsumexp_cuda_kernelERKNSB_10TensorBaseESF_lENKUlvE_clEvENKUlvE0_clEvEUlffE_fEEDaPvRmT3_T4_T5_mT6_P12ihipStream_tbENKUlT_T0_E_clISt17integral_constantIbLb1EESV_IbLb0EEEEDaSR_SS_EUlSR_E_NS1_11comp_targetILNS1_3genE5ELNS1_11target_archE942ELNS1_3gpuE9ELNS1_3repE0EEENS1_30default_config_static_selectorELNS0_4arch9wavefront6targetE0EEEvT1_.num_agpr, 0
	.set _ZN7rocprim17ROCPRIM_400000_NS6detail17trampoline_kernelINS0_14default_configENS1_20scan_config_selectorIfEEZZNS1_9scan_implILNS1_25lookback_scan_determinismE0ELb0ELb0ES3_PKfPffZZZN2at6native31launch_logcumsumexp_cuda_kernelERKNSB_10TensorBaseESF_lENKUlvE_clEvENKUlvE0_clEvEUlffE_fEEDaPvRmT3_T4_T5_mT6_P12ihipStream_tbENKUlT_T0_E_clISt17integral_constantIbLb1EESV_IbLb0EEEEDaSR_SS_EUlSR_E_NS1_11comp_targetILNS1_3genE5ELNS1_11target_archE942ELNS1_3gpuE9ELNS1_3repE0EEENS1_30default_config_static_selectorELNS0_4arch9wavefront6targetE0EEEvT1_.numbered_sgpr, 0
	.set _ZN7rocprim17ROCPRIM_400000_NS6detail17trampoline_kernelINS0_14default_configENS1_20scan_config_selectorIfEEZZNS1_9scan_implILNS1_25lookback_scan_determinismE0ELb0ELb0ES3_PKfPffZZZN2at6native31launch_logcumsumexp_cuda_kernelERKNSB_10TensorBaseESF_lENKUlvE_clEvENKUlvE0_clEvEUlffE_fEEDaPvRmT3_T4_T5_mT6_P12ihipStream_tbENKUlT_T0_E_clISt17integral_constantIbLb1EESV_IbLb0EEEEDaSR_SS_EUlSR_E_NS1_11comp_targetILNS1_3genE5ELNS1_11target_archE942ELNS1_3gpuE9ELNS1_3repE0EEENS1_30default_config_static_selectorELNS0_4arch9wavefront6targetE0EEEvT1_.num_named_barrier, 0
	.set _ZN7rocprim17ROCPRIM_400000_NS6detail17trampoline_kernelINS0_14default_configENS1_20scan_config_selectorIfEEZZNS1_9scan_implILNS1_25lookback_scan_determinismE0ELb0ELb0ES3_PKfPffZZZN2at6native31launch_logcumsumexp_cuda_kernelERKNSB_10TensorBaseESF_lENKUlvE_clEvENKUlvE0_clEvEUlffE_fEEDaPvRmT3_T4_T5_mT6_P12ihipStream_tbENKUlT_T0_E_clISt17integral_constantIbLb1EESV_IbLb0EEEEDaSR_SS_EUlSR_E_NS1_11comp_targetILNS1_3genE5ELNS1_11target_archE942ELNS1_3gpuE9ELNS1_3repE0EEENS1_30default_config_static_selectorELNS0_4arch9wavefront6targetE0EEEvT1_.private_seg_size, 0
	.set _ZN7rocprim17ROCPRIM_400000_NS6detail17trampoline_kernelINS0_14default_configENS1_20scan_config_selectorIfEEZZNS1_9scan_implILNS1_25lookback_scan_determinismE0ELb0ELb0ES3_PKfPffZZZN2at6native31launch_logcumsumexp_cuda_kernelERKNSB_10TensorBaseESF_lENKUlvE_clEvENKUlvE0_clEvEUlffE_fEEDaPvRmT3_T4_T5_mT6_P12ihipStream_tbENKUlT_T0_E_clISt17integral_constantIbLb1EESV_IbLb0EEEEDaSR_SS_EUlSR_E_NS1_11comp_targetILNS1_3genE5ELNS1_11target_archE942ELNS1_3gpuE9ELNS1_3repE0EEENS1_30default_config_static_selectorELNS0_4arch9wavefront6targetE0EEEvT1_.uses_vcc, 0
	.set _ZN7rocprim17ROCPRIM_400000_NS6detail17trampoline_kernelINS0_14default_configENS1_20scan_config_selectorIfEEZZNS1_9scan_implILNS1_25lookback_scan_determinismE0ELb0ELb0ES3_PKfPffZZZN2at6native31launch_logcumsumexp_cuda_kernelERKNSB_10TensorBaseESF_lENKUlvE_clEvENKUlvE0_clEvEUlffE_fEEDaPvRmT3_T4_T5_mT6_P12ihipStream_tbENKUlT_T0_E_clISt17integral_constantIbLb1EESV_IbLb0EEEEDaSR_SS_EUlSR_E_NS1_11comp_targetILNS1_3genE5ELNS1_11target_archE942ELNS1_3gpuE9ELNS1_3repE0EEENS1_30default_config_static_selectorELNS0_4arch9wavefront6targetE0EEEvT1_.uses_flat_scratch, 0
	.set _ZN7rocprim17ROCPRIM_400000_NS6detail17trampoline_kernelINS0_14default_configENS1_20scan_config_selectorIfEEZZNS1_9scan_implILNS1_25lookback_scan_determinismE0ELb0ELb0ES3_PKfPffZZZN2at6native31launch_logcumsumexp_cuda_kernelERKNSB_10TensorBaseESF_lENKUlvE_clEvENKUlvE0_clEvEUlffE_fEEDaPvRmT3_T4_T5_mT6_P12ihipStream_tbENKUlT_T0_E_clISt17integral_constantIbLb1EESV_IbLb0EEEEDaSR_SS_EUlSR_E_NS1_11comp_targetILNS1_3genE5ELNS1_11target_archE942ELNS1_3gpuE9ELNS1_3repE0EEENS1_30default_config_static_selectorELNS0_4arch9wavefront6targetE0EEEvT1_.has_dyn_sized_stack, 0
	.set _ZN7rocprim17ROCPRIM_400000_NS6detail17trampoline_kernelINS0_14default_configENS1_20scan_config_selectorIfEEZZNS1_9scan_implILNS1_25lookback_scan_determinismE0ELb0ELb0ES3_PKfPffZZZN2at6native31launch_logcumsumexp_cuda_kernelERKNSB_10TensorBaseESF_lENKUlvE_clEvENKUlvE0_clEvEUlffE_fEEDaPvRmT3_T4_T5_mT6_P12ihipStream_tbENKUlT_T0_E_clISt17integral_constantIbLb1EESV_IbLb0EEEEDaSR_SS_EUlSR_E_NS1_11comp_targetILNS1_3genE5ELNS1_11target_archE942ELNS1_3gpuE9ELNS1_3repE0EEENS1_30default_config_static_selectorELNS0_4arch9wavefront6targetE0EEEvT1_.has_recursion, 0
	.set _ZN7rocprim17ROCPRIM_400000_NS6detail17trampoline_kernelINS0_14default_configENS1_20scan_config_selectorIfEEZZNS1_9scan_implILNS1_25lookback_scan_determinismE0ELb0ELb0ES3_PKfPffZZZN2at6native31launch_logcumsumexp_cuda_kernelERKNSB_10TensorBaseESF_lENKUlvE_clEvENKUlvE0_clEvEUlffE_fEEDaPvRmT3_T4_T5_mT6_P12ihipStream_tbENKUlT_T0_E_clISt17integral_constantIbLb1EESV_IbLb0EEEEDaSR_SS_EUlSR_E_NS1_11comp_targetILNS1_3genE5ELNS1_11target_archE942ELNS1_3gpuE9ELNS1_3repE0EEENS1_30default_config_static_selectorELNS0_4arch9wavefront6targetE0EEEvT1_.has_indirect_call, 0
	.section	.AMDGPU.csdata,"",@progbits
; Kernel info:
; codeLenInByte = 0
; TotalNumSgprs: 0
; NumVgprs: 0
; ScratchSize: 0
; MemoryBound: 0
; FloatMode: 240
; IeeeMode: 1
; LDSByteSize: 0 bytes/workgroup (compile time only)
; SGPRBlocks: 0
; VGPRBlocks: 0
; NumSGPRsForWavesPerEU: 1
; NumVGPRsForWavesPerEU: 1
; Occupancy: 16
; WaveLimiterHint : 0
; COMPUTE_PGM_RSRC2:SCRATCH_EN: 0
; COMPUTE_PGM_RSRC2:USER_SGPR: 6
; COMPUTE_PGM_RSRC2:TRAP_HANDLER: 0
; COMPUTE_PGM_RSRC2:TGID_X_EN: 1
; COMPUTE_PGM_RSRC2:TGID_Y_EN: 0
; COMPUTE_PGM_RSRC2:TGID_Z_EN: 0
; COMPUTE_PGM_RSRC2:TIDIG_COMP_CNT: 0
	.section	.text._ZN7rocprim17ROCPRIM_400000_NS6detail17trampoline_kernelINS0_14default_configENS1_20scan_config_selectorIfEEZZNS1_9scan_implILNS1_25lookback_scan_determinismE0ELb0ELb0ES3_PKfPffZZZN2at6native31launch_logcumsumexp_cuda_kernelERKNSB_10TensorBaseESF_lENKUlvE_clEvENKUlvE0_clEvEUlffE_fEEDaPvRmT3_T4_T5_mT6_P12ihipStream_tbENKUlT_T0_E_clISt17integral_constantIbLb1EESV_IbLb0EEEEDaSR_SS_EUlSR_E_NS1_11comp_targetILNS1_3genE4ELNS1_11target_archE910ELNS1_3gpuE8ELNS1_3repE0EEENS1_30default_config_static_selectorELNS0_4arch9wavefront6targetE0EEEvT1_,"axG",@progbits,_ZN7rocprim17ROCPRIM_400000_NS6detail17trampoline_kernelINS0_14default_configENS1_20scan_config_selectorIfEEZZNS1_9scan_implILNS1_25lookback_scan_determinismE0ELb0ELb0ES3_PKfPffZZZN2at6native31launch_logcumsumexp_cuda_kernelERKNSB_10TensorBaseESF_lENKUlvE_clEvENKUlvE0_clEvEUlffE_fEEDaPvRmT3_T4_T5_mT6_P12ihipStream_tbENKUlT_T0_E_clISt17integral_constantIbLb1EESV_IbLb0EEEEDaSR_SS_EUlSR_E_NS1_11comp_targetILNS1_3genE4ELNS1_11target_archE910ELNS1_3gpuE8ELNS1_3repE0EEENS1_30default_config_static_selectorELNS0_4arch9wavefront6targetE0EEEvT1_,comdat
	.globl	_ZN7rocprim17ROCPRIM_400000_NS6detail17trampoline_kernelINS0_14default_configENS1_20scan_config_selectorIfEEZZNS1_9scan_implILNS1_25lookback_scan_determinismE0ELb0ELb0ES3_PKfPffZZZN2at6native31launch_logcumsumexp_cuda_kernelERKNSB_10TensorBaseESF_lENKUlvE_clEvENKUlvE0_clEvEUlffE_fEEDaPvRmT3_T4_T5_mT6_P12ihipStream_tbENKUlT_T0_E_clISt17integral_constantIbLb1EESV_IbLb0EEEEDaSR_SS_EUlSR_E_NS1_11comp_targetILNS1_3genE4ELNS1_11target_archE910ELNS1_3gpuE8ELNS1_3repE0EEENS1_30default_config_static_selectorELNS0_4arch9wavefront6targetE0EEEvT1_ ; -- Begin function _ZN7rocprim17ROCPRIM_400000_NS6detail17trampoline_kernelINS0_14default_configENS1_20scan_config_selectorIfEEZZNS1_9scan_implILNS1_25lookback_scan_determinismE0ELb0ELb0ES3_PKfPffZZZN2at6native31launch_logcumsumexp_cuda_kernelERKNSB_10TensorBaseESF_lENKUlvE_clEvENKUlvE0_clEvEUlffE_fEEDaPvRmT3_T4_T5_mT6_P12ihipStream_tbENKUlT_T0_E_clISt17integral_constantIbLb1EESV_IbLb0EEEEDaSR_SS_EUlSR_E_NS1_11comp_targetILNS1_3genE4ELNS1_11target_archE910ELNS1_3gpuE8ELNS1_3repE0EEENS1_30default_config_static_selectorELNS0_4arch9wavefront6targetE0EEEvT1_
	.p2align	8
	.type	_ZN7rocprim17ROCPRIM_400000_NS6detail17trampoline_kernelINS0_14default_configENS1_20scan_config_selectorIfEEZZNS1_9scan_implILNS1_25lookback_scan_determinismE0ELb0ELb0ES3_PKfPffZZZN2at6native31launch_logcumsumexp_cuda_kernelERKNSB_10TensorBaseESF_lENKUlvE_clEvENKUlvE0_clEvEUlffE_fEEDaPvRmT3_T4_T5_mT6_P12ihipStream_tbENKUlT_T0_E_clISt17integral_constantIbLb1EESV_IbLb0EEEEDaSR_SS_EUlSR_E_NS1_11comp_targetILNS1_3genE4ELNS1_11target_archE910ELNS1_3gpuE8ELNS1_3repE0EEENS1_30default_config_static_selectorELNS0_4arch9wavefront6targetE0EEEvT1_,@function
_ZN7rocprim17ROCPRIM_400000_NS6detail17trampoline_kernelINS0_14default_configENS1_20scan_config_selectorIfEEZZNS1_9scan_implILNS1_25lookback_scan_determinismE0ELb0ELb0ES3_PKfPffZZZN2at6native31launch_logcumsumexp_cuda_kernelERKNSB_10TensorBaseESF_lENKUlvE_clEvENKUlvE0_clEvEUlffE_fEEDaPvRmT3_T4_T5_mT6_P12ihipStream_tbENKUlT_T0_E_clISt17integral_constantIbLb1EESV_IbLb0EEEEDaSR_SS_EUlSR_E_NS1_11comp_targetILNS1_3genE4ELNS1_11target_archE910ELNS1_3gpuE8ELNS1_3repE0EEENS1_30default_config_static_selectorELNS0_4arch9wavefront6targetE0EEEvT1_: ; @_ZN7rocprim17ROCPRIM_400000_NS6detail17trampoline_kernelINS0_14default_configENS1_20scan_config_selectorIfEEZZNS1_9scan_implILNS1_25lookback_scan_determinismE0ELb0ELb0ES3_PKfPffZZZN2at6native31launch_logcumsumexp_cuda_kernelERKNSB_10TensorBaseESF_lENKUlvE_clEvENKUlvE0_clEvEUlffE_fEEDaPvRmT3_T4_T5_mT6_P12ihipStream_tbENKUlT_T0_E_clISt17integral_constantIbLb1EESV_IbLb0EEEEDaSR_SS_EUlSR_E_NS1_11comp_targetILNS1_3genE4ELNS1_11target_archE910ELNS1_3gpuE8ELNS1_3repE0EEENS1_30default_config_static_selectorELNS0_4arch9wavefront6targetE0EEEvT1_
; %bb.0:
	.section	.rodata,"a",@progbits
	.p2align	6, 0x0
	.amdhsa_kernel _ZN7rocprim17ROCPRIM_400000_NS6detail17trampoline_kernelINS0_14default_configENS1_20scan_config_selectorIfEEZZNS1_9scan_implILNS1_25lookback_scan_determinismE0ELb0ELb0ES3_PKfPffZZZN2at6native31launch_logcumsumexp_cuda_kernelERKNSB_10TensorBaseESF_lENKUlvE_clEvENKUlvE0_clEvEUlffE_fEEDaPvRmT3_T4_T5_mT6_P12ihipStream_tbENKUlT_T0_E_clISt17integral_constantIbLb1EESV_IbLb0EEEEDaSR_SS_EUlSR_E_NS1_11comp_targetILNS1_3genE4ELNS1_11target_archE910ELNS1_3gpuE8ELNS1_3repE0EEENS1_30default_config_static_selectorELNS0_4arch9wavefront6targetE0EEEvT1_
		.amdhsa_group_segment_fixed_size 0
		.amdhsa_private_segment_fixed_size 0
		.amdhsa_kernarg_size 96
		.amdhsa_user_sgpr_count 6
		.amdhsa_user_sgpr_private_segment_buffer 1
		.amdhsa_user_sgpr_dispatch_ptr 0
		.amdhsa_user_sgpr_queue_ptr 0
		.amdhsa_user_sgpr_kernarg_segment_ptr 1
		.amdhsa_user_sgpr_dispatch_id 0
		.amdhsa_user_sgpr_flat_scratch_init 0
		.amdhsa_user_sgpr_private_segment_size 0
		.amdhsa_wavefront_size32 1
		.amdhsa_uses_dynamic_stack 0
		.amdhsa_system_sgpr_private_segment_wavefront_offset 0
		.amdhsa_system_sgpr_workgroup_id_x 1
		.amdhsa_system_sgpr_workgroup_id_y 0
		.amdhsa_system_sgpr_workgroup_id_z 0
		.amdhsa_system_sgpr_workgroup_info 0
		.amdhsa_system_vgpr_workitem_id 0
		.amdhsa_next_free_vgpr 1
		.amdhsa_next_free_sgpr 1
		.amdhsa_reserve_vcc 0
		.amdhsa_reserve_flat_scratch 0
		.amdhsa_float_round_mode_32 0
		.amdhsa_float_round_mode_16_64 0
		.amdhsa_float_denorm_mode_32 3
		.amdhsa_float_denorm_mode_16_64 3
		.amdhsa_dx10_clamp 1
		.amdhsa_ieee_mode 1
		.amdhsa_fp16_overflow 0
		.amdhsa_workgroup_processor_mode 1
		.amdhsa_memory_ordered 1
		.amdhsa_forward_progress 1
		.amdhsa_shared_vgpr_count 0
		.amdhsa_exception_fp_ieee_invalid_op 0
		.amdhsa_exception_fp_denorm_src 0
		.amdhsa_exception_fp_ieee_div_zero 0
		.amdhsa_exception_fp_ieee_overflow 0
		.amdhsa_exception_fp_ieee_underflow 0
		.amdhsa_exception_fp_ieee_inexact 0
		.amdhsa_exception_int_div_zero 0
	.end_amdhsa_kernel
	.section	.text._ZN7rocprim17ROCPRIM_400000_NS6detail17trampoline_kernelINS0_14default_configENS1_20scan_config_selectorIfEEZZNS1_9scan_implILNS1_25lookback_scan_determinismE0ELb0ELb0ES3_PKfPffZZZN2at6native31launch_logcumsumexp_cuda_kernelERKNSB_10TensorBaseESF_lENKUlvE_clEvENKUlvE0_clEvEUlffE_fEEDaPvRmT3_T4_T5_mT6_P12ihipStream_tbENKUlT_T0_E_clISt17integral_constantIbLb1EESV_IbLb0EEEEDaSR_SS_EUlSR_E_NS1_11comp_targetILNS1_3genE4ELNS1_11target_archE910ELNS1_3gpuE8ELNS1_3repE0EEENS1_30default_config_static_selectorELNS0_4arch9wavefront6targetE0EEEvT1_,"axG",@progbits,_ZN7rocprim17ROCPRIM_400000_NS6detail17trampoline_kernelINS0_14default_configENS1_20scan_config_selectorIfEEZZNS1_9scan_implILNS1_25lookback_scan_determinismE0ELb0ELb0ES3_PKfPffZZZN2at6native31launch_logcumsumexp_cuda_kernelERKNSB_10TensorBaseESF_lENKUlvE_clEvENKUlvE0_clEvEUlffE_fEEDaPvRmT3_T4_T5_mT6_P12ihipStream_tbENKUlT_T0_E_clISt17integral_constantIbLb1EESV_IbLb0EEEEDaSR_SS_EUlSR_E_NS1_11comp_targetILNS1_3genE4ELNS1_11target_archE910ELNS1_3gpuE8ELNS1_3repE0EEENS1_30default_config_static_selectorELNS0_4arch9wavefront6targetE0EEEvT1_,comdat
.Lfunc_end136:
	.size	_ZN7rocprim17ROCPRIM_400000_NS6detail17trampoline_kernelINS0_14default_configENS1_20scan_config_selectorIfEEZZNS1_9scan_implILNS1_25lookback_scan_determinismE0ELb0ELb0ES3_PKfPffZZZN2at6native31launch_logcumsumexp_cuda_kernelERKNSB_10TensorBaseESF_lENKUlvE_clEvENKUlvE0_clEvEUlffE_fEEDaPvRmT3_T4_T5_mT6_P12ihipStream_tbENKUlT_T0_E_clISt17integral_constantIbLb1EESV_IbLb0EEEEDaSR_SS_EUlSR_E_NS1_11comp_targetILNS1_3genE4ELNS1_11target_archE910ELNS1_3gpuE8ELNS1_3repE0EEENS1_30default_config_static_selectorELNS0_4arch9wavefront6targetE0EEEvT1_, .Lfunc_end136-_ZN7rocprim17ROCPRIM_400000_NS6detail17trampoline_kernelINS0_14default_configENS1_20scan_config_selectorIfEEZZNS1_9scan_implILNS1_25lookback_scan_determinismE0ELb0ELb0ES3_PKfPffZZZN2at6native31launch_logcumsumexp_cuda_kernelERKNSB_10TensorBaseESF_lENKUlvE_clEvENKUlvE0_clEvEUlffE_fEEDaPvRmT3_T4_T5_mT6_P12ihipStream_tbENKUlT_T0_E_clISt17integral_constantIbLb1EESV_IbLb0EEEEDaSR_SS_EUlSR_E_NS1_11comp_targetILNS1_3genE4ELNS1_11target_archE910ELNS1_3gpuE8ELNS1_3repE0EEENS1_30default_config_static_selectorELNS0_4arch9wavefront6targetE0EEEvT1_
                                        ; -- End function
	.set _ZN7rocprim17ROCPRIM_400000_NS6detail17trampoline_kernelINS0_14default_configENS1_20scan_config_selectorIfEEZZNS1_9scan_implILNS1_25lookback_scan_determinismE0ELb0ELb0ES3_PKfPffZZZN2at6native31launch_logcumsumexp_cuda_kernelERKNSB_10TensorBaseESF_lENKUlvE_clEvENKUlvE0_clEvEUlffE_fEEDaPvRmT3_T4_T5_mT6_P12ihipStream_tbENKUlT_T0_E_clISt17integral_constantIbLb1EESV_IbLb0EEEEDaSR_SS_EUlSR_E_NS1_11comp_targetILNS1_3genE4ELNS1_11target_archE910ELNS1_3gpuE8ELNS1_3repE0EEENS1_30default_config_static_selectorELNS0_4arch9wavefront6targetE0EEEvT1_.num_vgpr, 0
	.set _ZN7rocprim17ROCPRIM_400000_NS6detail17trampoline_kernelINS0_14default_configENS1_20scan_config_selectorIfEEZZNS1_9scan_implILNS1_25lookback_scan_determinismE0ELb0ELb0ES3_PKfPffZZZN2at6native31launch_logcumsumexp_cuda_kernelERKNSB_10TensorBaseESF_lENKUlvE_clEvENKUlvE0_clEvEUlffE_fEEDaPvRmT3_T4_T5_mT6_P12ihipStream_tbENKUlT_T0_E_clISt17integral_constantIbLb1EESV_IbLb0EEEEDaSR_SS_EUlSR_E_NS1_11comp_targetILNS1_3genE4ELNS1_11target_archE910ELNS1_3gpuE8ELNS1_3repE0EEENS1_30default_config_static_selectorELNS0_4arch9wavefront6targetE0EEEvT1_.num_agpr, 0
	.set _ZN7rocprim17ROCPRIM_400000_NS6detail17trampoline_kernelINS0_14default_configENS1_20scan_config_selectorIfEEZZNS1_9scan_implILNS1_25lookback_scan_determinismE0ELb0ELb0ES3_PKfPffZZZN2at6native31launch_logcumsumexp_cuda_kernelERKNSB_10TensorBaseESF_lENKUlvE_clEvENKUlvE0_clEvEUlffE_fEEDaPvRmT3_T4_T5_mT6_P12ihipStream_tbENKUlT_T0_E_clISt17integral_constantIbLb1EESV_IbLb0EEEEDaSR_SS_EUlSR_E_NS1_11comp_targetILNS1_3genE4ELNS1_11target_archE910ELNS1_3gpuE8ELNS1_3repE0EEENS1_30default_config_static_selectorELNS0_4arch9wavefront6targetE0EEEvT1_.numbered_sgpr, 0
	.set _ZN7rocprim17ROCPRIM_400000_NS6detail17trampoline_kernelINS0_14default_configENS1_20scan_config_selectorIfEEZZNS1_9scan_implILNS1_25lookback_scan_determinismE0ELb0ELb0ES3_PKfPffZZZN2at6native31launch_logcumsumexp_cuda_kernelERKNSB_10TensorBaseESF_lENKUlvE_clEvENKUlvE0_clEvEUlffE_fEEDaPvRmT3_T4_T5_mT6_P12ihipStream_tbENKUlT_T0_E_clISt17integral_constantIbLb1EESV_IbLb0EEEEDaSR_SS_EUlSR_E_NS1_11comp_targetILNS1_3genE4ELNS1_11target_archE910ELNS1_3gpuE8ELNS1_3repE0EEENS1_30default_config_static_selectorELNS0_4arch9wavefront6targetE0EEEvT1_.num_named_barrier, 0
	.set _ZN7rocprim17ROCPRIM_400000_NS6detail17trampoline_kernelINS0_14default_configENS1_20scan_config_selectorIfEEZZNS1_9scan_implILNS1_25lookback_scan_determinismE0ELb0ELb0ES3_PKfPffZZZN2at6native31launch_logcumsumexp_cuda_kernelERKNSB_10TensorBaseESF_lENKUlvE_clEvENKUlvE0_clEvEUlffE_fEEDaPvRmT3_T4_T5_mT6_P12ihipStream_tbENKUlT_T0_E_clISt17integral_constantIbLb1EESV_IbLb0EEEEDaSR_SS_EUlSR_E_NS1_11comp_targetILNS1_3genE4ELNS1_11target_archE910ELNS1_3gpuE8ELNS1_3repE0EEENS1_30default_config_static_selectorELNS0_4arch9wavefront6targetE0EEEvT1_.private_seg_size, 0
	.set _ZN7rocprim17ROCPRIM_400000_NS6detail17trampoline_kernelINS0_14default_configENS1_20scan_config_selectorIfEEZZNS1_9scan_implILNS1_25lookback_scan_determinismE0ELb0ELb0ES3_PKfPffZZZN2at6native31launch_logcumsumexp_cuda_kernelERKNSB_10TensorBaseESF_lENKUlvE_clEvENKUlvE0_clEvEUlffE_fEEDaPvRmT3_T4_T5_mT6_P12ihipStream_tbENKUlT_T0_E_clISt17integral_constantIbLb1EESV_IbLb0EEEEDaSR_SS_EUlSR_E_NS1_11comp_targetILNS1_3genE4ELNS1_11target_archE910ELNS1_3gpuE8ELNS1_3repE0EEENS1_30default_config_static_selectorELNS0_4arch9wavefront6targetE0EEEvT1_.uses_vcc, 0
	.set _ZN7rocprim17ROCPRIM_400000_NS6detail17trampoline_kernelINS0_14default_configENS1_20scan_config_selectorIfEEZZNS1_9scan_implILNS1_25lookback_scan_determinismE0ELb0ELb0ES3_PKfPffZZZN2at6native31launch_logcumsumexp_cuda_kernelERKNSB_10TensorBaseESF_lENKUlvE_clEvENKUlvE0_clEvEUlffE_fEEDaPvRmT3_T4_T5_mT6_P12ihipStream_tbENKUlT_T0_E_clISt17integral_constantIbLb1EESV_IbLb0EEEEDaSR_SS_EUlSR_E_NS1_11comp_targetILNS1_3genE4ELNS1_11target_archE910ELNS1_3gpuE8ELNS1_3repE0EEENS1_30default_config_static_selectorELNS0_4arch9wavefront6targetE0EEEvT1_.uses_flat_scratch, 0
	.set _ZN7rocprim17ROCPRIM_400000_NS6detail17trampoline_kernelINS0_14default_configENS1_20scan_config_selectorIfEEZZNS1_9scan_implILNS1_25lookback_scan_determinismE0ELb0ELb0ES3_PKfPffZZZN2at6native31launch_logcumsumexp_cuda_kernelERKNSB_10TensorBaseESF_lENKUlvE_clEvENKUlvE0_clEvEUlffE_fEEDaPvRmT3_T4_T5_mT6_P12ihipStream_tbENKUlT_T0_E_clISt17integral_constantIbLb1EESV_IbLb0EEEEDaSR_SS_EUlSR_E_NS1_11comp_targetILNS1_3genE4ELNS1_11target_archE910ELNS1_3gpuE8ELNS1_3repE0EEENS1_30default_config_static_selectorELNS0_4arch9wavefront6targetE0EEEvT1_.has_dyn_sized_stack, 0
	.set _ZN7rocprim17ROCPRIM_400000_NS6detail17trampoline_kernelINS0_14default_configENS1_20scan_config_selectorIfEEZZNS1_9scan_implILNS1_25lookback_scan_determinismE0ELb0ELb0ES3_PKfPffZZZN2at6native31launch_logcumsumexp_cuda_kernelERKNSB_10TensorBaseESF_lENKUlvE_clEvENKUlvE0_clEvEUlffE_fEEDaPvRmT3_T4_T5_mT6_P12ihipStream_tbENKUlT_T0_E_clISt17integral_constantIbLb1EESV_IbLb0EEEEDaSR_SS_EUlSR_E_NS1_11comp_targetILNS1_3genE4ELNS1_11target_archE910ELNS1_3gpuE8ELNS1_3repE0EEENS1_30default_config_static_selectorELNS0_4arch9wavefront6targetE0EEEvT1_.has_recursion, 0
	.set _ZN7rocprim17ROCPRIM_400000_NS6detail17trampoline_kernelINS0_14default_configENS1_20scan_config_selectorIfEEZZNS1_9scan_implILNS1_25lookback_scan_determinismE0ELb0ELb0ES3_PKfPffZZZN2at6native31launch_logcumsumexp_cuda_kernelERKNSB_10TensorBaseESF_lENKUlvE_clEvENKUlvE0_clEvEUlffE_fEEDaPvRmT3_T4_T5_mT6_P12ihipStream_tbENKUlT_T0_E_clISt17integral_constantIbLb1EESV_IbLb0EEEEDaSR_SS_EUlSR_E_NS1_11comp_targetILNS1_3genE4ELNS1_11target_archE910ELNS1_3gpuE8ELNS1_3repE0EEENS1_30default_config_static_selectorELNS0_4arch9wavefront6targetE0EEEvT1_.has_indirect_call, 0
	.section	.AMDGPU.csdata,"",@progbits
; Kernel info:
; codeLenInByte = 0
; TotalNumSgprs: 0
; NumVgprs: 0
; ScratchSize: 0
; MemoryBound: 0
; FloatMode: 240
; IeeeMode: 1
; LDSByteSize: 0 bytes/workgroup (compile time only)
; SGPRBlocks: 0
; VGPRBlocks: 0
; NumSGPRsForWavesPerEU: 1
; NumVGPRsForWavesPerEU: 1
; Occupancy: 16
; WaveLimiterHint : 0
; COMPUTE_PGM_RSRC2:SCRATCH_EN: 0
; COMPUTE_PGM_RSRC2:USER_SGPR: 6
; COMPUTE_PGM_RSRC2:TRAP_HANDLER: 0
; COMPUTE_PGM_RSRC2:TGID_X_EN: 1
; COMPUTE_PGM_RSRC2:TGID_Y_EN: 0
; COMPUTE_PGM_RSRC2:TGID_Z_EN: 0
; COMPUTE_PGM_RSRC2:TIDIG_COMP_CNT: 0
	.section	.text._ZN7rocprim17ROCPRIM_400000_NS6detail17trampoline_kernelINS0_14default_configENS1_20scan_config_selectorIfEEZZNS1_9scan_implILNS1_25lookback_scan_determinismE0ELb0ELb0ES3_PKfPffZZZN2at6native31launch_logcumsumexp_cuda_kernelERKNSB_10TensorBaseESF_lENKUlvE_clEvENKUlvE0_clEvEUlffE_fEEDaPvRmT3_T4_T5_mT6_P12ihipStream_tbENKUlT_T0_E_clISt17integral_constantIbLb1EESV_IbLb0EEEEDaSR_SS_EUlSR_E_NS1_11comp_targetILNS1_3genE3ELNS1_11target_archE908ELNS1_3gpuE7ELNS1_3repE0EEENS1_30default_config_static_selectorELNS0_4arch9wavefront6targetE0EEEvT1_,"axG",@progbits,_ZN7rocprim17ROCPRIM_400000_NS6detail17trampoline_kernelINS0_14default_configENS1_20scan_config_selectorIfEEZZNS1_9scan_implILNS1_25lookback_scan_determinismE0ELb0ELb0ES3_PKfPffZZZN2at6native31launch_logcumsumexp_cuda_kernelERKNSB_10TensorBaseESF_lENKUlvE_clEvENKUlvE0_clEvEUlffE_fEEDaPvRmT3_T4_T5_mT6_P12ihipStream_tbENKUlT_T0_E_clISt17integral_constantIbLb1EESV_IbLb0EEEEDaSR_SS_EUlSR_E_NS1_11comp_targetILNS1_3genE3ELNS1_11target_archE908ELNS1_3gpuE7ELNS1_3repE0EEENS1_30default_config_static_selectorELNS0_4arch9wavefront6targetE0EEEvT1_,comdat
	.globl	_ZN7rocprim17ROCPRIM_400000_NS6detail17trampoline_kernelINS0_14default_configENS1_20scan_config_selectorIfEEZZNS1_9scan_implILNS1_25lookback_scan_determinismE0ELb0ELb0ES3_PKfPffZZZN2at6native31launch_logcumsumexp_cuda_kernelERKNSB_10TensorBaseESF_lENKUlvE_clEvENKUlvE0_clEvEUlffE_fEEDaPvRmT3_T4_T5_mT6_P12ihipStream_tbENKUlT_T0_E_clISt17integral_constantIbLb1EESV_IbLb0EEEEDaSR_SS_EUlSR_E_NS1_11comp_targetILNS1_3genE3ELNS1_11target_archE908ELNS1_3gpuE7ELNS1_3repE0EEENS1_30default_config_static_selectorELNS0_4arch9wavefront6targetE0EEEvT1_ ; -- Begin function _ZN7rocprim17ROCPRIM_400000_NS6detail17trampoline_kernelINS0_14default_configENS1_20scan_config_selectorIfEEZZNS1_9scan_implILNS1_25lookback_scan_determinismE0ELb0ELb0ES3_PKfPffZZZN2at6native31launch_logcumsumexp_cuda_kernelERKNSB_10TensorBaseESF_lENKUlvE_clEvENKUlvE0_clEvEUlffE_fEEDaPvRmT3_T4_T5_mT6_P12ihipStream_tbENKUlT_T0_E_clISt17integral_constantIbLb1EESV_IbLb0EEEEDaSR_SS_EUlSR_E_NS1_11comp_targetILNS1_3genE3ELNS1_11target_archE908ELNS1_3gpuE7ELNS1_3repE0EEENS1_30default_config_static_selectorELNS0_4arch9wavefront6targetE0EEEvT1_
	.p2align	8
	.type	_ZN7rocprim17ROCPRIM_400000_NS6detail17trampoline_kernelINS0_14default_configENS1_20scan_config_selectorIfEEZZNS1_9scan_implILNS1_25lookback_scan_determinismE0ELb0ELb0ES3_PKfPffZZZN2at6native31launch_logcumsumexp_cuda_kernelERKNSB_10TensorBaseESF_lENKUlvE_clEvENKUlvE0_clEvEUlffE_fEEDaPvRmT3_T4_T5_mT6_P12ihipStream_tbENKUlT_T0_E_clISt17integral_constantIbLb1EESV_IbLb0EEEEDaSR_SS_EUlSR_E_NS1_11comp_targetILNS1_3genE3ELNS1_11target_archE908ELNS1_3gpuE7ELNS1_3repE0EEENS1_30default_config_static_selectorELNS0_4arch9wavefront6targetE0EEEvT1_,@function
_ZN7rocprim17ROCPRIM_400000_NS6detail17trampoline_kernelINS0_14default_configENS1_20scan_config_selectorIfEEZZNS1_9scan_implILNS1_25lookback_scan_determinismE0ELb0ELb0ES3_PKfPffZZZN2at6native31launch_logcumsumexp_cuda_kernelERKNSB_10TensorBaseESF_lENKUlvE_clEvENKUlvE0_clEvEUlffE_fEEDaPvRmT3_T4_T5_mT6_P12ihipStream_tbENKUlT_T0_E_clISt17integral_constantIbLb1EESV_IbLb0EEEEDaSR_SS_EUlSR_E_NS1_11comp_targetILNS1_3genE3ELNS1_11target_archE908ELNS1_3gpuE7ELNS1_3repE0EEENS1_30default_config_static_selectorELNS0_4arch9wavefront6targetE0EEEvT1_: ; @_ZN7rocprim17ROCPRIM_400000_NS6detail17trampoline_kernelINS0_14default_configENS1_20scan_config_selectorIfEEZZNS1_9scan_implILNS1_25lookback_scan_determinismE0ELb0ELb0ES3_PKfPffZZZN2at6native31launch_logcumsumexp_cuda_kernelERKNSB_10TensorBaseESF_lENKUlvE_clEvENKUlvE0_clEvEUlffE_fEEDaPvRmT3_T4_T5_mT6_P12ihipStream_tbENKUlT_T0_E_clISt17integral_constantIbLb1EESV_IbLb0EEEEDaSR_SS_EUlSR_E_NS1_11comp_targetILNS1_3genE3ELNS1_11target_archE908ELNS1_3gpuE7ELNS1_3repE0EEENS1_30default_config_static_selectorELNS0_4arch9wavefront6targetE0EEEvT1_
; %bb.0:
	.section	.rodata,"a",@progbits
	.p2align	6, 0x0
	.amdhsa_kernel _ZN7rocprim17ROCPRIM_400000_NS6detail17trampoline_kernelINS0_14default_configENS1_20scan_config_selectorIfEEZZNS1_9scan_implILNS1_25lookback_scan_determinismE0ELb0ELb0ES3_PKfPffZZZN2at6native31launch_logcumsumexp_cuda_kernelERKNSB_10TensorBaseESF_lENKUlvE_clEvENKUlvE0_clEvEUlffE_fEEDaPvRmT3_T4_T5_mT6_P12ihipStream_tbENKUlT_T0_E_clISt17integral_constantIbLb1EESV_IbLb0EEEEDaSR_SS_EUlSR_E_NS1_11comp_targetILNS1_3genE3ELNS1_11target_archE908ELNS1_3gpuE7ELNS1_3repE0EEENS1_30default_config_static_selectorELNS0_4arch9wavefront6targetE0EEEvT1_
		.amdhsa_group_segment_fixed_size 0
		.amdhsa_private_segment_fixed_size 0
		.amdhsa_kernarg_size 96
		.amdhsa_user_sgpr_count 6
		.amdhsa_user_sgpr_private_segment_buffer 1
		.amdhsa_user_sgpr_dispatch_ptr 0
		.amdhsa_user_sgpr_queue_ptr 0
		.amdhsa_user_sgpr_kernarg_segment_ptr 1
		.amdhsa_user_sgpr_dispatch_id 0
		.amdhsa_user_sgpr_flat_scratch_init 0
		.amdhsa_user_sgpr_private_segment_size 0
		.amdhsa_wavefront_size32 1
		.amdhsa_uses_dynamic_stack 0
		.amdhsa_system_sgpr_private_segment_wavefront_offset 0
		.amdhsa_system_sgpr_workgroup_id_x 1
		.amdhsa_system_sgpr_workgroup_id_y 0
		.amdhsa_system_sgpr_workgroup_id_z 0
		.amdhsa_system_sgpr_workgroup_info 0
		.amdhsa_system_vgpr_workitem_id 0
		.amdhsa_next_free_vgpr 1
		.amdhsa_next_free_sgpr 1
		.amdhsa_reserve_vcc 0
		.amdhsa_reserve_flat_scratch 0
		.amdhsa_float_round_mode_32 0
		.amdhsa_float_round_mode_16_64 0
		.amdhsa_float_denorm_mode_32 3
		.amdhsa_float_denorm_mode_16_64 3
		.amdhsa_dx10_clamp 1
		.amdhsa_ieee_mode 1
		.amdhsa_fp16_overflow 0
		.amdhsa_workgroup_processor_mode 1
		.amdhsa_memory_ordered 1
		.amdhsa_forward_progress 1
		.amdhsa_shared_vgpr_count 0
		.amdhsa_exception_fp_ieee_invalid_op 0
		.amdhsa_exception_fp_denorm_src 0
		.amdhsa_exception_fp_ieee_div_zero 0
		.amdhsa_exception_fp_ieee_overflow 0
		.amdhsa_exception_fp_ieee_underflow 0
		.amdhsa_exception_fp_ieee_inexact 0
		.amdhsa_exception_int_div_zero 0
	.end_amdhsa_kernel
	.section	.text._ZN7rocprim17ROCPRIM_400000_NS6detail17trampoline_kernelINS0_14default_configENS1_20scan_config_selectorIfEEZZNS1_9scan_implILNS1_25lookback_scan_determinismE0ELb0ELb0ES3_PKfPffZZZN2at6native31launch_logcumsumexp_cuda_kernelERKNSB_10TensorBaseESF_lENKUlvE_clEvENKUlvE0_clEvEUlffE_fEEDaPvRmT3_T4_T5_mT6_P12ihipStream_tbENKUlT_T0_E_clISt17integral_constantIbLb1EESV_IbLb0EEEEDaSR_SS_EUlSR_E_NS1_11comp_targetILNS1_3genE3ELNS1_11target_archE908ELNS1_3gpuE7ELNS1_3repE0EEENS1_30default_config_static_selectorELNS0_4arch9wavefront6targetE0EEEvT1_,"axG",@progbits,_ZN7rocprim17ROCPRIM_400000_NS6detail17trampoline_kernelINS0_14default_configENS1_20scan_config_selectorIfEEZZNS1_9scan_implILNS1_25lookback_scan_determinismE0ELb0ELb0ES3_PKfPffZZZN2at6native31launch_logcumsumexp_cuda_kernelERKNSB_10TensorBaseESF_lENKUlvE_clEvENKUlvE0_clEvEUlffE_fEEDaPvRmT3_T4_T5_mT6_P12ihipStream_tbENKUlT_T0_E_clISt17integral_constantIbLb1EESV_IbLb0EEEEDaSR_SS_EUlSR_E_NS1_11comp_targetILNS1_3genE3ELNS1_11target_archE908ELNS1_3gpuE7ELNS1_3repE0EEENS1_30default_config_static_selectorELNS0_4arch9wavefront6targetE0EEEvT1_,comdat
.Lfunc_end137:
	.size	_ZN7rocprim17ROCPRIM_400000_NS6detail17trampoline_kernelINS0_14default_configENS1_20scan_config_selectorIfEEZZNS1_9scan_implILNS1_25lookback_scan_determinismE0ELb0ELb0ES3_PKfPffZZZN2at6native31launch_logcumsumexp_cuda_kernelERKNSB_10TensorBaseESF_lENKUlvE_clEvENKUlvE0_clEvEUlffE_fEEDaPvRmT3_T4_T5_mT6_P12ihipStream_tbENKUlT_T0_E_clISt17integral_constantIbLb1EESV_IbLb0EEEEDaSR_SS_EUlSR_E_NS1_11comp_targetILNS1_3genE3ELNS1_11target_archE908ELNS1_3gpuE7ELNS1_3repE0EEENS1_30default_config_static_selectorELNS0_4arch9wavefront6targetE0EEEvT1_, .Lfunc_end137-_ZN7rocprim17ROCPRIM_400000_NS6detail17trampoline_kernelINS0_14default_configENS1_20scan_config_selectorIfEEZZNS1_9scan_implILNS1_25lookback_scan_determinismE0ELb0ELb0ES3_PKfPffZZZN2at6native31launch_logcumsumexp_cuda_kernelERKNSB_10TensorBaseESF_lENKUlvE_clEvENKUlvE0_clEvEUlffE_fEEDaPvRmT3_T4_T5_mT6_P12ihipStream_tbENKUlT_T0_E_clISt17integral_constantIbLb1EESV_IbLb0EEEEDaSR_SS_EUlSR_E_NS1_11comp_targetILNS1_3genE3ELNS1_11target_archE908ELNS1_3gpuE7ELNS1_3repE0EEENS1_30default_config_static_selectorELNS0_4arch9wavefront6targetE0EEEvT1_
                                        ; -- End function
	.set _ZN7rocprim17ROCPRIM_400000_NS6detail17trampoline_kernelINS0_14default_configENS1_20scan_config_selectorIfEEZZNS1_9scan_implILNS1_25lookback_scan_determinismE0ELb0ELb0ES3_PKfPffZZZN2at6native31launch_logcumsumexp_cuda_kernelERKNSB_10TensorBaseESF_lENKUlvE_clEvENKUlvE0_clEvEUlffE_fEEDaPvRmT3_T4_T5_mT6_P12ihipStream_tbENKUlT_T0_E_clISt17integral_constantIbLb1EESV_IbLb0EEEEDaSR_SS_EUlSR_E_NS1_11comp_targetILNS1_3genE3ELNS1_11target_archE908ELNS1_3gpuE7ELNS1_3repE0EEENS1_30default_config_static_selectorELNS0_4arch9wavefront6targetE0EEEvT1_.num_vgpr, 0
	.set _ZN7rocprim17ROCPRIM_400000_NS6detail17trampoline_kernelINS0_14default_configENS1_20scan_config_selectorIfEEZZNS1_9scan_implILNS1_25lookback_scan_determinismE0ELb0ELb0ES3_PKfPffZZZN2at6native31launch_logcumsumexp_cuda_kernelERKNSB_10TensorBaseESF_lENKUlvE_clEvENKUlvE0_clEvEUlffE_fEEDaPvRmT3_T4_T5_mT6_P12ihipStream_tbENKUlT_T0_E_clISt17integral_constantIbLb1EESV_IbLb0EEEEDaSR_SS_EUlSR_E_NS1_11comp_targetILNS1_3genE3ELNS1_11target_archE908ELNS1_3gpuE7ELNS1_3repE0EEENS1_30default_config_static_selectorELNS0_4arch9wavefront6targetE0EEEvT1_.num_agpr, 0
	.set _ZN7rocprim17ROCPRIM_400000_NS6detail17trampoline_kernelINS0_14default_configENS1_20scan_config_selectorIfEEZZNS1_9scan_implILNS1_25lookback_scan_determinismE0ELb0ELb0ES3_PKfPffZZZN2at6native31launch_logcumsumexp_cuda_kernelERKNSB_10TensorBaseESF_lENKUlvE_clEvENKUlvE0_clEvEUlffE_fEEDaPvRmT3_T4_T5_mT6_P12ihipStream_tbENKUlT_T0_E_clISt17integral_constantIbLb1EESV_IbLb0EEEEDaSR_SS_EUlSR_E_NS1_11comp_targetILNS1_3genE3ELNS1_11target_archE908ELNS1_3gpuE7ELNS1_3repE0EEENS1_30default_config_static_selectorELNS0_4arch9wavefront6targetE0EEEvT1_.numbered_sgpr, 0
	.set _ZN7rocprim17ROCPRIM_400000_NS6detail17trampoline_kernelINS0_14default_configENS1_20scan_config_selectorIfEEZZNS1_9scan_implILNS1_25lookback_scan_determinismE0ELb0ELb0ES3_PKfPffZZZN2at6native31launch_logcumsumexp_cuda_kernelERKNSB_10TensorBaseESF_lENKUlvE_clEvENKUlvE0_clEvEUlffE_fEEDaPvRmT3_T4_T5_mT6_P12ihipStream_tbENKUlT_T0_E_clISt17integral_constantIbLb1EESV_IbLb0EEEEDaSR_SS_EUlSR_E_NS1_11comp_targetILNS1_3genE3ELNS1_11target_archE908ELNS1_3gpuE7ELNS1_3repE0EEENS1_30default_config_static_selectorELNS0_4arch9wavefront6targetE0EEEvT1_.num_named_barrier, 0
	.set _ZN7rocprim17ROCPRIM_400000_NS6detail17trampoline_kernelINS0_14default_configENS1_20scan_config_selectorIfEEZZNS1_9scan_implILNS1_25lookback_scan_determinismE0ELb0ELb0ES3_PKfPffZZZN2at6native31launch_logcumsumexp_cuda_kernelERKNSB_10TensorBaseESF_lENKUlvE_clEvENKUlvE0_clEvEUlffE_fEEDaPvRmT3_T4_T5_mT6_P12ihipStream_tbENKUlT_T0_E_clISt17integral_constantIbLb1EESV_IbLb0EEEEDaSR_SS_EUlSR_E_NS1_11comp_targetILNS1_3genE3ELNS1_11target_archE908ELNS1_3gpuE7ELNS1_3repE0EEENS1_30default_config_static_selectorELNS0_4arch9wavefront6targetE0EEEvT1_.private_seg_size, 0
	.set _ZN7rocprim17ROCPRIM_400000_NS6detail17trampoline_kernelINS0_14default_configENS1_20scan_config_selectorIfEEZZNS1_9scan_implILNS1_25lookback_scan_determinismE0ELb0ELb0ES3_PKfPffZZZN2at6native31launch_logcumsumexp_cuda_kernelERKNSB_10TensorBaseESF_lENKUlvE_clEvENKUlvE0_clEvEUlffE_fEEDaPvRmT3_T4_T5_mT6_P12ihipStream_tbENKUlT_T0_E_clISt17integral_constantIbLb1EESV_IbLb0EEEEDaSR_SS_EUlSR_E_NS1_11comp_targetILNS1_3genE3ELNS1_11target_archE908ELNS1_3gpuE7ELNS1_3repE0EEENS1_30default_config_static_selectorELNS0_4arch9wavefront6targetE0EEEvT1_.uses_vcc, 0
	.set _ZN7rocprim17ROCPRIM_400000_NS6detail17trampoline_kernelINS0_14default_configENS1_20scan_config_selectorIfEEZZNS1_9scan_implILNS1_25lookback_scan_determinismE0ELb0ELb0ES3_PKfPffZZZN2at6native31launch_logcumsumexp_cuda_kernelERKNSB_10TensorBaseESF_lENKUlvE_clEvENKUlvE0_clEvEUlffE_fEEDaPvRmT3_T4_T5_mT6_P12ihipStream_tbENKUlT_T0_E_clISt17integral_constantIbLb1EESV_IbLb0EEEEDaSR_SS_EUlSR_E_NS1_11comp_targetILNS1_3genE3ELNS1_11target_archE908ELNS1_3gpuE7ELNS1_3repE0EEENS1_30default_config_static_selectorELNS0_4arch9wavefront6targetE0EEEvT1_.uses_flat_scratch, 0
	.set _ZN7rocprim17ROCPRIM_400000_NS6detail17trampoline_kernelINS0_14default_configENS1_20scan_config_selectorIfEEZZNS1_9scan_implILNS1_25lookback_scan_determinismE0ELb0ELb0ES3_PKfPffZZZN2at6native31launch_logcumsumexp_cuda_kernelERKNSB_10TensorBaseESF_lENKUlvE_clEvENKUlvE0_clEvEUlffE_fEEDaPvRmT3_T4_T5_mT6_P12ihipStream_tbENKUlT_T0_E_clISt17integral_constantIbLb1EESV_IbLb0EEEEDaSR_SS_EUlSR_E_NS1_11comp_targetILNS1_3genE3ELNS1_11target_archE908ELNS1_3gpuE7ELNS1_3repE0EEENS1_30default_config_static_selectorELNS0_4arch9wavefront6targetE0EEEvT1_.has_dyn_sized_stack, 0
	.set _ZN7rocprim17ROCPRIM_400000_NS6detail17trampoline_kernelINS0_14default_configENS1_20scan_config_selectorIfEEZZNS1_9scan_implILNS1_25lookback_scan_determinismE0ELb0ELb0ES3_PKfPffZZZN2at6native31launch_logcumsumexp_cuda_kernelERKNSB_10TensorBaseESF_lENKUlvE_clEvENKUlvE0_clEvEUlffE_fEEDaPvRmT3_T4_T5_mT6_P12ihipStream_tbENKUlT_T0_E_clISt17integral_constantIbLb1EESV_IbLb0EEEEDaSR_SS_EUlSR_E_NS1_11comp_targetILNS1_3genE3ELNS1_11target_archE908ELNS1_3gpuE7ELNS1_3repE0EEENS1_30default_config_static_selectorELNS0_4arch9wavefront6targetE0EEEvT1_.has_recursion, 0
	.set _ZN7rocprim17ROCPRIM_400000_NS6detail17trampoline_kernelINS0_14default_configENS1_20scan_config_selectorIfEEZZNS1_9scan_implILNS1_25lookback_scan_determinismE0ELb0ELb0ES3_PKfPffZZZN2at6native31launch_logcumsumexp_cuda_kernelERKNSB_10TensorBaseESF_lENKUlvE_clEvENKUlvE0_clEvEUlffE_fEEDaPvRmT3_T4_T5_mT6_P12ihipStream_tbENKUlT_T0_E_clISt17integral_constantIbLb1EESV_IbLb0EEEEDaSR_SS_EUlSR_E_NS1_11comp_targetILNS1_3genE3ELNS1_11target_archE908ELNS1_3gpuE7ELNS1_3repE0EEENS1_30default_config_static_selectorELNS0_4arch9wavefront6targetE0EEEvT1_.has_indirect_call, 0
	.section	.AMDGPU.csdata,"",@progbits
; Kernel info:
; codeLenInByte = 0
; TotalNumSgprs: 0
; NumVgprs: 0
; ScratchSize: 0
; MemoryBound: 0
; FloatMode: 240
; IeeeMode: 1
; LDSByteSize: 0 bytes/workgroup (compile time only)
; SGPRBlocks: 0
; VGPRBlocks: 0
; NumSGPRsForWavesPerEU: 1
; NumVGPRsForWavesPerEU: 1
; Occupancy: 16
; WaveLimiterHint : 0
; COMPUTE_PGM_RSRC2:SCRATCH_EN: 0
; COMPUTE_PGM_RSRC2:USER_SGPR: 6
; COMPUTE_PGM_RSRC2:TRAP_HANDLER: 0
; COMPUTE_PGM_RSRC2:TGID_X_EN: 1
; COMPUTE_PGM_RSRC2:TGID_Y_EN: 0
; COMPUTE_PGM_RSRC2:TGID_Z_EN: 0
; COMPUTE_PGM_RSRC2:TIDIG_COMP_CNT: 0
	.section	.text._ZN7rocprim17ROCPRIM_400000_NS6detail17trampoline_kernelINS0_14default_configENS1_20scan_config_selectorIfEEZZNS1_9scan_implILNS1_25lookback_scan_determinismE0ELb0ELb0ES3_PKfPffZZZN2at6native31launch_logcumsumexp_cuda_kernelERKNSB_10TensorBaseESF_lENKUlvE_clEvENKUlvE0_clEvEUlffE_fEEDaPvRmT3_T4_T5_mT6_P12ihipStream_tbENKUlT_T0_E_clISt17integral_constantIbLb1EESV_IbLb0EEEEDaSR_SS_EUlSR_E_NS1_11comp_targetILNS1_3genE2ELNS1_11target_archE906ELNS1_3gpuE6ELNS1_3repE0EEENS1_30default_config_static_selectorELNS0_4arch9wavefront6targetE0EEEvT1_,"axG",@progbits,_ZN7rocprim17ROCPRIM_400000_NS6detail17trampoline_kernelINS0_14default_configENS1_20scan_config_selectorIfEEZZNS1_9scan_implILNS1_25lookback_scan_determinismE0ELb0ELb0ES3_PKfPffZZZN2at6native31launch_logcumsumexp_cuda_kernelERKNSB_10TensorBaseESF_lENKUlvE_clEvENKUlvE0_clEvEUlffE_fEEDaPvRmT3_T4_T5_mT6_P12ihipStream_tbENKUlT_T0_E_clISt17integral_constantIbLb1EESV_IbLb0EEEEDaSR_SS_EUlSR_E_NS1_11comp_targetILNS1_3genE2ELNS1_11target_archE906ELNS1_3gpuE6ELNS1_3repE0EEENS1_30default_config_static_selectorELNS0_4arch9wavefront6targetE0EEEvT1_,comdat
	.globl	_ZN7rocprim17ROCPRIM_400000_NS6detail17trampoline_kernelINS0_14default_configENS1_20scan_config_selectorIfEEZZNS1_9scan_implILNS1_25lookback_scan_determinismE0ELb0ELb0ES3_PKfPffZZZN2at6native31launch_logcumsumexp_cuda_kernelERKNSB_10TensorBaseESF_lENKUlvE_clEvENKUlvE0_clEvEUlffE_fEEDaPvRmT3_T4_T5_mT6_P12ihipStream_tbENKUlT_T0_E_clISt17integral_constantIbLb1EESV_IbLb0EEEEDaSR_SS_EUlSR_E_NS1_11comp_targetILNS1_3genE2ELNS1_11target_archE906ELNS1_3gpuE6ELNS1_3repE0EEENS1_30default_config_static_selectorELNS0_4arch9wavefront6targetE0EEEvT1_ ; -- Begin function _ZN7rocprim17ROCPRIM_400000_NS6detail17trampoline_kernelINS0_14default_configENS1_20scan_config_selectorIfEEZZNS1_9scan_implILNS1_25lookback_scan_determinismE0ELb0ELb0ES3_PKfPffZZZN2at6native31launch_logcumsumexp_cuda_kernelERKNSB_10TensorBaseESF_lENKUlvE_clEvENKUlvE0_clEvEUlffE_fEEDaPvRmT3_T4_T5_mT6_P12ihipStream_tbENKUlT_T0_E_clISt17integral_constantIbLb1EESV_IbLb0EEEEDaSR_SS_EUlSR_E_NS1_11comp_targetILNS1_3genE2ELNS1_11target_archE906ELNS1_3gpuE6ELNS1_3repE0EEENS1_30default_config_static_selectorELNS0_4arch9wavefront6targetE0EEEvT1_
	.p2align	8
	.type	_ZN7rocprim17ROCPRIM_400000_NS6detail17trampoline_kernelINS0_14default_configENS1_20scan_config_selectorIfEEZZNS1_9scan_implILNS1_25lookback_scan_determinismE0ELb0ELb0ES3_PKfPffZZZN2at6native31launch_logcumsumexp_cuda_kernelERKNSB_10TensorBaseESF_lENKUlvE_clEvENKUlvE0_clEvEUlffE_fEEDaPvRmT3_T4_T5_mT6_P12ihipStream_tbENKUlT_T0_E_clISt17integral_constantIbLb1EESV_IbLb0EEEEDaSR_SS_EUlSR_E_NS1_11comp_targetILNS1_3genE2ELNS1_11target_archE906ELNS1_3gpuE6ELNS1_3repE0EEENS1_30default_config_static_selectorELNS0_4arch9wavefront6targetE0EEEvT1_,@function
_ZN7rocprim17ROCPRIM_400000_NS6detail17trampoline_kernelINS0_14default_configENS1_20scan_config_selectorIfEEZZNS1_9scan_implILNS1_25lookback_scan_determinismE0ELb0ELb0ES3_PKfPffZZZN2at6native31launch_logcumsumexp_cuda_kernelERKNSB_10TensorBaseESF_lENKUlvE_clEvENKUlvE0_clEvEUlffE_fEEDaPvRmT3_T4_T5_mT6_P12ihipStream_tbENKUlT_T0_E_clISt17integral_constantIbLb1EESV_IbLb0EEEEDaSR_SS_EUlSR_E_NS1_11comp_targetILNS1_3genE2ELNS1_11target_archE906ELNS1_3gpuE6ELNS1_3repE0EEENS1_30default_config_static_selectorELNS0_4arch9wavefront6targetE0EEEvT1_: ; @_ZN7rocprim17ROCPRIM_400000_NS6detail17trampoline_kernelINS0_14default_configENS1_20scan_config_selectorIfEEZZNS1_9scan_implILNS1_25lookback_scan_determinismE0ELb0ELb0ES3_PKfPffZZZN2at6native31launch_logcumsumexp_cuda_kernelERKNSB_10TensorBaseESF_lENKUlvE_clEvENKUlvE0_clEvEUlffE_fEEDaPvRmT3_T4_T5_mT6_P12ihipStream_tbENKUlT_T0_E_clISt17integral_constantIbLb1EESV_IbLb0EEEEDaSR_SS_EUlSR_E_NS1_11comp_targetILNS1_3genE2ELNS1_11target_archE906ELNS1_3gpuE6ELNS1_3repE0EEENS1_30default_config_static_selectorELNS0_4arch9wavefront6targetE0EEEvT1_
; %bb.0:
	.section	.rodata,"a",@progbits
	.p2align	6, 0x0
	.amdhsa_kernel _ZN7rocprim17ROCPRIM_400000_NS6detail17trampoline_kernelINS0_14default_configENS1_20scan_config_selectorIfEEZZNS1_9scan_implILNS1_25lookback_scan_determinismE0ELb0ELb0ES3_PKfPffZZZN2at6native31launch_logcumsumexp_cuda_kernelERKNSB_10TensorBaseESF_lENKUlvE_clEvENKUlvE0_clEvEUlffE_fEEDaPvRmT3_T4_T5_mT6_P12ihipStream_tbENKUlT_T0_E_clISt17integral_constantIbLb1EESV_IbLb0EEEEDaSR_SS_EUlSR_E_NS1_11comp_targetILNS1_3genE2ELNS1_11target_archE906ELNS1_3gpuE6ELNS1_3repE0EEENS1_30default_config_static_selectorELNS0_4arch9wavefront6targetE0EEEvT1_
		.amdhsa_group_segment_fixed_size 0
		.amdhsa_private_segment_fixed_size 0
		.amdhsa_kernarg_size 96
		.amdhsa_user_sgpr_count 6
		.amdhsa_user_sgpr_private_segment_buffer 1
		.amdhsa_user_sgpr_dispatch_ptr 0
		.amdhsa_user_sgpr_queue_ptr 0
		.amdhsa_user_sgpr_kernarg_segment_ptr 1
		.amdhsa_user_sgpr_dispatch_id 0
		.amdhsa_user_sgpr_flat_scratch_init 0
		.amdhsa_user_sgpr_private_segment_size 0
		.amdhsa_wavefront_size32 1
		.amdhsa_uses_dynamic_stack 0
		.amdhsa_system_sgpr_private_segment_wavefront_offset 0
		.amdhsa_system_sgpr_workgroup_id_x 1
		.amdhsa_system_sgpr_workgroup_id_y 0
		.amdhsa_system_sgpr_workgroup_id_z 0
		.amdhsa_system_sgpr_workgroup_info 0
		.amdhsa_system_vgpr_workitem_id 0
		.amdhsa_next_free_vgpr 1
		.amdhsa_next_free_sgpr 1
		.amdhsa_reserve_vcc 0
		.amdhsa_reserve_flat_scratch 0
		.amdhsa_float_round_mode_32 0
		.amdhsa_float_round_mode_16_64 0
		.amdhsa_float_denorm_mode_32 3
		.amdhsa_float_denorm_mode_16_64 3
		.amdhsa_dx10_clamp 1
		.amdhsa_ieee_mode 1
		.amdhsa_fp16_overflow 0
		.amdhsa_workgroup_processor_mode 1
		.amdhsa_memory_ordered 1
		.amdhsa_forward_progress 1
		.amdhsa_shared_vgpr_count 0
		.amdhsa_exception_fp_ieee_invalid_op 0
		.amdhsa_exception_fp_denorm_src 0
		.amdhsa_exception_fp_ieee_div_zero 0
		.amdhsa_exception_fp_ieee_overflow 0
		.amdhsa_exception_fp_ieee_underflow 0
		.amdhsa_exception_fp_ieee_inexact 0
		.amdhsa_exception_int_div_zero 0
	.end_amdhsa_kernel
	.section	.text._ZN7rocprim17ROCPRIM_400000_NS6detail17trampoline_kernelINS0_14default_configENS1_20scan_config_selectorIfEEZZNS1_9scan_implILNS1_25lookback_scan_determinismE0ELb0ELb0ES3_PKfPffZZZN2at6native31launch_logcumsumexp_cuda_kernelERKNSB_10TensorBaseESF_lENKUlvE_clEvENKUlvE0_clEvEUlffE_fEEDaPvRmT3_T4_T5_mT6_P12ihipStream_tbENKUlT_T0_E_clISt17integral_constantIbLb1EESV_IbLb0EEEEDaSR_SS_EUlSR_E_NS1_11comp_targetILNS1_3genE2ELNS1_11target_archE906ELNS1_3gpuE6ELNS1_3repE0EEENS1_30default_config_static_selectorELNS0_4arch9wavefront6targetE0EEEvT1_,"axG",@progbits,_ZN7rocprim17ROCPRIM_400000_NS6detail17trampoline_kernelINS0_14default_configENS1_20scan_config_selectorIfEEZZNS1_9scan_implILNS1_25lookback_scan_determinismE0ELb0ELb0ES3_PKfPffZZZN2at6native31launch_logcumsumexp_cuda_kernelERKNSB_10TensorBaseESF_lENKUlvE_clEvENKUlvE0_clEvEUlffE_fEEDaPvRmT3_T4_T5_mT6_P12ihipStream_tbENKUlT_T0_E_clISt17integral_constantIbLb1EESV_IbLb0EEEEDaSR_SS_EUlSR_E_NS1_11comp_targetILNS1_3genE2ELNS1_11target_archE906ELNS1_3gpuE6ELNS1_3repE0EEENS1_30default_config_static_selectorELNS0_4arch9wavefront6targetE0EEEvT1_,comdat
.Lfunc_end138:
	.size	_ZN7rocprim17ROCPRIM_400000_NS6detail17trampoline_kernelINS0_14default_configENS1_20scan_config_selectorIfEEZZNS1_9scan_implILNS1_25lookback_scan_determinismE0ELb0ELb0ES3_PKfPffZZZN2at6native31launch_logcumsumexp_cuda_kernelERKNSB_10TensorBaseESF_lENKUlvE_clEvENKUlvE0_clEvEUlffE_fEEDaPvRmT3_T4_T5_mT6_P12ihipStream_tbENKUlT_T0_E_clISt17integral_constantIbLb1EESV_IbLb0EEEEDaSR_SS_EUlSR_E_NS1_11comp_targetILNS1_3genE2ELNS1_11target_archE906ELNS1_3gpuE6ELNS1_3repE0EEENS1_30default_config_static_selectorELNS0_4arch9wavefront6targetE0EEEvT1_, .Lfunc_end138-_ZN7rocprim17ROCPRIM_400000_NS6detail17trampoline_kernelINS0_14default_configENS1_20scan_config_selectorIfEEZZNS1_9scan_implILNS1_25lookback_scan_determinismE0ELb0ELb0ES3_PKfPffZZZN2at6native31launch_logcumsumexp_cuda_kernelERKNSB_10TensorBaseESF_lENKUlvE_clEvENKUlvE0_clEvEUlffE_fEEDaPvRmT3_T4_T5_mT6_P12ihipStream_tbENKUlT_T0_E_clISt17integral_constantIbLb1EESV_IbLb0EEEEDaSR_SS_EUlSR_E_NS1_11comp_targetILNS1_3genE2ELNS1_11target_archE906ELNS1_3gpuE6ELNS1_3repE0EEENS1_30default_config_static_selectorELNS0_4arch9wavefront6targetE0EEEvT1_
                                        ; -- End function
	.set _ZN7rocprim17ROCPRIM_400000_NS6detail17trampoline_kernelINS0_14default_configENS1_20scan_config_selectorIfEEZZNS1_9scan_implILNS1_25lookback_scan_determinismE0ELb0ELb0ES3_PKfPffZZZN2at6native31launch_logcumsumexp_cuda_kernelERKNSB_10TensorBaseESF_lENKUlvE_clEvENKUlvE0_clEvEUlffE_fEEDaPvRmT3_T4_T5_mT6_P12ihipStream_tbENKUlT_T0_E_clISt17integral_constantIbLb1EESV_IbLb0EEEEDaSR_SS_EUlSR_E_NS1_11comp_targetILNS1_3genE2ELNS1_11target_archE906ELNS1_3gpuE6ELNS1_3repE0EEENS1_30default_config_static_selectorELNS0_4arch9wavefront6targetE0EEEvT1_.num_vgpr, 0
	.set _ZN7rocprim17ROCPRIM_400000_NS6detail17trampoline_kernelINS0_14default_configENS1_20scan_config_selectorIfEEZZNS1_9scan_implILNS1_25lookback_scan_determinismE0ELb0ELb0ES3_PKfPffZZZN2at6native31launch_logcumsumexp_cuda_kernelERKNSB_10TensorBaseESF_lENKUlvE_clEvENKUlvE0_clEvEUlffE_fEEDaPvRmT3_T4_T5_mT6_P12ihipStream_tbENKUlT_T0_E_clISt17integral_constantIbLb1EESV_IbLb0EEEEDaSR_SS_EUlSR_E_NS1_11comp_targetILNS1_3genE2ELNS1_11target_archE906ELNS1_3gpuE6ELNS1_3repE0EEENS1_30default_config_static_selectorELNS0_4arch9wavefront6targetE0EEEvT1_.num_agpr, 0
	.set _ZN7rocprim17ROCPRIM_400000_NS6detail17trampoline_kernelINS0_14default_configENS1_20scan_config_selectorIfEEZZNS1_9scan_implILNS1_25lookback_scan_determinismE0ELb0ELb0ES3_PKfPffZZZN2at6native31launch_logcumsumexp_cuda_kernelERKNSB_10TensorBaseESF_lENKUlvE_clEvENKUlvE0_clEvEUlffE_fEEDaPvRmT3_T4_T5_mT6_P12ihipStream_tbENKUlT_T0_E_clISt17integral_constantIbLb1EESV_IbLb0EEEEDaSR_SS_EUlSR_E_NS1_11comp_targetILNS1_3genE2ELNS1_11target_archE906ELNS1_3gpuE6ELNS1_3repE0EEENS1_30default_config_static_selectorELNS0_4arch9wavefront6targetE0EEEvT1_.numbered_sgpr, 0
	.set _ZN7rocprim17ROCPRIM_400000_NS6detail17trampoline_kernelINS0_14default_configENS1_20scan_config_selectorIfEEZZNS1_9scan_implILNS1_25lookback_scan_determinismE0ELb0ELb0ES3_PKfPffZZZN2at6native31launch_logcumsumexp_cuda_kernelERKNSB_10TensorBaseESF_lENKUlvE_clEvENKUlvE0_clEvEUlffE_fEEDaPvRmT3_T4_T5_mT6_P12ihipStream_tbENKUlT_T0_E_clISt17integral_constantIbLb1EESV_IbLb0EEEEDaSR_SS_EUlSR_E_NS1_11comp_targetILNS1_3genE2ELNS1_11target_archE906ELNS1_3gpuE6ELNS1_3repE0EEENS1_30default_config_static_selectorELNS0_4arch9wavefront6targetE0EEEvT1_.num_named_barrier, 0
	.set _ZN7rocprim17ROCPRIM_400000_NS6detail17trampoline_kernelINS0_14default_configENS1_20scan_config_selectorIfEEZZNS1_9scan_implILNS1_25lookback_scan_determinismE0ELb0ELb0ES3_PKfPffZZZN2at6native31launch_logcumsumexp_cuda_kernelERKNSB_10TensorBaseESF_lENKUlvE_clEvENKUlvE0_clEvEUlffE_fEEDaPvRmT3_T4_T5_mT6_P12ihipStream_tbENKUlT_T0_E_clISt17integral_constantIbLb1EESV_IbLb0EEEEDaSR_SS_EUlSR_E_NS1_11comp_targetILNS1_3genE2ELNS1_11target_archE906ELNS1_3gpuE6ELNS1_3repE0EEENS1_30default_config_static_selectorELNS0_4arch9wavefront6targetE0EEEvT1_.private_seg_size, 0
	.set _ZN7rocprim17ROCPRIM_400000_NS6detail17trampoline_kernelINS0_14default_configENS1_20scan_config_selectorIfEEZZNS1_9scan_implILNS1_25lookback_scan_determinismE0ELb0ELb0ES3_PKfPffZZZN2at6native31launch_logcumsumexp_cuda_kernelERKNSB_10TensorBaseESF_lENKUlvE_clEvENKUlvE0_clEvEUlffE_fEEDaPvRmT3_T4_T5_mT6_P12ihipStream_tbENKUlT_T0_E_clISt17integral_constantIbLb1EESV_IbLb0EEEEDaSR_SS_EUlSR_E_NS1_11comp_targetILNS1_3genE2ELNS1_11target_archE906ELNS1_3gpuE6ELNS1_3repE0EEENS1_30default_config_static_selectorELNS0_4arch9wavefront6targetE0EEEvT1_.uses_vcc, 0
	.set _ZN7rocprim17ROCPRIM_400000_NS6detail17trampoline_kernelINS0_14default_configENS1_20scan_config_selectorIfEEZZNS1_9scan_implILNS1_25lookback_scan_determinismE0ELb0ELb0ES3_PKfPffZZZN2at6native31launch_logcumsumexp_cuda_kernelERKNSB_10TensorBaseESF_lENKUlvE_clEvENKUlvE0_clEvEUlffE_fEEDaPvRmT3_T4_T5_mT6_P12ihipStream_tbENKUlT_T0_E_clISt17integral_constantIbLb1EESV_IbLb0EEEEDaSR_SS_EUlSR_E_NS1_11comp_targetILNS1_3genE2ELNS1_11target_archE906ELNS1_3gpuE6ELNS1_3repE0EEENS1_30default_config_static_selectorELNS0_4arch9wavefront6targetE0EEEvT1_.uses_flat_scratch, 0
	.set _ZN7rocprim17ROCPRIM_400000_NS6detail17trampoline_kernelINS0_14default_configENS1_20scan_config_selectorIfEEZZNS1_9scan_implILNS1_25lookback_scan_determinismE0ELb0ELb0ES3_PKfPffZZZN2at6native31launch_logcumsumexp_cuda_kernelERKNSB_10TensorBaseESF_lENKUlvE_clEvENKUlvE0_clEvEUlffE_fEEDaPvRmT3_T4_T5_mT6_P12ihipStream_tbENKUlT_T0_E_clISt17integral_constantIbLb1EESV_IbLb0EEEEDaSR_SS_EUlSR_E_NS1_11comp_targetILNS1_3genE2ELNS1_11target_archE906ELNS1_3gpuE6ELNS1_3repE0EEENS1_30default_config_static_selectorELNS0_4arch9wavefront6targetE0EEEvT1_.has_dyn_sized_stack, 0
	.set _ZN7rocprim17ROCPRIM_400000_NS6detail17trampoline_kernelINS0_14default_configENS1_20scan_config_selectorIfEEZZNS1_9scan_implILNS1_25lookback_scan_determinismE0ELb0ELb0ES3_PKfPffZZZN2at6native31launch_logcumsumexp_cuda_kernelERKNSB_10TensorBaseESF_lENKUlvE_clEvENKUlvE0_clEvEUlffE_fEEDaPvRmT3_T4_T5_mT6_P12ihipStream_tbENKUlT_T0_E_clISt17integral_constantIbLb1EESV_IbLb0EEEEDaSR_SS_EUlSR_E_NS1_11comp_targetILNS1_3genE2ELNS1_11target_archE906ELNS1_3gpuE6ELNS1_3repE0EEENS1_30default_config_static_selectorELNS0_4arch9wavefront6targetE0EEEvT1_.has_recursion, 0
	.set _ZN7rocprim17ROCPRIM_400000_NS6detail17trampoline_kernelINS0_14default_configENS1_20scan_config_selectorIfEEZZNS1_9scan_implILNS1_25lookback_scan_determinismE0ELb0ELb0ES3_PKfPffZZZN2at6native31launch_logcumsumexp_cuda_kernelERKNSB_10TensorBaseESF_lENKUlvE_clEvENKUlvE0_clEvEUlffE_fEEDaPvRmT3_T4_T5_mT6_P12ihipStream_tbENKUlT_T0_E_clISt17integral_constantIbLb1EESV_IbLb0EEEEDaSR_SS_EUlSR_E_NS1_11comp_targetILNS1_3genE2ELNS1_11target_archE906ELNS1_3gpuE6ELNS1_3repE0EEENS1_30default_config_static_selectorELNS0_4arch9wavefront6targetE0EEEvT1_.has_indirect_call, 0
	.section	.AMDGPU.csdata,"",@progbits
; Kernel info:
; codeLenInByte = 0
; TotalNumSgprs: 0
; NumVgprs: 0
; ScratchSize: 0
; MemoryBound: 0
; FloatMode: 240
; IeeeMode: 1
; LDSByteSize: 0 bytes/workgroup (compile time only)
; SGPRBlocks: 0
; VGPRBlocks: 0
; NumSGPRsForWavesPerEU: 1
; NumVGPRsForWavesPerEU: 1
; Occupancy: 16
; WaveLimiterHint : 0
; COMPUTE_PGM_RSRC2:SCRATCH_EN: 0
; COMPUTE_PGM_RSRC2:USER_SGPR: 6
; COMPUTE_PGM_RSRC2:TRAP_HANDLER: 0
; COMPUTE_PGM_RSRC2:TGID_X_EN: 1
; COMPUTE_PGM_RSRC2:TGID_Y_EN: 0
; COMPUTE_PGM_RSRC2:TGID_Z_EN: 0
; COMPUTE_PGM_RSRC2:TIDIG_COMP_CNT: 0
	.section	.text._ZN7rocprim17ROCPRIM_400000_NS6detail17trampoline_kernelINS0_14default_configENS1_20scan_config_selectorIfEEZZNS1_9scan_implILNS1_25lookback_scan_determinismE0ELb0ELb0ES3_PKfPffZZZN2at6native31launch_logcumsumexp_cuda_kernelERKNSB_10TensorBaseESF_lENKUlvE_clEvENKUlvE0_clEvEUlffE_fEEDaPvRmT3_T4_T5_mT6_P12ihipStream_tbENKUlT_T0_E_clISt17integral_constantIbLb1EESV_IbLb0EEEEDaSR_SS_EUlSR_E_NS1_11comp_targetILNS1_3genE10ELNS1_11target_archE1201ELNS1_3gpuE5ELNS1_3repE0EEENS1_30default_config_static_selectorELNS0_4arch9wavefront6targetE0EEEvT1_,"axG",@progbits,_ZN7rocprim17ROCPRIM_400000_NS6detail17trampoline_kernelINS0_14default_configENS1_20scan_config_selectorIfEEZZNS1_9scan_implILNS1_25lookback_scan_determinismE0ELb0ELb0ES3_PKfPffZZZN2at6native31launch_logcumsumexp_cuda_kernelERKNSB_10TensorBaseESF_lENKUlvE_clEvENKUlvE0_clEvEUlffE_fEEDaPvRmT3_T4_T5_mT6_P12ihipStream_tbENKUlT_T0_E_clISt17integral_constantIbLb1EESV_IbLb0EEEEDaSR_SS_EUlSR_E_NS1_11comp_targetILNS1_3genE10ELNS1_11target_archE1201ELNS1_3gpuE5ELNS1_3repE0EEENS1_30default_config_static_selectorELNS0_4arch9wavefront6targetE0EEEvT1_,comdat
	.globl	_ZN7rocprim17ROCPRIM_400000_NS6detail17trampoline_kernelINS0_14default_configENS1_20scan_config_selectorIfEEZZNS1_9scan_implILNS1_25lookback_scan_determinismE0ELb0ELb0ES3_PKfPffZZZN2at6native31launch_logcumsumexp_cuda_kernelERKNSB_10TensorBaseESF_lENKUlvE_clEvENKUlvE0_clEvEUlffE_fEEDaPvRmT3_T4_T5_mT6_P12ihipStream_tbENKUlT_T0_E_clISt17integral_constantIbLb1EESV_IbLb0EEEEDaSR_SS_EUlSR_E_NS1_11comp_targetILNS1_3genE10ELNS1_11target_archE1201ELNS1_3gpuE5ELNS1_3repE0EEENS1_30default_config_static_selectorELNS0_4arch9wavefront6targetE0EEEvT1_ ; -- Begin function _ZN7rocprim17ROCPRIM_400000_NS6detail17trampoline_kernelINS0_14default_configENS1_20scan_config_selectorIfEEZZNS1_9scan_implILNS1_25lookback_scan_determinismE0ELb0ELb0ES3_PKfPffZZZN2at6native31launch_logcumsumexp_cuda_kernelERKNSB_10TensorBaseESF_lENKUlvE_clEvENKUlvE0_clEvEUlffE_fEEDaPvRmT3_T4_T5_mT6_P12ihipStream_tbENKUlT_T0_E_clISt17integral_constantIbLb1EESV_IbLb0EEEEDaSR_SS_EUlSR_E_NS1_11comp_targetILNS1_3genE10ELNS1_11target_archE1201ELNS1_3gpuE5ELNS1_3repE0EEENS1_30default_config_static_selectorELNS0_4arch9wavefront6targetE0EEEvT1_
	.p2align	8
	.type	_ZN7rocprim17ROCPRIM_400000_NS6detail17trampoline_kernelINS0_14default_configENS1_20scan_config_selectorIfEEZZNS1_9scan_implILNS1_25lookback_scan_determinismE0ELb0ELb0ES3_PKfPffZZZN2at6native31launch_logcumsumexp_cuda_kernelERKNSB_10TensorBaseESF_lENKUlvE_clEvENKUlvE0_clEvEUlffE_fEEDaPvRmT3_T4_T5_mT6_P12ihipStream_tbENKUlT_T0_E_clISt17integral_constantIbLb1EESV_IbLb0EEEEDaSR_SS_EUlSR_E_NS1_11comp_targetILNS1_3genE10ELNS1_11target_archE1201ELNS1_3gpuE5ELNS1_3repE0EEENS1_30default_config_static_selectorELNS0_4arch9wavefront6targetE0EEEvT1_,@function
_ZN7rocprim17ROCPRIM_400000_NS6detail17trampoline_kernelINS0_14default_configENS1_20scan_config_selectorIfEEZZNS1_9scan_implILNS1_25lookback_scan_determinismE0ELb0ELb0ES3_PKfPffZZZN2at6native31launch_logcumsumexp_cuda_kernelERKNSB_10TensorBaseESF_lENKUlvE_clEvENKUlvE0_clEvEUlffE_fEEDaPvRmT3_T4_T5_mT6_P12ihipStream_tbENKUlT_T0_E_clISt17integral_constantIbLb1EESV_IbLb0EEEEDaSR_SS_EUlSR_E_NS1_11comp_targetILNS1_3genE10ELNS1_11target_archE1201ELNS1_3gpuE5ELNS1_3repE0EEENS1_30default_config_static_selectorELNS0_4arch9wavefront6targetE0EEEvT1_: ; @_ZN7rocprim17ROCPRIM_400000_NS6detail17trampoline_kernelINS0_14default_configENS1_20scan_config_selectorIfEEZZNS1_9scan_implILNS1_25lookback_scan_determinismE0ELb0ELb0ES3_PKfPffZZZN2at6native31launch_logcumsumexp_cuda_kernelERKNSB_10TensorBaseESF_lENKUlvE_clEvENKUlvE0_clEvEUlffE_fEEDaPvRmT3_T4_T5_mT6_P12ihipStream_tbENKUlT_T0_E_clISt17integral_constantIbLb1EESV_IbLb0EEEEDaSR_SS_EUlSR_E_NS1_11comp_targetILNS1_3genE10ELNS1_11target_archE1201ELNS1_3gpuE5ELNS1_3repE0EEENS1_30default_config_static_selectorELNS0_4arch9wavefront6targetE0EEEvT1_
; %bb.0:
	.section	.rodata,"a",@progbits
	.p2align	6, 0x0
	.amdhsa_kernel _ZN7rocprim17ROCPRIM_400000_NS6detail17trampoline_kernelINS0_14default_configENS1_20scan_config_selectorIfEEZZNS1_9scan_implILNS1_25lookback_scan_determinismE0ELb0ELb0ES3_PKfPffZZZN2at6native31launch_logcumsumexp_cuda_kernelERKNSB_10TensorBaseESF_lENKUlvE_clEvENKUlvE0_clEvEUlffE_fEEDaPvRmT3_T4_T5_mT6_P12ihipStream_tbENKUlT_T0_E_clISt17integral_constantIbLb1EESV_IbLb0EEEEDaSR_SS_EUlSR_E_NS1_11comp_targetILNS1_3genE10ELNS1_11target_archE1201ELNS1_3gpuE5ELNS1_3repE0EEENS1_30default_config_static_selectorELNS0_4arch9wavefront6targetE0EEEvT1_
		.amdhsa_group_segment_fixed_size 0
		.amdhsa_private_segment_fixed_size 0
		.amdhsa_kernarg_size 96
		.amdhsa_user_sgpr_count 6
		.amdhsa_user_sgpr_private_segment_buffer 1
		.amdhsa_user_sgpr_dispatch_ptr 0
		.amdhsa_user_sgpr_queue_ptr 0
		.amdhsa_user_sgpr_kernarg_segment_ptr 1
		.amdhsa_user_sgpr_dispatch_id 0
		.amdhsa_user_sgpr_flat_scratch_init 0
		.amdhsa_user_sgpr_private_segment_size 0
		.amdhsa_wavefront_size32 1
		.amdhsa_uses_dynamic_stack 0
		.amdhsa_system_sgpr_private_segment_wavefront_offset 0
		.amdhsa_system_sgpr_workgroup_id_x 1
		.amdhsa_system_sgpr_workgroup_id_y 0
		.amdhsa_system_sgpr_workgroup_id_z 0
		.amdhsa_system_sgpr_workgroup_info 0
		.amdhsa_system_vgpr_workitem_id 0
		.amdhsa_next_free_vgpr 1
		.amdhsa_next_free_sgpr 1
		.amdhsa_reserve_vcc 0
		.amdhsa_reserve_flat_scratch 0
		.amdhsa_float_round_mode_32 0
		.amdhsa_float_round_mode_16_64 0
		.amdhsa_float_denorm_mode_32 3
		.amdhsa_float_denorm_mode_16_64 3
		.amdhsa_dx10_clamp 1
		.amdhsa_ieee_mode 1
		.amdhsa_fp16_overflow 0
		.amdhsa_workgroup_processor_mode 1
		.amdhsa_memory_ordered 1
		.amdhsa_forward_progress 1
		.amdhsa_shared_vgpr_count 0
		.amdhsa_exception_fp_ieee_invalid_op 0
		.amdhsa_exception_fp_denorm_src 0
		.amdhsa_exception_fp_ieee_div_zero 0
		.amdhsa_exception_fp_ieee_overflow 0
		.amdhsa_exception_fp_ieee_underflow 0
		.amdhsa_exception_fp_ieee_inexact 0
		.amdhsa_exception_int_div_zero 0
	.end_amdhsa_kernel
	.section	.text._ZN7rocprim17ROCPRIM_400000_NS6detail17trampoline_kernelINS0_14default_configENS1_20scan_config_selectorIfEEZZNS1_9scan_implILNS1_25lookback_scan_determinismE0ELb0ELb0ES3_PKfPffZZZN2at6native31launch_logcumsumexp_cuda_kernelERKNSB_10TensorBaseESF_lENKUlvE_clEvENKUlvE0_clEvEUlffE_fEEDaPvRmT3_T4_T5_mT6_P12ihipStream_tbENKUlT_T0_E_clISt17integral_constantIbLb1EESV_IbLb0EEEEDaSR_SS_EUlSR_E_NS1_11comp_targetILNS1_3genE10ELNS1_11target_archE1201ELNS1_3gpuE5ELNS1_3repE0EEENS1_30default_config_static_selectorELNS0_4arch9wavefront6targetE0EEEvT1_,"axG",@progbits,_ZN7rocprim17ROCPRIM_400000_NS6detail17trampoline_kernelINS0_14default_configENS1_20scan_config_selectorIfEEZZNS1_9scan_implILNS1_25lookback_scan_determinismE0ELb0ELb0ES3_PKfPffZZZN2at6native31launch_logcumsumexp_cuda_kernelERKNSB_10TensorBaseESF_lENKUlvE_clEvENKUlvE0_clEvEUlffE_fEEDaPvRmT3_T4_T5_mT6_P12ihipStream_tbENKUlT_T0_E_clISt17integral_constantIbLb1EESV_IbLb0EEEEDaSR_SS_EUlSR_E_NS1_11comp_targetILNS1_3genE10ELNS1_11target_archE1201ELNS1_3gpuE5ELNS1_3repE0EEENS1_30default_config_static_selectorELNS0_4arch9wavefront6targetE0EEEvT1_,comdat
.Lfunc_end139:
	.size	_ZN7rocprim17ROCPRIM_400000_NS6detail17trampoline_kernelINS0_14default_configENS1_20scan_config_selectorIfEEZZNS1_9scan_implILNS1_25lookback_scan_determinismE0ELb0ELb0ES3_PKfPffZZZN2at6native31launch_logcumsumexp_cuda_kernelERKNSB_10TensorBaseESF_lENKUlvE_clEvENKUlvE0_clEvEUlffE_fEEDaPvRmT3_T4_T5_mT6_P12ihipStream_tbENKUlT_T0_E_clISt17integral_constantIbLb1EESV_IbLb0EEEEDaSR_SS_EUlSR_E_NS1_11comp_targetILNS1_3genE10ELNS1_11target_archE1201ELNS1_3gpuE5ELNS1_3repE0EEENS1_30default_config_static_selectorELNS0_4arch9wavefront6targetE0EEEvT1_, .Lfunc_end139-_ZN7rocprim17ROCPRIM_400000_NS6detail17trampoline_kernelINS0_14default_configENS1_20scan_config_selectorIfEEZZNS1_9scan_implILNS1_25lookback_scan_determinismE0ELb0ELb0ES3_PKfPffZZZN2at6native31launch_logcumsumexp_cuda_kernelERKNSB_10TensorBaseESF_lENKUlvE_clEvENKUlvE0_clEvEUlffE_fEEDaPvRmT3_T4_T5_mT6_P12ihipStream_tbENKUlT_T0_E_clISt17integral_constantIbLb1EESV_IbLb0EEEEDaSR_SS_EUlSR_E_NS1_11comp_targetILNS1_3genE10ELNS1_11target_archE1201ELNS1_3gpuE5ELNS1_3repE0EEENS1_30default_config_static_selectorELNS0_4arch9wavefront6targetE0EEEvT1_
                                        ; -- End function
	.set _ZN7rocprim17ROCPRIM_400000_NS6detail17trampoline_kernelINS0_14default_configENS1_20scan_config_selectorIfEEZZNS1_9scan_implILNS1_25lookback_scan_determinismE0ELb0ELb0ES3_PKfPffZZZN2at6native31launch_logcumsumexp_cuda_kernelERKNSB_10TensorBaseESF_lENKUlvE_clEvENKUlvE0_clEvEUlffE_fEEDaPvRmT3_T4_T5_mT6_P12ihipStream_tbENKUlT_T0_E_clISt17integral_constantIbLb1EESV_IbLb0EEEEDaSR_SS_EUlSR_E_NS1_11comp_targetILNS1_3genE10ELNS1_11target_archE1201ELNS1_3gpuE5ELNS1_3repE0EEENS1_30default_config_static_selectorELNS0_4arch9wavefront6targetE0EEEvT1_.num_vgpr, 0
	.set _ZN7rocprim17ROCPRIM_400000_NS6detail17trampoline_kernelINS0_14default_configENS1_20scan_config_selectorIfEEZZNS1_9scan_implILNS1_25lookback_scan_determinismE0ELb0ELb0ES3_PKfPffZZZN2at6native31launch_logcumsumexp_cuda_kernelERKNSB_10TensorBaseESF_lENKUlvE_clEvENKUlvE0_clEvEUlffE_fEEDaPvRmT3_T4_T5_mT6_P12ihipStream_tbENKUlT_T0_E_clISt17integral_constantIbLb1EESV_IbLb0EEEEDaSR_SS_EUlSR_E_NS1_11comp_targetILNS1_3genE10ELNS1_11target_archE1201ELNS1_3gpuE5ELNS1_3repE0EEENS1_30default_config_static_selectorELNS0_4arch9wavefront6targetE0EEEvT1_.num_agpr, 0
	.set _ZN7rocprim17ROCPRIM_400000_NS6detail17trampoline_kernelINS0_14default_configENS1_20scan_config_selectorIfEEZZNS1_9scan_implILNS1_25lookback_scan_determinismE0ELb0ELb0ES3_PKfPffZZZN2at6native31launch_logcumsumexp_cuda_kernelERKNSB_10TensorBaseESF_lENKUlvE_clEvENKUlvE0_clEvEUlffE_fEEDaPvRmT3_T4_T5_mT6_P12ihipStream_tbENKUlT_T0_E_clISt17integral_constantIbLb1EESV_IbLb0EEEEDaSR_SS_EUlSR_E_NS1_11comp_targetILNS1_3genE10ELNS1_11target_archE1201ELNS1_3gpuE5ELNS1_3repE0EEENS1_30default_config_static_selectorELNS0_4arch9wavefront6targetE0EEEvT1_.numbered_sgpr, 0
	.set _ZN7rocprim17ROCPRIM_400000_NS6detail17trampoline_kernelINS0_14default_configENS1_20scan_config_selectorIfEEZZNS1_9scan_implILNS1_25lookback_scan_determinismE0ELb0ELb0ES3_PKfPffZZZN2at6native31launch_logcumsumexp_cuda_kernelERKNSB_10TensorBaseESF_lENKUlvE_clEvENKUlvE0_clEvEUlffE_fEEDaPvRmT3_T4_T5_mT6_P12ihipStream_tbENKUlT_T0_E_clISt17integral_constantIbLb1EESV_IbLb0EEEEDaSR_SS_EUlSR_E_NS1_11comp_targetILNS1_3genE10ELNS1_11target_archE1201ELNS1_3gpuE5ELNS1_3repE0EEENS1_30default_config_static_selectorELNS0_4arch9wavefront6targetE0EEEvT1_.num_named_barrier, 0
	.set _ZN7rocprim17ROCPRIM_400000_NS6detail17trampoline_kernelINS0_14default_configENS1_20scan_config_selectorIfEEZZNS1_9scan_implILNS1_25lookback_scan_determinismE0ELb0ELb0ES3_PKfPffZZZN2at6native31launch_logcumsumexp_cuda_kernelERKNSB_10TensorBaseESF_lENKUlvE_clEvENKUlvE0_clEvEUlffE_fEEDaPvRmT3_T4_T5_mT6_P12ihipStream_tbENKUlT_T0_E_clISt17integral_constantIbLb1EESV_IbLb0EEEEDaSR_SS_EUlSR_E_NS1_11comp_targetILNS1_3genE10ELNS1_11target_archE1201ELNS1_3gpuE5ELNS1_3repE0EEENS1_30default_config_static_selectorELNS0_4arch9wavefront6targetE0EEEvT1_.private_seg_size, 0
	.set _ZN7rocprim17ROCPRIM_400000_NS6detail17trampoline_kernelINS0_14default_configENS1_20scan_config_selectorIfEEZZNS1_9scan_implILNS1_25lookback_scan_determinismE0ELb0ELb0ES3_PKfPffZZZN2at6native31launch_logcumsumexp_cuda_kernelERKNSB_10TensorBaseESF_lENKUlvE_clEvENKUlvE0_clEvEUlffE_fEEDaPvRmT3_T4_T5_mT6_P12ihipStream_tbENKUlT_T0_E_clISt17integral_constantIbLb1EESV_IbLb0EEEEDaSR_SS_EUlSR_E_NS1_11comp_targetILNS1_3genE10ELNS1_11target_archE1201ELNS1_3gpuE5ELNS1_3repE0EEENS1_30default_config_static_selectorELNS0_4arch9wavefront6targetE0EEEvT1_.uses_vcc, 0
	.set _ZN7rocprim17ROCPRIM_400000_NS6detail17trampoline_kernelINS0_14default_configENS1_20scan_config_selectorIfEEZZNS1_9scan_implILNS1_25lookback_scan_determinismE0ELb0ELb0ES3_PKfPffZZZN2at6native31launch_logcumsumexp_cuda_kernelERKNSB_10TensorBaseESF_lENKUlvE_clEvENKUlvE0_clEvEUlffE_fEEDaPvRmT3_T4_T5_mT6_P12ihipStream_tbENKUlT_T0_E_clISt17integral_constantIbLb1EESV_IbLb0EEEEDaSR_SS_EUlSR_E_NS1_11comp_targetILNS1_3genE10ELNS1_11target_archE1201ELNS1_3gpuE5ELNS1_3repE0EEENS1_30default_config_static_selectorELNS0_4arch9wavefront6targetE0EEEvT1_.uses_flat_scratch, 0
	.set _ZN7rocprim17ROCPRIM_400000_NS6detail17trampoline_kernelINS0_14default_configENS1_20scan_config_selectorIfEEZZNS1_9scan_implILNS1_25lookback_scan_determinismE0ELb0ELb0ES3_PKfPffZZZN2at6native31launch_logcumsumexp_cuda_kernelERKNSB_10TensorBaseESF_lENKUlvE_clEvENKUlvE0_clEvEUlffE_fEEDaPvRmT3_T4_T5_mT6_P12ihipStream_tbENKUlT_T0_E_clISt17integral_constantIbLb1EESV_IbLb0EEEEDaSR_SS_EUlSR_E_NS1_11comp_targetILNS1_3genE10ELNS1_11target_archE1201ELNS1_3gpuE5ELNS1_3repE0EEENS1_30default_config_static_selectorELNS0_4arch9wavefront6targetE0EEEvT1_.has_dyn_sized_stack, 0
	.set _ZN7rocprim17ROCPRIM_400000_NS6detail17trampoline_kernelINS0_14default_configENS1_20scan_config_selectorIfEEZZNS1_9scan_implILNS1_25lookback_scan_determinismE0ELb0ELb0ES3_PKfPffZZZN2at6native31launch_logcumsumexp_cuda_kernelERKNSB_10TensorBaseESF_lENKUlvE_clEvENKUlvE0_clEvEUlffE_fEEDaPvRmT3_T4_T5_mT6_P12ihipStream_tbENKUlT_T0_E_clISt17integral_constantIbLb1EESV_IbLb0EEEEDaSR_SS_EUlSR_E_NS1_11comp_targetILNS1_3genE10ELNS1_11target_archE1201ELNS1_3gpuE5ELNS1_3repE0EEENS1_30default_config_static_selectorELNS0_4arch9wavefront6targetE0EEEvT1_.has_recursion, 0
	.set _ZN7rocprim17ROCPRIM_400000_NS6detail17trampoline_kernelINS0_14default_configENS1_20scan_config_selectorIfEEZZNS1_9scan_implILNS1_25lookback_scan_determinismE0ELb0ELb0ES3_PKfPffZZZN2at6native31launch_logcumsumexp_cuda_kernelERKNSB_10TensorBaseESF_lENKUlvE_clEvENKUlvE0_clEvEUlffE_fEEDaPvRmT3_T4_T5_mT6_P12ihipStream_tbENKUlT_T0_E_clISt17integral_constantIbLb1EESV_IbLb0EEEEDaSR_SS_EUlSR_E_NS1_11comp_targetILNS1_3genE10ELNS1_11target_archE1201ELNS1_3gpuE5ELNS1_3repE0EEENS1_30default_config_static_selectorELNS0_4arch9wavefront6targetE0EEEvT1_.has_indirect_call, 0
	.section	.AMDGPU.csdata,"",@progbits
; Kernel info:
; codeLenInByte = 0
; TotalNumSgprs: 0
; NumVgprs: 0
; ScratchSize: 0
; MemoryBound: 0
; FloatMode: 240
; IeeeMode: 1
; LDSByteSize: 0 bytes/workgroup (compile time only)
; SGPRBlocks: 0
; VGPRBlocks: 0
; NumSGPRsForWavesPerEU: 1
; NumVGPRsForWavesPerEU: 1
; Occupancy: 16
; WaveLimiterHint : 0
; COMPUTE_PGM_RSRC2:SCRATCH_EN: 0
; COMPUTE_PGM_RSRC2:USER_SGPR: 6
; COMPUTE_PGM_RSRC2:TRAP_HANDLER: 0
; COMPUTE_PGM_RSRC2:TGID_X_EN: 1
; COMPUTE_PGM_RSRC2:TGID_Y_EN: 0
; COMPUTE_PGM_RSRC2:TGID_Z_EN: 0
; COMPUTE_PGM_RSRC2:TIDIG_COMP_CNT: 0
	.section	.text._ZN7rocprim17ROCPRIM_400000_NS6detail17trampoline_kernelINS0_14default_configENS1_20scan_config_selectorIfEEZZNS1_9scan_implILNS1_25lookback_scan_determinismE0ELb0ELb0ES3_PKfPffZZZN2at6native31launch_logcumsumexp_cuda_kernelERKNSB_10TensorBaseESF_lENKUlvE_clEvENKUlvE0_clEvEUlffE_fEEDaPvRmT3_T4_T5_mT6_P12ihipStream_tbENKUlT_T0_E_clISt17integral_constantIbLb1EESV_IbLb0EEEEDaSR_SS_EUlSR_E_NS1_11comp_targetILNS1_3genE10ELNS1_11target_archE1200ELNS1_3gpuE4ELNS1_3repE0EEENS1_30default_config_static_selectorELNS0_4arch9wavefront6targetE0EEEvT1_,"axG",@progbits,_ZN7rocprim17ROCPRIM_400000_NS6detail17trampoline_kernelINS0_14default_configENS1_20scan_config_selectorIfEEZZNS1_9scan_implILNS1_25lookback_scan_determinismE0ELb0ELb0ES3_PKfPffZZZN2at6native31launch_logcumsumexp_cuda_kernelERKNSB_10TensorBaseESF_lENKUlvE_clEvENKUlvE0_clEvEUlffE_fEEDaPvRmT3_T4_T5_mT6_P12ihipStream_tbENKUlT_T0_E_clISt17integral_constantIbLb1EESV_IbLb0EEEEDaSR_SS_EUlSR_E_NS1_11comp_targetILNS1_3genE10ELNS1_11target_archE1200ELNS1_3gpuE4ELNS1_3repE0EEENS1_30default_config_static_selectorELNS0_4arch9wavefront6targetE0EEEvT1_,comdat
	.globl	_ZN7rocprim17ROCPRIM_400000_NS6detail17trampoline_kernelINS0_14default_configENS1_20scan_config_selectorIfEEZZNS1_9scan_implILNS1_25lookback_scan_determinismE0ELb0ELb0ES3_PKfPffZZZN2at6native31launch_logcumsumexp_cuda_kernelERKNSB_10TensorBaseESF_lENKUlvE_clEvENKUlvE0_clEvEUlffE_fEEDaPvRmT3_T4_T5_mT6_P12ihipStream_tbENKUlT_T0_E_clISt17integral_constantIbLb1EESV_IbLb0EEEEDaSR_SS_EUlSR_E_NS1_11comp_targetILNS1_3genE10ELNS1_11target_archE1200ELNS1_3gpuE4ELNS1_3repE0EEENS1_30default_config_static_selectorELNS0_4arch9wavefront6targetE0EEEvT1_ ; -- Begin function _ZN7rocprim17ROCPRIM_400000_NS6detail17trampoline_kernelINS0_14default_configENS1_20scan_config_selectorIfEEZZNS1_9scan_implILNS1_25lookback_scan_determinismE0ELb0ELb0ES3_PKfPffZZZN2at6native31launch_logcumsumexp_cuda_kernelERKNSB_10TensorBaseESF_lENKUlvE_clEvENKUlvE0_clEvEUlffE_fEEDaPvRmT3_T4_T5_mT6_P12ihipStream_tbENKUlT_T0_E_clISt17integral_constantIbLb1EESV_IbLb0EEEEDaSR_SS_EUlSR_E_NS1_11comp_targetILNS1_3genE10ELNS1_11target_archE1200ELNS1_3gpuE4ELNS1_3repE0EEENS1_30default_config_static_selectorELNS0_4arch9wavefront6targetE0EEEvT1_
	.p2align	8
	.type	_ZN7rocprim17ROCPRIM_400000_NS6detail17trampoline_kernelINS0_14default_configENS1_20scan_config_selectorIfEEZZNS1_9scan_implILNS1_25lookback_scan_determinismE0ELb0ELb0ES3_PKfPffZZZN2at6native31launch_logcumsumexp_cuda_kernelERKNSB_10TensorBaseESF_lENKUlvE_clEvENKUlvE0_clEvEUlffE_fEEDaPvRmT3_T4_T5_mT6_P12ihipStream_tbENKUlT_T0_E_clISt17integral_constantIbLb1EESV_IbLb0EEEEDaSR_SS_EUlSR_E_NS1_11comp_targetILNS1_3genE10ELNS1_11target_archE1200ELNS1_3gpuE4ELNS1_3repE0EEENS1_30default_config_static_selectorELNS0_4arch9wavefront6targetE0EEEvT1_,@function
_ZN7rocprim17ROCPRIM_400000_NS6detail17trampoline_kernelINS0_14default_configENS1_20scan_config_selectorIfEEZZNS1_9scan_implILNS1_25lookback_scan_determinismE0ELb0ELb0ES3_PKfPffZZZN2at6native31launch_logcumsumexp_cuda_kernelERKNSB_10TensorBaseESF_lENKUlvE_clEvENKUlvE0_clEvEUlffE_fEEDaPvRmT3_T4_T5_mT6_P12ihipStream_tbENKUlT_T0_E_clISt17integral_constantIbLb1EESV_IbLb0EEEEDaSR_SS_EUlSR_E_NS1_11comp_targetILNS1_3genE10ELNS1_11target_archE1200ELNS1_3gpuE4ELNS1_3repE0EEENS1_30default_config_static_selectorELNS0_4arch9wavefront6targetE0EEEvT1_: ; @_ZN7rocprim17ROCPRIM_400000_NS6detail17trampoline_kernelINS0_14default_configENS1_20scan_config_selectorIfEEZZNS1_9scan_implILNS1_25lookback_scan_determinismE0ELb0ELb0ES3_PKfPffZZZN2at6native31launch_logcumsumexp_cuda_kernelERKNSB_10TensorBaseESF_lENKUlvE_clEvENKUlvE0_clEvEUlffE_fEEDaPvRmT3_T4_T5_mT6_P12ihipStream_tbENKUlT_T0_E_clISt17integral_constantIbLb1EESV_IbLb0EEEEDaSR_SS_EUlSR_E_NS1_11comp_targetILNS1_3genE10ELNS1_11target_archE1200ELNS1_3gpuE4ELNS1_3repE0EEENS1_30default_config_static_selectorELNS0_4arch9wavefront6targetE0EEEvT1_
; %bb.0:
	.section	.rodata,"a",@progbits
	.p2align	6, 0x0
	.amdhsa_kernel _ZN7rocprim17ROCPRIM_400000_NS6detail17trampoline_kernelINS0_14default_configENS1_20scan_config_selectorIfEEZZNS1_9scan_implILNS1_25lookback_scan_determinismE0ELb0ELb0ES3_PKfPffZZZN2at6native31launch_logcumsumexp_cuda_kernelERKNSB_10TensorBaseESF_lENKUlvE_clEvENKUlvE0_clEvEUlffE_fEEDaPvRmT3_T4_T5_mT6_P12ihipStream_tbENKUlT_T0_E_clISt17integral_constantIbLb1EESV_IbLb0EEEEDaSR_SS_EUlSR_E_NS1_11comp_targetILNS1_3genE10ELNS1_11target_archE1200ELNS1_3gpuE4ELNS1_3repE0EEENS1_30default_config_static_selectorELNS0_4arch9wavefront6targetE0EEEvT1_
		.amdhsa_group_segment_fixed_size 0
		.amdhsa_private_segment_fixed_size 0
		.amdhsa_kernarg_size 96
		.amdhsa_user_sgpr_count 6
		.amdhsa_user_sgpr_private_segment_buffer 1
		.amdhsa_user_sgpr_dispatch_ptr 0
		.amdhsa_user_sgpr_queue_ptr 0
		.amdhsa_user_sgpr_kernarg_segment_ptr 1
		.amdhsa_user_sgpr_dispatch_id 0
		.amdhsa_user_sgpr_flat_scratch_init 0
		.amdhsa_user_sgpr_private_segment_size 0
		.amdhsa_wavefront_size32 1
		.amdhsa_uses_dynamic_stack 0
		.amdhsa_system_sgpr_private_segment_wavefront_offset 0
		.amdhsa_system_sgpr_workgroup_id_x 1
		.amdhsa_system_sgpr_workgroup_id_y 0
		.amdhsa_system_sgpr_workgroup_id_z 0
		.amdhsa_system_sgpr_workgroup_info 0
		.amdhsa_system_vgpr_workitem_id 0
		.amdhsa_next_free_vgpr 1
		.amdhsa_next_free_sgpr 1
		.amdhsa_reserve_vcc 0
		.amdhsa_reserve_flat_scratch 0
		.amdhsa_float_round_mode_32 0
		.amdhsa_float_round_mode_16_64 0
		.amdhsa_float_denorm_mode_32 3
		.amdhsa_float_denorm_mode_16_64 3
		.amdhsa_dx10_clamp 1
		.amdhsa_ieee_mode 1
		.amdhsa_fp16_overflow 0
		.amdhsa_workgroup_processor_mode 1
		.amdhsa_memory_ordered 1
		.amdhsa_forward_progress 1
		.amdhsa_shared_vgpr_count 0
		.amdhsa_exception_fp_ieee_invalid_op 0
		.amdhsa_exception_fp_denorm_src 0
		.amdhsa_exception_fp_ieee_div_zero 0
		.amdhsa_exception_fp_ieee_overflow 0
		.amdhsa_exception_fp_ieee_underflow 0
		.amdhsa_exception_fp_ieee_inexact 0
		.amdhsa_exception_int_div_zero 0
	.end_amdhsa_kernel
	.section	.text._ZN7rocprim17ROCPRIM_400000_NS6detail17trampoline_kernelINS0_14default_configENS1_20scan_config_selectorIfEEZZNS1_9scan_implILNS1_25lookback_scan_determinismE0ELb0ELb0ES3_PKfPffZZZN2at6native31launch_logcumsumexp_cuda_kernelERKNSB_10TensorBaseESF_lENKUlvE_clEvENKUlvE0_clEvEUlffE_fEEDaPvRmT3_T4_T5_mT6_P12ihipStream_tbENKUlT_T0_E_clISt17integral_constantIbLb1EESV_IbLb0EEEEDaSR_SS_EUlSR_E_NS1_11comp_targetILNS1_3genE10ELNS1_11target_archE1200ELNS1_3gpuE4ELNS1_3repE0EEENS1_30default_config_static_selectorELNS0_4arch9wavefront6targetE0EEEvT1_,"axG",@progbits,_ZN7rocprim17ROCPRIM_400000_NS6detail17trampoline_kernelINS0_14default_configENS1_20scan_config_selectorIfEEZZNS1_9scan_implILNS1_25lookback_scan_determinismE0ELb0ELb0ES3_PKfPffZZZN2at6native31launch_logcumsumexp_cuda_kernelERKNSB_10TensorBaseESF_lENKUlvE_clEvENKUlvE0_clEvEUlffE_fEEDaPvRmT3_T4_T5_mT6_P12ihipStream_tbENKUlT_T0_E_clISt17integral_constantIbLb1EESV_IbLb0EEEEDaSR_SS_EUlSR_E_NS1_11comp_targetILNS1_3genE10ELNS1_11target_archE1200ELNS1_3gpuE4ELNS1_3repE0EEENS1_30default_config_static_selectorELNS0_4arch9wavefront6targetE0EEEvT1_,comdat
.Lfunc_end140:
	.size	_ZN7rocprim17ROCPRIM_400000_NS6detail17trampoline_kernelINS0_14default_configENS1_20scan_config_selectorIfEEZZNS1_9scan_implILNS1_25lookback_scan_determinismE0ELb0ELb0ES3_PKfPffZZZN2at6native31launch_logcumsumexp_cuda_kernelERKNSB_10TensorBaseESF_lENKUlvE_clEvENKUlvE0_clEvEUlffE_fEEDaPvRmT3_T4_T5_mT6_P12ihipStream_tbENKUlT_T0_E_clISt17integral_constantIbLb1EESV_IbLb0EEEEDaSR_SS_EUlSR_E_NS1_11comp_targetILNS1_3genE10ELNS1_11target_archE1200ELNS1_3gpuE4ELNS1_3repE0EEENS1_30default_config_static_selectorELNS0_4arch9wavefront6targetE0EEEvT1_, .Lfunc_end140-_ZN7rocprim17ROCPRIM_400000_NS6detail17trampoline_kernelINS0_14default_configENS1_20scan_config_selectorIfEEZZNS1_9scan_implILNS1_25lookback_scan_determinismE0ELb0ELb0ES3_PKfPffZZZN2at6native31launch_logcumsumexp_cuda_kernelERKNSB_10TensorBaseESF_lENKUlvE_clEvENKUlvE0_clEvEUlffE_fEEDaPvRmT3_T4_T5_mT6_P12ihipStream_tbENKUlT_T0_E_clISt17integral_constantIbLb1EESV_IbLb0EEEEDaSR_SS_EUlSR_E_NS1_11comp_targetILNS1_3genE10ELNS1_11target_archE1200ELNS1_3gpuE4ELNS1_3repE0EEENS1_30default_config_static_selectorELNS0_4arch9wavefront6targetE0EEEvT1_
                                        ; -- End function
	.set _ZN7rocprim17ROCPRIM_400000_NS6detail17trampoline_kernelINS0_14default_configENS1_20scan_config_selectorIfEEZZNS1_9scan_implILNS1_25lookback_scan_determinismE0ELb0ELb0ES3_PKfPffZZZN2at6native31launch_logcumsumexp_cuda_kernelERKNSB_10TensorBaseESF_lENKUlvE_clEvENKUlvE0_clEvEUlffE_fEEDaPvRmT3_T4_T5_mT6_P12ihipStream_tbENKUlT_T0_E_clISt17integral_constantIbLb1EESV_IbLb0EEEEDaSR_SS_EUlSR_E_NS1_11comp_targetILNS1_3genE10ELNS1_11target_archE1200ELNS1_3gpuE4ELNS1_3repE0EEENS1_30default_config_static_selectorELNS0_4arch9wavefront6targetE0EEEvT1_.num_vgpr, 0
	.set _ZN7rocprim17ROCPRIM_400000_NS6detail17trampoline_kernelINS0_14default_configENS1_20scan_config_selectorIfEEZZNS1_9scan_implILNS1_25lookback_scan_determinismE0ELb0ELb0ES3_PKfPffZZZN2at6native31launch_logcumsumexp_cuda_kernelERKNSB_10TensorBaseESF_lENKUlvE_clEvENKUlvE0_clEvEUlffE_fEEDaPvRmT3_T4_T5_mT6_P12ihipStream_tbENKUlT_T0_E_clISt17integral_constantIbLb1EESV_IbLb0EEEEDaSR_SS_EUlSR_E_NS1_11comp_targetILNS1_3genE10ELNS1_11target_archE1200ELNS1_3gpuE4ELNS1_3repE0EEENS1_30default_config_static_selectorELNS0_4arch9wavefront6targetE0EEEvT1_.num_agpr, 0
	.set _ZN7rocprim17ROCPRIM_400000_NS6detail17trampoline_kernelINS0_14default_configENS1_20scan_config_selectorIfEEZZNS1_9scan_implILNS1_25lookback_scan_determinismE0ELb0ELb0ES3_PKfPffZZZN2at6native31launch_logcumsumexp_cuda_kernelERKNSB_10TensorBaseESF_lENKUlvE_clEvENKUlvE0_clEvEUlffE_fEEDaPvRmT3_T4_T5_mT6_P12ihipStream_tbENKUlT_T0_E_clISt17integral_constantIbLb1EESV_IbLb0EEEEDaSR_SS_EUlSR_E_NS1_11comp_targetILNS1_3genE10ELNS1_11target_archE1200ELNS1_3gpuE4ELNS1_3repE0EEENS1_30default_config_static_selectorELNS0_4arch9wavefront6targetE0EEEvT1_.numbered_sgpr, 0
	.set _ZN7rocprim17ROCPRIM_400000_NS6detail17trampoline_kernelINS0_14default_configENS1_20scan_config_selectorIfEEZZNS1_9scan_implILNS1_25lookback_scan_determinismE0ELb0ELb0ES3_PKfPffZZZN2at6native31launch_logcumsumexp_cuda_kernelERKNSB_10TensorBaseESF_lENKUlvE_clEvENKUlvE0_clEvEUlffE_fEEDaPvRmT3_T4_T5_mT6_P12ihipStream_tbENKUlT_T0_E_clISt17integral_constantIbLb1EESV_IbLb0EEEEDaSR_SS_EUlSR_E_NS1_11comp_targetILNS1_3genE10ELNS1_11target_archE1200ELNS1_3gpuE4ELNS1_3repE0EEENS1_30default_config_static_selectorELNS0_4arch9wavefront6targetE0EEEvT1_.num_named_barrier, 0
	.set _ZN7rocprim17ROCPRIM_400000_NS6detail17trampoline_kernelINS0_14default_configENS1_20scan_config_selectorIfEEZZNS1_9scan_implILNS1_25lookback_scan_determinismE0ELb0ELb0ES3_PKfPffZZZN2at6native31launch_logcumsumexp_cuda_kernelERKNSB_10TensorBaseESF_lENKUlvE_clEvENKUlvE0_clEvEUlffE_fEEDaPvRmT3_T4_T5_mT6_P12ihipStream_tbENKUlT_T0_E_clISt17integral_constantIbLb1EESV_IbLb0EEEEDaSR_SS_EUlSR_E_NS1_11comp_targetILNS1_3genE10ELNS1_11target_archE1200ELNS1_3gpuE4ELNS1_3repE0EEENS1_30default_config_static_selectorELNS0_4arch9wavefront6targetE0EEEvT1_.private_seg_size, 0
	.set _ZN7rocprim17ROCPRIM_400000_NS6detail17trampoline_kernelINS0_14default_configENS1_20scan_config_selectorIfEEZZNS1_9scan_implILNS1_25lookback_scan_determinismE0ELb0ELb0ES3_PKfPffZZZN2at6native31launch_logcumsumexp_cuda_kernelERKNSB_10TensorBaseESF_lENKUlvE_clEvENKUlvE0_clEvEUlffE_fEEDaPvRmT3_T4_T5_mT6_P12ihipStream_tbENKUlT_T0_E_clISt17integral_constantIbLb1EESV_IbLb0EEEEDaSR_SS_EUlSR_E_NS1_11comp_targetILNS1_3genE10ELNS1_11target_archE1200ELNS1_3gpuE4ELNS1_3repE0EEENS1_30default_config_static_selectorELNS0_4arch9wavefront6targetE0EEEvT1_.uses_vcc, 0
	.set _ZN7rocprim17ROCPRIM_400000_NS6detail17trampoline_kernelINS0_14default_configENS1_20scan_config_selectorIfEEZZNS1_9scan_implILNS1_25lookback_scan_determinismE0ELb0ELb0ES3_PKfPffZZZN2at6native31launch_logcumsumexp_cuda_kernelERKNSB_10TensorBaseESF_lENKUlvE_clEvENKUlvE0_clEvEUlffE_fEEDaPvRmT3_T4_T5_mT6_P12ihipStream_tbENKUlT_T0_E_clISt17integral_constantIbLb1EESV_IbLb0EEEEDaSR_SS_EUlSR_E_NS1_11comp_targetILNS1_3genE10ELNS1_11target_archE1200ELNS1_3gpuE4ELNS1_3repE0EEENS1_30default_config_static_selectorELNS0_4arch9wavefront6targetE0EEEvT1_.uses_flat_scratch, 0
	.set _ZN7rocprim17ROCPRIM_400000_NS6detail17trampoline_kernelINS0_14default_configENS1_20scan_config_selectorIfEEZZNS1_9scan_implILNS1_25lookback_scan_determinismE0ELb0ELb0ES3_PKfPffZZZN2at6native31launch_logcumsumexp_cuda_kernelERKNSB_10TensorBaseESF_lENKUlvE_clEvENKUlvE0_clEvEUlffE_fEEDaPvRmT3_T4_T5_mT6_P12ihipStream_tbENKUlT_T0_E_clISt17integral_constantIbLb1EESV_IbLb0EEEEDaSR_SS_EUlSR_E_NS1_11comp_targetILNS1_3genE10ELNS1_11target_archE1200ELNS1_3gpuE4ELNS1_3repE0EEENS1_30default_config_static_selectorELNS0_4arch9wavefront6targetE0EEEvT1_.has_dyn_sized_stack, 0
	.set _ZN7rocprim17ROCPRIM_400000_NS6detail17trampoline_kernelINS0_14default_configENS1_20scan_config_selectorIfEEZZNS1_9scan_implILNS1_25lookback_scan_determinismE0ELb0ELb0ES3_PKfPffZZZN2at6native31launch_logcumsumexp_cuda_kernelERKNSB_10TensorBaseESF_lENKUlvE_clEvENKUlvE0_clEvEUlffE_fEEDaPvRmT3_T4_T5_mT6_P12ihipStream_tbENKUlT_T0_E_clISt17integral_constantIbLb1EESV_IbLb0EEEEDaSR_SS_EUlSR_E_NS1_11comp_targetILNS1_3genE10ELNS1_11target_archE1200ELNS1_3gpuE4ELNS1_3repE0EEENS1_30default_config_static_selectorELNS0_4arch9wavefront6targetE0EEEvT1_.has_recursion, 0
	.set _ZN7rocprim17ROCPRIM_400000_NS6detail17trampoline_kernelINS0_14default_configENS1_20scan_config_selectorIfEEZZNS1_9scan_implILNS1_25lookback_scan_determinismE0ELb0ELb0ES3_PKfPffZZZN2at6native31launch_logcumsumexp_cuda_kernelERKNSB_10TensorBaseESF_lENKUlvE_clEvENKUlvE0_clEvEUlffE_fEEDaPvRmT3_T4_T5_mT6_P12ihipStream_tbENKUlT_T0_E_clISt17integral_constantIbLb1EESV_IbLb0EEEEDaSR_SS_EUlSR_E_NS1_11comp_targetILNS1_3genE10ELNS1_11target_archE1200ELNS1_3gpuE4ELNS1_3repE0EEENS1_30default_config_static_selectorELNS0_4arch9wavefront6targetE0EEEvT1_.has_indirect_call, 0
	.section	.AMDGPU.csdata,"",@progbits
; Kernel info:
; codeLenInByte = 0
; TotalNumSgprs: 0
; NumVgprs: 0
; ScratchSize: 0
; MemoryBound: 0
; FloatMode: 240
; IeeeMode: 1
; LDSByteSize: 0 bytes/workgroup (compile time only)
; SGPRBlocks: 0
; VGPRBlocks: 0
; NumSGPRsForWavesPerEU: 1
; NumVGPRsForWavesPerEU: 1
; Occupancy: 16
; WaveLimiterHint : 0
; COMPUTE_PGM_RSRC2:SCRATCH_EN: 0
; COMPUTE_PGM_RSRC2:USER_SGPR: 6
; COMPUTE_PGM_RSRC2:TRAP_HANDLER: 0
; COMPUTE_PGM_RSRC2:TGID_X_EN: 1
; COMPUTE_PGM_RSRC2:TGID_Y_EN: 0
; COMPUTE_PGM_RSRC2:TGID_Z_EN: 0
; COMPUTE_PGM_RSRC2:TIDIG_COMP_CNT: 0
	.section	.text._ZN7rocprim17ROCPRIM_400000_NS6detail17trampoline_kernelINS0_14default_configENS1_20scan_config_selectorIfEEZZNS1_9scan_implILNS1_25lookback_scan_determinismE0ELb0ELb0ES3_PKfPffZZZN2at6native31launch_logcumsumexp_cuda_kernelERKNSB_10TensorBaseESF_lENKUlvE_clEvENKUlvE0_clEvEUlffE_fEEDaPvRmT3_T4_T5_mT6_P12ihipStream_tbENKUlT_T0_E_clISt17integral_constantIbLb1EESV_IbLb0EEEEDaSR_SS_EUlSR_E_NS1_11comp_targetILNS1_3genE9ELNS1_11target_archE1100ELNS1_3gpuE3ELNS1_3repE0EEENS1_30default_config_static_selectorELNS0_4arch9wavefront6targetE0EEEvT1_,"axG",@progbits,_ZN7rocprim17ROCPRIM_400000_NS6detail17trampoline_kernelINS0_14default_configENS1_20scan_config_selectorIfEEZZNS1_9scan_implILNS1_25lookback_scan_determinismE0ELb0ELb0ES3_PKfPffZZZN2at6native31launch_logcumsumexp_cuda_kernelERKNSB_10TensorBaseESF_lENKUlvE_clEvENKUlvE0_clEvEUlffE_fEEDaPvRmT3_T4_T5_mT6_P12ihipStream_tbENKUlT_T0_E_clISt17integral_constantIbLb1EESV_IbLb0EEEEDaSR_SS_EUlSR_E_NS1_11comp_targetILNS1_3genE9ELNS1_11target_archE1100ELNS1_3gpuE3ELNS1_3repE0EEENS1_30default_config_static_selectorELNS0_4arch9wavefront6targetE0EEEvT1_,comdat
	.globl	_ZN7rocprim17ROCPRIM_400000_NS6detail17trampoline_kernelINS0_14default_configENS1_20scan_config_selectorIfEEZZNS1_9scan_implILNS1_25lookback_scan_determinismE0ELb0ELb0ES3_PKfPffZZZN2at6native31launch_logcumsumexp_cuda_kernelERKNSB_10TensorBaseESF_lENKUlvE_clEvENKUlvE0_clEvEUlffE_fEEDaPvRmT3_T4_T5_mT6_P12ihipStream_tbENKUlT_T0_E_clISt17integral_constantIbLb1EESV_IbLb0EEEEDaSR_SS_EUlSR_E_NS1_11comp_targetILNS1_3genE9ELNS1_11target_archE1100ELNS1_3gpuE3ELNS1_3repE0EEENS1_30default_config_static_selectorELNS0_4arch9wavefront6targetE0EEEvT1_ ; -- Begin function _ZN7rocprim17ROCPRIM_400000_NS6detail17trampoline_kernelINS0_14default_configENS1_20scan_config_selectorIfEEZZNS1_9scan_implILNS1_25lookback_scan_determinismE0ELb0ELb0ES3_PKfPffZZZN2at6native31launch_logcumsumexp_cuda_kernelERKNSB_10TensorBaseESF_lENKUlvE_clEvENKUlvE0_clEvEUlffE_fEEDaPvRmT3_T4_T5_mT6_P12ihipStream_tbENKUlT_T0_E_clISt17integral_constantIbLb1EESV_IbLb0EEEEDaSR_SS_EUlSR_E_NS1_11comp_targetILNS1_3genE9ELNS1_11target_archE1100ELNS1_3gpuE3ELNS1_3repE0EEENS1_30default_config_static_selectorELNS0_4arch9wavefront6targetE0EEEvT1_
	.p2align	8
	.type	_ZN7rocprim17ROCPRIM_400000_NS6detail17trampoline_kernelINS0_14default_configENS1_20scan_config_selectorIfEEZZNS1_9scan_implILNS1_25lookback_scan_determinismE0ELb0ELb0ES3_PKfPffZZZN2at6native31launch_logcumsumexp_cuda_kernelERKNSB_10TensorBaseESF_lENKUlvE_clEvENKUlvE0_clEvEUlffE_fEEDaPvRmT3_T4_T5_mT6_P12ihipStream_tbENKUlT_T0_E_clISt17integral_constantIbLb1EESV_IbLb0EEEEDaSR_SS_EUlSR_E_NS1_11comp_targetILNS1_3genE9ELNS1_11target_archE1100ELNS1_3gpuE3ELNS1_3repE0EEENS1_30default_config_static_selectorELNS0_4arch9wavefront6targetE0EEEvT1_,@function
_ZN7rocprim17ROCPRIM_400000_NS6detail17trampoline_kernelINS0_14default_configENS1_20scan_config_selectorIfEEZZNS1_9scan_implILNS1_25lookback_scan_determinismE0ELb0ELb0ES3_PKfPffZZZN2at6native31launch_logcumsumexp_cuda_kernelERKNSB_10TensorBaseESF_lENKUlvE_clEvENKUlvE0_clEvEUlffE_fEEDaPvRmT3_T4_T5_mT6_P12ihipStream_tbENKUlT_T0_E_clISt17integral_constantIbLb1EESV_IbLb0EEEEDaSR_SS_EUlSR_E_NS1_11comp_targetILNS1_3genE9ELNS1_11target_archE1100ELNS1_3gpuE3ELNS1_3repE0EEENS1_30default_config_static_selectorELNS0_4arch9wavefront6targetE0EEEvT1_: ; @_ZN7rocprim17ROCPRIM_400000_NS6detail17trampoline_kernelINS0_14default_configENS1_20scan_config_selectorIfEEZZNS1_9scan_implILNS1_25lookback_scan_determinismE0ELb0ELb0ES3_PKfPffZZZN2at6native31launch_logcumsumexp_cuda_kernelERKNSB_10TensorBaseESF_lENKUlvE_clEvENKUlvE0_clEvEUlffE_fEEDaPvRmT3_T4_T5_mT6_P12ihipStream_tbENKUlT_T0_E_clISt17integral_constantIbLb1EESV_IbLb0EEEEDaSR_SS_EUlSR_E_NS1_11comp_targetILNS1_3genE9ELNS1_11target_archE1100ELNS1_3gpuE3ELNS1_3repE0EEENS1_30default_config_static_selectorELNS0_4arch9wavefront6targetE0EEEvT1_
; %bb.0:
	.section	.rodata,"a",@progbits
	.p2align	6, 0x0
	.amdhsa_kernel _ZN7rocprim17ROCPRIM_400000_NS6detail17trampoline_kernelINS0_14default_configENS1_20scan_config_selectorIfEEZZNS1_9scan_implILNS1_25lookback_scan_determinismE0ELb0ELb0ES3_PKfPffZZZN2at6native31launch_logcumsumexp_cuda_kernelERKNSB_10TensorBaseESF_lENKUlvE_clEvENKUlvE0_clEvEUlffE_fEEDaPvRmT3_T4_T5_mT6_P12ihipStream_tbENKUlT_T0_E_clISt17integral_constantIbLb1EESV_IbLb0EEEEDaSR_SS_EUlSR_E_NS1_11comp_targetILNS1_3genE9ELNS1_11target_archE1100ELNS1_3gpuE3ELNS1_3repE0EEENS1_30default_config_static_selectorELNS0_4arch9wavefront6targetE0EEEvT1_
		.amdhsa_group_segment_fixed_size 0
		.amdhsa_private_segment_fixed_size 0
		.amdhsa_kernarg_size 96
		.amdhsa_user_sgpr_count 6
		.amdhsa_user_sgpr_private_segment_buffer 1
		.amdhsa_user_sgpr_dispatch_ptr 0
		.amdhsa_user_sgpr_queue_ptr 0
		.amdhsa_user_sgpr_kernarg_segment_ptr 1
		.amdhsa_user_sgpr_dispatch_id 0
		.amdhsa_user_sgpr_flat_scratch_init 0
		.amdhsa_user_sgpr_private_segment_size 0
		.amdhsa_wavefront_size32 1
		.amdhsa_uses_dynamic_stack 0
		.amdhsa_system_sgpr_private_segment_wavefront_offset 0
		.amdhsa_system_sgpr_workgroup_id_x 1
		.amdhsa_system_sgpr_workgroup_id_y 0
		.amdhsa_system_sgpr_workgroup_id_z 0
		.amdhsa_system_sgpr_workgroup_info 0
		.amdhsa_system_vgpr_workitem_id 0
		.amdhsa_next_free_vgpr 1
		.amdhsa_next_free_sgpr 1
		.amdhsa_reserve_vcc 0
		.amdhsa_reserve_flat_scratch 0
		.amdhsa_float_round_mode_32 0
		.amdhsa_float_round_mode_16_64 0
		.amdhsa_float_denorm_mode_32 3
		.amdhsa_float_denorm_mode_16_64 3
		.amdhsa_dx10_clamp 1
		.amdhsa_ieee_mode 1
		.amdhsa_fp16_overflow 0
		.amdhsa_workgroup_processor_mode 1
		.amdhsa_memory_ordered 1
		.amdhsa_forward_progress 1
		.amdhsa_shared_vgpr_count 0
		.amdhsa_exception_fp_ieee_invalid_op 0
		.amdhsa_exception_fp_denorm_src 0
		.amdhsa_exception_fp_ieee_div_zero 0
		.amdhsa_exception_fp_ieee_overflow 0
		.amdhsa_exception_fp_ieee_underflow 0
		.amdhsa_exception_fp_ieee_inexact 0
		.amdhsa_exception_int_div_zero 0
	.end_amdhsa_kernel
	.section	.text._ZN7rocprim17ROCPRIM_400000_NS6detail17trampoline_kernelINS0_14default_configENS1_20scan_config_selectorIfEEZZNS1_9scan_implILNS1_25lookback_scan_determinismE0ELb0ELb0ES3_PKfPffZZZN2at6native31launch_logcumsumexp_cuda_kernelERKNSB_10TensorBaseESF_lENKUlvE_clEvENKUlvE0_clEvEUlffE_fEEDaPvRmT3_T4_T5_mT6_P12ihipStream_tbENKUlT_T0_E_clISt17integral_constantIbLb1EESV_IbLb0EEEEDaSR_SS_EUlSR_E_NS1_11comp_targetILNS1_3genE9ELNS1_11target_archE1100ELNS1_3gpuE3ELNS1_3repE0EEENS1_30default_config_static_selectorELNS0_4arch9wavefront6targetE0EEEvT1_,"axG",@progbits,_ZN7rocprim17ROCPRIM_400000_NS6detail17trampoline_kernelINS0_14default_configENS1_20scan_config_selectorIfEEZZNS1_9scan_implILNS1_25lookback_scan_determinismE0ELb0ELb0ES3_PKfPffZZZN2at6native31launch_logcumsumexp_cuda_kernelERKNSB_10TensorBaseESF_lENKUlvE_clEvENKUlvE0_clEvEUlffE_fEEDaPvRmT3_T4_T5_mT6_P12ihipStream_tbENKUlT_T0_E_clISt17integral_constantIbLb1EESV_IbLb0EEEEDaSR_SS_EUlSR_E_NS1_11comp_targetILNS1_3genE9ELNS1_11target_archE1100ELNS1_3gpuE3ELNS1_3repE0EEENS1_30default_config_static_selectorELNS0_4arch9wavefront6targetE0EEEvT1_,comdat
.Lfunc_end141:
	.size	_ZN7rocprim17ROCPRIM_400000_NS6detail17trampoline_kernelINS0_14default_configENS1_20scan_config_selectorIfEEZZNS1_9scan_implILNS1_25lookback_scan_determinismE0ELb0ELb0ES3_PKfPffZZZN2at6native31launch_logcumsumexp_cuda_kernelERKNSB_10TensorBaseESF_lENKUlvE_clEvENKUlvE0_clEvEUlffE_fEEDaPvRmT3_T4_T5_mT6_P12ihipStream_tbENKUlT_T0_E_clISt17integral_constantIbLb1EESV_IbLb0EEEEDaSR_SS_EUlSR_E_NS1_11comp_targetILNS1_3genE9ELNS1_11target_archE1100ELNS1_3gpuE3ELNS1_3repE0EEENS1_30default_config_static_selectorELNS0_4arch9wavefront6targetE0EEEvT1_, .Lfunc_end141-_ZN7rocprim17ROCPRIM_400000_NS6detail17trampoline_kernelINS0_14default_configENS1_20scan_config_selectorIfEEZZNS1_9scan_implILNS1_25lookback_scan_determinismE0ELb0ELb0ES3_PKfPffZZZN2at6native31launch_logcumsumexp_cuda_kernelERKNSB_10TensorBaseESF_lENKUlvE_clEvENKUlvE0_clEvEUlffE_fEEDaPvRmT3_T4_T5_mT6_P12ihipStream_tbENKUlT_T0_E_clISt17integral_constantIbLb1EESV_IbLb0EEEEDaSR_SS_EUlSR_E_NS1_11comp_targetILNS1_3genE9ELNS1_11target_archE1100ELNS1_3gpuE3ELNS1_3repE0EEENS1_30default_config_static_selectorELNS0_4arch9wavefront6targetE0EEEvT1_
                                        ; -- End function
	.set _ZN7rocprim17ROCPRIM_400000_NS6detail17trampoline_kernelINS0_14default_configENS1_20scan_config_selectorIfEEZZNS1_9scan_implILNS1_25lookback_scan_determinismE0ELb0ELb0ES3_PKfPffZZZN2at6native31launch_logcumsumexp_cuda_kernelERKNSB_10TensorBaseESF_lENKUlvE_clEvENKUlvE0_clEvEUlffE_fEEDaPvRmT3_T4_T5_mT6_P12ihipStream_tbENKUlT_T0_E_clISt17integral_constantIbLb1EESV_IbLb0EEEEDaSR_SS_EUlSR_E_NS1_11comp_targetILNS1_3genE9ELNS1_11target_archE1100ELNS1_3gpuE3ELNS1_3repE0EEENS1_30default_config_static_selectorELNS0_4arch9wavefront6targetE0EEEvT1_.num_vgpr, 0
	.set _ZN7rocprim17ROCPRIM_400000_NS6detail17trampoline_kernelINS0_14default_configENS1_20scan_config_selectorIfEEZZNS1_9scan_implILNS1_25lookback_scan_determinismE0ELb0ELb0ES3_PKfPffZZZN2at6native31launch_logcumsumexp_cuda_kernelERKNSB_10TensorBaseESF_lENKUlvE_clEvENKUlvE0_clEvEUlffE_fEEDaPvRmT3_T4_T5_mT6_P12ihipStream_tbENKUlT_T0_E_clISt17integral_constantIbLb1EESV_IbLb0EEEEDaSR_SS_EUlSR_E_NS1_11comp_targetILNS1_3genE9ELNS1_11target_archE1100ELNS1_3gpuE3ELNS1_3repE0EEENS1_30default_config_static_selectorELNS0_4arch9wavefront6targetE0EEEvT1_.num_agpr, 0
	.set _ZN7rocprim17ROCPRIM_400000_NS6detail17trampoline_kernelINS0_14default_configENS1_20scan_config_selectorIfEEZZNS1_9scan_implILNS1_25lookback_scan_determinismE0ELb0ELb0ES3_PKfPffZZZN2at6native31launch_logcumsumexp_cuda_kernelERKNSB_10TensorBaseESF_lENKUlvE_clEvENKUlvE0_clEvEUlffE_fEEDaPvRmT3_T4_T5_mT6_P12ihipStream_tbENKUlT_T0_E_clISt17integral_constantIbLb1EESV_IbLb0EEEEDaSR_SS_EUlSR_E_NS1_11comp_targetILNS1_3genE9ELNS1_11target_archE1100ELNS1_3gpuE3ELNS1_3repE0EEENS1_30default_config_static_selectorELNS0_4arch9wavefront6targetE0EEEvT1_.numbered_sgpr, 0
	.set _ZN7rocprim17ROCPRIM_400000_NS6detail17trampoline_kernelINS0_14default_configENS1_20scan_config_selectorIfEEZZNS1_9scan_implILNS1_25lookback_scan_determinismE0ELb0ELb0ES3_PKfPffZZZN2at6native31launch_logcumsumexp_cuda_kernelERKNSB_10TensorBaseESF_lENKUlvE_clEvENKUlvE0_clEvEUlffE_fEEDaPvRmT3_T4_T5_mT6_P12ihipStream_tbENKUlT_T0_E_clISt17integral_constantIbLb1EESV_IbLb0EEEEDaSR_SS_EUlSR_E_NS1_11comp_targetILNS1_3genE9ELNS1_11target_archE1100ELNS1_3gpuE3ELNS1_3repE0EEENS1_30default_config_static_selectorELNS0_4arch9wavefront6targetE0EEEvT1_.num_named_barrier, 0
	.set _ZN7rocprim17ROCPRIM_400000_NS6detail17trampoline_kernelINS0_14default_configENS1_20scan_config_selectorIfEEZZNS1_9scan_implILNS1_25lookback_scan_determinismE0ELb0ELb0ES3_PKfPffZZZN2at6native31launch_logcumsumexp_cuda_kernelERKNSB_10TensorBaseESF_lENKUlvE_clEvENKUlvE0_clEvEUlffE_fEEDaPvRmT3_T4_T5_mT6_P12ihipStream_tbENKUlT_T0_E_clISt17integral_constantIbLb1EESV_IbLb0EEEEDaSR_SS_EUlSR_E_NS1_11comp_targetILNS1_3genE9ELNS1_11target_archE1100ELNS1_3gpuE3ELNS1_3repE0EEENS1_30default_config_static_selectorELNS0_4arch9wavefront6targetE0EEEvT1_.private_seg_size, 0
	.set _ZN7rocprim17ROCPRIM_400000_NS6detail17trampoline_kernelINS0_14default_configENS1_20scan_config_selectorIfEEZZNS1_9scan_implILNS1_25lookback_scan_determinismE0ELb0ELb0ES3_PKfPffZZZN2at6native31launch_logcumsumexp_cuda_kernelERKNSB_10TensorBaseESF_lENKUlvE_clEvENKUlvE0_clEvEUlffE_fEEDaPvRmT3_T4_T5_mT6_P12ihipStream_tbENKUlT_T0_E_clISt17integral_constantIbLb1EESV_IbLb0EEEEDaSR_SS_EUlSR_E_NS1_11comp_targetILNS1_3genE9ELNS1_11target_archE1100ELNS1_3gpuE3ELNS1_3repE0EEENS1_30default_config_static_selectorELNS0_4arch9wavefront6targetE0EEEvT1_.uses_vcc, 0
	.set _ZN7rocprim17ROCPRIM_400000_NS6detail17trampoline_kernelINS0_14default_configENS1_20scan_config_selectorIfEEZZNS1_9scan_implILNS1_25lookback_scan_determinismE0ELb0ELb0ES3_PKfPffZZZN2at6native31launch_logcumsumexp_cuda_kernelERKNSB_10TensorBaseESF_lENKUlvE_clEvENKUlvE0_clEvEUlffE_fEEDaPvRmT3_T4_T5_mT6_P12ihipStream_tbENKUlT_T0_E_clISt17integral_constantIbLb1EESV_IbLb0EEEEDaSR_SS_EUlSR_E_NS1_11comp_targetILNS1_3genE9ELNS1_11target_archE1100ELNS1_3gpuE3ELNS1_3repE0EEENS1_30default_config_static_selectorELNS0_4arch9wavefront6targetE0EEEvT1_.uses_flat_scratch, 0
	.set _ZN7rocprim17ROCPRIM_400000_NS6detail17trampoline_kernelINS0_14default_configENS1_20scan_config_selectorIfEEZZNS1_9scan_implILNS1_25lookback_scan_determinismE0ELb0ELb0ES3_PKfPffZZZN2at6native31launch_logcumsumexp_cuda_kernelERKNSB_10TensorBaseESF_lENKUlvE_clEvENKUlvE0_clEvEUlffE_fEEDaPvRmT3_T4_T5_mT6_P12ihipStream_tbENKUlT_T0_E_clISt17integral_constantIbLb1EESV_IbLb0EEEEDaSR_SS_EUlSR_E_NS1_11comp_targetILNS1_3genE9ELNS1_11target_archE1100ELNS1_3gpuE3ELNS1_3repE0EEENS1_30default_config_static_selectorELNS0_4arch9wavefront6targetE0EEEvT1_.has_dyn_sized_stack, 0
	.set _ZN7rocprim17ROCPRIM_400000_NS6detail17trampoline_kernelINS0_14default_configENS1_20scan_config_selectorIfEEZZNS1_9scan_implILNS1_25lookback_scan_determinismE0ELb0ELb0ES3_PKfPffZZZN2at6native31launch_logcumsumexp_cuda_kernelERKNSB_10TensorBaseESF_lENKUlvE_clEvENKUlvE0_clEvEUlffE_fEEDaPvRmT3_T4_T5_mT6_P12ihipStream_tbENKUlT_T0_E_clISt17integral_constantIbLb1EESV_IbLb0EEEEDaSR_SS_EUlSR_E_NS1_11comp_targetILNS1_3genE9ELNS1_11target_archE1100ELNS1_3gpuE3ELNS1_3repE0EEENS1_30default_config_static_selectorELNS0_4arch9wavefront6targetE0EEEvT1_.has_recursion, 0
	.set _ZN7rocprim17ROCPRIM_400000_NS6detail17trampoline_kernelINS0_14default_configENS1_20scan_config_selectorIfEEZZNS1_9scan_implILNS1_25lookback_scan_determinismE0ELb0ELb0ES3_PKfPffZZZN2at6native31launch_logcumsumexp_cuda_kernelERKNSB_10TensorBaseESF_lENKUlvE_clEvENKUlvE0_clEvEUlffE_fEEDaPvRmT3_T4_T5_mT6_P12ihipStream_tbENKUlT_T0_E_clISt17integral_constantIbLb1EESV_IbLb0EEEEDaSR_SS_EUlSR_E_NS1_11comp_targetILNS1_3genE9ELNS1_11target_archE1100ELNS1_3gpuE3ELNS1_3repE0EEENS1_30default_config_static_selectorELNS0_4arch9wavefront6targetE0EEEvT1_.has_indirect_call, 0
	.section	.AMDGPU.csdata,"",@progbits
; Kernel info:
; codeLenInByte = 0
; TotalNumSgprs: 0
; NumVgprs: 0
; ScratchSize: 0
; MemoryBound: 0
; FloatMode: 240
; IeeeMode: 1
; LDSByteSize: 0 bytes/workgroup (compile time only)
; SGPRBlocks: 0
; VGPRBlocks: 0
; NumSGPRsForWavesPerEU: 1
; NumVGPRsForWavesPerEU: 1
; Occupancy: 16
; WaveLimiterHint : 0
; COMPUTE_PGM_RSRC2:SCRATCH_EN: 0
; COMPUTE_PGM_RSRC2:USER_SGPR: 6
; COMPUTE_PGM_RSRC2:TRAP_HANDLER: 0
; COMPUTE_PGM_RSRC2:TGID_X_EN: 1
; COMPUTE_PGM_RSRC2:TGID_Y_EN: 0
; COMPUTE_PGM_RSRC2:TGID_Z_EN: 0
; COMPUTE_PGM_RSRC2:TIDIG_COMP_CNT: 0
	.section	.text._ZN7rocprim17ROCPRIM_400000_NS6detail17trampoline_kernelINS0_14default_configENS1_20scan_config_selectorIfEEZZNS1_9scan_implILNS1_25lookback_scan_determinismE0ELb0ELb0ES3_PKfPffZZZN2at6native31launch_logcumsumexp_cuda_kernelERKNSB_10TensorBaseESF_lENKUlvE_clEvENKUlvE0_clEvEUlffE_fEEDaPvRmT3_T4_T5_mT6_P12ihipStream_tbENKUlT_T0_E_clISt17integral_constantIbLb1EESV_IbLb0EEEEDaSR_SS_EUlSR_E_NS1_11comp_targetILNS1_3genE8ELNS1_11target_archE1030ELNS1_3gpuE2ELNS1_3repE0EEENS1_30default_config_static_selectorELNS0_4arch9wavefront6targetE0EEEvT1_,"axG",@progbits,_ZN7rocprim17ROCPRIM_400000_NS6detail17trampoline_kernelINS0_14default_configENS1_20scan_config_selectorIfEEZZNS1_9scan_implILNS1_25lookback_scan_determinismE0ELb0ELb0ES3_PKfPffZZZN2at6native31launch_logcumsumexp_cuda_kernelERKNSB_10TensorBaseESF_lENKUlvE_clEvENKUlvE0_clEvEUlffE_fEEDaPvRmT3_T4_T5_mT6_P12ihipStream_tbENKUlT_T0_E_clISt17integral_constantIbLb1EESV_IbLb0EEEEDaSR_SS_EUlSR_E_NS1_11comp_targetILNS1_3genE8ELNS1_11target_archE1030ELNS1_3gpuE2ELNS1_3repE0EEENS1_30default_config_static_selectorELNS0_4arch9wavefront6targetE0EEEvT1_,comdat
	.globl	_ZN7rocprim17ROCPRIM_400000_NS6detail17trampoline_kernelINS0_14default_configENS1_20scan_config_selectorIfEEZZNS1_9scan_implILNS1_25lookback_scan_determinismE0ELb0ELb0ES3_PKfPffZZZN2at6native31launch_logcumsumexp_cuda_kernelERKNSB_10TensorBaseESF_lENKUlvE_clEvENKUlvE0_clEvEUlffE_fEEDaPvRmT3_T4_T5_mT6_P12ihipStream_tbENKUlT_T0_E_clISt17integral_constantIbLb1EESV_IbLb0EEEEDaSR_SS_EUlSR_E_NS1_11comp_targetILNS1_3genE8ELNS1_11target_archE1030ELNS1_3gpuE2ELNS1_3repE0EEENS1_30default_config_static_selectorELNS0_4arch9wavefront6targetE0EEEvT1_ ; -- Begin function _ZN7rocprim17ROCPRIM_400000_NS6detail17trampoline_kernelINS0_14default_configENS1_20scan_config_selectorIfEEZZNS1_9scan_implILNS1_25lookback_scan_determinismE0ELb0ELb0ES3_PKfPffZZZN2at6native31launch_logcumsumexp_cuda_kernelERKNSB_10TensorBaseESF_lENKUlvE_clEvENKUlvE0_clEvEUlffE_fEEDaPvRmT3_T4_T5_mT6_P12ihipStream_tbENKUlT_T0_E_clISt17integral_constantIbLb1EESV_IbLb0EEEEDaSR_SS_EUlSR_E_NS1_11comp_targetILNS1_3genE8ELNS1_11target_archE1030ELNS1_3gpuE2ELNS1_3repE0EEENS1_30default_config_static_selectorELNS0_4arch9wavefront6targetE0EEEvT1_
	.p2align	8
	.type	_ZN7rocprim17ROCPRIM_400000_NS6detail17trampoline_kernelINS0_14default_configENS1_20scan_config_selectorIfEEZZNS1_9scan_implILNS1_25lookback_scan_determinismE0ELb0ELb0ES3_PKfPffZZZN2at6native31launch_logcumsumexp_cuda_kernelERKNSB_10TensorBaseESF_lENKUlvE_clEvENKUlvE0_clEvEUlffE_fEEDaPvRmT3_T4_T5_mT6_P12ihipStream_tbENKUlT_T0_E_clISt17integral_constantIbLb1EESV_IbLb0EEEEDaSR_SS_EUlSR_E_NS1_11comp_targetILNS1_3genE8ELNS1_11target_archE1030ELNS1_3gpuE2ELNS1_3repE0EEENS1_30default_config_static_selectorELNS0_4arch9wavefront6targetE0EEEvT1_,@function
_ZN7rocprim17ROCPRIM_400000_NS6detail17trampoline_kernelINS0_14default_configENS1_20scan_config_selectorIfEEZZNS1_9scan_implILNS1_25lookback_scan_determinismE0ELb0ELb0ES3_PKfPffZZZN2at6native31launch_logcumsumexp_cuda_kernelERKNSB_10TensorBaseESF_lENKUlvE_clEvENKUlvE0_clEvEUlffE_fEEDaPvRmT3_T4_T5_mT6_P12ihipStream_tbENKUlT_T0_E_clISt17integral_constantIbLb1EESV_IbLb0EEEEDaSR_SS_EUlSR_E_NS1_11comp_targetILNS1_3genE8ELNS1_11target_archE1030ELNS1_3gpuE2ELNS1_3repE0EEENS1_30default_config_static_selectorELNS0_4arch9wavefront6targetE0EEEvT1_: ; @_ZN7rocprim17ROCPRIM_400000_NS6detail17trampoline_kernelINS0_14default_configENS1_20scan_config_selectorIfEEZZNS1_9scan_implILNS1_25lookback_scan_determinismE0ELb0ELb0ES3_PKfPffZZZN2at6native31launch_logcumsumexp_cuda_kernelERKNSB_10TensorBaseESF_lENKUlvE_clEvENKUlvE0_clEvEUlffE_fEEDaPvRmT3_T4_T5_mT6_P12ihipStream_tbENKUlT_T0_E_clISt17integral_constantIbLb1EESV_IbLb0EEEEDaSR_SS_EUlSR_E_NS1_11comp_targetILNS1_3genE8ELNS1_11target_archE1030ELNS1_3gpuE2ELNS1_3repE0EEENS1_30default_config_static_selectorELNS0_4arch9wavefront6targetE0EEEvT1_
; %bb.0:
	s_endpgm
	.section	.rodata,"a",@progbits
	.p2align	6, 0x0
	.amdhsa_kernel _ZN7rocprim17ROCPRIM_400000_NS6detail17trampoline_kernelINS0_14default_configENS1_20scan_config_selectorIfEEZZNS1_9scan_implILNS1_25lookback_scan_determinismE0ELb0ELb0ES3_PKfPffZZZN2at6native31launch_logcumsumexp_cuda_kernelERKNSB_10TensorBaseESF_lENKUlvE_clEvENKUlvE0_clEvEUlffE_fEEDaPvRmT3_T4_T5_mT6_P12ihipStream_tbENKUlT_T0_E_clISt17integral_constantIbLb1EESV_IbLb0EEEEDaSR_SS_EUlSR_E_NS1_11comp_targetILNS1_3genE8ELNS1_11target_archE1030ELNS1_3gpuE2ELNS1_3repE0EEENS1_30default_config_static_selectorELNS0_4arch9wavefront6targetE0EEEvT1_
		.amdhsa_group_segment_fixed_size 0
		.amdhsa_private_segment_fixed_size 0
		.amdhsa_kernarg_size 96
		.amdhsa_user_sgpr_count 6
		.amdhsa_user_sgpr_private_segment_buffer 1
		.amdhsa_user_sgpr_dispatch_ptr 0
		.amdhsa_user_sgpr_queue_ptr 0
		.amdhsa_user_sgpr_kernarg_segment_ptr 1
		.amdhsa_user_sgpr_dispatch_id 0
		.amdhsa_user_sgpr_flat_scratch_init 0
		.amdhsa_user_sgpr_private_segment_size 0
		.amdhsa_wavefront_size32 1
		.amdhsa_uses_dynamic_stack 0
		.amdhsa_system_sgpr_private_segment_wavefront_offset 0
		.amdhsa_system_sgpr_workgroup_id_x 1
		.amdhsa_system_sgpr_workgroup_id_y 0
		.amdhsa_system_sgpr_workgroup_id_z 0
		.amdhsa_system_sgpr_workgroup_info 0
		.amdhsa_system_vgpr_workitem_id 0
		.amdhsa_next_free_vgpr 1
		.amdhsa_next_free_sgpr 1
		.amdhsa_reserve_vcc 0
		.amdhsa_reserve_flat_scratch 0
		.amdhsa_float_round_mode_32 0
		.amdhsa_float_round_mode_16_64 0
		.amdhsa_float_denorm_mode_32 3
		.amdhsa_float_denorm_mode_16_64 3
		.amdhsa_dx10_clamp 1
		.amdhsa_ieee_mode 1
		.amdhsa_fp16_overflow 0
		.amdhsa_workgroup_processor_mode 1
		.amdhsa_memory_ordered 1
		.amdhsa_forward_progress 1
		.amdhsa_shared_vgpr_count 0
		.amdhsa_exception_fp_ieee_invalid_op 0
		.amdhsa_exception_fp_denorm_src 0
		.amdhsa_exception_fp_ieee_div_zero 0
		.amdhsa_exception_fp_ieee_overflow 0
		.amdhsa_exception_fp_ieee_underflow 0
		.amdhsa_exception_fp_ieee_inexact 0
		.amdhsa_exception_int_div_zero 0
	.end_amdhsa_kernel
	.section	.text._ZN7rocprim17ROCPRIM_400000_NS6detail17trampoline_kernelINS0_14default_configENS1_20scan_config_selectorIfEEZZNS1_9scan_implILNS1_25lookback_scan_determinismE0ELb0ELb0ES3_PKfPffZZZN2at6native31launch_logcumsumexp_cuda_kernelERKNSB_10TensorBaseESF_lENKUlvE_clEvENKUlvE0_clEvEUlffE_fEEDaPvRmT3_T4_T5_mT6_P12ihipStream_tbENKUlT_T0_E_clISt17integral_constantIbLb1EESV_IbLb0EEEEDaSR_SS_EUlSR_E_NS1_11comp_targetILNS1_3genE8ELNS1_11target_archE1030ELNS1_3gpuE2ELNS1_3repE0EEENS1_30default_config_static_selectorELNS0_4arch9wavefront6targetE0EEEvT1_,"axG",@progbits,_ZN7rocprim17ROCPRIM_400000_NS6detail17trampoline_kernelINS0_14default_configENS1_20scan_config_selectorIfEEZZNS1_9scan_implILNS1_25lookback_scan_determinismE0ELb0ELb0ES3_PKfPffZZZN2at6native31launch_logcumsumexp_cuda_kernelERKNSB_10TensorBaseESF_lENKUlvE_clEvENKUlvE0_clEvEUlffE_fEEDaPvRmT3_T4_T5_mT6_P12ihipStream_tbENKUlT_T0_E_clISt17integral_constantIbLb1EESV_IbLb0EEEEDaSR_SS_EUlSR_E_NS1_11comp_targetILNS1_3genE8ELNS1_11target_archE1030ELNS1_3gpuE2ELNS1_3repE0EEENS1_30default_config_static_selectorELNS0_4arch9wavefront6targetE0EEEvT1_,comdat
.Lfunc_end142:
	.size	_ZN7rocprim17ROCPRIM_400000_NS6detail17trampoline_kernelINS0_14default_configENS1_20scan_config_selectorIfEEZZNS1_9scan_implILNS1_25lookback_scan_determinismE0ELb0ELb0ES3_PKfPffZZZN2at6native31launch_logcumsumexp_cuda_kernelERKNSB_10TensorBaseESF_lENKUlvE_clEvENKUlvE0_clEvEUlffE_fEEDaPvRmT3_T4_T5_mT6_P12ihipStream_tbENKUlT_T0_E_clISt17integral_constantIbLb1EESV_IbLb0EEEEDaSR_SS_EUlSR_E_NS1_11comp_targetILNS1_3genE8ELNS1_11target_archE1030ELNS1_3gpuE2ELNS1_3repE0EEENS1_30default_config_static_selectorELNS0_4arch9wavefront6targetE0EEEvT1_, .Lfunc_end142-_ZN7rocprim17ROCPRIM_400000_NS6detail17trampoline_kernelINS0_14default_configENS1_20scan_config_selectorIfEEZZNS1_9scan_implILNS1_25lookback_scan_determinismE0ELb0ELb0ES3_PKfPffZZZN2at6native31launch_logcumsumexp_cuda_kernelERKNSB_10TensorBaseESF_lENKUlvE_clEvENKUlvE0_clEvEUlffE_fEEDaPvRmT3_T4_T5_mT6_P12ihipStream_tbENKUlT_T0_E_clISt17integral_constantIbLb1EESV_IbLb0EEEEDaSR_SS_EUlSR_E_NS1_11comp_targetILNS1_3genE8ELNS1_11target_archE1030ELNS1_3gpuE2ELNS1_3repE0EEENS1_30default_config_static_selectorELNS0_4arch9wavefront6targetE0EEEvT1_
                                        ; -- End function
	.set _ZN7rocprim17ROCPRIM_400000_NS6detail17trampoline_kernelINS0_14default_configENS1_20scan_config_selectorIfEEZZNS1_9scan_implILNS1_25lookback_scan_determinismE0ELb0ELb0ES3_PKfPffZZZN2at6native31launch_logcumsumexp_cuda_kernelERKNSB_10TensorBaseESF_lENKUlvE_clEvENKUlvE0_clEvEUlffE_fEEDaPvRmT3_T4_T5_mT6_P12ihipStream_tbENKUlT_T0_E_clISt17integral_constantIbLb1EESV_IbLb0EEEEDaSR_SS_EUlSR_E_NS1_11comp_targetILNS1_3genE8ELNS1_11target_archE1030ELNS1_3gpuE2ELNS1_3repE0EEENS1_30default_config_static_selectorELNS0_4arch9wavefront6targetE0EEEvT1_.num_vgpr, 0
	.set _ZN7rocprim17ROCPRIM_400000_NS6detail17trampoline_kernelINS0_14default_configENS1_20scan_config_selectorIfEEZZNS1_9scan_implILNS1_25lookback_scan_determinismE0ELb0ELb0ES3_PKfPffZZZN2at6native31launch_logcumsumexp_cuda_kernelERKNSB_10TensorBaseESF_lENKUlvE_clEvENKUlvE0_clEvEUlffE_fEEDaPvRmT3_T4_T5_mT6_P12ihipStream_tbENKUlT_T0_E_clISt17integral_constantIbLb1EESV_IbLb0EEEEDaSR_SS_EUlSR_E_NS1_11comp_targetILNS1_3genE8ELNS1_11target_archE1030ELNS1_3gpuE2ELNS1_3repE0EEENS1_30default_config_static_selectorELNS0_4arch9wavefront6targetE0EEEvT1_.num_agpr, 0
	.set _ZN7rocprim17ROCPRIM_400000_NS6detail17trampoline_kernelINS0_14default_configENS1_20scan_config_selectorIfEEZZNS1_9scan_implILNS1_25lookback_scan_determinismE0ELb0ELb0ES3_PKfPffZZZN2at6native31launch_logcumsumexp_cuda_kernelERKNSB_10TensorBaseESF_lENKUlvE_clEvENKUlvE0_clEvEUlffE_fEEDaPvRmT3_T4_T5_mT6_P12ihipStream_tbENKUlT_T0_E_clISt17integral_constantIbLb1EESV_IbLb0EEEEDaSR_SS_EUlSR_E_NS1_11comp_targetILNS1_3genE8ELNS1_11target_archE1030ELNS1_3gpuE2ELNS1_3repE0EEENS1_30default_config_static_selectorELNS0_4arch9wavefront6targetE0EEEvT1_.numbered_sgpr, 0
	.set _ZN7rocprim17ROCPRIM_400000_NS6detail17trampoline_kernelINS0_14default_configENS1_20scan_config_selectorIfEEZZNS1_9scan_implILNS1_25lookback_scan_determinismE0ELb0ELb0ES3_PKfPffZZZN2at6native31launch_logcumsumexp_cuda_kernelERKNSB_10TensorBaseESF_lENKUlvE_clEvENKUlvE0_clEvEUlffE_fEEDaPvRmT3_T4_T5_mT6_P12ihipStream_tbENKUlT_T0_E_clISt17integral_constantIbLb1EESV_IbLb0EEEEDaSR_SS_EUlSR_E_NS1_11comp_targetILNS1_3genE8ELNS1_11target_archE1030ELNS1_3gpuE2ELNS1_3repE0EEENS1_30default_config_static_selectorELNS0_4arch9wavefront6targetE0EEEvT1_.num_named_barrier, 0
	.set _ZN7rocprim17ROCPRIM_400000_NS6detail17trampoline_kernelINS0_14default_configENS1_20scan_config_selectorIfEEZZNS1_9scan_implILNS1_25lookback_scan_determinismE0ELb0ELb0ES3_PKfPffZZZN2at6native31launch_logcumsumexp_cuda_kernelERKNSB_10TensorBaseESF_lENKUlvE_clEvENKUlvE0_clEvEUlffE_fEEDaPvRmT3_T4_T5_mT6_P12ihipStream_tbENKUlT_T0_E_clISt17integral_constantIbLb1EESV_IbLb0EEEEDaSR_SS_EUlSR_E_NS1_11comp_targetILNS1_3genE8ELNS1_11target_archE1030ELNS1_3gpuE2ELNS1_3repE0EEENS1_30default_config_static_selectorELNS0_4arch9wavefront6targetE0EEEvT1_.private_seg_size, 0
	.set _ZN7rocprim17ROCPRIM_400000_NS6detail17trampoline_kernelINS0_14default_configENS1_20scan_config_selectorIfEEZZNS1_9scan_implILNS1_25lookback_scan_determinismE0ELb0ELb0ES3_PKfPffZZZN2at6native31launch_logcumsumexp_cuda_kernelERKNSB_10TensorBaseESF_lENKUlvE_clEvENKUlvE0_clEvEUlffE_fEEDaPvRmT3_T4_T5_mT6_P12ihipStream_tbENKUlT_T0_E_clISt17integral_constantIbLb1EESV_IbLb0EEEEDaSR_SS_EUlSR_E_NS1_11comp_targetILNS1_3genE8ELNS1_11target_archE1030ELNS1_3gpuE2ELNS1_3repE0EEENS1_30default_config_static_selectorELNS0_4arch9wavefront6targetE0EEEvT1_.uses_vcc, 0
	.set _ZN7rocprim17ROCPRIM_400000_NS6detail17trampoline_kernelINS0_14default_configENS1_20scan_config_selectorIfEEZZNS1_9scan_implILNS1_25lookback_scan_determinismE0ELb0ELb0ES3_PKfPffZZZN2at6native31launch_logcumsumexp_cuda_kernelERKNSB_10TensorBaseESF_lENKUlvE_clEvENKUlvE0_clEvEUlffE_fEEDaPvRmT3_T4_T5_mT6_P12ihipStream_tbENKUlT_T0_E_clISt17integral_constantIbLb1EESV_IbLb0EEEEDaSR_SS_EUlSR_E_NS1_11comp_targetILNS1_3genE8ELNS1_11target_archE1030ELNS1_3gpuE2ELNS1_3repE0EEENS1_30default_config_static_selectorELNS0_4arch9wavefront6targetE0EEEvT1_.uses_flat_scratch, 0
	.set _ZN7rocprim17ROCPRIM_400000_NS6detail17trampoline_kernelINS0_14default_configENS1_20scan_config_selectorIfEEZZNS1_9scan_implILNS1_25lookback_scan_determinismE0ELb0ELb0ES3_PKfPffZZZN2at6native31launch_logcumsumexp_cuda_kernelERKNSB_10TensorBaseESF_lENKUlvE_clEvENKUlvE0_clEvEUlffE_fEEDaPvRmT3_T4_T5_mT6_P12ihipStream_tbENKUlT_T0_E_clISt17integral_constantIbLb1EESV_IbLb0EEEEDaSR_SS_EUlSR_E_NS1_11comp_targetILNS1_3genE8ELNS1_11target_archE1030ELNS1_3gpuE2ELNS1_3repE0EEENS1_30default_config_static_selectorELNS0_4arch9wavefront6targetE0EEEvT1_.has_dyn_sized_stack, 0
	.set _ZN7rocprim17ROCPRIM_400000_NS6detail17trampoline_kernelINS0_14default_configENS1_20scan_config_selectorIfEEZZNS1_9scan_implILNS1_25lookback_scan_determinismE0ELb0ELb0ES3_PKfPffZZZN2at6native31launch_logcumsumexp_cuda_kernelERKNSB_10TensorBaseESF_lENKUlvE_clEvENKUlvE0_clEvEUlffE_fEEDaPvRmT3_T4_T5_mT6_P12ihipStream_tbENKUlT_T0_E_clISt17integral_constantIbLb1EESV_IbLb0EEEEDaSR_SS_EUlSR_E_NS1_11comp_targetILNS1_3genE8ELNS1_11target_archE1030ELNS1_3gpuE2ELNS1_3repE0EEENS1_30default_config_static_selectorELNS0_4arch9wavefront6targetE0EEEvT1_.has_recursion, 0
	.set _ZN7rocprim17ROCPRIM_400000_NS6detail17trampoline_kernelINS0_14default_configENS1_20scan_config_selectorIfEEZZNS1_9scan_implILNS1_25lookback_scan_determinismE0ELb0ELb0ES3_PKfPffZZZN2at6native31launch_logcumsumexp_cuda_kernelERKNSB_10TensorBaseESF_lENKUlvE_clEvENKUlvE0_clEvEUlffE_fEEDaPvRmT3_T4_T5_mT6_P12ihipStream_tbENKUlT_T0_E_clISt17integral_constantIbLb1EESV_IbLb0EEEEDaSR_SS_EUlSR_E_NS1_11comp_targetILNS1_3genE8ELNS1_11target_archE1030ELNS1_3gpuE2ELNS1_3repE0EEENS1_30default_config_static_selectorELNS0_4arch9wavefront6targetE0EEEvT1_.has_indirect_call, 0
	.section	.AMDGPU.csdata,"",@progbits
; Kernel info:
; codeLenInByte = 4
; TotalNumSgprs: 0
; NumVgprs: 0
; ScratchSize: 0
; MemoryBound: 0
; FloatMode: 240
; IeeeMode: 1
; LDSByteSize: 0 bytes/workgroup (compile time only)
; SGPRBlocks: 0
; VGPRBlocks: 0
; NumSGPRsForWavesPerEU: 1
; NumVGPRsForWavesPerEU: 1
; Occupancy: 16
; WaveLimiterHint : 0
; COMPUTE_PGM_RSRC2:SCRATCH_EN: 0
; COMPUTE_PGM_RSRC2:USER_SGPR: 6
; COMPUTE_PGM_RSRC2:TRAP_HANDLER: 0
; COMPUTE_PGM_RSRC2:TGID_X_EN: 1
; COMPUTE_PGM_RSRC2:TGID_Y_EN: 0
; COMPUTE_PGM_RSRC2:TGID_Z_EN: 0
; COMPUTE_PGM_RSRC2:TIDIG_COMP_CNT: 0
	.section	.text._ZN7rocprim17ROCPRIM_400000_NS6detail17trampoline_kernelINS0_14default_configENS1_20scan_config_selectorIfEEZZNS1_9scan_implILNS1_25lookback_scan_determinismE0ELb0ELb0ES3_PKfPffZZZN2at6native31launch_logcumsumexp_cuda_kernelERKNSB_10TensorBaseESF_lENKUlvE_clEvENKUlvE0_clEvEUlffE_fEEDaPvRmT3_T4_T5_mT6_P12ihipStream_tbENKUlT_T0_E_clISt17integral_constantIbLb1EESV_IbLb0EEEEDaSR_SS_EUlSR_E0_NS1_11comp_targetILNS1_3genE0ELNS1_11target_archE4294967295ELNS1_3gpuE0ELNS1_3repE0EEENS1_30default_config_static_selectorELNS0_4arch9wavefront6targetE0EEEvT1_,"axG",@progbits,_ZN7rocprim17ROCPRIM_400000_NS6detail17trampoline_kernelINS0_14default_configENS1_20scan_config_selectorIfEEZZNS1_9scan_implILNS1_25lookback_scan_determinismE0ELb0ELb0ES3_PKfPffZZZN2at6native31launch_logcumsumexp_cuda_kernelERKNSB_10TensorBaseESF_lENKUlvE_clEvENKUlvE0_clEvEUlffE_fEEDaPvRmT3_T4_T5_mT6_P12ihipStream_tbENKUlT_T0_E_clISt17integral_constantIbLb1EESV_IbLb0EEEEDaSR_SS_EUlSR_E0_NS1_11comp_targetILNS1_3genE0ELNS1_11target_archE4294967295ELNS1_3gpuE0ELNS1_3repE0EEENS1_30default_config_static_selectorELNS0_4arch9wavefront6targetE0EEEvT1_,comdat
	.globl	_ZN7rocprim17ROCPRIM_400000_NS6detail17trampoline_kernelINS0_14default_configENS1_20scan_config_selectorIfEEZZNS1_9scan_implILNS1_25lookback_scan_determinismE0ELb0ELb0ES3_PKfPffZZZN2at6native31launch_logcumsumexp_cuda_kernelERKNSB_10TensorBaseESF_lENKUlvE_clEvENKUlvE0_clEvEUlffE_fEEDaPvRmT3_T4_T5_mT6_P12ihipStream_tbENKUlT_T0_E_clISt17integral_constantIbLb1EESV_IbLb0EEEEDaSR_SS_EUlSR_E0_NS1_11comp_targetILNS1_3genE0ELNS1_11target_archE4294967295ELNS1_3gpuE0ELNS1_3repE0EEENS1_30default_config_static_selectorELNS0_4arch9wavefront6targetE0EEEvT1_ ; -- Begin function _ZN7rocprim17ROCPRIM_400000_NS6detail17trampoline_kernelINS0_14default_configENS1_20scan_config_selectorIfEEZZNS1_9scan_implILNS1_25lookback_scan_determinismE0ELb0ELb0ES3_PKfPffZZZN2at6native31launch_logcumsumexp_cuda_kernelERKNSB_10TensorBaseESF_lENKUlvE_clEvENKUlvE0_clEvEUlffE_fEEDaPvRmT3_T4_T5_mT6_P12ihipStream_tbENKUlT_T0_E_clISt17integral_constantIbLb1EESV_IbLb0EEEEDaSR_SS_EUlSR_E0_NS1_11comp_targetILNS1_3genE0ELNS1_11target_archE4294967295ELNS1_3gpuE0ELNS1_3repE0EEENS1_30default_config_static_selectorELNS0_4arch9wavefront6targetE0EEEvT1_
	.p2align	8
	.type	_ZN7rocprim17ROCPRIM_400000_NS6detail17trampoline_kernelINS0_14default_configENS1_20scan_config_selectorIfEEZZNS1_9scan_implILNS1_25lookback_scan_determinismE0ELb0ELb0ES3_PKfPffZZZN2at6native31launch_logcumsumexp_cuda_kernelERKNSB_10TensorBaseESF_lENKUlvE_clEvENKUlvE0_clEvEUlffE_fEEDaPvRmT3_T4_T5_mT6_P12ihipStream_tbENKUlT_T0_E_clISt17integral_constantIbLb1EESV_IbLb0EEEEDaSR_SS_EUlSR_E0_NS1_11comp_targetILNS1_3genE0ELNS1_11target_archE4294967295ELNS1_3gpuE0ELNS1_3repE0EEENS1_30default_config_static_selectorELNS0_4arch9wavefront6targetE0EEEvT1_,@function
_ZN7rocprim17ROCPRIM_400000_NS6detail17trampoline_kernelINS0_14default_configENS1_20scan_config_selectorIfEEZZNS1_9scan_implILNS1_25lookback_scan_determinismE0ELb0ELb0ES3_PKfPffZZZN2at6native31launch_logcumsumexp_cuda_kernelERKNSB_10TensorBaseESF_lENKUlvE_clEvENKUlvE0_clEvEUlffE_fEEDaPvRmT3_T4_T5_mT6_P12ihipStream_tbENKUlT_T0_E_clISt17integral_constantIbLb1EESV_IbLb0EEEEDaSR_SS_EUlSR_E0_NS1_11comp_targetILNS1_3genE0ELNS1_11target_archE4294967295ELNS1_3gpuE0ELNS1_3repE0EEENS1_30default_config_static_selectorELNS0_4arch9wavefront6targetE0EEEvT1_: ; @_ZN7rocprim17ROCPRIM_400000_NS6detail17trampoline_kernelINS0_14default_configENS1_20scan_config_selectorIfEEZZNS1_9scan_implILNS1_25lookback_scan_determinismE0ELb0ELb0ES3_PKfPffZZZN2at6native31launch_logcumsumexp_cuda_kernelERKNSB_10TensorBaseESF_lENKUlvE_clEvENKUlvE0_clEvEUlffE_fEEDaPvRmT3_T4_T5_mT6_P12ihipStream_tbENKUlT_T0_E_clISt17integral_constantIbLb1EESV_IbLb0EEEEDaSR_SS_EUlSR_E0_NS1_11comp_targetILNS1_3genE0ELNS1_11target_archE4294967295ELNS1_3gpuE0ELNS1_3repE0EEENS1_30default_config_static_selectorELNS0_4arch9wavefront6targetE0EEEvT1_
; %bb.0:
	.section	.rodata,"a",@progbits
	.p2align	6, 0x0
	.amdhsa_kernel _ZN7rocprim17ROCPRIM_400000_NS6detail17trampoline_kernelINS0_14default_configENS1_20scan_config_selectorIfEEZZNS1_9scan_implILNS1_25lookback_scan_determinismE0ELb0ELb0ES3_PKfPffZZZN2at6native31launch_logcumsumexp_cuda_kernelERKNSB_10TensorBaseESF_lENKUlvE_clEvENKUlvE0_clEvEUlffE_fEEDaPvRmT3_T4_T5_mT6_P12ihipStream_tbENKUlT_T0_E_clISt17integral_constantIbLb1EESV_IbLb0EEEEDaSR_SS_EUlSR_E0_NS1_11comp_targetILNS1_3genE0ELNS1_11target_archE4294967295ELNS1_3gpuE0ELNS1_3repE0EEENS1_30default_config_static_selectorELNS0_4arch9wavefront6targetE0EEEvT1_
		.amdhsa_group_segment_fixed_size 0
		.amdhsa_private_segment_fixed_size 0
		.amdhsa_kernarg_size 32
		.amdhsa_user_sgpr_count 6
		.amdhsa_user_sgpr_private_segment_buffer 1
		.amdhsa_user_sgpr_dispatch_ptr 0
		.amdhsa_user_sgpr_queue_ptr 0
		.amdhsa_user_sgpr_kernarg_segment_ptr 1
		.amdhsa_user_sgpr_dispatch_id 0
		.amdhsa_user_sgpr_flat_scratch_init 0
		.amdhsa_user_sgpr_private_segment_size 0
		.amdhsa_wavefront_size32 1
		.amdhsa_uses_dynamic_stack 0
		.amdhsa_system_sgpr_private_segment_wavefront_offset 0
		.amdhsa_system_sgpr_workgroup_id_x 1
		.amdhsa_system_sgpr_workgroup_id_y 0
		.amdhsa_system_sgpr_workgroup_id_z 0
		.amdhsa_system_sgpr_workgroup_info 0
		.amdhsa_system_vgpr_workitem_id 0
		.amdhsa_next_free_vgpr 1
		.amdhsa_next_free_sgpr 1
		.amdhsa_reserve_vcc 0
		.amdhsa_reserve_flat_scratch 0
		.amdhsa_float_round_mode_32 0
		.amdhsa_float_round_mode_16_64 0
		.amdhsa_float_denorm_mode_32 3
		.amdhsa_float_denorm_mode_16_64 3
		.amdhsa_dx10_clamp 1
		.amdhsa_ieee_mode 1
		.amdhsa_fp16_overflow 0
		.amdhsa_workgroup_processor_mode 1
		.amdhsa_memory_ordered 1
		.amdhsa_forward_progress 1
		.amdhsa_shared_vgpr_count 0
		.amdhsa_exception_fp_ieee_invalid_op 0
		.amdhsa_exception_fp_denorm_src 0
		.amdhsa_exception_fp_ieee_div_zero 0
		.amdhsa_exception_fp_ieee_overflow 0
		.amdhsa_exception_fp_ieee_underflow 0
		.amdhsa_exception_fp_ieee_inexact 0
		.amdhsa_exception_int_div_zero 0
	.end_amdhsa_kernel
	.section	.text._ZN7rocprim17ROCPRIM_400000_NS6detail17trampoline_kernelINS0_14default_configENS1_20scan_config_selectorIfEEZZNS1_9scan_implILNS1_25lookback_scan_determinismE0ELb0ELb0ES3_PKfPffZZZN2at6native31launch_logcumsumexp_cuda_kernelERKNSB_10TensorBaseESF_lENKUlvE_clEvENKUlvE0_clEvEUlffE_fEEDaPvRmT3_T4_T5_mT6_P12ihipStream_tbENKUlT_T0_E_clISt17integral_constantIbLb1EESV_IbLb0EEEEDaSR_SS_EUlSR_E0_NS1_11comp_targetILNS1_3genE0ELNS1_11target_archE4294967295ELNS1_3gpuE0ELNS1_3repE0EEENS1_30default_config_static_selectorELNS0_4arch9wavefront6targetE0EEEvT1_,"axG",@progbits,_ZN7rocprim17ROCPRIM_400000_NS6detail17trampoline_kernelINS0_14default_configENS1_20scan_config_selectorIfEEZZNS1_9scan_implILNS1_25lookback_scan_determinismE0ELb0ELb0ES3_PKfPffZZZN2at6native31launch_logcumsumexp_cuda_kernelERKNSB_10TensorBaseESF_lENKUlvE_clEvENKUlvE0_clEvEUlffE_fEEDaPvRmT3_T4_T5_mT6_P12ihipStream_tbENKUlT_T0_E_clISt17integral_constantIbLb1EESV_IbLb0EEEEDaSR_SS_EUlSR_E0_NS1_11comp_targetILNS1_3genE0ELNS1_11target_archE4294967295ELNS1_3gpuE0ELNS1_3repE0EEENS1_30default_config_static_selectorELNS0_4arch9wavefront6targetE0EEEvT1_,comdat
.Lfunc_end143:
	.size	_ZN7rocprim17ROCPRIM_400000_NS6detail17trampoline_kernelINS0_14default_configENS1_20scan_config_selectorIfEEZZNS1_9scan_implILNS1_25lookback_scan_determinismE0ELb0ELb0ES3_PKfPffZZZN2at6native31launch_logcumsumexp_cuda_kernelERKNSB_10TensorBaseESF_lENKUlvE_clEvENKUlvE0_clEvEUlffE_fEEDaPvRmT3_T4_T5_mT6_P12ihipStream_tbENKUlT_T0_E_clISt17integral_constantIbLb1EESV_IbLb0EEEEDaSR_SS_EUlSR_E0_NS1_11comp_targetILNS1_3genE0ELNS1_11target_archE4294967295ELNS1_3gpuE0ELNS1_3repE0EEENS1_30default_config_static_selectorELNS0_4arch9wavefront6targetE0EEEvT1_, .Lfunc_end143-_ZN7rocprim17ROCPRIM_400000_NS6detail17trampoline_kernelINS0_14default_configENS1_20scan_config_selectorIfEEZZNS1_9scan_implILNS1_25lookback_scan_determinismE0ELb0ELb0ES3_PKfPffZZZN2at6native31launch_logcumsumexp_cuda_kernelERKNSB_10TensorBaseESF_lENKUlvE_clEvENKUlvE0_clEvEUlffE_fEEDaPvRmT3_T4_T5_mT6_P12ihipStream_tbENKUlT_T0_E_clISt17integral_constantIbLb1EESV_IbLb0EEEEDaSR_SS_EUlSR_E0_NS1_11comp_targetILNS1_3genE0ELNS1_11target_archE4294967295ELNS1_3gpuE0ELNS1_3repE0EEENS1_30default_config_static_selectorELNS0_4arch9wavefront6targetE0EEEvT1_
                                        ; -- End function
	.set _ZN7rocprim17ROCPRIM_400000_NS6detail17trampoline_kernelINS0_14default_configENS1_20scan_config_selectorIfEEZZNS1_9scan_implILNS1_25lookback_scan_determinismE0ELb0ELb0ES3_PKfPffZZZN2at6native31launch_logcumsumexp_cuda_kernelERKNSB_10TensorBaseESF_lENKUlvE_clEvENKUlvE0_clEvEUlffE_fEEDaPvRmT3_T4_T5_mT6_P12ihipStream_tbENKUlT_T0_E_clISt17integral_constantIbLb1EESV_IbLb0EEEEDaSR_SS_EUlSR_E0_NS1_11comp_targetILNS1_3genE0ELNS1_11target_archE4294967295ELNS1_3gpuE0ELNS1_3repE0EEENS1_30default_config_static_selectorELNS0_4arch9wavefront6targetE0EEEvT1_.num_vgpr, 0
	.set _ZN7rocprim17ROCPRIM_400000_NS6detail17trampoline_kernelINS0_14default_configENS1_20scan_config_selectorIfEEZZNS1_9scan_implILNS1_25lookback_scan_determinismE0ELb0ELb0ES3_PKfPffZZZN2at6native31launch_logcumsumexp_cuda_kernelERKNSB_10TensorBaseESF_lENKUlvE_clEvENKUlvE0_clEvEUlffE_fEEDaPvRmT3_T4_T5_mT6_P12ihipStream_tbENKUlT_T0_E_clISt17integral_constantIbLb1EESV_IbLb0EEEEDaSR_SS_EUlSR_E0_NS1_11comp_targetILNS1_3genE0ELNS1_11target_archE4294967295ELNS1_3gpuE0ELNS1_3repE0EEENS1_30default_config_static_selectorELNS0_4arch9wavefront6targetE0EEEvT1_.num_agpr, 0
	.set _ZN7rocprim17ROCPRIM_400000_NS6detail17trampoline_kernelINS0_14default_configENS1_20scan_config_selectorIfEEZZNS1_9scan_implILNS1_25lookback_scan_determinismE0ELb0ELb0ES3_PKfPffZZZN2at6native31launch_logcumsumexp_cuda_kernelERKNSB_10TensorBaseESF_lENKUlvE_clEvENKUlvE0_clEvEUlffE_fEEDaPvRmT3_T4_T5_mT6_P12ihipStream_tbENKUlT_T0_E_clISt17integral_constantIbLb1EESV_IbLb0EEEEDaSR_SS_EUlSR_E0_NS1_11comp_targetILNS1_3genE0ELNS1_11target_archE4294967295ELNS1_3gpuE0ELNS1_3repE0EEENS1_30default_config_static_selectorELNS0_4arch9wavefront6targetE0EEEvT1_.numbered_sgpr, 0
	.set _ZN7rocprim17ROCPRIM_400000_NS6detail17trampoline_kernelINS0_14default_configENS1_20scan_config_selectorIfEEZZNS1_9scan_implILNS1_25lookback_scan_determinismE0ELb0ELb0ES3_PKfPffZZZN2at6native31launch_logcumsumexp_cuda_kernelERKNSB_10TensorBaseESF_lENKUlvE_clEvENKUlvE0_clEvEUlffE_fEEDaPvRmT3_T4_T5_mT6_P12ihipStream_tbENKUlT_T0_E_clISt17integral_constantIbLb1EESV_IbLb0EEEEDaSR_SS_EUlSR_E0_NS1_11comp_targetILNS1_3genE0ELNS1_11target_archE4294967295ELNS1_3gpuE0ELNS1_3repE0EEENS1_30default_config_static_selectorELNS0_4arch9wavefront6targetE0EEEvT1_.num_named_barrier, 0
	.set _ZN7rocprim17ROCPRIM_400000_NS6detail17trampoline_kernelINS0_14default_configENS1_20scan_config_selectorIfEEZZNS1_9scan_implILNS1_25lookback_scan_determinismE0ELb0ELb0ES3_PKfPffZZZN2at6native31launch_logcumsumexp_cuda_kernelERKNSB_10TensorBaseESF_lENKUlvE_clEvENKUlvE0_clEvEUlffE_fEEDaPvRmT3_T4_T5_mT6_P12ihipStream_tbENKUlT_T0_E_clISt17integral_constantIbLb1EESV_IbLb0EEEEDaSR_SS_EUlSR_E0_NS1_11comp_targetILNS1_3genE0ELNS1_11target_archE4294967295ELNS1_3gpuE0ELNS1_3repE0EEENS1_30default_config_static_selectorELNS0_4arch9wavefront6targetE0EEEvT1_.private_seg_size, 0
	.set _ZN7rocprim17ROCPRIM_400000_NS6detail17trampoline_kernelINS0_14default_configENS1_20scan_config_selectorIfEEZZNS1_9scan_implILNS1_25lookback_scan_determinismE0ELb0ELb0ES3_PKfPffZZZN2at6native31launch_logcumsumexp_cuda_kernelERKNSB_10TensorBaseESF_lENKUlvE_clEvENKUlvE0_clEvEUlffE_fEEDaPvRmT3_T4_T5_mT6_P12ihipStream_tbENKUlT_T0_E_clISt17integral_constantIbLb1EESV_IbLb0EEEEDaSR_SS_EUlSR_E0_NS1_11comp_targetILNS1_3genE0ELNS1_11target_archE4294967295ELNS1_3gpuE0ELNS1_3repE0EEENS1_30default_config_static_selectorELNS0_4arch9wavefront6targetE0EEEvT1_.uses_vcc, 0
	.set _ZN7rocprim17ROCPRIM_400000_NS6detail17trampoline_kernelINS0_14default_configENS1_20scan_config_selectorIfEEZZNS1_9scan_implILNS1_25lookback_scan_determinismE0ELb0ELb0ES3_PKfPffZZZN2at6native31launch_logcumsumexp_cuda_kernelERKNSB_10TensorBaseESF_lENKUlvE_clEvENKUlvE0_clEvEUlffE_fEEDaPvRmT3_T4_T5_mT6_P12ihipStream_tbENKUlT_T0_E_clISt17integral_constantIbLb1EESV_IbLb0EEEEDaSR_SS_EUlSR_E0_NS1_11comp_targetILNS1_3genE0ELNS1_11target_archE4294967295ELNS1_3gpuE0ELNS1_3repE0EEENS1_30default_config_static_selectorELNS0_4arch9wavefront6targetE0EEEvT1_.uses_flat_scratch, 0
	.set _ZN7rocprim17ROCPRIM_400000_NS6detail17trampoline_kernelINS0_14default_configENS1_20scan_config_selectorIfEEZZNS1_9scan_implILNS1_25lookback_scan_determinismE0ELb0ELb0ES3_PKfPffZZZN2at6native31launch_logcumsumexp_cuda_kernelERKNSB_10TensorBaseESF_lENKUlvE_clEvENKUlvE0_clEvEUlffE_fEEDaPvRmT3_T4_T5_mT6_P12ihipStream_tbENKUlT_T0_E_clISt17integral_constantIbLb1EESV_IbLb0EEEEDaSR_SS_EUlSR_E0_NS1_11comp_targetILNS1_3genE0ELNS1_11target_archE4294967295ELNS1_3gpuE0ELNS1_3repE0EEENS1_30default_config_static_selectorELNS0_4arch9wavefront6targetE0EEEvT1_.has_dyn_sized_stack, 0
	.set _ZN7rocprim17ROCPRIM_400000_NS6detail17trampoline_kernelINS0_14default_configENS1_20scan_config_selectorIfEEZZNS1_9scan_implILNS1_25lookback_scan_determinismE0ELb0ELb0ES3_PKfPffZZZN2at6native31launch_logcumsumexp_cuda_kernelERKNSB_10TensorBaseESF_lENKUlvE_clEvENKUlvE0_clEvEUlffE_fEEDaPvRmT3_T4_T5_mT6_P12ihipStream_tbENKUlT_T0_E_clISt17integral_constantIbLb1EESV_IbLb0EEEEDaSR_SS_EUlSR_E0_NS1_11comp_targetILNS1_3genE0ELNS1_11target_archE4294967295ELNS1_3gpuE0ELNS1_3repE0EEENS1_30default_config_static_selectorELNS0_4arch9wavefront6targetE0EEEvT1_.has_recursion, 0
	.set _ZN7rocprim17ROCPRIM_400000_NS6detail17trampoline_kernelINS0_14default_configENS1_20scan_config_selectorIfEEZZNS1_9scan_implILNS1_25lookback_scan_determinismE0ELb0ELb0ES3_PKfPffZZZN2at6native31launch_logcumsumexp_cuda_kernelERKNSB_10TensorBaseESF_lENKUlvE_clEvENKUlvE0_clEvEUlffE_fEEDaPvRmT3_T4_T5_mT6_P12ihipStream_tbENKUlT_T0_E_clISt17integral_constantIbLb1EESV_IbLb0EEEEDaSR_SS_EUlSR_E0_NS1_11comp_targetILNS1_3genE0ELNS1_11target_archE4294967295ELNS1_3gpuE0ELNS1_3repE0EEENS1_30default_config_static_selectorELNS0_4arch9wavefront6targetE0EEEvT1_.has_indirect_call, 0
	.section	.AMDGPU.csdata,"",@progbits
; Kernel info:
; codeLenInByte = 0
; TotalNumSgprs: 0
; NumVgprs: 0
; ScratchSize: 0
; MemoryBound: 0
; FloatMode: 240
; IeeeMode: 1
; LDSByteSize: 0 bytes/workgroup (compile time only)
; SGPRBlocks: 0
; VGPRBlocks: 0
; NumSGPRsForWavesPerEU: 1
; NumVGPRsForWavesPerEU: 1
; Occupancy: 16
; WaveLimiterHint : 0
; COMPUTE_PGM_RSRC2:SCRATCH_EN: 0
; COMPUTE_PGM_RSRC2:USER_SGPR: 6
; COMPUTE_PGM_RSRC2:TRAP_HANDLER: 0
; COMPUTE_PGM_RSRC2:TGID_X_EN: 1
; COMPUTE_PGM_RSRC2:TGID_Y_EN: 0
; COMPUTE_PGM_RSRC2:TGID_Z_EN: 0
; COMPUTE_PGM_RSRC2:TIDIG_COMP_CNT: 0
	.section	.text._ZN7rocprim17ROCPRIM_400000_NS6detail17trampoline_kernelINS0_14default_configENS1_20scan_config_selectorIfEEZZNS1_9scan_implILNS1_25lookback_scan_determinismE0ELb0ELb0ES3_PKfPffZZZN2at6native31launch_logcumsumexp_cuda_kernelERKNSB_10TensorBaseESF_lENKUlvE_clEvENKUlvE0_clEvEUlffE_fEEDaPvRmT3_T4_T5_mT6_P12ihipStream_tbENKUlT_T0_E_clISt17integral_constantIbLb1EESV_IbLb0EEEEDaSR_SS_EUlSR_E0_NS1_11comp_targetILNS1_3genE5ELNS1_11target_archE942ELNS1_3gpuE9ELNS1_3repE0EEENS1_30default_config_static_selectorELNS0_4arch9wavefront6targetE0EEEvT1_,"axG",@progbits,_ZN7rocprim17ROCPRIM_400000_NS6detail17trampoline_kernelINS0_14default_configENS1_20scan_config_selectorIfEEZZNS1_9scan_implILNS1_25lookback_scan_determinismE0ELb0ELb0ES3_PKfPffZZZN2at6native31launch_logcumsumexp_cuda_kernelERKNSB_10TensorBaseESF_lENKUlvE_clEvENKUlvE0_clEvEUlffE_fEEDaPvRmT3_T4_T5_mT6_P12ihipStream_tbENKUlT_T0_E_clISt17integral_constantIbLb1EESV_IbLb0EEEEDaSR_SS_EUlSR_E0_NS1_11comp_targetILNS1_3genE5ELNS1_11target_archE942ELNS1_3gpuE9ELNS1_3repE0EEENS1_30default_config_static_selectorELNS0_4arch9wavefront6targetE0EEEvT1_,comdat
	.globl	_ZN7rocprim17ROCPRIM_400000_NS6detail17trampoline_kernelINS0_14default_configENS1_20scan_config_selectorIfEEZZNS1_9scan_implILNS1_25lookback_scan_determinismE0ELb0ELb0ES3_PKfPffZZZN2at6native31launch_logcumsumexp_cuda_kernelERKNSB_10TensorBaseESF_lENKUlvE_clEvENKUlvE0_clEvEUlffE_fEEDaPvRmT3_T4_T5_mT6_P12ihipStream_tbENKUlT_T0_E_clISt17integral_constantIbLb1EESV_IbLb0EEEEDaSR_SS_EUlSR_E0_NS1_11comp_targetILNS1_3genE5ELNS1_11target_archE942ELNS1_3gpuE9ELNS1_3repE0EEENS1_30default_config_static_selectorELNS0_4arch9wavefront6targetE0EEEvT1_ ; -- Begin function _ZN7rocprim17ROCPRIM_400000_NS6detail17trampoline_kernelINS0_14default_configENS1_20scan_config_selectorIfEEZZNS1_9scan_implILNS1_25lookback_scan_determinismE0ELb0ELb0ES3_PKfPffZZZN2at6native31launch_logcumsumexp_cuda_kernelERKNSB_10TensorBaseESF_lENKUlvE_clEvENKUlvE0_clEvEUlffE_fEEDaPvRmT3_T4_T5_mT6_P12ihipStream_tbENKUlT_T0_E_clISt17integral_constantIbLb1EESV_IbLb0EEEEDaSR_SS_EUlSR_E0_NS1_11comp_targetILNS1_3genE5ELNS1_11target_archE942ELNS1_3gpuE9ELNS1_3repE0EEENS1_30default_config_static_selectorELNS0_4arch9wavefront6targetE0EEEvT1_
	.p2align	8
	.type	_ZN7rocprim17ROCPRIM_400000_NS6detail17trampoline_kernelINS0_14default_configENS1_20scan_config_selectorIfEEZZNS1_9scan_implILNS1_25lookback_scan_determinismE0ELb0ELb0ES3_PKfPffZZZN2at6native31launch_logcumsumexp_cuda_kernelERKNSB_10TensorBaseESF_lENKUlvE_clEvENKUlvE0_clEvEUlffE_fEEDaPvRmT3_T4_T5_mT6_P12ihipStream_tbENKUlT_T0_E_clISt17integral_constantIbLb1EESV_IbLb0EEEEDaSR_SS_EUlSR_E0_NS1_11comp_targetILNS1_3genE5ELNS1_11target_archE942ELNS1_3gpuE9ELNS1_3repE0EEENS1_30default_config_static_selectorELNS0_4arch9wavefront6targetE0EEEvT1_,@function
_ZN7rocprim17ROCPRIM_400000_NS6detail17trampoline_kernelINS0_14default_configENS1_20scan_config_selectorIfEEZZNS1_9scan_implILNS1_25lookback_scan_determinismE0ELb0ELb0ES3_PKfPffZZZN2at6native31launch_logcumsumexp_cuda_kernelERKNSB_10TensorBaseESF_lENKUlvE_clEvENKUlvE0_clEvEUlffE_fEEDaPvRmT3_T4_T5_mT6_P12ihipStream_tbENKUlT_T0_E_clISt17integral_constantIbLb1EESV_IbLb0EEEEDaSR_SS_EUlSR_E0_NS1_11comp_targetILNS1_3genE5ELNS1_11target_archE942ELNS1_3gpuE9ELNS1_3repE0EEENS1_30default_config_static_selectorELNS0_4arch9wavefront6targetE0EEEvT1_: ; @_ZN7rocprim17ROCPRIM_400000_NS6detail17trampoline_kernelINS0_14default_configENS1_20scan_config_selectorIfEEZZNS1_9scan_implILNS1_25lookback_scan_determinismE0ELb0ELb0ES3_PKfPffZZZN2at6native31launch_logcumsumexp_cuda_kernelERKNSB_10TensorBaseESF_lENKUlvE_clEvENKUlvE0_clEvEUlffE_fEEDaPvRmT3_T4_T5_mT6_P12ihipStream_tbENKUlT_T0_E_clISt17integral_constantIbLb1EESV_IbLb0EEEEDaSR_SS_EUlSR_E0_NS1_11comp_targetILNS1_3genE5ELNS1_11target_archE942ELNS1_3gpuE9ELNS1_3repE0EEENS1_30default_config_static_selectorELNS0_4arch9wavefront6targetE0EEEvT1_
; %bb.0:
	.section	.rodata,"a",@progbits
	.p2align	6, 0x0
	.amdhsa_kernel _ZN7rocprim17ROCPRIM_400000_NS6detail17trampoline_kernelINS0_14default_configENS1_20scan_config_selectorIfEEZZNS1_9scan_implILNS1_25lookback_scan_determinismE0ELb0ELb0ES3_PKfPffZZZN2at6native31launch_logcumsumexp_cuda_kernelERKNSB_10TensorBaseESF_lENKUlvE_clEvENKUlvE0_clEvEUlffE_fEEDaPvRmT3_T4_T5_mT6_P12ihipStream_tbENKUlT_T0_E_clISt17integral_constantIbLb1EESV_IbLb0EEEEDaSR_SS_EUlSR_E0_NS1_11comp_targetILNS1_3genE5ELNS1_11target_archE942ELNS1_3gpuE9ELNS1_3repE0EEENS1_30default_config_static_selectorELNS0_4arch9wavefront6targetE0EEEvT1_
		.amdhsa_group_segment_fixed_size 0
		.amdhsa_private_segment_fixed_size 0
		.amdhsa_kernarg_size 32
		.amdhsa_user_sgpr_count 6
		.amdhsa_user_sgpr_private_segment_buffer 1
		.amdhsa_user_sgpr_dispatch_ptr 0
		.amdhsa_user_sgpr_queue_ptr 0
		.amdhsa_user_sgpr_kernarg_segment_ptr 1
		.amdhsa_user_sgpr_dispatch_id 0
		.amdhsa_user_sgpr_flat_scratch_init 0
		.amdhsa_user_sgpr_private_segment_size 0
		.amdhsa_wavefront_size32 1
		.amdhsa_uses_dynamic_stack 0
		.amdhsa_system_sgpr_private_segment_wavefront_offset 0
		.amdhsa_system_sgpr_workgroup_id_x 1
		.amdhsa_system_sgpr_workgroup_id_y 0
		.amdhsa_system_sgpr_workgroup_id_z 0
		.amdhsa_system_sgpr_workgroup_info 0
		.amdhsa_system_vgpr_workitem_id 0
		.amdhsa_next_free_vgpr 1
		.amdhsa_next_free_sgpr 1
		.amdhsa_reserve_vcc 0
		.amdhsa_reserve_flat_scratch 0
		.amdhsa_float_round_mode_32 0
		.amdhsa_float_round_mode_16_64 0
		.amdhsa_float_denorm_mode_32 3
		.amdhsa_float_denorm_mode_16_64 3
		.amdhsa_dx10_clamp 1
		.amdhsa_ieee_mode 1
		.amdhsa_fp16_overflow 0
		.amdhsa_workgroup_processor_mode 1
		.amdhsa_memory_ordered 1
		.amdhsa_forward_progress 1
		.amdhsa_shared_vgpr_count 0
		.amdhsa_exception_fp_ieee_invalid_op 0
		.amdhsa_exception_fp_denorm_src 0
		.amdhsa_exception_fp_ieee_div_zero 0
		.amdhsa_exception_fp_ieee_overflow 0
		.amdhsa_exception_fp_ieee_underflow 0
		.amdhsa_exception_fp_ieee_inexact 0
		.amdhsa_exception_int_div_zero 0
	.end_amdhsa_kernel
	.section	.text._ZN7rocprim17ROCPRIM_400000_NS6detail17trampoline_kernelINS0_14default_configENS1_20scan_config_selectorIfEEZZNS1_9scan_implILNS1_25lookback_scan_determinismE0ELb0ELb0ES3_PKfPffZZZN2at6native31launch_logcumsumexp_cuda_kernelERKNSB_10TensorBaseESF_lENKUlvE_clEvENKUlvE0_clEvEUlffE_fEEDaPvRmT3_T4_T5_mT6_P12ihipStream_tbENKUlT_T0_E_clISt17integral_constantIbLb1EESV_IbLb0EEEEDaSR_SS_EUlSR_E0_NS1_11comp_targetILNS1_3genE5ELNS1_11target_archE942ELNS1_3gpuE9ELNS1_3repE0EEENS1_30default_config_static_selectorELNS0_4arch9wavefront6targetE0EEEvT1_,"axG",@progbits,_ZN7rocprim17ROCPRIM_400000_NS6detail17trampoline_kernelINS0_14default_configENS1_20scan_config_selectorIfEEZZNS1_9scan_implILNS1_25lookback_scan_determinismE0ELb0ELb0ES3_PKfPffZZZN2at6native31launch_logcumsumexp_cuda_kernelERKNSB_10TensorBaseESF_lENKUlvE_clEvENKUlvE0_clEvEUlffE_fEEDaPvRmT3_T4_T5_mT6_P12ihipStream_tbENKUlT_T0_E_clISt17integral_constantIbLb1EESV_IbLb0EEEEDaSR_SS_EUlSR_E0_NS1_11comp_targetILNS1_3genE5ELNS1_11target_archE942ELNS1_3gpuE9ELNS1_3repE0EEENS1_30default_config_static_selectorELNS0_4arch9wavefront6targetE0EEEvT1_,comdat
.Lfunc_end144:
	.size	_ZN7rocprim17ROCPRIM_400000_NS6detail17trampoline_kernelINS0_14default_configENS1_20scan_config_selectorIfEEZZNS1_9scan_implILNS1_25lookback_scan_determinismE0ELb0ELb0ES3_PKfPffZZZN2at6native31launch_logcumsumexp_cuda_kernelERKNSB_10TensorBaseESF_lENKUlvE_clEvENKUlvE0_clEvEUlffE_fEEDaPvRmT3_T4_T5_mT6_P12ihipStream_tbENKUlT_T0_E_clISt17integral_constantIbLb1EESV_IbLb0EEEEDaSR_SS_EUlSR_E0_NS1_11comp_targetILNS1_3genE5ELNS1_11target_archE942ELNS1_3gpuE9ELNS1_3repE0EEENS1_30default_config_static_selectorELNS0_4arch9wavefront6targetE0EEEvT1_, .Lfunc_end144-_ZN7rocprim17ROCPRIM_400000_NS6detail17trampoline_kernelINS0_14default_configENS1_20scan_config_selectorIfEEZZNS1_9scan_implILNS1_25lookback_scan_determinismE0ELb0ELb0ES3_PKfPffZZZN2at6native31launch_logcumsumexp_cuda_kernelERKNSB_10TensorBaseESF_lENKUlvE_clEvENKUlvE0_clEvEUlffE_fEEDaPvRmT3_T4_T5_mT6_P12ihipStream_tbENKUlT_T0_E_clISt17integral_constantIbLb1EESV_IbLb0EEEEDaSR_SS_EUlSR_E0_NS1_11comp_targetILNS1_3genE5ELNS1_11target_archE942ELNS1_3gpuE9ELNS1_3repE0EEENS1_30default_config_static_selectorELNS0_4arch9wavefront6targetE0EEEvT1_
                                        ; -- End function
	.set _ZN7rocprim17ROCPRIM_400000_NS6detail17trampoline_kernelINS0_14default_configENS1_20scan_config_selectorIfEEZZNS1_9scan_implILNS1_25lookback_scan_determinismE0ELb0ELb0ES3_PKfPffZZZN2at6native31launch_logcumsumexp_cuda_kernelERKNSB_10TensorBaseESF_lENKUlvE_clEvENKUlvE0_clEvEUlffE_fEEDaPvRmT3_T4_T5_mT6_P12ihipStream_tbENKUlT_T0_E_clISt17integral_constantIbLb1EESV_IbLb0EEEEDaSR_SS_EUlSR_E0_NS1_11comp_targetILNS1_3genE5ELNS1_11target_archE942ELNS1_3gpuE9ELNS1_3repE0EEENS1_30default_config_static_selectorELNS0_4arch9wavefront6targetE0EEEvT1_.num_vgpr, 0
	.set _ZN7rocprim17ROCPRIM_400000_NS6detail17trampoline_kernelINS0_14default_configENS1_20scan_config_selectorIfEEZZNS1_9scan_implILNS1_25lookback_scan_determinismE0ELb0ELb0ES3_PKfPffZZZN2at6native31launch_logcumsumexp_cuda_kernelERKNSB_10TensorBaseESF_lENKUlvE_clEvENKUlvE0_clEvEUlffE_fEEDaPvRmT3_T4_T5_mT6_P12ihipStream_tbENKUlT_T0_E_clISt17integral_constantIbLb1EESV_IbLb0EEEEDaSR_SS_EUlSR_E0_NS1_11comp_targetILNS1_3genE5ELNS1_11target_archE942ELNS1_3gpuE9ELNS1_3repE0EEENS1_30default_config_static_selectorELNS0_4arch9wavefront6targetE0EEEvT1_.num_agpr, 0
	.set _ZN7rocprim17ROCPRIM_400000_NS6detail17trampoline_kernelINS0_14default_configENS1_20scan_config_selectorIfEEZZNS1_9scan_implILNS1_25lookback_scan_determinismE0ELb0ELb0ES3_PKfPffZZZN2at6native31launch_logcumsumexp_cuda_kernelERKNSB_10TensorBaseESF_lENKUlvE_clEvENKUlvE0_clEvEUlffE_fEEDaPvRmT3_T4_T5_mT6_P12ihipStream_tbENKUlT_T0_E_clISt17integral_constantIbLb1EESV_IbLb0EEEEDaSR_SS_EUlSR_E0_NS1_11comp_targetILNS1_3genE5ELNS1_11target_archE942ELNS1_3gpuE9ELNS1_3repE0EEENS1_30default_config_static_selectorELNS0_4arch9wavefront6targetE0EEEvT1_.numbered_sgpr, 0
	.set _ZN7rocprim17ROCPRIM_400000_NS6detail17trampoline_kernelINS0_14default_configENS1_20scan_config_selectorIfEEZZNS1_9scan_implILNS1_25lookback_scan_determinismE0ELb0ELb0ES3_PKfPffZZZN2at6native31launch_logcumsumexp_cuda_kernelERKNSB_10TensorBaseESF_lENKUlvE_clEvENKUlvE0_clEvEUlffE_fEEDaPvRmT3_T4_T5_mT6_P12ihipStream_tbENKUlT_T0_E_clISt17integral_constantIbLb1EESV_IbLb0EEEEDaSR_SS_EUlSR_E0_NS1_11comp_targetILNS1_3genE5ELNS1_11target_archE942ELNS1_3gpuE9ELNS1_3repE0EEENS1_30default_config_static_selectorELNS0_4arch9wavefront6targetE0EEEvT1_.num_named_barrier, 0
	.set _ZN7rocprim17ROCPRIM_400000_NS6detail17trampoline_kernelINS0_14default_configENS1_20scan_config_selectorIfEEZZNS1_9scan_implILNS1_25lookback_scan_determinismE0ELb0ELb0ES3_PKfPffZZZN2at6native31launch_logcumsumexp_cuda_kernelERKNSB_10TensorBaseESF_lENKUlvE_clEvENKUlvE0_clEvEUlffE_fEEDaPvRmT3_T4_T5_mT6_P12ihipStream_tbENKUlT_T0_E_clISt17integral_constantIbLb1EESV_IbLb0EEEEDaSR_SS_EUlSR_E0_NS1_11comp_targetILNS1_3genE5ELNS1_11target_archE942ELNS1_3gpuE9ELNS1_3repE0EEENS1_30default_config_static_selectorELNS0_4arch9wavefront6targetE0EEEvT1_.private_seg_size, 0
	.set _ZN7rocprim17ROCPRIM_400000_NS6detail17trampoline_kernelINS0_14default_configENS1_20scan_config_selectorIfEEZZNS1_9scan_implILNS1_25lookback_scan_determinismE0ELb0ELb0ES3_PKfPffZZZN2at6native31launch_logcumsumexp_cuda_kernelERKNSB_10TensorBaseESF_lENKUlvE_clEvENKUlvE0_clEvEUlffE_fEEDaPvRmT3_T4_T5_mT6_P12ihipStream_tbENKUlT_T0_E_clISt17integral_constantIbLb1EESV_IbLb0EEEEDaSR_SS_EUlSR_E0_NS1_11comp_targetILNS1_3genE5ELNS1_11target_archE942ELNS1_3gpuE9ELNS1_3repE0EEENS1_30default_config_static_selectorELNS0_4arch9wavefront6targetE0EEEvT1_.uses_vcc, 0
	.set _ZN7rocprim17ROCPRIM_400000_NS6detail17trampoline_kernelINS0_14default_configENS1_20scan_config_selectorIfEEZZNS1_9scan_implILNS1_25lookback_scan_determinismE0ELb0ELb0ES3_PKfPffZZZN2at6native31launch_logcumsumexp_cuda_kernelERKNSB_10TensorBaseESF_lENKUlvE_clEvENKUlvE0_clEvEUlffE_fEEDaPvRmT3_T4_T5_mT6_P12ihipStream_tbENKUlT_T0_E_clISt17integral_constantIbLb1EESV_IbLb0EEEEDaSR_SS_EUlSR_E0_NS1_11comp_targetILNS1_3genE5ELNS1_11target_archE942ELNS1_3gpuE9ELNS1_3repE0EEENS1_30default_config_static_selectorELNS0_4arch9wavefront6targetE0EEEvT1_.uses_flat_scratch, 0
	.set _ZN7rocprim17ROCPRIM_400000_NS6detail17trampoline_kernelINS0_14default_configENS1_20scan_config_selectorIfEEZZNS1_9scan_implILNS1_25lookback_scan_determinismE0ELb0ELb0ES3_PKfPffZZZN2at6native31launch_logcumsumexp_cuda_kernelERKNSB_10TensorBaseESF_lENKUlvE_clEvENKUlvE0_clEvEUlffE_fEEDaPvRmT3_T4_T5_mT6_P12ihipStream_tbENKUlT_T0_E_clISt17integral_constantIbLb1EESV_IbLb0EEEEDaSR_SS_EUlSR_E0_NS1_11comp_targetILNS1_3genE5ELNS1_11target_archE942ELNS1_3gpuE9ELNS1_3repE0EEENS1_30default_config_static_selectorELNS0_4arch9wavefront6targetE0EEEvT1_.has_dyn_sized_stack, 0
	.set _ZN7rocprim17ROCPRIM_400000_NS6detail17trampoline_kernelINS0_14default_configENS1_20scan_config_selectorIfEEZZNS1_9scan_implILNS1_25lookback_scan_determinismE0ELb0ELb0ES3_PKfPffZZZN2at6native31launch_logcumsumexp_cuda_kernelERKNSB_10TensorBaseESF_lENKUlvE_clEvENKUlvE0_clEvEUlffE_fEEDaPvRmT3_T4_T5_mT6_P12ihipStream_tbENKUlT_T0_E_clISt17integral_constantIbLb1EESV_IbLb0EEEEDaSR_SS_EUlSR_E0_NS1_11comp_targetILNS1_3genE5ELNS1_11target_archE942ELNS1_3gpuE9ELNS1_3repE0EEENS1_30default_config_static_selectorELNS0_4arch9wavefront6targetE0EEEvT1_.has_recursion, 0
	.set _ZN7rocprim17ROCPRIM_400000_NS6detail17trampoline_kernelINS0_14default_configENS1_20scan_config_selectorIfEEZZNS1_9scan_implILNS1_25lookback_scan_determinismE0ELb0ELb0ES3_PKfPffZZZN2at6native31launch_logcumsumexp_cuda_kernelERKNSB_10TensorBaseESF_lENKUlvE_clEvENKUlvE0_clEvEUlffE_fEEDaPvRmT3_T4_T5_mT6_P12ihipStream_tbENKUlT_T0_E_clISt17integral_constantIbLb1EESV_IbLb0EEEEDaSR_SS_EUlSR_E0_NS1_11comp_targetILNS1_3genE5ELNS1_11target_archE942ELNS1_3gpuE9ELNS1_3repE0EEENS1_30default_config_static_selectorELNS0_4arch9wavefront6targetE0EEEvT1_.has_indirect_call, 0
	.section	.AMDGPU.csdata,"",@progbits
; Kernel info:
; codeLenInByte = 0
; TotalNumSgprs: 0
; NumVgprs: 0
; ScratchSize: 0
; MemoryBound: 0
; FloatMode: 240
; IeeeMode: 1
; LDSByteSize: 0 bytes/workgroup (compile time only)
; SGPRBlocks: 0
; VGPRBlocks: 0
; NumSGPRsForWavesPerEU: 1
; NumVGPRsForWavesPerEU: 1
; Occupancy: 16
; WaveLimiterHint : 0
; COMPUTE_PGM_RSRC2:SCRATCH_EN: 0
; COMPUTE_PGM_RSRC2:USER_SGPR: 6
; COMPUTE_PGM_RSRC2:TRAP_HANDLER: 0
; COMPUTE_PGM_RSRC2:TGID_X_EN: 1
; COMPUTE_PGM_RSRC2:TGID_Y_EN: 0
; COMPUTE_PGM_RSRC2:TGID_Z_EN: 0
; COMPUTE_PGM_RSRC2:TIDIG_COMP_CNT: 0
	.section	.text._ZN7rocprim17ROCPRIM_400000_NS6detail17trampoline_kernelINS0_14default_configENS1_20scan_config_selectorIfEEZZNS1_9scan_implILNS1_25lookback_scan_determinismE0ELb0ELb0ES3_PKfPffZZZN2at6native31launch_logcumsumexp_cuda_kernelERKNSB_10TensorBaseESF_lENKUlvE_clEvENKUlvE0_clEvEUlffE_fEEDaPvRmT3_T4_T5_mT6_P12ihipStream_tbENKUlT_T0_E_clISt17integral_constantIbLb1EESV_IbLb0EEEEDaSR_SS_EUlSR_E0_NS1_11comp_targetILNS1_3genE4ELNS1_11target_archE910ELNS1_3gpuE8ELNS1_3repE0EEENS1_30default_config_static_selectorELNS0_4arch9wavefront6targetE0EEEvT1_,"axG",@progbits,_ZN7rocprim17ROCPRIM_400000_NS6detail17trampoline_kernelINS0_14default_configENS1_20scan_config_selectorIfEEZZNS1_9scan_implILNS1_25lookback_scan_determinismE0ELb0ELb0ES3_PKfPffZZZN2at6native31launch_logcumsumexp_cuda_kernelERKNSB_10TensorBaseESF_lENKUlvE_clEvENKUlvE0_clEvEUlffE_fEEDaPvRmT3_T4_T5_mT6_P12ihipStream_tbENKUlT_T0_E_clISt17integral_constantIbLb1EESV_IbLb0EEEEDaSR_SS_EUlSR_E0_NS1_11comp_targetILNS1_3genE4ELNS1_11target_archE910ELNS1_3gpuE8ELNS1_3repE0EEENS1_30default_config_static_selectorELNS0_4arch9wavefront6targetE0EEEvT1_,comdat
	.globl	_ZN7rocprim17ROCPRIM_400000_NS6detail17trampoline_kernelINS0_14default_configENS1_20scan_config_selectorIfEEZZNS1_9scan_implILNS1_25lookback_scan_determinismE0ELb0ELb0ES3_PKfPffZZZN2at6native31launch_logcumsumexp_cuda_kernelERKNSB_10TensorBaseESF_lENKUlvE_clEvENKUlvE0_clEvEUlffE_fEEDaPvRmT3_T4_T5_mT6_P12ihipStream_tbENKUlT_T0_E_clISt17integral_constantIbLb1EESV_IbLb0EEEEDaSR_SS_EUlSR_E0_NS1_11comp_targetILNS1_3genE4ELNS1_11target_archE910ELNS1_3gpuE8ELNS1_3repE0EEENS1_30default_config_static_selectorELNS0_4arch9wavefront6targetE0EEEvT1_ ; -- Begin function _ZN7rocprim17ROCPRIM_400000_NS6detail17trampoline_kernelINS0_14default_configENS1_20scan_config_selectorIfEEZZNS1_9scan_implILNS1_25lookback_scan_determinismE0ELb0ELb0ES3_PKfPffZZZN2at6native31launch_logcumsumexp_cuda_kernelERKNSB_10TensorBaseESF_lENKUlvE_clEvENKUlvE0_clEvEUlffE_fEEDaPvRmT3_T4_T5_mT6_P12ihipStream_tbENKUlT_T0_E_clISt17integral_constantIbLb1EESV_IbLb0EEEEDaSR_SS_EUlSR_E0_NS1_11comp_targetILNS1_3genE4ELNS1_11target_archE910ELNS1_3gpuE8ELNS1_3repE0EEENS1_30default_config_static_selectorELNS0_4arch9wavefront6targetE0EEEvT1_
	.p2align	8
	.type	_ZN7rocprim17ROCPRIM_400000_NS6detail17trampoline_kernelINS0_14default_configENS1_20scan_config_selectorIfEEZZNS1_9scan_implILNS1_25lookback_scan_determinismE0ELb0ELb0ES3_PKfPffZZZN2at6native31launch_logcumsumexp_cuda_kernelERKNSB_10TensorBaseESF_lENKUlvE_clEvENKUlvE0_clEvEUlffE_fEEDaPvRmT3_T4_T5_mT6_P12ihipStream_tbENKUlT_T0_E_clISt17integral_constantIbLb1EESV_IbLb0EEEEDaSR_SS_EUlSR_E0_NS1_11comp_targetILNS1_3genE4ELNS1_11target_archE910ELNS1_3gpuE8ELNS1_3repE0EEENS1_30default_config_static_selectorELNS0_4arch9wavefront6targetE0EEEvT1_,@function
_ZN7rocprim17ROCPRIM_400000_NS6detail17trampoline_kernelINS0_14default_configENS1_20scan_config_selectorIfEEZZNS1_9scan_implILNS1_25lookback_scan_determinismE0ELb0ELb0ES3_PKfPffZZZN2at6native31launch_logcumsumexp_cuda_kernelERKNSB_10TensorBaseESF_lENKUlvE_clEvENKUlvE0_clEvEUlffE_fEEDaPvRmT3_T4_T5_mT6_P12ihipStream_tbENKUlT_T0_E_clISt17integral_constantIbLb1EESV_IbLb0EEEEDaSR_SS_EUlSR_E0_NS1_11comp_targetILNS1_3genE4ELNS1_11target_archE910ELNS1_3gpuE8ELNS1_3repE0EEENS1_30default_config_static_selectorELNS0_4arch9wavefront6targetE0EEEvT1_: ; @_ZN7rocprim17ROCPRIM_400000_NS6detail17trampoline_kernelINS0_14default_configENS1_20scan_config_selectorIfEEZZNS1_9scan_implILNS1_25lookback_scan_determinismE0ELb0ELb0ES3_PKfPffZZZN2at6native31launch_logcumsumexp_cuda_kernelERKNSB_10TensorBaseESF_lENKUlvE_clEvENKUlvE0_clEvEUlffE_fEEDaPvRmT3_T4_T5_mT6_P12ihipStream_tbENKUlT_T0_E_clISt17integral_constantIbLb1EESV_IbLb0EEEEDaSR_SS_EUlSR_E0_NS1_11comp_targetILNS1_3genE4ELNS1_11target_archE910ELNS1_3gpuE8ELNS1_3repE0EEENS1_30default_config_static_selectorELNS0_4arch9wavefront6targetE0EEEvT1_
; %bb.0:
	.section	.rodata,"a",@progbits
	.p2align	6, 0x0
	.amdhsa_kernel _ZN7rocprim17ROCPRIM_400000_NS6detail17trampoline_kernelINS0_14default_configENS1_20scan_config_selectorIfEEZZNS1_9scan_implILNS1_25lookback_scan_determinismE0ELb0ELb0ES3_PKfPffZZZN2at6native31launch_logcumsumexp_cuda_kernelERKNSB_10TensorBaseESF_lENKUlvE_clEvENKUlvE0_clEvEUlffE_fEEDaPvRmT3_T4_T5_mT6_P12ihipStream_tbENKUlT_T0_E_clISt17integral_constantIbLb1EESV_IbLb0EEEEDaSR_SS_EUlSR_E0_NS1_11comp_targetILNS1_3genE4ELNS1_11target_archE910ELNS1_3gpuE8ELNS1_3repE0EEENS1_30default_config_static_selectorELNS0_4arch9wavefront6targetE0EEEvT1_
		.amdhsa_group_segment_fixed_size 0
		.amdhsa_private_segment_fixed_size 0
		.amdhsa_kernarg_size 32
		.amdhsa_user_sgpr_count 6
		.amdhsa_user_sgpr_private_segment_buffer 1
		.amdhsa_user_sgpr_dispatch_ptr 0
		.amdhsa_user_sgpr_queue_ptr 0
		.amdhsa_user_sgpr_kernarg_segment_ptr 1
		.amdhsa_user_sgpr_dispatch_id 0
		.amdhsa_user_sgpr_flat_scratch_init 0
		.amdhsa_user_sgpr_private_segment_size 0
		.amdhsa_wavefront_size32 1
		.amdhsa_uses_dynamic_stack 0
		.amdhsa_system_sgpr_private_segment_wavefront_offset 0
		.amdhsa_system_sgpr_workgroup_id_x 1
		.amdhsa_system_sgpr_workgroup_id_y 0
		.amdhsa_system_sgpr_workgroup_id_z 0
		.amdhsa_system_sgpr_workgroup_info 0
		.amdhsa_system_vgpr_workitem_id 0
		.amdhsa_next_free_vgpr 1
		.amdhsa_next_free_sgpr 1
		.amdhsa_reserve_vcc 0
		.amdhsa_reserve_flat_scratch 0
		.amdhsa_float_round_mode_32 0
		.amdhsa_float_round_mode_16_64 0
		.amdhsa_float_denorm_mode_32 3
		.amdhsa_float_denorm_mode_16_64 3
		.amdhsa_dx10_clamp 1
		.amdhsa_ieee_mode 1
		.amdhsa_fp16_overflow 0
		.amdhsa_workgroup_processor_mode 1
		.amdhsa_memory_ordered 1
		.amdhsa_forward_progress 1
		.amdhsa_shared_vgpr_count 0
		.amdhsa_exception_fp_ieee_invalid_op 0
		.amdhsa_exception_fp_denorm_src 0
		.amdhsa_exception_fp_ieee_div_zero 0
		.amdhsa_exception_fp_ieee_overflow 0
		.amdhsa_exception_fp_ieee_underflow 0
		.amdhsa_exception_fp_ieee_inexact 0
		.amdhsa_exception_int_div_zero 0
	.end_amdhsa_kernel
	.section	.text._ZN7rocprim17ROCPRIM_400000_NS6detail17trampoline_kernelINS0_14default_configENS1_20scan_config_selectorIfEEZZNS1_9scan_implILNS1_25lookback_scan_determinismE0ELb0ELb0ES3_PKfPffZZZN2at6native31launch_logcumsumexp_cuda_kernelERKNSB_10TensorBaseESF_lENKUlvE_clEvENKUlvE0_clEvEUlffE_fEEDaPvRmT3_T4_T5_mT6_P12ihipStream_tbENKUlT_T0_E_clISt17integral_constantIbLb1EESV_IbLb0EEEEDaSR_SS_EUlSR_E0_NS1_11comp_targetILNS1_3genE4ELNS1_11target_archE910ELNS1_3gpuE8ELNS1_3repE0EEENS1_30default_config_static_selectorELNS0_4arch9wavefront6targetE0EEEvT1_,"axG",@progbits,_ZN7rocprim17ROCPRIM_400000_NS6detail17trampoline_kernelINS0_14default_configENS1_20scan_config_selectorIfEEZZNS1_9scan_implILNS1_25lookback_scan_determinismE0ELb0ELb0ES3_PKfPffZZZN2at6native31launch_logcumsumexp_cuda_kernelERKNSB_10TensorBaseESF_lENKUlvE_clEvENKUlvE0_clEvEUlffE_fEEDaPvRmT3_T4_T5_mT6_P12ihipStream_tbENKUlT_T0_E_clISt17integral_constantIbLb1EESV_IbLb0EEEEDaSR_SS_EUlSR_E0_NS1_11comp_targetILNS1_3genE4ELNS1_11target_archE910ELNS1_3gpuE8ELNS1_3repE0EEENS1_30default_config_static_selectorELNS0_4arch9wavefront6targetE0EEEvT1_,comdat
.Lfunc_end145:
	.size	_ZN7rocprim17ROCPRIM_400000_NS6detail17trampoline_kernelINS0_14default_configENS1_20scan_config_selectorIfEEZZNS1_9scan_implILNS1_25lookback_scan_determinismE0ELb0ELb0ES3_PKfPffZZZN2at6native31launch_logcumsumexp_cuda_kernelERKNSB_10TensorBaseESF_lENKUlvE_clEvENKUlvE0_clEvEUlffE_fEEDaPvRmT3_T4_T5_mT6_P12ihipStream_tbENKUlT_T0_E_clISt17integral_constantIbLb1EESV_IbLb0EEEEDaSR_SS_EUlSR_E0_NS1_11comp_targetILNS1_3genE4ELNS1_11target_archE910ELNS1_3gpuE8ELNS1_3repE0EEENS1_30default_config_static_selectorELNS0_4arch9wavefront6targetE0EEEvT1_, .Lfunc_end145-_ZN7rocprim17ROCPRIM_400000_NS6detail17trampoline_kernelINS0_14default_configENS1_20scan_config_selectorIfEEZZNS1_9scan_implILNS1_25lookback_scan_determinismE0ELb0ELb0ES3_PKfPffZZZN2at6native31launch_logcumsumexp_cuda_kernelERKNSB_10TensorBaseESF_lENKUlvE_clEvENKUlvE0_clEvEUlffE_fEEDaPvRmT3_T4_T5_mT6_P12ihipStream_tbENKUlT_T0_E_clISt17integral_constantIbLb1EESV_IbLb0EEEEDaSR_SS_EUlSR_E0_NS1_11comp_targetILNS1_3genE4ELNS1_11target_archE910ELNS1_3gpuE8ELNS1_3repE0EEENS1_30default_config_static_selectorELNS0_4arch9wavefront6targetE0EEEvT1_
                                        ; -- End function
	.set _ZN7rocprim17ROCPRIM_400000_NS6detail17trampoline_kernelINS0_14default_configENS1_20scan_config_selectorIfEEZZNS1_9scan_implILNS1_25lookback_scan_determinismE0ELb0ELb0ES3_PKfPffZZZN2at6native31launch_logcumsumexp_cuda_kernelERKNSB_10TensorBaseESF_lENKUlvE_clEvENKUlvE0_clEvEUlffE_fEEDaPvRmT3_T4_T5_mT6_P12ihipStream_tbENKUlT_T0_E_clISt17integral_constantIbLb1EESV_IbLb0EEEEDaSR_SS_EUlSR_E0_NS1_11comp_targetILNS1_3genE4ELNS1_11target_archE910ELNS1_3gpuE8ELNS1_3repE0EEENS1_30default_config_static_selectorELNS0_4arch9wavefront6targetE0EEEvT1_.num_vgpr, 0
	.set _ZN7rocprim17ROCPRIM_400000_NS6detail17trampoline_kernelINS0_14default_configENS1_20scan_config_selectorIfEEZZNS1_9scan_implILNS1_25lookback_scan_determinismE0ELb0ELb0ES3_PKfPffZZZN2at6native31launch_logcumsumexp_cuda_kernelERKNSB_10TensorBaseESF_lENKUlvE_clEvENKUlvE0_clEvEUlffE_fEEDaPvRmT3_T4_T5_mT6_P12ihipStream_tbENKUlT_T0_E_clISt17integral_constantIbLb1EESV_IbLb0EEEEDaSR_SS_EUlSR_E0_NS1_11comp_targetILNS1_3genE4ELNS1_11target_archE910ELNS1_3gpuE8ELNS1_3repE0EEENS1_30default_config_static_selectorELNS0_4arch9wavefront6targetE0EEEvT1_.num_agpr, 0
	.set _ZN7rocprim17ROCPRIM_400000_NS6detail17trampoline_kernelINS0_14default_configENS1_20scan_config_selectorIfEEZZNS1_9scan_implILNS1_25lookback_scan_determinismE0ELb0ELb0ES3_PKfPffZZZN2at6native31launch_logcumsumexp_cuda_kernelERKNSB_10TensorBaseESF_lENKUlvE_clEvENKUlvE0_clEvEUlffE_fEEDaPvRmT3_T4_T5_mT6_P12ihipStream_tbENKUlT_T0_E_clISt17integral_constantIbLb1EESV_IbLb0EEEEDaSR_SS_EUlSR_E0_NS1_11comp_targetILNS1_3genE4ELNS1_11target_archE910ELNS1_3gpuE8ELNS1_3repE0EEENS1_30default_config_static_selectorELNS0_4arch9wavefront6targetE0EEEvT1_.numbered_sgpr, 0
	.set _ZN7rocprim17ROCPRIM_400000_NS6detail17trampoline_kernelINS0_14default_configENS1_20scan_config_selectorIfEEZZNS1_9scan_implILNS1_25lookback_scan_determinismE0ELb0ELb0ES3_PKfPffZZZN2at6native31launch_logcumsumexp_cuda_kernelERKNSB_10TensorBaseESF_lENKUlvE_clEvENKUlvE0_clEvEUlffE_fEEDaPvRmT3_T4_T5_mT6_P12ihipStream_tbENKUlT_T0_E_clISt17integral_constantIbLb1EESV_IbLb0EEEEDaSR_SS_EUlSR_E0_NS1_11comp_targetILNS1_3genE4ELNS1_11target_archE910ELNS1_3gpuE8ELNS1_3repE0EEENS1_30default_config_static_selectorELNS0_4arch9wavefront6targetE0EEEvT1_.num_named_barrier, 0
	.set _ZN7rocprim17ROCPRIM_400000_NS6detail17trampoline_kernelINS0_14default_configENS1_20scan_config_selectorIfEEZZNS1_9scan_implILNS1_25lookback_scan_determinismE0ELb0ELb0ES3_PKfPffZZZN2at6native31launch_logcumsumexp_cuda_kernelERKNSB_10TensorBaseESF_lENKUlvE_clEvENKUlvE0_clEvEUlffE_fEEDaPvRmT3_T4_T5_mT6_P12ihipStream_tbENKUlT_T0_E_clISt17integral_constantIbLb1EESV_IbLb0EEEEDaSR_SS_EUlSR_E0_NS1_11comp_targetILNS1_3genE4ELNS1_11target_archE910ELNS1_3gpuE8ELNS1_3repE0EEENS1_30default_config_static_selectorELNS0_4arch9wavefront6targetE0EEEvT1_.private_seg_size, 0
	.set _ZN7rocprim17ROCPRIM_400000_NS6detail17trampoline_kernelINS0_14default_configENS1_20scan_config_selectorIfEEZZNS1_9scan_implILNS1_25lookback_scan_determinismE0ELb0ELb0ES3_PKfPffZZZN2at6native31launch_logcumsumexp_cuda_kernelERKNSB_10TensorBaseESF_lENKUlvE_clEvENKUlvE0_clEvEUlffE_fEEDaPvRmT3_T4_T5_mT6_P12ihipStream_tbENKUlT_T0_E_clISt17integral_constantIbLb1EESV_IbLb0EEEEDaSR_SS_EUlSR_E0_NS1_11comp_targetILNS1_3genE4ELNS1_11target_archE910ELNS1_3gpuE8ELNS1_3repE0EEENS1_30default_config_static_selectorELNS0_4arch9wavefront6targetE0EEEvT1_.uses_vcc, 0
	.set _ZN7rocprim17ROCPRIM_400000_NS6detail17trampoline_kernelINS0_14default_configENS1_20scan_config_selectorIfEEZZNS1_9scan_implILNS1_25lookback_scan_determinismE0ELb0ELb0ES3_PKfPffZZZN2at6native31launch_logcumsumexp_cuda_kernelERKNSB_10TensorBaseESF_lENKUlvE_clEvENKUlvE0_clEvEUlffE_fEEDaPvRmT3_T4_T5_mT6_P12ihipStream_tbENKUlT_T0_E_clISt17integral_constantIbLb1EESV_IbLb0EEEEDaSR_SS_EUlSR_E0_NS1_11comp_targetILNS1_3genE4ELNS1_11target_archE910ELNS1_3gpuE8ELNS1_3repE0EEENS1_30default_config_static_selectorELNS0_4arch9wavefront6targetE0EEEvT1_.uses_flat_scratch, 0
	.set _ZN7rocprim17ROCPRIM_400000_NS6detail17trampoline_kernelINS0_14default_configENS1_20scan_config_selectorIfEEZZNS1_9scan_implILNS1_25lookback_scan_determinismE0ELb0ELb0ES3_PKfPffZZZN2at6native31launch_logcumsumexp_cuda_kernelERKNSB_10TensorBaseESF_lENKUlvE_clEvENKUlvE0_clEvEUlffE_fEEDaPvRmT3_T4_T5_mT6_P12ihipStream_tbENKUlT_T0_E_clISt17integral_constantIbLb1EESV_IbLb0EEEEDaSR_SS_EUlSR_E0_NS1_11comp_targetILNS1_3genE4ELNS1_11target_archE910ELNS1_3gpuE8ELNS1_3repE0EEENS1_30default_config_static_selectorELNS0_4arch9wavefront6targetE0EEEvT1_.has_dyn_sized_stack, 0
	.set _ZN7rocprim17ROCPRIM_400000_NS6detail17trampoline_kernelINS0_14default_configENS1_20scan_config_selectorIfEEZZNS1_9scan_implILNS1_25lookback_scan_determinismE0ELb0ELb0ES3_PKfPffZZZN2at6native31launch_logcumsumexp_cuda_kernelERKNSB_10TensorBaseESF_lENKUlvE_clEvENKUlvE0_clEvEUlffE_fEEDaPvRmT3_T4_T5_mT6_P12ihipStream_tbENKUlT_T0_E_clISt17integral_constantIbLb1EESV_IbLb0EEEEDaSR_SS_EUlSR_E0_NS1_11comp_targetILNS1_3genE4ELNS1_11target_archE910ELNS1_3gpuE8ELNS1_3repE0EEENS1_30default_config_static_selectorELNS0_4arch9wavefront6targetE0EEEvT1_.has_recursion, 0
	.set _ZN7rocprim17ROCPRIM_400000_NS6detail17trampoline_kernelINS0_14default_configENS1_20scan_config_selectorIfEEZZNS1_9scan_implILNS1_25lookback_scan_determinismE0ELb0ELb0ES3_PKfPffZZZN2at6native31launch_logcumsumexp_cuda_kernelERKNSB_10TensorBaseESF_lENKUlvE_clEvENKUlvE0_clEvEUlffE_fEEDaPvRmT3_T4_T5_mT6_P12ihipStream_tbENKUlT_T0_E_clISt17integral_constantIbLb1EESV_IbLb0EEEEDaSR_SS_EUlSR_E0_NS1_11comp_targetILNS1_3genE4ELNS1_11target_archE910ELNS1_3gpuE8ELNS1_3repE0EEENS1_30default_config_static_selectorELNS0_4arch9wavefront6targetE0EEEvT1_.has_indirect_call, 0
	.section	.AMDGPU.csdata,"",@progbits
; Kernel info:
; codeLenInByte = 0
; TotalNumSgprs: 0
; NumVgprs: 0
; ScratchSize: 0
; MemoryBound: 0
; FloatMode: 240
; IeeeMode: 1
; LDSByteSize: 0 bytes/workgroup (compile time only)
; SGPRBlocks: 0
; VGPRBlocks: 0
; NumSGPRsForWavesPerEU: 1
; NumVGPRsForWavesPerEU: 1
; Occupancy: 16
; WaveLimiterHint : 0
; COMPUTE_PGM_RSRC2:SCRATCH_EN: 0
; COMPUTE_PGM_RSRC2:USER_SGPR: 6
; COMPUTE_PGM_RSRC2:TRAP_HANDLER: 0
; COMPUTE_PGM_RSRC2:TGID_X_EN: 1
; COMPUTE_PGM_RSRC2:TGID_Y_EN: 0
; COMPUTE_PGM_RSRC2:TGID_Z_EN: 0
; COMPUTE_PGM_RSRC2:TIDIG_COMP_CNT: 0
	.section	.text._ZN7rocprim17ROCPRIM_400000_NS6detail17trampoline_kernelINS0_14default_configENS1_20scan_config_selectorIfEEZZNS1_9scan_implILNS1_25lookback_scan_determinismE0ELb0ELb0ES3_PKfPffZZZN2at6native31launch_logcumsumexp_cuda_kernelERKNSB_10TensorBaseESF_lENKUlvE_clEvENKUlvE0_clEvEUlffE_fEEDaPvRmT3_T4_T5_mT6_P12ihipStream_tbENKUlT_T0_E_clISt17integral_constantIbLb1EESV_IbLb0EEEEDaSR_SS_EUlSR_E0_NS1_11comp_targetILNS1_3genE3ELNS1_11target_archE908ELNS1_3gpuE7ELNS1_3repE0EEENS1_30default_config_static_selectorELNS0_4arch9wavefront6targetE0EEEvT1_,"axG",@progbits,_ZN7rocprim17ROCPRIM_400000_NS6detail17trampoline_kernelINS0_14default_configENS1_20scan_config_selectorIfEEZZNS1_9scan_implILNS1_25lookback_scan_determinismE0ELb0ELb0ES3_PKfPffZZZN2at6native31launch_logcumsumexp_cuda_kernelERKNSB_10TensorBaseESF_lENKUlvE_clEvENKUlvE0_clEvEUlffE_fEEDaPvRmT3_T4_T5_mT6_P12ihipStream_tbENKUlT_T0_E_clISt17integral_constantIbLb1EESV_IbLb0EEEEDaSR_SS_EUlSR_E0_NS1_11comp_targetILNS1_3genE3ELNS1_11target_archE908ELNS1_3gpuE7ELNS1_3repE0EEENS1_30default_config_static_selectorELNS0_4arch9wavefront6targetE0EEEvT1_,comdat
	.globl	_ZN7rocprim17ROCPRIM_400000_NS6detail17trampoline_kernelINS0_14default_configENS1_20scan_config_selectorIfEEZZNS1_9scan_implILNS1_25lookback_scan_determinismE0ELb0ELb0ES3_PKfPffZZZN2at6native31launch_logcumsumexp_cuda_kernelERKNSB_10TensorBaseESF_lENKUlvE_clEvENKUlvE0_clEvEUlffE_fEEDaPvRmT3_T4_T5_mT6_P12ihipStream_tbENKUlT_T0_E_clISt17integral_constantIbLb1EESV_IbLb0EEEEDaSR_SS_EUlSR_E0_NS1_11comp_targetILNS1_3genE3ELNS1_11target_archE908ELNS1_3gpuE7ELNS1_3repE0EEENS1_30default_config_static_selectorELNS0_4arch9wavefront6targetE0EEEvT1_ ; -- Begin function _ZN7rocprim17ROCPRIM_400000_NS6detail17trampoline_kernelINS0_14default_configENS1_20scan_config_selectorIfEEZZNS1_9scan_implILNS1_25lookback_scan_determinismE0ELb0ELb0ES3_PKfPffZZZN2at6native31launch_logcumsumexp_cuda_kernelERKNSB_10TensorBaseESF_lENKUlvE_clEvENKUlvE0_clEvEUlffE_fEEDaPvRmT3_T4_T5_mT6_P12ihipStream_tbENKUlT_T0_E_clISt17integral_constantIbLb1EESV_IbLb0EEEEDaSR_SS_EUlSR_E0_NS1_11comp_targetILNS1_3genE3ELNS1_11target_archE908ELNS1_3gpuE7ELNS1_3repE0EEENS1_30default_config_static_selectorELNS0_4arch9wavefront6targetE0EEEvT1_
	.p2align	8
	.type	_ZN7rocprim17ROCPRIM_400000_NS6detail17trampoline_kernelINS0_14default_configENS1_20scan_config_selectorIfEEZZNS1_9scan_implILNS1_25lookback_scan_determinismE0ELb0ELb0ES3_PKfPffZZZN2at6native31launch_logcumsumexp_cuda_kernelERKNSB_10TensorBaseESF_lENKUlvE_clEvENKUlvE0_clEvEUlffE_fEEDaPvRmT3_T4_T5_mT6_P12ihipStream_tbENKUlT_T0_E_clISt17integral_constantIbLb1EESV_IbLb0EEEEDaSR_SS_EUlSR_E0_NS1_11comp_targetILNS1_3genE3ELNS1_11target_archE908ELNS1_3gpuE7ELNS1_3repE0EEENS1_30default_config_static_selectorELNS0_4arch9wavefront6targetE0EEEvT1_,@function
_ZN7rocprim17ROCPRIM_400000_NS6detail17trampoline_kernelINS0_14default_configENS1_20scan_config_selectorIfEEZZNS1_9scan_implILNS1_25lookback_scan_determinismE0ELb0ELb0ES3_PKfPffZZZN2at6native31launch_logcumsumexp_cuda_kernelERKNSB_10TensorBaseESF_lENKUlvE_clEvENKUlvE0_clEvEUlffE_fEEDaPvRmT3_T4_T5_mT6_P12ihipStream_tbENKUlT_T0_E_clISt17integral_constantIbLb1EESV_IbLb0EEEEDaSR_SS_EUlSR_E0_NS1_11comp_targetILNS1_3genE3ELNS1_11target_archE908ELNS1_3gpuE7ELNS1_3repE0EEENS1_30default_config_static_selectorELNS0_4arch9wavefront6targetE0EEEvT1_: ; @_ZN7rocprim17ROCPRIM_400000_NS6detail17trampoline_kernelINS0_14default_configENS1_20scan_config_selectorIfEEZZNS1_9scan_implILNS1_25lookback_scan_determinismE0ELb0ELb0ES3_PKfPffZZZN2at6native31launch_logcumsumexp_cuda_kernelERKNSB_10TensorBaseESF_lENKUlvE_clEvENKUlvE0_clEvEUlffE_fEEDaPvRmT3_T4_T5_mT6_P12ihipStream_tbENKUlT_T0_E_clISt17integral_constantIbLb1EESV_IbLb0EEEEDaSR_SS_EUlSR_E0_NS1_11comp_targetILNS1_3genE3ELNS1_11target_archE908ELNS1_3gpuE7ELNS1_3repE0EEENS1_30default_config_static_selectorELNS0_4arch9wavefront6targetE0EEEvT1_
; %bb.0:
	.section	.rodata,"a",@progbits
	.p2align	6, 0x0
	.amdhsa_kernel _ZN7rocprim17ROCPRIM_400000_NS6detail17trampoline_kernelINS0_14default_configENS1_20scan_config_selectorIfEEZZNS1_9scan_implILNS1_25lookback_scan_determinismE0ELb0ELb0ES3_PKfPffZZZN2at6native31launch_logcumsumexp_cuda_kernelERKNSB_10TensorBaseESF_lENKUlvE_clEvENKUlvE0_clEvEUlffE_fEEDaPvRmT3_T4_T5_mT6_P12ihipStream_tbENKUlT_T0_E_clISt17integral_constantIbLb1EESV_IbLb0EEEEDaSR_SS_EUlSR_E0_NS1_11comp_targetILNS1_3genE3ELNS1_11target_archE908ELNS1_3gpuE7ELNS1_3repE0EEENS1_30default_config_static_selectorELNS0_4arch9wavefront6targetE0EEEvT1_
		.amdhsa_group_segment_fixed_size 0
		.amdhsa_private_segment_fixed_size 0
		.amdhsa_kernarg_size 32
		.amdhsa_user_sgpr_count 6
		.amdhsa_user_sgpr_private_segment_buffer 1
		.amdhsa_user_sgpr_dispatch_ptr 0
		.amdhsa_user_sgpr_queue_ptr 0
		.amdhsa_user_sgpr_kernarg_segment_ptr 1
		.amdhsa_user_sgpr_dispatch_id 0
		.amdhsa_user_sgpr_flat_scratch_init 0
		.amdhsa_user_sgpr_private_segment_size 0
		.amdhsa_wavefront_size32 1
		.amdhsa_uses_dynamic_stack 0
		.amdhsa_system_sgpr_private_segment_wavefront_offset 0
		.amdhsa_system_sgpr_workgroup_id_x 1
		.amdhsa_system_sgpr_workgroup_id_y 0
		.amdhsa_system_sgpr_workgroup_id_z 0
		.amdhsa_system_sgpr_workgroup_info 0
		.amdhsa_system_vgpr_workitem_id 0
		.amdhsa_next_free_vgpr 1
		.amdhsa_next_free_sgpr 1
		.amdhsa_reserve_vcc 0
		.amdhsa_reserve_flat_scratch 0
		.amdhsa_float_round_mode_32 0
		.amdhsa_float_round_mode_16_64 0
		.amdhsa_float_denorm_mode_32 3
		.amdhsa_float_denorm_mode_16_64 3
		.amdhsa_dx10_clamp 1
		.amdhsa_ieee_mode 1
		.amdhsa_fp16_overflow 0
		.amdhsa_workgroup_processor_mode 1
		.amdhsa_memory_ordered 1
		.amdhsa_forward_progress 1
		.amdhsa_shared_vgpr_count 0
		.amdhsa_exception_fp_ieee_invalid_op 0
		.amdhsa_exception_fp_denorm_src 0
		.amdhsa_exception_fp_ieee_div_zero 0
		.amdhsa_exception_fp_ieee_overflow 0
		.amdhsa_exception_fp_ieee_underflow 0
		.amdhsa_exception_fp_ieee_inexact 0
		.amdhsa_exception_int_div_zero 0
	.end_amdhsa_kernel
	.section	.text._ZN7rocprim17ROCPRIM_400000_NS6detail17trampoline_kernelINS0_14default_configENS1_20scan_config_selectorIfEEZZNS1_9scan_implILNS1_25lookback_scan_determinismE0ELb0ELb0ES3_PKfPffZZZN2at6native31launch_logcumsumexp_cuda_kernelERKNSB_10TensorBaseESF_lENKUlvE_clEvENKUlvE0_clEvEUlffE_fEEDaPvRmT3_T4_T5_mT6_P12ihipStream_tbENKUlT_T0_E_clISt17integral_constantIbLb1EESV_IbLb0EEEEDaSR_SS_EUlSR_E0_NS1_11comp_targetILNS1_3genE3ELNS1_11target_archE908ELNS1_3gpuE7ELNS1_3repE0EEENS1_30default_config_static_selectorELNS0_4arch9wavefront6targetE0EEEvT1_,"axG",@progbits,_ZN7rocprim17ROCPRIM_400000_NS6detail17trampoline_kernelINS0_14default_configENS1_20scan_config_selectorIfEEZZNS1_9scan_implILNS1_25lookback_scan_determinismE0ELb0ELb0ES3_PKfPffZZZN2at6native31launch_logcumsumexp_cuda_kernelERKNSB_10TensorBaseESF_lENKUlvE_clEvENKUlvE0_clEvEUlffE_fEEDaPvRmT3_T4_T5_mT6_P12ihipStream_tbENKUlT_T0_E_clISt17integral_constantIbLb1EESV_IbLb0EEEEDaSR_SS_EUlSR_E0_NS1_11comp_targetILNS1_3genE3ELNS1_11target_archE908ELNS1_3gpuE7ELNS1_3repE0EEENS1_30default_config_static_selectorELNS0_4arch9wavefront6targetE0EEEvT1_,comdat
.Lfunc_end146:
	.size	_ZN7rocprim17ROCPRIM_400000_NS6detail17trampoline_kernelINS0_14default_configENS1_20scan_config_selectorIfEEZZNS1_9scan_implILNS1_25lookback_scan_determinismE0ELb0ELb0ES3_PKfPffZZZN2at6native31launch_logcumsumexp_cuda_kernelERKNSB_10TensorBaseESF_lENKUlvE_clEvENKUlvE0_clEvEUlffE_fEEDaPvRmT3_T4_T5_mT6_P12ihipStream_tbENKUlT_T0_E_clISt17integral_constantIbLb1EESV_IbLb0EEEEDaSR_SS_EUlSR_E0_NS1_11comp_targetILNS1_3genE3ELNS1_11target_archE908ELNS1_3gpuE7ELNS1_3repE0EEENS1_30default_config_static_selectorELNS0_4arch9wavefront6targetE0EEEvT1_, .Lfunc_end146-_ZN7rocprim17ROCPRIM_400000_NS6detail17trampoline_kernelINS0_14default_configENS1_20scan_config_selectorIfEEZZNS1_9scan_implILNS1_25lookback_scan_determinismE0ELb0ELb0ES3_PKfPffZZZN2at6native31launch_logcumsumexp_cuda_kernelERKNSB_10TensorBaseESF_lENKUlvE_clEvENKUlvE0_clEvEUlffE_fEEDaPvRmT3_T4_T5_mT6_P12ihipStream_tbENKUlT_T0_E_clISt17integral_constantIbLb1EESV_IbLb0EEEEDaSR_SS_EUlSR_E0_NS1_11comp_targetILNS1_3genE3ELNS1_11target_archE908ELNS1_3gpuE7ELNS1_3repE0EEENS1_30default_config_static_selectorELNS0_4arch9wavefront6targetE0EEEvT1_
                                        ; -- End function
	.set _ZN7rocprim17ROCPRIM_400000_NS6detail17trampoline_kernelINS0_14default_configENS1_20scan_config_selectorIfEEZZNS1_9scan_implILNS1_25lookback_scan_determinismE0ELb0ELb0ES3_PKfPffZZZN2at6native31launch_logcumsumexp_cuda_kernelERKNSB_10TensorBaseESF_lENKUlvE_clEvENKUlvE0_clEvEUlffE_fEEDaPvRmT3_T4_T5_mT6_P12ihipStream_tbENKUlT_T0_E_clISt17integral_constantIbLb1EESV_IbLb0EEEEDaSR_SS_EUlSR_E0_NS1_11comp_targetILNS1_3genE3ELNS1_11target_archE908ELNS1_3gpuE7ELNS1_3repE0EEENS1_30default_config_static_selectorELNS0_4arch9wavefront6targetE0EEEvT1_.num_vgpr, 0
	.set _ZN7rocprim17ROCPRIM_400000_NS6detail17trampoline_kernelINS0_14default_configENS1_20scan_config_selectorIfEEZZNS1_9scan_implILNS1_25lookback_scan_determinismE0ELb0ELb0ES3_PKfPffZZZN2at6native31launch_logcumsumexp_cuda_kernelERKNSB_10TensorBaseESF_lENKUlvE_clEvENKUlvE0_clEvEUlffE_fEEDaPvRmT3_T4_T5_mT6_P12ihipStream_tbENKUlT_T0_E_clISt17integral_constantIbLb1EESV_IbLb0EEEEDaSR_SS_EUlSR_E0_NS1_11comp_targetILNS1_3genE3ELNS1_11target_archE908ELNS1_3gpuE7ELNS1_3repE0EEENS1_30default_config_static_selectorELNS0_4arch9wavefront6targetE0EEEvT1_.num_agpr, 0
	.set _ZN7rocprim17ROCPRIM_400000_NS6detail17trampoline_kernelINS0_14default_configENS1_20scan_config_selectorIfEEZZNS1_9scan_implILNS1_25lookback_scan_determinismE0ELb0ELb0ES3_PKfPffZZZN2at6native31launch_logcumsumexp_cuda_kernelERKNSB_10TensorBaseESF_lENKUlvE_clEvENKUlvE0_clEvEUlffE_fEEDaPvRmT3_T4_T5_mT6_P12ihipStream_tbENKUlT_T0_E_clISt17integral_constantIbLb1EESV_IbLb0EEEEDaSR_SS_EUlSR_E0_NS1_11comp_targetILNS1_3genE3ELNS1_11target_archE908ELNS1_3gpuE7ELNS1_3repE0EEENS1_30default_config_static_selectorELNS0_4arch9wavefront6targetE0EEEvT1_.numbered_sgpr, 0
	.set _ZN7rocprim17ROCPRIM_400000_NS6detail17trampoline_kernelINS0_14default_configENS1_20scan_config_selectorIfEEZZNS1_9scan_implILNS1_25lookback_scan_determinismE0ELb0ELb0ES3_PKfPffZZZN2at6native31launch_logcumsumexp_cuda_kernelERKNSB_10TensorBaseESF_lENKUlvE_clEvENKUlvE0_clEvEUlffE_fEEDaPvRmT3_T4_T5_mT6_P12ihipStream_tbENKUlT_T0_E_clISt17integral_constantIbLb1EESV_IbLb0EEEEDaSR_SS_EUlSR_E0_NS1_11comp_targetILNS1_3genE3ELNS1_11target_archE908ELNS1_3gpuE7ELNS1_3repE0EEENS1_30default_config_static_selectorELNS0_4arch9wavefront6targetE0EEEvT1_.num_named_barrier, 0
	.set _ZN7rocprim17ROCPRIM_400000_NS6detail17trampoline_kernelINS0_14default_configENS1_20scan_config_selectorIfEEZZNS1_9scan_implILNS1_25lookback_scan_determinismE0ELb0ELb0ES3_PKfPffZZZN2at6native31launch_logcumsumexp_cuda_kernelERKNSB_10TensorBaseESF_lENKUlvE_clEvENKUlvE0_clEvEUlffE_fEEDaPvRmT3_T4_T5_mT6_P12ihipStream_tbENKUlT_T0_E_clISt17integral_constantIbLb1EESV_IbLb0EEEEDaSR_SS_EUlSR_E0_NS1_11comp_targetILNS1_3genE3ELNS1_11target_archE908ELNS1_3gpuE7ELNS1_3repE0EEENS1_30default_config_static_selectorELNS0_4arch9wavefront6targetE0EEEvT1_.private_seg_size, 0
	.set _ZN7rocprim17ROCPRIM_400000_NS6detail17trampoline_kernelINS0_14default_configENS1_20scan_config_selectorIfEEZZNS1_9scan_implILNS1_25lookback_scan_determinismE0ELb0ELb0ES3_PKfPffZZZN2at6native31launch_logcumsumexp_cuda_kernelERKNSB_10TensorBaseESF_lENKUlvE_clEvENKUlvE0_clEvEUlffE_fEEDaPvRmT3_T4_T5_mT6_P12ihipStream_tbENKUlT_T0_E_clISt17integral_constantIbLb1EESV_IbLb0EEEEDaSR_SS_EUlSR_E0_NS1_11comp_targetILNS1_3genE3ELNS1_11target_archE908ELNS1_3gpuE7ELNS1_3repE0EEENS1_30default_config_static_selectorELNS0_4arch9wavefront6targetE0EEEvT1_.uses_vcc, 0
	.set _ZN7rocprim17ROCPRIM_400000_NS6detail17trampoline_kernelINS0_14default_configENS1_20scan_config_selectorIfEEZZNS1_9scan_implILNS1_25lookback_scan_determinismE0ELb0ELb0ES3_PKfPffZZZN2at6native31launch_logcumsumexp_cuda_kernelERKNSB_10TensorBaseESF_lENKUlvE_clEvENKUlvE0_clEvEUlffE_fEEDaPvRmT3_T4_T5_mT6_P12ihipStream_tbENKUlT_T0_E_clISt17integral_constantIbLb1EESV_IbLb0EEEEDaSR_SS_EUlSR_E0_NS1_11comp_targetILNS1_3genE3ELNS1_11target_archE908ELNS1_3gpuE7ELNS1_3repE0EEENS1_30default_config_static_selectorELNS0_4arch9wavefront6targetE0EEEvT1_.uses_flat_scratch, 0
	.set _ZN7rocprim17ROCPRIM_400000_NS6detail17trampoline_kernelINS0_14default_configENS1_20scan_config_selectorIfEEZZNS1_9scan_implILNS1_25lookback_scan_determinismE0ELb0ELb0ES3_PKfPffZZZN2at6native31launch_logcumsumexp_cuda_kernelERKNSB_10TensorBaseESF_lENKUlvE_clEvENKUlvE0_clEvEUlffE_fEEDaPvRmT3_T4_T5_mT6_P12ihipStream_tbENKUlT_T0_E_clISt17integral_constantIbLb1EESV_IbLb0EEEEDaSR_SS_EUlSR_E0_NS1_11comp_targetILNS1_3genE3ELNS1_11target_archE908ELNS1_3gpuE7ELNS1_3repE0EEENS1_30default_config_static_selectorELNS0_4arch9wavefront6targetE0EEEvT1_.has_dyn_sized_stack, 0
	.set _ZN7rocprim17ROCPRIM_400000_NS6detail17trampoline_kernelINS0_14default_configENS1_20scan_config_selectorIfEEZZNS1_9scan_implILNS1_25lookback_scan_determinismE0ELb0ELb0ES3_PKfPffZZZN2at6native31launch_logcumsumexp_cuda_kernelERKNSB_10TensorBaseESF_lENKUlvE_clEvENKUlvE0_clEvEUlffE_fEEDaPvRmT3_T4_T5_mT6_P12ihipStream_tbENKUlT_T0_E_clISt17integral_constantIbLb1EESV_IbLb0EEEEDaSR_SS_EUlSR_E0_NS1_11comp_targetILNS1_3genE3ELNS1_11target_archE908ELNS1_3gpuE7ELNS1_3repE0EEENS1_30default_config_static_selectorELNS0_4arch9wavefront6targetE0EEEvT1_.has_recursion, 0
	.set _ZN7rocprim17ROCPRIM_400000_NS6detail17trampoline_kernelINS0_14default_configENS1_20scan_config_selectorIfEEZZNS1_9scan_implILNS1_25lookback_scan_determinismE0ELb0ELb0ES3_PKfPffZZZN2at6native31launch_logcumsumexp_cuda_kernelERKNSB_10TensorBaseESF_lENKUlvE_clEvENKUlvE0_clEvEUlffE_fEEDaPvRmT3_T4_T5_mT6_P12ihipStream_tbENKUlT_T0_E_clISt17integral_constantIbLb1EESV_IbLb0EEEEDaSR_SS_EUlSR_E0_NS1_11comp_targetILNS1_3genE3ELNS1_11target_archE908ELNS1_3gpuE7ELNS1_3repE0EEENS1_30default_config_static_selectorELNS0_4arch9wavefront6targetE0EEEvT1_.has_indirect_call, 0
	.section	.AMDGPU.csdata,"",@progbits
; Kernel info:
; codeLenInByte = 0
; TotalNumSgprs: 0
; NumVgprs: 0
; ScratchSize: 0
; MemoryBound: 0
; FloatMode: 240
; IeeeMode: 1
; LDSByteSize: 0 bytes/workgroup (compile time only)
; SGPRBlocks: 0
; VGPRBlocks: 0
; NumSGPRsForWavesPerEU: 1
; NumVGPRsForWavesPerEU: 1
; Occupancy: 16
; WaveLimiterHint : 0
; COMPUTE_PGM_RSRC2:SCRATCH_EN: 0
; COMPUTE_PGM_RSRC2:USER_SGPR: 6
; COMPUTE_PGM_RSRC2:TRAP_HANDLER: 0
; COMPUTE_PGM_RSRC2:TGID_X_EN: 1
; COMPUTE_PGM_RSRC2:TGID_Y_EN: 0
; COMPUTE_PGM_RSRC2:TGID_Z_EN: 0
; COMPUTE_PGM_RSRC2:TIDIG_COMP_CNT: 0
	.section	.text._ZN7rocprim17ROCPRIM_400000_NS6detail17trampoline_kernelINS0_14default_configENS1_20scan_config_selectorIfEEZZNS1_9scan_implILNS1_25lookback_scan_determinismE0ELb0ELb0ES3_PKfPffZZZN2at6native31launch_logcumsumexp_cuda_kernelERKNSB_10TensorBaseESF_lENKUlvE_clEvENKUlvE0_clEvEUlffE_fEEDaPvRmT3_T4_T5_mT6_P12ihipStream_tbENKUlT_T0_E_clISt17integral_constantIbLb1EESV_IbLb0EEEEDaSR_SS_EUlSR_E0_NS1_11comp_targetILNS1_3genE2ELNS1_11target_archE906ELNS1_3gpuE6ELNS1_3repE0EEENS1_30default_config_static_selectorELNS0_4arch9wavefront6targetE0EEEvT1_,"axG",@progbits,_ZN7rocprim17ROCPRIM_400000_NS6detail17trampoline_kernelINS0_14default_configENS1_20scan_config_selectorIfEEZZNS1_9scan_implILNS1_25lookback_scan_determinismE0ELb0ELb0ES3_PKfPffZZZN2at6native31launch_logcumsumexp_cuda_kernelERKNSB_10TensorBaseESF_lENKUlvE_clEvENKUlvE0_clEvEUlffE_fEEDaPvRmT3_T4_T5_mT6_P12ihipStream_tbENKUlT_T0_E_clISt17integral_constantIbLb1EESV_IbLb0EEEEDaSR_SS_EUlSR_E0_NS1_11comp_targetILNS1_3genE2ELNS1_11target_archE906ELNS1_3gpuE6ELNS1_3repE0EEENS1_30default_config_static_selectorELNS0_4arch9wavefront6targetE0EEEvT1_,comdat
	.globl	_ZN7rocprim17ROCPRIM_400000_NS6detail17trampoline_kernelINS0_14default_configENS1_20scan_config_selectorIfEEZZNS1_9scan_implILNS1_25lookback_scan_determinismE0ELb0ELb0ES3_PKfPffZZZN2at6native31launch_logcumsumexp_cuda_kernelERKNSB_10TensorBaseESF_lENKUlvE_clEvENKUlvE0_clEvEUlffE_fEEDaPvRmT3_T4_T5_mT6_P12ihipStream_tbENKUlT_T0_E_clISt17integral_constantIbLb1EESV_IbLb0EEEEDaSR_SS_EUlSR_E0_NS1_11comp_targetILNS1_3genE2ELNS1_11target_archE906ELNS1_3gpuE6ELNS1_3repE0EEENS1_30default_config_static_selectorELNS0_4arch9wavefront6targetE0EEEvT1_ ; -- Begin function _ZN7rocprim17ROCPRIM_400000_NS6detail17trampoline_kernelINS0_14default_configENS1_20scan_config_selectorIfEEZZNS1_9scan_implILNS1_25lookback_scan_determinismE0ELb0ELb0ES3_PKfPffZZZN2at6native31launch_logcumsumexp_cuda_kernelERKNSB_10TensorBaseESF_lENKUlvE_clEvENKUlvE0_clEvEUlffE_fEEDaPvRmT3_T4_T5_mT6_P12ihipStream_tbENKUlT_T0_E_clISt17integral_constantIbLb1EESV_IbLb0EEEEDaSR_SS_EUlSR_E0_NS1_11comp_targetILNS1_3genE2ELNS1_11target_archE906ELNS1_3gpuE6ELNS1_3repE0EEENS1_30default_config_static_selectorELNS0_4arch9wavefront6targetE0EEEvT1_
	.p2align	8
	.type	_ZN7rocprim17ROCPRIM_400000_NS6detail17trampoline_kernelINS0_14default_configENS1_20scan_config_selectorIfEEZZNS1_9scan_implILNS1_25lookback_scan_determinismE0ELb0ELb0ES3_PKfPffZZZN2at6native31launch_logcumsumexp_cuda_kernelERKNSB_10TensorBaseESF_lENKUlvE_clEvENKUlvE0_clEvEUlffE_fEEDaPvRmT3_T4_T5_mT6_P12ihipStream_tbENKUlT_T0_E_clISt17integral_constantIbLb1EESV_IbLb0EEEEDaSR_SS_EUlSR_E0_NS1_11comp_targetILNS1_3genE2ELNS1_11target_archE906ELNS1_3gpuE6ELNS1_3repE0EEENS1_30default_config_static_selectorELNS0_4arch9wavefront6targetE0EEEvT1_,@function
_ZN7rocprim17ROCPRIM_400000_NS6detail17trampoline_kernelINS0_14default_configENS1_20scan_config_selectorIfEEZZNS1_9scan_implILNS1_25lookback_scan_determinismE0ELb0ELb0ES3_PKfPffZZZN2at6native31launch_logcumsumexp_cuda_kernelERKNSB_10TensorBaseESF_lENKUlvE_clEvENKUlvE0_clEvEUlffE_fEEDaPvRmT3_T4_T5_mT6_P12ihipStream_tbENKUlT_T0_E_clISt17integral_constantIbLb1EESV_IbLb0EEEEDaSR_SS_EUlSR_E0_NS1_11comp_targetILNS1_3genE2ELNS1_11target_archE906ELNS1_3gpuE6ELNS1_3repE0EEENS1_30default_config_static_selectorELNS0_4arch9wavefront6targetE0EEEvT1_: ; @_ZN7rocprim17ROCPRIM_400000_NS6detail17trampoline_kernelINS0_14default_configENS1_20scan_config_selectorIfEEZZNS1_9scan_implILNS1_25lookback_scan_determinismE0ELb0ELb0ES3_PKfPffZZZN2at6native31launch_logcumsumexp_cuda_kernelERKNSB_10TensorBaseESF_lENKUlvE_clEvENKUlvE0_clEvEUlffE_fEEDaPvRmT3_T4_T5_mT6_P12ihipStream_tbENKUlT_T0_E_clISt17integral_constantIbLb1EESV_IbLb0EEEEDaSR_SS_EUlSR_E0_NS1_11comp_targetILNS1_3genE2ELNS1_11target_archE906ELNS1_3gpuE6ELNS1_3repE0EEENS1_30default_config_static_selectorELNS0_4arch9wavefront6targetE0EEEvT1_
; %bb.0:
	.section	.rodata,"a",@progbits
	.p2align	6, 0x0
	.amdhsa_kernel _ZN7rocprim17ROCPRIM_400000_NS6detail17trampoline_kernelINS0_14default_configENS1_20scan_config_selectorIfEEZZNS1_9scan_implILNS1_25lookback_scan_determinismE0ELb0ELb0ES3_PKfPffZZZN2at6native31launch_logcumsumexp_cuda_kernelERKNSB_10TensorBaseESF_lENKUlvE_clEvENKUlvE0_clEvEUlffE_fEEDaPvRmT3_T4_T5_mT6_P12ihipStream_tbENKUlT_T0_E_clISt17integral_constantIbLb1EESV_IbLb0EEEEDaSR_SS_EUlSR_E0_NS1_11comp_targetILNS1_3genE2ELNS1_11target_archE906ELNS1_3gpuE6ELNS1_3repE0EEENS1_30default_config_static_selectorELNS0_4arch9wavefront6targetE0EEEvT1_
		.amdhsa_group_segment_fixed_size 0
		.amdhsa_private_segment_fixed_size 0
		.amdhsa_kernarg_size 32
		.amdhsa_user_sgpr_count 6
		.amdhsa_user_sgpr_private_segment_buffer 1
		.amdhsa_user_sgpr_dispatch_ptr 0
		.amdhsa_user_sgpr_queue_ptr 0
		.amdhsa_user_sgpr_kernarg_segment_ptr 1
		.amdhsa_user_sgpr_dispatch_id 0
		.amdhsa_user_sgpr_flat_scratch_init 0
		.amdhsa_user_sgpr_private_segment_size 0
		.amdhsa_wavefront_size32 1
		.amdhsa_uses_dynamic_stack 0
		.amdhsa_system_sgpr_private_segment_wavefront_offset 0
		.amdhsa_system_sgpr_workgroup_id_x 1
		.amdhsa_system_sgpr_workgroup_id_y 0
		.amdhsa_system_sgpr_workgroup_id_z 0
		.amdhsa_system_sgpr_workgroup_info 0
		.amdhsa_system_vgpr_workitem_id 0
		.amdhsa_next_free_vgpr 1
		.amdhsa_next_free_sgpr 1
		.amdhsa_reserve_vcc 0
		.amdhsa_reserve_flat_scratch 0
		.amdhsa_float_round_mode_32 0
		.amdhsa_float_round_mode_16_64 0
		.amdhsa_float_denorm_mode_32 3
		.amdhsa_float_denorm_mode_16_64 3
		.amdhsa_dx10_clamp 1
		.amdhsa_ieee_mode 1
		.amdhsa_fp16_overflow 0
		.amdhsa_workgroup_processor_mode 1
		.amdhsa_memory_ordered 1
		.amdhsa_forward_progress 1
		.amdhsa_shared_vgpr_count 0
		.amdhsa_exception_fp_ieee_invalid_op 0
		.amdhsa_exception_fp_denorm_src 0
		.amdhsa_exception_fp_ieee_div_zero 0
		.amdhsa_exception_fp_ieee_overflow 0
		.amdhsa_exception_fp_ieee_underflow 0
		.amdhsa_exception_fp_ieee_inexact 0
		.amdhsa_exception_int_div_zero 0
	.end_amdhsa_kernel
	.section	.text._ZN7rocprim17ROCPRIM_400000_NS6detail17trampoline_kernelINS0_14default_configENS1_20scan_config_selectorIfEEZZNS1_9scan_implILNS1_25lookback_scan_determinismE0ELb0ELb0ES3_PKfPffZZZN2at6native31launch_logcumsumexp_cuda_kernelERKNSB_10TensorBaseESF_lENKUlvE_clEvENKUlvE0_clEvEUlffE_fEEDaPvRmT3_T4_T5_mT6_P12ihipStream_tbENKUlT_T0_E_clISt17integral_constantIbLb1EESV_IbLb0EEEEDaSR_SS_EUlSR_E0_NS1_11comp_targetILNS1_3genE2ELNS1_11target_archE906ELNS1_3gpuE6ELNS1_3repE0EEENS1_30default_config_static_selectorELNS0_4arch9wavefront6targetE0EEEvT1_,"axG",@progbits,_ZN7rocprim17ROCPRIM_400000_NS6detail17trampoline_kernelINS0_14default_configENS1_20scan_config_selectorIfEEZZNS1_9scan_implILNS1_25lookback_scan_determinismE0ELb0ELb0ES3_PKfPffZZZN2at6native31launch_logcumsumexp_cuda_kernelERKNSB_10TensorBaseESF_lENKUlvE_clEvENKUlvE0_clEvEUlffE_fEEDaPvRmT3_T4_T5_mT6_P12ihipStream_tbENKUlT_T0_E_clISt17integral_constantIbLb1EESV_IbLb0EEEEDaSR_SS_EUlSR_E0_NS1_11comp_targetILNS1_3genE2ELNS1_11target_archE906ELNS1_3gpuE6ELNS1_3repE0EEENS1_30default_config_static_selectorELNS0_4arch9wavefront6targetE0EEEvT1_,comdat
.Lfunc_end147:
	.size	_ZN7rocprim17ROCPRIM_400000_NS6detail17trampoline_kernelINS0_14default_configENS1_20scan_config_selectorIfEEZZNS1_9scan_implILNS1_25lookback_scan_determinismE0ELb0ELb0ES3_PKfPffZZZN2at6native31launch_logcumsumexp_cuda_kernelERKNSB_10TensorBaseESF_lENKUlvE_clEvENKUlvE0_clEvEUlffE_fEEDaPvRmT3_T4_T5_mT6_P12ihipStream_tbENKUlT_T0_E_clISt17integral_constantIbLb1EESV_IbLb0EEEEDaSR_SS_EUlSR_E0_NS1_11comp_targetILNS1_3genE2ELNS1_11target_archE906ELNS1_3gpuE6ELNS1_3repE0EEENS1_30default_config_static_selectorELNS0_4arch9wavefront6targetE0EEEvT1_, .Lfunc_end147-_ZN7rocprim17ROCPRIM_400000_NS6detail17trampoline_kernelINS0_14default_configENS1_20scan_config_selectorIfEEZZNS1_9scan_implILNS1_25lookback_scan_determinismE0ELb0ELb0ES3_PKfPffZZZN2at6native31launch_logcumsumexp_cuda_kernelERKNSB_10TensorBaseESF_lENKUlvE_clEvENKUlvE0_clEvEUlffE_fEEDaPvRmT3_T4_T5_mT6_P12ihipStream_tbENKUlT_T0_E_clISt17integral_constantIbLb1EESV_IbLb0EEEEDaSR_SS_EUlSR_E0_NS1_11comp_targetILNS1_3genE2ELNS1_11target_archE906ELNS1_3gpuE6ELNS1_3repE0EEENS1_30default_config_static_selectorELNS0_4arch9wavefront6targetE0EEEvT1_
                                        ; -- End function
	.set _ZN7rocprim17ROCPRIM_400000_NS6detail17trampoline_kernelINS0_14default_configENS1_20scan_config_selectorIfEEZZNS1_9scan_implILNS1_25lookback_scan_determinismE0ELb0ELb0ES3_PKfPffZZZN2at6native31launch_logcumsumexp_cuda_kernelERKNSB_10TensorBaseESF_lENKUlvE_clEvENKUlvE0_clEvEUlffE_fEEDaPvRmT3_T4_T5_mT6_P12ihipStream_tbENKUlT_T0_E_clISt17integral_constantIbLb1EESV_IbLb0EEEEDaSR_SS_EUlSR_E0_NS1_11comp_targetILNS1_3genE2ELNS1_11target_archE906ELNS1_3gpuE6ELNS1_3repE0EEENS1_30default_config_static_selectorELNS0_4arch9wavefront6targetE0EEEvT1_.num_vgpr, 0
	.set _ZN7rocprim17ROCPRIM_400000_NS6detail17trampoline_kernelINS0_14default_configENS1_20scan_config_selectorIfEEZZNS1_9scan_implILNS1_25lookback_scan_determinismE0ELb0ELb0ES3_PKfPffZZZN2at6native31launch_logcumsumexp_cuda_kernelERKNSB_10TensorBaseESF_lENKUlvE_clEvENKUlvE0_clEvEUlffE_fEEDaPvRmT3_T4_T5_mT6_P12ihipStream_tbENKUlT_T0_E_clISt17integral_constantIbLb1EESV_IbLb0EEEEDaSR_SS_EUlSR_E0_NS1_11comp_targetILNS1_3genE2ELNS1_11target_archE906ELNS1_3gpuE6ELNS1_3repE0EEENS1_30default_config_static_selectorELNS0_4arch9wavefront6targetE0EEEvT1_.num_agpr, 0
	.set _ZN7rocprim17ROCPRIM_400000_NS6detail17trampoline_kernelINS0_14default_configENS1_20scan_config_selectorIfEEZZNS1_9scan_implILNS1_25lookback_scan_determinismE0ELb0ELb0ES3_PKfPffZZZN2at6native31launch_logcumsumexp_cuda_kernelERKNSB_10TensorBaseESF_lENKUlvE_clEvENKUlvE0_clEvEUlffE_fEEDaPvRmT3_T4_T5_mT6_P12ihipStream_tbENKUlT_T0_E_clISt17integral_constantIbLb1EESV_IbLb0EEEEDaSR_SS_EUlSR_E0_NS1_11comp_targetILNS1_3genE2ELNS1_11target_archE906ELNS1_3gpuE6ELNS1_3repE0EEENS1_30default_config_static_selectorELNS0_4arch9wavefront6targetE0EEEvT1_.numbered_sgpr, 0
	.set _ZN7rocprim17ROCPRIM_400000_NS6detail17trampoline_kernelINS0_14default_configENS1_20scan_config_selectorIfEEZZNS1_9scan_implILNS1_25lookback_scan_determinismE0ELb0ELb0ES3_PKfPffZZZN2at6native31launch_logcumsumexp_cuda_kernelERKNSB_10TensorBaseESF_lENKUlvE_clEvENKUlvE0_clEvEUlffE_fEEDaPvRmT3_T4_T5_mT6_P12ihipStream_tbENKUlT_T0_E_clISt17integral_constantIbLb1EESV_IbLb0EEEEDaSR_SS_EUlSR_E0_NS1_11comp_targetILNS1_3genE2ELNS1_11target_archE906ELNS1_3gpuE6ELNS1_3repE0EEENS1_30default_config_static_selectorELNS0_4arch9wavefront6targetE0EEEvT1_.num_named_barrier, 0
	.set _ZN7rocprim17ROCPRIM_400000_NS6detail17trampoline_kernelINS0_14default_configENS1_20scan_config_selectorIfEEZZNS1_9scan_implILNS1_25lookback_scan_determinismE0ELb0ELb0ES3_PKfPffZZZN2at6native31launch_logcumsumexp_cuda_kernelERKNSB_10TensorBaseESF_lENKUlvE_clEvENKUlvE0_clEvEUlffE_fEEDaPvRmT3_T4_T5_mT6_P12ihipStream_tbENKUlT_T0_E_clISt17integral_constantIbLb1EESV_IbLb0EEEEDaSR_SS_EUlSR_E0_NS1_11comp_targetILNS1_3genE2ELNS1_11target_archE906ELNS1_3gpuE6ELNS1_3repE0EEENS1_30default_config_static_selectorELNS0_4arch9wavefront6targetE0EEEvT1_.private_seg_size, 0
	.set _ZN7rocprim17ROCPRIM_400000_NS6detail17trampoline_kernelINS0_14default_configENS1_20scan_config_selectorIfEEZZNS1_9scan_implILNS1_25lookback_scan_determinismE0ELb0ELb0ES3_PKfPffZZZN2at6native31launch_logcumsumexp_cuda_kernelERKNSB_10TensorBaseESF_lENKUlvE_clEvENKUlvE0_clEvEUlffE_fEEDaPvRmT3_T4_T5_mT6_P12ihipStream_tbENKUlT_T0_E_clISt17integral_constantIbLb1EESV_IbLb0EEEEDaSR_SS_EUlSR_E0_NS1_11comp_targetILNS1_3genE2ELNS1_11target_archE906ELNS1_3gpuE6ELNS1_3repE0EEENS1_30default_config_static_selectorELNS0_4arch9wavefront6targetE0EEEvT1_.uses_vcc, 0
	.set _ZN7rocprim17ROCPRIM_400000_NS6detail17trampoline_kernelINS0_14default_configENS1_20scan_config_selectorIfEEZZNS1_9scan_implILNS1_25lookback_scan_determinismE0ELb0ELb0ES3_PKfPffZZZN2at6native31launch_logcumsumexp_cuda_kernelERKNSB_10TensorBaseESF_lENKUlvE_clEvENKUlvE0_clEvEUlffE_fEEDaPvRmT3_T4_T5_mT6_P12ihipStream_tbENKUlT_T0_E_clISt17integral_constantIbLb1EESV_IbLb0EEEEDaSR_SS_EUlSR_E0_NS1_11comp_targetILNS1_3genE2ELNS1_11target_archE906ELNS1_3gpuE6ELNS1_3repE0EEENS1_30default_config_static_selectorELNS0_4arch9wavefront6targetE0EEEvT1_.uses_flat_scratch, 0
	.set _ZN7rocprim17ROCPRIM_400000_NS6detail17trampoline_kernelINS0_14default_configENS1_20scan_config_selectorIfEEZZNS1_9scan_implILNS1_25lookback_scan_determinismE0ELb0ELb0ES3_PKfPffZZZN2at6native31launch_logcumsumexp_cuda_kernelERKNSB_10TensorBaseESF_lENKUlvE_clEvENKUlvE0_clEvEUlffE_fEEDaPvRmT3_T4_T5_mT6_P12ihipStream_tbENKUlT_T0_E_clISt17integral_constantIbLb1EESV_IbLb0EEEEDaSR_SS_EUlSR_E0_NS1_11comp_targetILNS1_3genE2ELNS1_11target_archE906ELNS1_3gpuE6ELNS1_3repE0EEENS1_30default_config_static_selectorELNS0_4arch9wavefront6targetE0EEEvT1_.has_dyn_sized_stack, 0
	.set _ZN7rocprim17ROCPRIM_400000_NS6detail17trampoline_kernelINS0_14default_configENS1_20scan_config_selectorIfEEZZNS1_9scan_implILNS1_25lookback_scan_determinismE0ELb0ELb0ES3_PKfPffZZZN2at6native31launch_logcumsumexp_cuda_kernelERKNSB_10TensorBaseESF_lENKUlvE_clEvENKUlvE0_clEvEUlffE_fEEDaPvRmT3_T4_T5_mT6_P12ihipStream_tbENKUlT_T0_E_clISt17integral_constantIbLb1EESV_IbLb0EEEEDaSR_SS_EUlSR_E0_NS1_11comp_targetILNS1_3genE2ELNS1_11target_archE906ELNS1_3gpuE6ELNS1_3repE0EEENS1_30default_config_static_selectorELNS0_4arch9wavefront6targetE0EEEvT1_.has_recursion, 0
	.set _ZN7rocprim17ROCPRIM_400000_NS6detail17trampoline_kernelINS0_14default_configENS1_20scan_config_selectorIfEEZZNS1_9scan_implILNS1_25lookback_scan_determinismE0ELb0ELb0ES3_PKfPffZZZN2at6native31launch_logcumsumexp_cuda_kernelERKNSB_10TensorBaseESF_lENKUlvE_clEvENKUlvE0_clEvEUlffE_fEEDaPvRmT3_T4_T5_mT6_P12ihipStream_tbENKUlT_T0_E_clISt17integral_constantIbLb1EESV_IbLb0EEEEDaSR_SS_EUlSR_E0_NS1_11comp_targetILNS1_3genE2ELNS1_11target_archE906ELNS1_3gpuE6ELNS1_3repE0EEENS1_30default_config_static_selectorELNS0_4arch9wavefront6targetE0EEEvT1_.has_indirect_call, 0
	.section	.AMDGPU.csdata,"",@progbits
; Kernel info:
; codeLenInByte = 0
; TotalNumSgprs: 0
; NumVgprs: 0
; ScratchSize: 0
; MemoryBound: 0
; FloatMode: 240
; IeeeMode: 1
; LDSByteSize: 0 bytes/workgroup (compile time only)
; SGPRBlocks: 0
; VGPRBlocks: 0
; NumSGPRsForWavesPerEU: 1
; NumVGPRsForWavesPerEU: 1
; Occupancy: 16
; WaveLimiterHint : 0
; COMPUTE_PGM_RSRC2:SCRATCH_EN: 0
; COMPUTE_PGM_RSRC2:USER_SGPR: 6
; COMPUTE_PGM_RSRC2:TRAP_HANDLER: 0
; COMPUTE_PGM_RSRC2:TGID_X_EN: 1
; COMPUTE_PGM_RSRC2:TGID_Y_EN: 0
; COMPUTE_PGM_RSRC2:TGID_Z_EN: 0
; COMPUTE_PGM_RSRC2:TIDIG_COMP_CNT: 0
	.section	.text._ZN7rocprim17ROCPRIM_400000_NS6detail17trampoline_kernelINS0_14default_configENS1_20scan_config_selectorIfEEZZNS1_9scan_implILNS1_25lookback_scan_determinismE0ELb0ELb0ES3_PKfPffZZZN2at6native31launch_logcumsumexp_cuda_kernelERKNSB_10TensorBaseESF_lENKUlvE_clEvENKUlvE0_clEvEUlffE_fEEDaPvRmT3_T4_T5_mT6_P12ihipStream_tbENKUlT_T0_E_clISt17integral_constantIbLb1EESV_IbLb0EEEEDaSR_SS_EUlSR_E0_NS1_11comp_targetILNS1_3genE10ELNS1_11target_archE1201ELNS1_3gpuE5ELNS1_3repE0EEENS1_30default_config_static_selectorELNS0_4arch9wavefront6targetE0EEEvT1_,"axG",@progbits,_ZN7rocprim17ROCPRIM_400000_NS6detail17trampoline_kernelINS0_14default_configENS1_20scan_config_selectorIfEEZZNS1_9scan_implILNS1_25lookback_scan_determinismE0ELb0ELb0ES3_PKfPffZZZN2at6native31launch_logcumsumexp_cuda_kernelERKNSB_10TensorBaseESF_lENKUlvE_clEvENKUlvE0_clEvEUlffE_fEEDaPvRmT3_T4_T5_mT6_P12ihipStream_tbENKUlT_T0_E_clISt17integral_constantIbLb1EESV_IbLb0EEEEDaSR_SS_EUlSR_E0_NS1_11comp_targetILNS1_3genE10ELNS1_11target_archE1201ELNS1_3gpuE5ELNS1_3repE0EEENS1_30default_config_static_selectorELNS0_4arch9wavefront6targetE0EEEvT1_,comdat
	.globl	_ZN7rocprim17ROCPRIM_400000_NS6detail17trampoline_kernelINS0_14default_configENS1_20scan_config_selectorIfEEZZNS1_9scan_implILNS1_25lookback_scan_determinismE0ELb0ELb0ES3_PKfPffZZZN2at6native31launch_logcumsumexp_cuda_kernelERKNSB_10TensorBaseESF_lENKUlvE_clEvENKUlvE0_clEvEUlffE_fEEDaPvRmT3_T4_T5_mT6_P12ihipStream_tbENKUlT_T0_E_clISt17integral_constantIbLb1EESV_IbLb0EEEEDaSR_SS_EUlSR_E0_NS1_11comp_targetILNS1_3genE10ELNS1_11target_archE1201ELNS1_3gpuE5ELNS1_3repE0EEENS1_30default_config_static_selectorELNS0_4arch9wavefront6targetE0EEEvT1_ ; -- Begin function _ZN7rocprim17ROCPRIM_400000_NS6detail17trampoline_kernelINS0_14default_configENS1_20scan_config_selectorIfEEZZNS1_9scan_implILNS1_25lookback_scan_determinismE0ELb0ELb0ES3_PKfPffZZZN2at6native31launch_logcumsumexp_cuda_kernelERKNSB_10TensorBaseESF_lENKUlvE_clEvENKUlvE0_clEvEUlffE_fEEDaPvRmT3_T4_T5_mT6_P12ihipStream_tbENKUlT_T0_E_clISt17integral_constantIbLb1EESV_IbLb0EEEEDaSR_SS_EUlSR_E0_NS1_11comp_targetILNS1_3genE10ELNS1_11target_archE1201ELNS1_3gpuE5ELNS1_3repE0EEENS1_30default_config_static_selectorELNS0_4arch9wavefront6targetE0EEEvT1_
	.p2align	8
	.type	_ZN7rocprim17ROCPRIM_400000_NS6detail17trampoline_kernelINS0_14default_configENS1_20scan_config_selectorIfEEZZNS1_9scan_implILNS1_25lookback_scan_determinismE0ELb0ELb0ES3_PKfPffZZZN2at6native31launch_logcumsumexp_cuda_kernelERKNSB_10TensorBaseESF_lENKUlvE_clEvENKUlvE0_clEvEUlffE_fEEDaPvRmT3_T4_T5_mT6_P12ihipStream_tbENKUlT_T0_E_clISt17integral_constantIbLb1EESV_IbLb0EEEEDaSR_SS_EUlSR_E0_NS1_11comp_targetILNS1_3genE10ELNS1_11target_archE1201ELNS1_3gpuE5ELNS1_3repE0EEENS1_30default_config_static_selectorELNS0_4arch9wavefront6targetE0EEEvT1_,@function
_ZN7rocprim17ROCPRIM_400000_NS6detail17trampoline_kernelINS0_14default_configENS1_20scan_config_selectorIfEEZZNS1_9scan_implILNS1_25lookback_scan_determinismE0ELb0ELb0ES3_PKfPffZZZN2at6native31launch_logcumsumexp_cuda_kernelERKNSB_10TensorBaseESF_lENKUlvE_clEvENKUlvE0_clEvEUlffE_fEEDaPvRmT3_T4_T5_mT6_P12ihipStream_tbENKUlT_T0_E_clISt17integral_constantIbLb1EESV_IbLb0EEEEDaSR_SS_EUlSR_E0_NS1_11comp_targetILNS1_3genE10ELNS1_11target_archE1201ELNS1_3gpuE5ELNS1_3repE0EEENS1_30default_config_static_selectorELNS0_4arch9wavefront6targetE0EEEvT1_: ; @_ZN7rocprim17ROCPRIM_400000_NS6detail17trampoline_kernelINS0_14default_configENS1_20scan_config_selectorIfEEZZNS1_9scan_implILNS1_25lookback_scan_determinismE0ELb0ELb0ES3_PKfPffZZZN2at6native31launch_logcumsumexp_cuda_kernelERKNSB_10TensorBaseESF_lENKUlvE_clEvENKUlvE0_clEvEUlffE_fEEDaPvRmT3_T4_T5_mT6_P12ihipStream_tbENKUlT_T0_E_clISt17integral_constantIbLb1EESV_IbLb0EEEEDaSR_SS_EUlSR_E0_NS1_11comp_targetILNS1_3genE10ELNS1_11target_archE1201ELNS1_3gpuE5ELNS1_3repE0EEENS1_30default_config_static_selectorELNS0_4arch9wavefront6targetE0EEEvT1_
; %bb.0:
	.section	.rodata,"a",@progbits
	.p2align	6, 0x0
	.amdhsa_kernel _ZN7rocprim17ROCPRIM_400000_NS6detail17trampoline_kernelINS0_14default_configENS1_20scan_config_selectorIfEEZZNS1_9scan_implILNS1_25lookback_scan_determinismE0ELb0ELb0ES3_PKfPffZZZN2at6native31launch_logcumsumexp_cuda_kernelERKNSB_10TensorBaseESF_lENKUlvE_clEvENKUlvE0_clEvEUlffE_fEEDaPvRmT3_T4_T5_mT6_P12ihipStream_tbENKUlT_T0_E_clISt17integral_constantIbLb1EESV_IbLb0EEEEDaSR_SS_EUlSR_E0_NS1_11comp_targetILNS1_3genE10ELNS1_11target_archE1201ELNS1_3gpuE5ELNS1_3repE0EEENS1_30default_config_static_selectorELNS0_4arch9wavefront6targetE0EEEvT1_
		.amdhsa_group_segment_fixed_size 0
		.amdhsa_private_segment_fixed_size 0
		.amdhsa_kernarg_size 32
		.amdhsa_user_sgpr_count 6
		.amdhsa_user_sgpr_private_segment_buffer 1
		.amdhsa_user_sgpr_dispatch_ptr 0
		.amdhsa_user_sgpr_queue_ptr 0
		.amdhsa_user_sgpr_kernarg_segment_ptr 1
		.amdhsa_user_sgpr_dispatch_id 0
		.amdhsa_user_sgpr_flat_scratch_init 0
		.amdhsa_user_sgpr_private_segment_size 0
		.amdhsa_wavefront_size32 1
		.amdhsa_uses_dynamic_stack 0
		.amdhsa_system_sgpr_private_segment_wavefront_offset 0
		.amdhsa_system_sgpr_workgroup_id_x 1
		.amdhsa_system_sgpr_workgroup_id_y 0
		.amdhsa_system_sgpr_workgroup_id_z 0
		.amdhsa_system_sgpr_workgroup_info 0
		.amdhsa_system_vgpr_workitem_id 0
		.amdhsa_next_free_vgpr 1
		.amdhsa_next_free_sgpr 1
		.amdhsa_reserve_vcc 0
		.amdhsa_reserve_flat_scratch 0
		.amdhsa_float_round_mode_32 0
		.amdhsa_float_round_mode_16_64 0
		.amdhsa_float_denorm_mode_32 3
		.amdhsa_float_denorm_mode_16_64 3
		.amdhsa_dx10_clamp 1
		.amdhsa_ieee_mode 1
		.amdhsa_fp16_overflow 0
		.amdhsa_workgroup_processor_mode 1
		.amdhsa_memory_ordered 1
		.amdhsa_forward_progress 1
		.amdhsa_shared_vgpr_count 0
		.amdhsa_exception_fp_ieee_invalid_op 0
		.amdhsa_exception_fp_denorm_src 0
		.amdhsa_exception_fp_ieee_div_zero 0
		.amdhsa_exception_fp_ieee_overflow 0
		.amdhsa_exception_fp_ieee_underflow 0
		.amdhsa_exception_fp_ieee_inexact 0
		.amdhsa_exception_int_div_zero 0
	.end_amdhsa_kernel
	.section	.text._ZN7rocprim17ROCPRIM_400000_NS6detail17trampoline_kernelINS0_14default_configENS1_20scan_config_selectorIfEEZZNS1_9scan_implILNS1_25lookback_scan_determinismE0ELb0ELb0ES3_PKfPffZZZN2at6native31launch_logcumsumexp_cuda_kernelERKNSB_10TensorBaseESF_lENKUlvE_clEvENKUlvE0_clEvEUlffE_fEEDaPvRmT3_T4_T5_mT6_P12ihipStream_tbENKUlT_T0_E_clISt17integral_constantIbLb1EESV_IbLb0EEEEDaSR_SS_EUlSR_E0_NS1_11comp_targetILNS1_3genE10ELNS1_11target_archE1201ELNS1_3gpuE5ELNS1_3repE0EEENS1_30default_config_static_selectorELNS0_4arch9wavefront6targetE0EEEvT1_,"axG",@progbits,_ZN7rocprim17ROCPRIM_400000_NS6detail17trampoline_kernelINS0_14default_configENS1_20scan_config_selectorIfEEZZNS1_9scan_implILNS1_25lookback_scan_determinismE0ELb0ELb0ES3_PKfPffZZZN2at6native31launch_logcumsumexp_cuda_kernelERKNSB_10TensorBaseESF_lENKUlvE_clEvENKUlvE0_clEvEUlffE_fEEDaPvRmT3_T4_T5_mT6_P12ihipStream_tbENKUlT_T0_E_clISt17integral_constantIbLb1EESV_IbLb0EEEEDaSR_SS_EUlSR_E0_NS1_11comp_targetILNS1_3genE10ELNS1_11target_archE1201ELNS1_3gpuE5ELNS1_3repE0EEENS1_30default_config_static_selectorELNS0_4arch9wavefront6targetE0EEEvT1_,comdat
.Lfunc_end148:
	.size	_ZN7rocprim17ROCPRIM_400000_NS6detail17trampoline_kernelINS0_14default_configENS1_20scan_config_selectorIfEEZZNS1_9scan_implILNS1_25lookback_scan_determinismE0ELb0ELb0ES3_PKfPffZZZN2at6native31launch_logcumsumexp_cuda_kernelERKNSB_10TensorBaseESF_lENKUlvE_clEvENKUlvE0_clEvEUlffE_fEEDaPvRmT3_T4_T5_mT6_P12ihipStream_tbENKUlT_T0_E_clISt17integral_constantIbLb1EESV_IbLb0EEEEDaSR_SS_EUlSR_E0_NS1_11comp_targetILNS1_3genE10ELNS1_11target_archE1201ELNS1_3gpuE5ELNS1_3repE0EEENS1_30default_config_static_selectorELNS0_4arch9wavefront6targetE0EEEvT1_, .Lfunc_end148-_ZN7rocprim17ROCPRIM_400000_NS6detail17trampoline_kernelINS0_14default_configENS1_20scan_config_selectorIfEEZZNS1_9scan_implILNS1_25lookback_scan_determinismE0ELb0ELb0ES3_PKfPffZZZN2at6native31launch_logcumsumexp_cuda_kernelERKNSB_10TensorBaseESF_lENKUlvE_clEvENKUlvE0_clEvEUlffE_fEEDaPvRmT3_T4_T5_mT6_P12ihipStream_tbENKUlT_T0_E_clISt17integral_constantIbLb1EESV_IbLb0EEEEDaSR_SS_EUlSR_E0_NS1_11comp_targetILNS1_3genE10ELNS1_11target_archE1201ELNS1_3gpuE5ELNS1_3repE0EEENS1_30default_config_static_selectorELNS0_4arch9wavefront6targetE0EEEvT1_
                                        ; -- End function
	.set _ZN7rocprim17ROCPRIM_400000_NS6detail17trampoline_kernelINS0_14default_configENS1_20scan_config_selectorIfEEZZNS1_9scan_implILNS1_25lookback_scan_determinismE0ELb0ELb0ES3_PKfPffZZZN2at6native31launch_logcumsumexp_cuda_kernelERKNSB_10TensorBaseESF_lENKUlvE_clEvENKUlvE0_clEvEUlffE_fEEDaPvRmT3_T4_T5_mT6_P12ihipStream_tbENKUlT_T0_E_clISt17integral_constantIbLb1EESV_IbLb0EEEEDaSR_SS_EUlSR_E0_NS1_11comp_targetILNS1_3genE10ELNS1_11target_archE1201ELNS1_3gpuE5ELNS1_3repE0EEENS1_30default_config_static_selectorELNS0_4arch9wavefront6targetE0EEEvT1_.num_vgpr, 0
	.set _ZN7rocprim17ROCPRIM_400000_NS6detail17trampoline_kernelINS0_14default_configENS1_20scan_config_selectorIfEEZZNS1_9scan_implILNS1_25lookback_scan_determinismE0ELb0ELb0ES3_PKfPffZZZN2at6native31launch_logcumsumexp_cuda_kernelERKNSB_10TensorBaseESF_lENKUlvE_clEvENKUlvE0_clEvEUlffE_fEEDaPvRmT3_T4_T5_mT6_P12ihipStream_tbENKUlT_T0_E_clISt17integral_constantIbLb1EESV_IbLb0EEEEDaSR_SS_EUlSR_E0_NS1_11comp_targetILNS1_3genE10ELNS1_11target_archE1201ELNS1_3gpuE5ELNS1_3repE0EEENS1_30default_config_static_selectorELNS0_4arch9wavefront6targetE0EEEvT1_.num_agpr, 0
	.set _ZN7rocprim17ROCPRIM_400000_NS6detail17trampoline_kernelINS0_14default_configENS1_20scan_config_selectorIfEEZZNS1_9scan_implILNS1_25lookback_scan_determinismE0ELb0ELb0ES3_PKfPffZZZN2at6native31launch_logcumsumexp_cuda_kernelERKNSB_10TensorBaseESF_lENKUlvE_clEvENKUlvE0_clEvEUlffE_fEEDaPvRmT3_T4_T5_mT6_P12ihipStream_tbENKUlT_T0_E_clISt17integral_constantIbLb1EESV_IbLb0EEEEDaSR_SS_EUlSR_E0_NS1_11comp_targetILNS1_3genE10ELNS1_11target_archE1201ELNS1_3gpuE5ELNS1_3repE0EEENS1_30default_config_static_selectorELNS0_4arch9wavefront6targetE0EEEvT1_.numbered_sgpr, 0
	.set _ZN7rocprim17ROCPRIM_400000_NS6detail17trampoline_kernelINS0_14default_configENS1_20scan_config_selectorIfEEZZNS1_9scan_implILNS1_25lookback_scan_determinismE0ELb0ELb0ES3_PKfPffZZZN2at6native31launch_logcumsumexp_cuda_kernelERKNSB_10TensorBaseESF_lENKUlvE_clEvENKUlvE0_clEvEUlffE_fEEDaPvRmT3_T4_T5_mT6_P12ihipStream_tbENKUlT_T0_E_clISt17integral_constantIbLb1EESV_IbLb0EEEEDaSR_SS_EUlSR_E0_NS1_11comp_targetILNS1_3genE10ELNS1_11target_archE1201ELNS1_3gpuE5ELNS1_3repE0EEENS1_30default_config_static_selectorELNS0_4arch9wavefront6targetE0EEEvT1_.num_named_barrier, 0
	.set _ZN7rocprim17ROCPRIM_400000_NS6detail17trampoline_kernelINS0_14default_configENS1_20scan_config_selectorIfEEZZNS1_9scan_implILNS1_25lookback_scan_determinismE0ELb0ELb0ES3_PKfPffZZZN2at6native31launch_logcumsumexp_cuda_kernelERKNSB_10TensorBaseESF_lENKUlvE_clEvENKUlvE0_clEvEUlffE_fEEDaPvRmT3_T4_T5_mT6_P12ihipStream_tbENKUlT_T0_E_clISt17integral_constantIbLb1EESV_IbLb0EEEEDaSR_SS_EUlSR_E0_NS1_11comp_targetILNS1_3genE10ELNS1_11target_archE1201ELNS1_3gpuE5ELNS1_3repE0EEENS1_30default_config_static_selectorELNS0_4arch9wavefront6targetE0EEEvT1_.private_seg_size, 0
	.set _ZN7rocprim17ROCPRIM_400000_NS6detail17trampoline_kernelINS0_14default_configENS1_20scan_config_selectorIfEEZZNS1_9scan_implILNS1_25lookback_scan_determinismE0ELb0ELb0ES3_PKfPffZZZN2at6native31launch_logcumsumexp_cuda_kernelERKNSB_10TensorBaseESF_lENKUlvE_clEvENKUlvE0_clEvEUlffE_fEEDaPvRmT3_T4_T5_mT6_P12ihipStream_tbENKUlT_T0_E_clISt17integral_constantIbLb1EESV_IbLb0EEEEDaSR_SS_EUlSR_E0_NS1_11comp_targetILNS1_3genE10ELNS1_11target_archE1201ELNS1_3gpuE5ELNS1_3repE0EEENS1_30default_config_static_selectorELNS0_4arch9wavefront6targetE0EEEvT1_.uses_vcc, 0
	.set _ZN7rocprim17ROCPRIM_400000_NS6detail17trampoline_kernelINS0_14default_configENS1_20scan_config_selectorIfEEZZNS1_9scan_implILNS1_25lookback_scan_determinismE0ELb0ELb0ES3_PKfPffZZZN2at6native31launch_logcumsumexp_cuda_kernelERKNSB_10TensorBaseESF_lENKUlvE_clEvENKUlvE0_clEvEUlffE_fEEDaPvRmT3_T4_T5_mT6_P12ihipStream_tbENKUlT_T0_E_clISt17integral_constantIbLb1EESV_IbLb0EEEEDaSR_SS_EUlSR_E0_NS1_11comp_targetILNS1_3genE10ELNS1_11target_archE1201ELNS1_3gpuE5ELNS1_3repE0EEENS1_30default_config_static_selectorELNS0_4arch9wavefront6targetE0EEEvT1_.uses_flat_scratch, 0
	.set _ZN7rocprim17ROCPRIM_400000_NS6detail17trampoline_kernelINS0_14default_configENS1_20scan_config_selectorIfEEZZNS1_9scan_implILNS1_25lookback_scan_determinismE0ELb0ELb0ES3_PKfPffZZZN2at6native31launch_logcumsumexp_cuda_kernelERKNSB_10TensorBaseESF_lENKUlvE_clEvENKUlvE0_clEvEUlffE_fEEDaPvRmT3_T4_T5_mT6_P12ihipStream_tbENKUlT_T0_E_clISt17integral_constantIbLb1EESV_IbLb0EEEEDaSR_SS_EUlSR_E0_NS1_11comp_targetILNS1_3genE10ELNS1_11target_archE1201ELNS1_3gpuE5ELNS1_3repE0EEENS1_30default_config_static_selectorELNS0_4arch9wavefront6targetE0EEEvT1_.has_dyn_sized_stack, 0
	.set _ZN7rocprim17ROCPRIM_400000_NS6detail17trampoline_kernelINS0_14default_configENS1_20scan_config_selectorIfEEZZNS1_9scan_implILNS1_25lookback_scan_determinismE0ELb0ELb0ES3_PKfPffZZZN2at6native31launch_logcumsumexp_cuda_kernelERKNSB_10TensorBaseESF_lENKUlvE_clEvENKUlvE0_clEvEUlffE_fEEDaPvRmT3_T4_T5_mT6_P12ihipStream_tbENKUlT_T0_E_clISt17integral_constantIbLb1EESV_IbLb0EEEEDaSR_SS_EUlSR_E0_NS1_11comp_targetILNS1_3genE10ELNS1_11target_archE1201ELNS1_3gpuE5ELNS1_3repE0EEENS1_30default_config_static_selectorELNS0_4arch9wavefront6targetE0EEEvT1_.has_recursion, 0
	.set _ZN7rocprim17ROCPRIM_400000_NS6detail17trampoline_kernelINS0_14default_configENS1_20scan_config_selectorIfEEZZNS1_9scan_implILNS1_25lookback_scan_determinismE0ELb0ELb0ES3_PKfPffZZZN2at6native31launch_logcumsumexp_cuda_kernelERKNSB_10TensorBaseESF_lENKUlvE_clEvENKUlvE0_clEvEUlffE_fEEDaPvRmT3_T4_T5_mT6_P12ihipStream_tbENKUlT_T0_E_clISt17integral_constantIbLb1EESV_IbLb0EEEEDaSR_SS_EUlSR_E0_NS1_11comp_targetILNS1_3genE10ELNS1_11target_archE1201ELNS1_3gpuE5ELNS1_3repE0EEENS1_30default_config_static_selectorELNS0_4arch9wavefront6targetE0EEEvT1_.has_indirect_call, 0
	.section	.AMDGPU.csdata,"",@progbits
; Kernel info:
; codeLenInByte = 0
; TotalNumSgprs: 0
; NumVgprs: 0
; ScratchSize: 0
; MemoryBound: 0
; FloatMode: 240
; IeeeMode: 1
; LDSByteSize: 0 bytes/workgroup (compile time only)
; SGPRBlocks: 0
; VGPRBlocks: 0
; NumSGPRsForWavesPerEU: 1
; NumVGPRsForWavesPerEU: 1
; Occupancy: 16
; WaveLimiterHint : 0
; COMPUTE_PGM_RSRC2:SCRATCH_EN: 0
; COMPUTE_PGM_RSRC2:USER_SGPR: 6
; COMPUTE_PGM_RSRC2:TRAP_HANDLER: 0
; COMPUTE_PGM_RSRC2:TGID_X_EN: 1
; COMPUTE_PGM_RSRC2:TGID_Y_EN: 0
; COMPUTE_PGM_RSRC2:TGID_Z_EN: 0
; COMPUTE_PGM_RSRC2:TIDIG_COMP_CNT: 0
	.section	.text._ZN7rocprim17ROCPRIM_400000_NS6detail17trampoline_kernelINS0_14default_configENS1_20scan_config_selectorIfEEZZNS1_9scan_implILNS1_25lookback_scan_determinismE0ELb0ELb0ES3_PKfPffZZZN2at6native31launch_logcumsumexp_cuda_kernelERKNSB_10TensorBaseESF_lENKUlvE_clEvENKUlvE0_clEvEUlffE_fEEDaPvRmT3_T4_T5_mT6_P12ihipStream_tbENKUlT_T0_E_clISt17integral_constantIbLb1EESV_IbLb0EEEEDaSR_SS_EUlSR_E0_NS1_11comp_targetILNS1_3genE10ELNS1_11target_archE1200ELNS1_3gpuE4ELNS1_3repE0EEENS1_30default_config_static_selectorELNS0_4arch9wavefront6targetE0EEEvT1_,"axG",@progbits,_ZN7rocprim17ROCPRIM_400000_NS6detail17trampoline_kernelINS0_14default_configENS1_20scan_config_selectorIfEEZZNS1_9scan_implILNS1_25lookback_scan_determinismE0ELb0ELb0ES3_PKfPffZZZN2at6native31launch_logcumsumexp_cuda_kernelERKNSB_10TensorBaseESF_lENKUlvE_clEvENKUlvE0_clEvEUlffE_fEEDaPvRmT3_T4_T5_mT6_P12ihipStream_tbENKUlT_T0_E_clISt17integral_constantIbLb1EESV_IbLb0EEEEDaSR_SS_EUlSR_E0_NS1_11comp_targetILNS1_3genE10ELNS1_11target_archE1200ELNS1_3gpuE4ELNS1_3repE0EEENS1_30default_config_static_selectorELNS0_4arch9wavefront6targetE0EEEvT1_,comdat
	.globl	_ZN7rocprim17ROCPRIM_400000_NS6detail17trampoline_kernelINS0_14default_configENS1_20scan_config_selectorIfEEZZNS1_9scan_implILNS1_25lookback_scan_determinismE0ELb0ELb0ES3_PKfPffZZZN2at6native31launch_logcumsumexp_cuda_kernelERKNSB_10TensorBaseESF_lENKUlvE_clEvENKUlvE0_clEvEUlffE_fEEDaPvRmT3_T4_T5_mT6_P12ihipStream_tbENKUlT_T0_E_clISt17integral_constantIbLb1EESV_IbLb0EEEEDaSR_SS_EUlSR_E0_NS1_11comp_targetILNS1_3genE10ELNS1_11target_archE1200ELNS1_3gpuE4ELNS1_3repE0EEENS1_30default_config_static_selectorELNS0_4arch9wavefront6targetE0EEEvT1_ ; -- Begin function _ZN7rocprim17ROCPRIM_400000_NS6detail17trampoline_kernelINS0_14default_configENS1_20scan_config_selectorIfEEZZNS1_9scan_implILNS1_25lookback_scan_determinismE0ELb0ELb0ES3_PKfPffZZZN2at6native31launch_logcumsumexp_cuda_kernelERKNSB_10TensorBaseESF_lENKUlvE_clEvENKUlvE0_clEvEUlffE_fEEDaPvRmT3_T4_T5_mT6_P12ihipStream_tbENKUlT_T0_E_clISt17integral_constantIbLb1EESV_IbLb0EEEEDaSR_SS_EUlSR_E0_NS1_11comp_targetILNS1_3genE10ELNS1_11target_archE1200ELNS1_3gpuE4ELNS1_3repE0EEENS1_30default_config_static_selectorELNS0_4arch9wavefront6targetE0EEEvT1_
	.p2align	8
	.type	_ZN7rocprim17ROCPRIM_400000_NS6detail17trampoline_kernelINS0_14default_configENS1_20scan_config_selectorIfEEZZNS1_9scan_implILNS1_25lookback_scan_determinismE0ELb0ELb0ES3_PKfPffZZZN2at6native31launch_logcumsumexp_cuda_kernelERKNSB_10TensorBaseESF_lENKUlvE_clEvENKUlvE0_clEvEUlffE_fEEDaPvRmT3_T4_T5_mT6_P12ihipStream_tbENKUlT_T0_E_clISt17integral_constantIbLb1EESV_IbLb0EEEEDaSR_SS_EUlSR_E0_NS1_11comp_targetILNS1_3genE10ELNS1_11target_archE1200ELNS1_3gpuE4ELNS1_3repE0EEENS1_30default_config_static_selectorELNS0_4arch9wavefront6targetE0EEEvT1_,@function
_ZN7rocprim17ROCPRIM_400000_NS6detail17trampoline_kernelINS0_14default_configENS1_20scan_config_selectorIfEEZZNS1_9scan_implILNS1_25lookback_scan_determinismE0ELb0ELb0ES3_PKfPffZZZN2at6native31launch_logcumsumexp_cuda_kernelERKNSB_10TensorBaseESF_lENKUlvE_clEvENKUlvE0_clEvEUlffE_fEEDaPvRmT3_T4_T5_mT6_P12ihipStream_tbENKUlT_T0_E_clISt17integral_constantIbLb1EESV_IbLb0EEEEDaSR_SS_EUlSR_E0_NS1_11comp_targetILNS1_3genE10ELNS1_11target_archE1200ELNS1_3gpuE4ELNS1_3repE0EEENS1_30default_config_static_selectorELNS0_4arch9wavefront6targetE0EEEvT1_: ; @_ZN7rocprim17ROCPRIM_400000_NS6detail17trampoline_kernelINS0_14default_configENS1_20scan_config_selectorIfEEZZNS1_9scan_implILNS1_25lookback_scan_determinismE0ELb0ELb0ES3_PKfPffZZZN2at6native31launch_logcumsumexp_cuda_kernelERKNSB_10TensorBaseESF_lENKUlvE_clEvENKUlvE0_clEvEUlffE_fEEDaPvRmT3_T4_T5_mT6_P12ihipStream_tbENKUlT_T0_E_clISt17integral_constantIbLb1EESV_IbLb0EEEEDaSR_SS_EUlSR_E0_NS1_11comp_targetILNS1_3genE10ELNS1_11target_archE1200ELNS1_3gpuE4ELNS1_3repE0EEENS1_30default_config_static_selectorELNS0_4arch9wavefront6targetE0EEEvT1_
; %bb.0:
	.section	.rodata,"a",@progbits
	.p2align	6, 0x0
	.amdhsa_kernel _ZN7rocprim17ROCPRIM_400000_NS6detail17trampoline_kernelINS0_14default_configENS1_20scan_config_selectorIfEEZZNS1_9scan_implILNS1_25lookback_scan_determinismE0ELb0ELb0ES3_PKfPffZZZN2at6native31launch_logcumsumexp_cuda_kernelERKNSB_10TensorBaseESF_lENKUlvE_clEvENKUlvE0_clEvEUlffE_fEEDaPvRmT3_T4_T5_mT6_P12ihipStream_tbENKUlT_T0_E_clISt17integral_constantIbLb1EESV_IbLb0EEEEDaSR_SS_EUlSR_E0_NS1_11comp_targetILNS1_3genE10ELNS1_11target_archE1200ELNS1_3gpuE4ELNS1_3repE0EEENS1_30default_config_static_selectorELNS0_4arch9wavefront6targetE0EEEvT1_
		.amdhsa_group_segment_fixed_size 0
		.amdhsa_private_segment_fixed_size 0
		.amdhsa_kernarg_size 32
		.amdhsa_user_sgpr_count 6
		.amdhsa_user_sgpr_private_segment_buffer 1
		.amdhsa_user_sgpr_dispatch_ptr 0
		.amdhsa_user_sgpr_queue_ptr 0
		.amdhsa_user_sgpr_kernarg_segment_ptr 1
		.amdhsa_user_sgpr_dispatch_id 0
		.amdhsa_user_sgpr_flat_scratch_init 0
		.amdhsa_user_sgpr_private_segment_size 0
		.amdhsa_wavefront_size32 1
		.amdhsa_uses_dynamic_stack 0
		.amdhsa_system_sgpr_private_segment_wavefront_offset 0
		.amdhsa_system_sgpr_workgroup_id_x 1
		.amdhsa_system_sgpr_workgroup_id_y 0
		.amdhsa_system_sgpr_workgroup_id_z 0
		.amdhsa_system_sgpr_workgroup_info 0
		.amdhsa_system_vgpr_workitem_id 0
		.amdhsa_next_free_vgpr 1
		.amdhsa_next_free_sgpr 1
		.amdhsa_reserve_vcc 0
		.amdhsa_reserve_flat_scratch 0
		.amdhsa_float_round_mode_32 0
		.amdhsa_float_round_mode_16_64 0
		.amdhsa_float_denorm_mode_32 3
		.amdhsa_float_denorm_mode_16_64 3
		.amdhsa_dx10_clamp 1
		.amdhsa_ieee_mode 1
		.amdhsa_fp16_overflow 0
		.amdhsa_workgroup_processor_mode 1
		.amdhsa_memory_ordered 1
		.amdhsa_forward_progress 1
		.amdhsa_shared_vgpr_count 0
		.amdhsa_exception_fp_ieee_invalid_op 0
		.amdhsa_exception_fp_denorm_src 0
		.amdhsa_exception_fp_ieee_div_zero 0
		.amdhsa_exception_fp_ieee_overflow 0
		.amdhsa_exception_fp_ieee_underflow 0
		.amdhsa_exception_fp_ieee_inexact 0
		.amdhsa_exception_int_div_zero 0
	.end_amdhsa_kernel
	.section	.text._ZN7rocprim17ROCPRIM_400000_NS6detail17trampoline_kernelINS0_14default_configENS1_20scan_config_selectorIfEEZZNS1_9scan_implILNS1_25lookback_scan_determinismE0ELb0ELb0ES3_PKfPffZZZN2at6native31launch_logcumsumexp_cuda_kernelERKNSB_10TensorBaseESF_lENKUlvE_clEvENKUlvE0_clEvEUlffE_fEEDaPvRmT3_T4_T5_mT6_P12ihipStream_tbENKUlT_T0_E_clISt17integral_constantIbLb1EESV_IbLb0EEEEDaSR_SS_EUlSR_E0_NS1_11comp_targetILNS1_3genE10ELNS1_11target_archE1200ELNS1_3gpuE4ELNS1_3repE0EEENS1_30default_config_static_selectorELNS0_4arch9wavefront6targetE0EEEvT1_,"axG",@progbits,_ZN7rocprim17ROCPRIM_400000_NS6detail17trampoline_kernelINS0_14default_configENS1_20scan_config_selectorIfEEZZNS1_9scan_implILNS1_25lookback_scan_determinismE0ELb0ELb0ES3_PKfPffZZZN2at6native31launch_logcumsumexp_cuda_kernelERKNSB_10TensorBaseESF_lENKUlvE_clEvENKUlvE0_clEvEUlffE_fEEDaPvRmT3_T4_T5_mT6_P12ihipStream_tbENKUlT_T0_E_clISt17integral_constantIbLb1EESV_IbLb0EEEEDaSR_SS_EUlSR_E0_NS1_11comp_targetILNS1_3genE10ELNS1_11target_archE1200ELNS1_3gpuE4ELNS1_3repE0EEENS1_30default_config_static_selectorELNS0_4arch9wavefront6targetE0EEEvT1_,comdat
.Lfunc_end149:
	.size	_ZN7rocprim17ROCPRIM_400000_NS6detail17trampoline_kernelINS0_14default_configENS1_20scan_config_selectorIfEEZZNS1_9scan_implILNS1_25lookback_scan_determinismE0ELb0ELb0ES3_PKfPffZZZN2at6native31launch_logcumsumexp_cuda_kernelERKNSB_10TensorBaseESF_lENKUlvE_clEvENKUlvE0_clEvEUlffE_fEEDaPvRmT3_T4_T5_mT6_P12ihipStream_tbENKUlT_T0_E_clISt17integral_constantIbLb1EESV_IbLb0EEEEDaSR_SS_EUlSR_E0_NS1_11comp_targetILNS1_3genE10ELNS1_11target_archE1200ELNS1_3gpuE4ELNS1_3repE0EEENS1_30default_config_static_selectorELNS0_4arch9wavefront6targetE0EEEvT1_, .Lfunc_end149-_ZN7rocprim17ROCPRIM_400000_NS6detail17trampoline_kernelINS0_14default_configENS1_20scan_config_selectorIfEEZZNS1_9scan_implILNS1_25lookback_scan_determinismE0ELb0ELb0ES3_PKfPffZZZN2at6native31launch_logcumsumexp_cuda_kernelERKNSB_10TensorBaseESF_lENKUlvE_clEvENKUlvE0_clEvEUlffE_fEEDaPvRmT3_T4_T5_mT6_P12ihipStream_tbENKUlT_T0_E_clISt17integral_constantIbLb1EESV_IbLb0EEEEDaSR_SS_EUlSR_E0_NS1_11comp_targetILNS1_3genE10ELNS1_11target_archE1200ELNS1_3gpuE4ELNS1_3repE0EEENS1_30default_config_static_selectorELNS0_4arch9wavefront6targetE0EEEvT1_
                                        ; -- End function
	.set _ZN7rocprim17ROCPRIM_400000_NS6detail17trampoline_kernelINS0_14default_configENS1_20scan_config_selectorIfEEZZNS1_9scan_implILNS1_25lookback_scan_determinismE0ELb0ELb0ES3_PKfPffZZZN2at6native31launch_logcumsumexp_cuda_kernelERKNSB_10TensorBaseESF_lENKUlvE_clEvENKUlvE0_clEvEUlffE_fEEDaPvRmT3_T4_T5_mT6_P12ihipStream_tbENKUlT_T0_E_clISt17integral_constantIbLb1EESV_IbLb0EEEEDaSR_SS_EUlSR_E0_NS1_11comp_targetILNS1_3genE10ELNS1_11target_archE1200ELNS1_3gpuE4ELNS1_3repE0EEENS1_30default_config_static_selectorELNS0_4arch9wavefront6targetE0EEEvT1_.num_vgpr, 0
	.set _ZN7rocprim17ROCPRIM_400000_NS6detail17trampoline_kernelINS0_14default_configENS1_20scan_config_selectorIfEEZZNS1_9scan_implILNS1_25lookback_scan_determinismE0ELb0ELb0ES3_PKfPffZZZN2at6native31launch_logcumsumexp_cuda_kernelERKNSB_10TensorBaseESF_lENKUlvE_clEvENKUlvE0_clEvEUlffE_fEEDaPvRmT3_T4_T5_mT6_P12ihipStream_tbENKUlT_T0_E_clISt17integral_constantIbLb1EESV_IbLb0EEEEDaSR_SS_EUlSR_E0_NS1_11comp_targetILNS1_3genE10ELNS1_11target_archE1200ELNS1_3gpuE4ELNS1_3repE0EEENS1_30default_config_static_selectorELNS0_4arch9wavefront6targetE0EEEvT1_.num_agpr, 0
	.set _ZN7rocprim17ROCPRIM_400000_NS6detail17trampoline_kernelINS0_14default_configENS1_20scan_config_selectorIfEEZZNS1_9scan_implILNS1_25lookback_scan_determinismE0ELb0ELb0ES3_PKfPffZZZN2at6native31launch_logcumsumexp_cuda_kernelERKNSB_10TensorBaseESF_lENKUlvE_clEvENKUlvE0_clEvEUlffE_fEEDaPvRmT3_T4_T5_mT6_P12ihipStream_tbENKUlT_T0_E_clISt17integral_constantIbLb1EESV_IbLb0EEEEDaSR_SS_EUlSR_E0_NS1_11comp_targetILNS1_3genE10ELNS1_11target_archE1200ELNS1_3gpuE4ELNS1_3repE0EEENS1_30default_config_static_selectorELNS0_4arch9wavefront6targetE0EEEvT1_.numbered_sgpr, 0
	.set _ZN7rocprim17ROCPRIM_400000_NS6detail17trampoline_kernelINS0_14default_configENS1_20scan_config_selectorIfEEZZNS1_9scan_implILNS1_25lookback_scan_determinismE0ELb0ELb0ES3_PKfPffZZZN2at6native31launch_logcumsumexp_cuda_kernelERKNSB_10TensorBaseESF_lENKUlvE_clEvENKUlvE0_clEvEUlffE_fEEDaPvRmT3_T4_T5_mT6_P12ihipStream_tbENKUlT_T0_E_clISt17integral_constantIbLb1EESV_IbLb0EEEEDaSR_SS_EUlSR_E0_NS1_11comp_targetILNS1_3genE10ELNS1_11target_archE1200ELNS1_3gpuE4ELNS1_3repE0EEENS1_30default_config_static_selectorELNS0_4arch9wavefront6targetE0EEEvT1_.num_named_barrier, 0
	.set _ZN7rocprim17ROCPRIM_400000_NS6detail17trampoline_kernelINS0_14default_configENS1_20scan_config_selectorIfEEZZNS1_9scan_implILNS1_25lookback_scan_determinismE0ELb0ELb0ES3_PKfPffZZZN2at6native31launch_logcumsumexp_cuda_kernelERKNSB_10TensorBaseESF_lENKUlvE_clEvENKUlvE0_clEvEUlffE_fEEDaPvRmT3_T4_T5_mT6_P12ihipStream_tbENKUlT_T0_E_clISt17integral_constantIbLb1EESV_IbLb0EEEEDaSR_SS_EUlSR_E0_NS1_11comp_targetILNS1_3genE10ELNS1_11target_archE1200ELNS1_3gpuE4ELNS1_3repE0EEENS1_30default_config_static_selectorELNS0_4arch9wavefront6targetE0EEEvT1_.private_seg_size, 0
	.set _ZN7rocprim17ROCPRIM_400000_NS6detail17trampoline_kernelINS0_14default_configENS1_20scan_config_selectorIfEEZZNS1_9scan_implILNS1_25lookback_scan_determinismE0ELb0ELb0ES3_PKfPffZZZN2at6native31launch_logcumsumexp_cuda_kernelERKNSB_10TensorBaseESF_lENKUlvE_clEvENKUlvE0_clEvEUlffE_fEEDaPvRmT3_T4_T5_mT6_P12ihipStream_tbENKUlT_T0_E_clISt17integral_constantIbLb1EESV_IbLb0EEEEDaSR_SS_EUlSR_E0_NS1_11comp_targetILNS1_3genE10ELNS1_11target_archE1200ELNS1_3gpuE4ELNS1_3repE0EEENS1_30default_config_static_selectorELNS0_4arch9wavefront6targetE0EEEvT1_.uses_vcc, 0
	.set _ZN7rocprim17ROCPRIM_400000_NS6detail17trampoline_kernelINS0_14default_configENS1_20scan_config_selectorIfEEZZNS1_9scan_implILNS1_25lookback_scan_determinismE0ELb0ELb0ES3_PKfPffZZZN2at6native31launch_logcumsumexp_cuda_kernelERKNSB_10TensorBaseESF_lENKUlvE_clEvENKUlvE0_clEvEUlffE_fEEDaPvRmT3_T4_T5_mT6_P12ihipStream_tbENKUlT_T0_E_clISt17integral_constantIbLb1EESV_IbLb0EEEEDaSR_SS_EUlSR_E0_NS1_11comp_targetILNS1_3genE10ELNS1_11target_archE1200ELNS1_3gpuE4ELNS1_3repE0EEENS1_30default_config_static_selectorELNS0_4arch9wavefront6targetE0EEEvT1_.uses_flat_scratch, 0
	.set _ZN7rocprim17ROCPRIM_400000_NS6detail17trampoline_kernelINS0_14default_configENS1_20scan_config_selectorIfEEZZNS1_9scan_implILNS1_25lookback_scan_determinismE0ELb0ELb0ES3_PKfPffZZZN2at6native31launch_logcumsumexp_cuda_kernelERKNSB_10TensorBaseESF_lENKUlvE_clEvENKUlvE0_clEvEUlffE_fEEDaPvRmT3_T4_T5_mT6_P12ihipStream_tbENKUlT_T0_E_clISt17integral_constantIbLb1EESV_IbLb0EEEEDaSR_SS_EUlSR_E0_NS1_11comp_targetILNS1_3genE10ELNS1_11target_archE1200ELNS1_3gpuE4ELNS1_3repE0EEENS1_30default_config_static_selectorELNS0_4arch9wavefront6targetE0EEEvT1_.has_dyn_sized_stack, 0
	.set _ZN7rocprim17ROCPRIM_400000_NS6detail17trampoline_kernelINS0_14default_configENS1_20scan_config_selectorIfEEZZNS1_9scan_implILNS1_25lookback_scan_determinismE0ELb0ELb0ES3_PKfPffZZZN2at6native31launch_logcumsumexp_cuda_kernelERKNSB_10TensorBaseESF_lENKUlvE_clEvENKUlvE0_clEvEUlffE_fEEDaPvRmT3_T4_T5_mT6_P12ihipStream_tbENKUlT_T0_E_clISt17integral_constantIbLb1EESV_IbLb0EEEEDaSR_SS_EUlSR_E0_NS1_11comp_targetILNS1_3genE10ELNS1_11target_archE1200ELNS1_3gpuE4ELNS1_3repE0EEENS1_30default_config_static_selectorELNS0_4arch9wavefront6targetE0EEEvT1_.has_recursion, 0
	.set _ZN7rocprim17ROCPRIM_400000_NS6detail17trampoline_kernelINS0_14default_configENS1_20scan_config_selectorIfEEZZNS1_9scan_implILNS1_25lookback_scan_determinismE0ELb0ELb0ES3_PKfPffZZZN2at6native31launch_logcumsumexp_cuda_kernelERKNSB_10TensorBaseESF_lENKUlvE_clEvENKUlvE0_clEvEUlffE_fEEDaPvRmT3_T4_T5_mT6_P12ihipStream_tbENKUlT_T0_E_clISt17integral_constantIbLb1EESV_IbLb0EEEEDaSR_SS_EUlSR_E0_NS1_11comp_targetILNS1_3genE10ELNS1_11target_archE1200ELNS1_3gpuE4ELNS1_3repE0EEENS1_30default_config_static_selectorELNS0_4arch9wavefront6targetE0EEEvT1_.has_indirect_call, 0
	.section	.AMDGPU.csdata,"",@progbits
; Kernel info:
; codeLenInByte = 0
; TotalNumSgprs: 0
; NumVgprs: 0
; ScratchSize: 0
; MemoryBound: 0
; FloatMode: 240
; IeeeMode: 1
; LDSByteSize: 0 bytes/workgroup (compile time only)
; SGPRBlocks: 0
; VGPRBlocks: 0
; NumSGPRsForWavesPerEU: 1
; NumVGPRsForWavesPerEU: 1
; Occupancy: 16
; WaveLimiterHint : 0
; COMPUTE_PGM_RSRC2:SCRATCH_EN: 0
; COMPUTE_PGM_RSRC2:USER_SGPR: 6
; COMPUTE_PGM_RSRC2:TRAP_HANDLER: 0
; COMPUTE_PGM_RSRC2:TGID_X_EN: 1
; COMPUTE_PGM_RSRC2:TGID_Y_EN: 0
; COMPUTE_PGM_RSRC2:TGID_Z_EN: 0
; COMPUTE_PGM_RSRC2:TIDIG_COMP_CNT: 0
	.section	.text._ZN7rocprim17ROCPRIM_400000_NS6detail17trampoline_kernelINS0_14default_configENS1_20scan_config_selectorIfEEZZNS1_9scan_implILNS1_25lookback_scan_determinismE0ELb0ELb0ES3_PKfPffZZZN2at6native31launch_logcumsumexp_cuda_kernelERKNSB_10TensorBaseESF_lENKUlvE_clEvENKUlvE0_clEvEUlffE_fEEDaPvRmT3_T4_T5_mT6_P12ihipStream_tbENKUlT_T0_E_clISt17integral_constantIbLb1EESV_IbLb0EEEEDaSR_SS_EUlSR_E0_NS1_11comp_targetILNS1_3genE9ELNS1_11target_archE1100ELNS1_3gpuE3ELNS1_3repE0EEENS1_30default_config_static_selectorELNS0_4arch9wavefront6targetE0EEEvT1_,"axG",@progbits,_ZN7rocprim17ROCPRIM_400000_NS6detail17trampoline_kernelINS0_14default_configENS1_20scan_config_selectorIfEEZZNS1_9scan_implILNS1_25lookback_scan_determinismE0ELb0ELb0ES3_PKfPffZZZN2at6native31launch_logcumsumexp_cuda_kernelERKNSB_10TensorBaseESF_lENKUlvE_clEvENKUlvE0_clEvEUlffE_fEEDaPvRmT3_T4_T5_mT6_P12ihipStream_tbENKUlT_T0_E_clISt17integral_constantIbLb1EESV_IbLb0EEEEDaSR_SS_EUlSR_E0_NS1_11comp_targetILNS1_3genE9ELNS1_11target_archE1100ELNS1_3gpuE3ELNS1_3repE0EEENS1_30default_config_static_selectorELNS0_4arch9wavefront6targetE0EEEvT1_,comdat
	.globl	_ZN7rocprim17ROCPRIM_400000_NS6detail17trampoline_kernelINS0_14default_configENS1_20scan_config_selectorIfEEZZNS1_9scan_implILNS1_25lookback_scan_determinismE0ELb0ELb0ES3_PKfPffZZZN2at6native31launch_logcumsumexp_cuda_kernelERKNSB_10TensorBaseESF_lENKUlvE_clEvENKUlvE0_clEvEUlffE_fEEDaPvRmT3_T4_T5_mT6_P12ihipStream_tbENKUlT_T0_E_clISt17integral_constantIbLb1EESV_IbLb0EEEEDaSR_SS_EUlSR_E0_NS1_11comp_targetILNS1_3genE9ELNS1_11target_archE1100ELNS1_3gpuE3ELNS1_3repE0EEENS1_30default_config_static_selectorELNS0_4arch9wavefront6targetE0EEEvT1_ ; -- Begin function _ZN7rocprim17ROCPRIM_400000_NS6detail17trampoline_kernelINS0_14default_configENS1_20scan_config_selectorIfEEZZNS1_9scan_implILNS1_25lookback_scan_determinismE0ELb0ELb0ES3_PKfPffZZZN2at6native31launch_logcumsumexp_cuda_kernelERKNSB_10TensorBaseESF_lENKUlvE_clEvENKUlvE0_clEvEUlffE_fEEDaPvRmT3_T4_T5_mT6_P12ihipStream_tbENKUlT_T0_E_clISt17integral_constantIbLb1EESV_IbLb0EEEEDaSR_SS_EUlSR_E0_NS1_11comp_targetILNS1_3genE9ELNS1_11target_archE1100ELNS1_3gpuE3ELNS1_3repE0EEENS1_30default_config_static_selectorELNS0_4arch9wavefront6targetE0EEEvT1_
	.p2align	8
	.type	_ZN7rocprim17ROCPRIM_400000_NS6detail17trampoline_kernelINS0_14default_configENS1_20scan_config_selectorIfEEZZNS1_9scan_implILNS1_25lookback_scan_determinismE0ELb0ELb0ES3_PKfPffZZZN2at6native31launch_logcumsumexp_cuda_kernelERKNSB_10TensorBaseESF_lENKUlvE_clEvENKUlvE0_clEvEUlffE_fEEDaPvRmT3_T4_T5_mT6_P12ihipStream_tbENKUlT_T0_E_clISt17integral_constantIbLb1EESV_IbLb0EEEEDaSR_SS_EUlSR_E0_NS1_11comp_targetILNS1_3genE9ELNS1_11target_archE1100ELNS1_3gpuE3ELNS1_3repE0EEENS1_30default_config_static_selectorELNS0_4arch9wavefront6targetE0EEEvT1_,@function
_ZN7rocprim17ROCPRIM_400000_NS6detail17trampoline_kernelINS0_14default_configENS1_20scan_config_selectorIfEEZZNS1_9scan_implILNS1_25lookback_scan_determinismE0ELb0ELb0ES3_PKfPffZZZN2at6native31launch_logcumsumexp_cuda_kernelERKNSB_10TensorBaseESF_lENKUlvE_clEvENKUlvE0_clEvEUlffE_fEEDaPvRmT3_T4_T5_mT6_P12ihipStream_tbENKUlT_T0_E_clISt17integral_constantIbLb1EESV_IbLb0EEEEDaSR_SS_EUlSR_E0_NS1_11comp_targetILNS1_3genE9ELNS1_11target_archE1100ELNS1_3gpuE3ELNS1_3repE0EEENS1_30default_config_static_selectorELNS0_4arch9wavefront6targetE0EEEvT1_: ; @_ZN7rocprim17ROCPRIM_400000_NS6detail17trampoline_kernelINS0_14default_configENS1_20scan_config_selectorIfEEZZNS1_9scan_implILNS1_25lookback_scan_determinismE0ELb0ELb0ES3_PKfPffZZZN2at6native31launch_logcumsumexp_cuda_kernelERKNSB_10TensorBaseESF_lENKUlvE_clEvENKUlvE0_clEvEUlffE_fEEDaPvRmT3_T4_T5_mT6_P12ihipStream_tbENKUlT_T0_E_clISt17integral_constantIbLb1EESV_IbLb0EEEEDaSR_SS_EUlSR_E0_NS1_11comp_targetILNS1_3genE9ELNS1_11target_archE1100ELNS1_3gpuE3ELNS1_3repE0EEENS1_30default_config_static_selectorELNS0_4arch9wavefront6targetE0EEEvT1_
; %bb.0:
	.section	.rodata,"a",@progbits
	.p2align	6, 0x0
	.amdhsa_kernel _ZN7rocprim17ROCPRIM_400000_NS6detail17trampoline_kernelINS0_14default_configENS1_20scan_config_selectorIfEEZZNS1_9scan_implILNS1_25lookback_scan_determinismE0ELb0ELb0ES3_PKfPffZZZN2at6native31launch_logcumsumexp_cuda_kernelERKNSB_10TensorBaseESF_lENKUlvE_clEvENKUlvE0_clEvEUlffE_fEEDaPvRmT3_T4_T5_mT6_P12ihipStream_tbENKUlT_T0_E_clISt17integral_constantIbLb1EESV_IbLb0EEEEDaSR_SS_EUlSR_E0_NS1_11comp_targetILNS1_3genE9ELNS1_11target_archE1100ELNS1_3gpuE3ELNS1_3repE0EEENS1_30default_config_static_selectorELNS0_4arch9wavefront6targetE0EEEvT1_
		.amdhsa_group_segment_fixed_size 0
		.amdhsa_private_segment_fixed_size 0
		.amdhsa_kernarg_size 32
		.amdhsa_user_sgpr_count 6
		.amdhsa_user_sgpr_private_segment_buffer 1
		.amdhsa_user_sgpr_dispatch_ptr 0
		.amdhsa_user_sgpr_queue_ptr 0
		.amdhsa_user_sgpr_kernarg_segment_ptr 1
		.amdhsa_user_sgpr_dispatch_id 0
		.amdhsa_user_sgpr_flat_scratch_init 0
		.amdhsa_user_sgpr_private_segment_size 0
		.amdhsa_wavefront_size32 1
		.amdhsa_uses_dynamic_stack 0
		.amdhsa_system_sgpr_private_segment_wavefront_offset 0
		.amdhsa_system_sgpr_workgroup_id_x 1
		.amdhsa_system_sgpr_workgroup_id_y 0
		.amdhsa_system_sgpr_workgroup_id_z 0
		.amdhsa_system_sgpr_workgroup_info 0
		.amdhsa_system_vgpr_workitem_id 0
		.amdhsa_next_free_vgpr 1
		.amdhsa_next_free_sgpr 1
		.amdhsa_reserve_vcc 0
		.amdhsa_reserve_flat_scratch 0
		.amdhsa_float_round_mode_32 0
		.amdhsa_float_round_mode_16_64 0
		.amdhsa_float_denorm_mode_32 3
		.amdhsa_float_denorm_mode_16_64 3
		.amdhsa_dx10_clamp 1
		.amdhsa_ieee_mode 1
		.amdhsa_fp16_overflow 0
		.amdhsa_workgroup_processor_mode 1
		.amdhsa_memory_ordered 1
		.amdhsa_forward_progress 1
		.amdhsa_shared_vgpr_count 0
		.amdhsa_exception_fp_ieee_invalid_op 0
		.amdhsa_exception_fp_denorm_src 0
		.amdhsa_exception_fp_ieee_div_zero 0
		.amdhsa_exception_fp_ieee_overflow 0
		.amdhsa_exception_fp_ieee_underflow 0
		.amdhsa_exception_fp_ieee_inexact 0
		.amdhsa_exception_int_div_zero 0
	.end_amdhsa_kernel
	.section	.text._ZN7rocprim17ROCPRIM_400000_NS6detail17trampoline_kernelINS0_14default_configENS1_20scan_config_selectorIfEEZZNS1_9scan_implILNS1_25lookback_scan_determinismE0ELb0ELb0ES3_PKfPffZZZN2at6native31launch_logcumsumexp_cuda_kernelERKNSB_10TensorBaseESF_lENKUlvE_clEvENKUlvE0_clEvEUlffE_fEEDaPvRmT3_T4_T5_mT6_P12ihipStream_tbENKUlT_T0_E_clISt17integral_constantIbLb1EESV_IbLb0EEEEDaSR_SS_EUlSR_E0_NS1_11comp_targetILNS1_3genE9ELNS1_11target_archE1100ELNS1_3gpuE3ELNS1_3repE0EEENS1_30default_config_static_selectorELNS0_4arch9wavefront6targetE0EEEvT1_,"axG",@progbits,_ZN7rocprim17ROCPRIM_400000_NS6detail17trampoline_kernelINS0_14default_configENS1_20scan_config_selectorIfEEZZNS1_9scan_implILNS1_25lookback_scan_determinismE0ELb0ELb0ES3_PKfPffZZZN2at6native31launch_logcumsumexp_cuda_kernelERKNSB_10TensorBaseESF_lENKUlvE_clEvENKUlvE0_clEvEUlffE_fEEDaPvRmT3_T4_T5_mT6_P12ihipStream_tbENKUlT_T0_E_clISt17integral_constantIbLb1EESV_IbLb0EEEEDaSR_SS_EUlSR_E0_NS1_11comp_targetILNS1_3genE9ELNS1_11target_archE1100ELNS1_3gpuE3ELNS1_3repE0EEENS1_30default_config_static_selectorELNS0_4arch9wavefront6targetE0EEEvT1_,comdat
.Lfunc_end150:
	.size	_ZN7rocprim17ROCPRIM_400000_NS6detail17trampoline_kernelINS0_14default_configENS1_20scan_config_selectorIfEEZZNS1_9scan_implILNS1_25lookback_scan_determinismE0ELb0ELb0ES3_PKfPffZZZN2at6native31launch_logcumsumexp_cuda_kernelERKNSB_10TensorBaseESF_lENKUlvE_clEvENKUlvE0_clEvEUlffE_fEEDaPvRmT3_T4_T5_mT6_P12ihipStream_tbENKUlT_T0_E_clISt17integral_constantIbLb1EESV_IbLb0EEEEDaSR_SS_EUlSR_E0_NS1_11comp_targetILNS1_3genE9ELNS1_11target_archE1100ELNS1_3gpuE3ELNS1_3repE0EEENS1_30default_config_static_selectorELNS0_4arch9wavefront6targetE0EEEvT1_, .Lfunc_end150-_ZN7rocprim17ROCPRIM_400000_NS6detail17trampoline_kernelINS0_14default_configENS1_20scan_config_selectorIfEEZZNS1_9scan_implILNS1_25lookback_scan_determinismE0ELb0ELb0ES3_PKfPffZZZN2at6native31launch_logcumsumexp_cuda_kernelERKNSB_10TensorBaseESF_lENKUlvE_clEvENKUlvE0_clEvEUlffE_fEEDaPvRmT3_T4_T5_mT6_P12ihipStream_tbENKUlT_T0_E_clISt17integral_constantIbLb1EESV_IbLb0EEEEDaSR_SS_EUlSR_E0_NS1_11comp_targetILNS1_3genE9ELNS1_11target_archE1100ELNS1_3gpuE3ELNS1_3repE0EEENS1_30default_config_static_selectorELNS0_4arch9wavefront6targetE0EEEvT1_
                                        ; -- End function
	.set _ZN7rocprim17ROCPRIM_400000_NS6detail17trampoline_kernelINS0_14default_configENS1_20scan_config_selectorIfEEZZNS1_9scan_implILNS1_25lookback_scan_determinismE0ELb0ELb0ES3_PKfPffZZZN2at6native31launch_logcumsumexp_cuda_kernelERKNSB_10TensorBaseESF_lENKUlvE_clEvENKUlvE0_clEvEUlffE_fEEDaPvRmT3_T4_T5_mT6_P12ihipStream_tbENKUlT_T0_E_clISt17integral_constantIbLb1EESV_IbLb0EEEEDaSR_SS_EUlSR_E0_NS1_11comp_targetILNS1_3genE9ELNS1_11target_archE1100ELNS1_3gpuE3ELNS1_3repE0EEENS1_30default_config_static_selectorELNS0_4arch9wavefront6targetE0EEEvT1_.num_vgpr, 0
	.set _ZN7rocprim17ROCPRIM_400000_NS6detail17trampoline_kernelINS0_14default_configENS1_20scan_config_selectorIfEEZZNS1_9scan_implILNS1_25lookback_scan_determinismE0ELb0ELb0ES3_PKfPffZZZN2at6native31launch_logcumsumexp_cuda_kernelERKNSB_10TensorBaseESF_lENKUlvE_clEvENKUlvE0_clEvEUlffE_fEEDaPvRmT3_T4_T5_mT6_P12ihipStream_tbENKUlT_T0_E_clISt17integral_constantIbLb1EESV_IbLb0EEEEDaSR_SS_EUlSR_E0_NS1_11comp_targetILNS1_3genE9ELNS1_11target_archE1100ELNS1_3gpuE3ELNS1_3repE0EEENS1_30default_config_static_selectorELNS0_4arch9wavefront6targetE0EEEvT1_.num_agpr, 0
	.set _ZN7rocprim17ROCPRIM_400000_NS6detail17trampoline_kernelINS0_14default_configENS1_20scan_config_selectorIfEEZZNS1_9scan_implILNS1_25lookback_scan_determinismE0ELb0ELb0ES3_PKfPffZZZN2at6native31launch_logcumsumexp_cuda_kernelERKNSB_10TensorBaseESF_lENKUlvE_clEvENKUlvE0_clEvEUlffE_fEEDaPvRmT3_T4_T5_mT6_P12ihipStream_tbENKUlT_T0_E_clISt17integral_constantIbLb1EESV_IbLb0EEEEDaSR_SS_EUlSR_E0_NS1_11comp_targetILNS1_3genE9ELNS1_11target_archE1100ELNS1_3gpuE3ELNS1_3repE0EEENS1_30default_config_static_selectorELNS0_4arch9wavefront6targetE0EEEvT1_.numbered_sgpr, 0
	.set _ZN7rocprim17ROCPRIM_400000_NS6detail17trampoline_kernelINS0_14default_configENS1_20scan_config_selectorIfEEZZNS1_9scan_implILNS1_25lookback_scan_determinismE0ELb0ELb0ES3_PKfPffZZZN2at6native31launch_logcumsumexp_cuda_kernelERKNSB_10TensorBaseESF_lENKUlvE_clEvENKUlvE0_clEvEUlffE_fEEDaPvRmT3_T4_T5_mT6_P12ihipStream_tbENKUlT_T0_E_clISt17integral_constantIbLb1EESV_IbLb0EEEEDaSR_SS_EUlSR_E0_NS1_11comp_targetILNS1_3genE9ELNS1_11target_archE1100ELNS1_3gpuE3ELNS1_3repE0EEENS1_30default_config_static_selectorELNS0_4arch9wavefront6targetE0EEEvT1_.num_named_barrier, 0
	.set _ZN7rocprim17ROCPRIM_400000_NS6detail17trampoline_kernelINS0_14default_configENS1_20scan_config_selectorIfEEZZNS1_9scan_implILNS1_25lookback_scan_determinismE0ELb0ELb0ES3_PKfPffZZZN2at6native31launch_logcumsumexp_cuda_kernelERKNSB_10TensorBaseESF_lENKUlvE_clEvENKUlvE0_clEvEUlffE_fEEDaPvRmT3_T4_T5_mT6_P12ihipStream_tbENKUlT_T0_E_clISt17integral_constantIbLb1EESV_IbLb0EEEEDaSR_SS_EUlSR_E0_NS1_11comp_targetILNS1_3genE9ELNS1_11target_archE1100ELNS1_3gpuE3ELNS1_3repE0EEENS1_30default_config_static_selectorELNS0_4arch9wavefront6targetE0EEEvT1_.private_seg_size, 0
	.set _ZN7rocprim17ROCPRIM_400000_NS6detail17trampoline_kernelINS0_14default_configENS1_20scan_config_selectorIfEEZZNS1_9scan_implILNS1_25lookback_scan_determinismE0ELb0ELb0ES3_PKfPffZZZN2at6native31launch_logcumsumexp_cuda_kernelERKNSB_10TensorBaseESF_lENKUlvE_clEvENKUlvE0_clEvEUlffE_fEEDaPvRmT3_T4_T5_mT6_P12ihipStream_tbENKUlT_T0_E_clISt17integral_constantIbLb1EESV_IbLb0EEEEDaSR_SS_EUlSR_E0_NS1_11comp_targetILNS1_3genE9ELNS1_11target_archE1100ELNS1_3gpuE3ELNS1_3repE0EEENS1_30default_config_static_selectorELNS0_4arch9wavefront6targetE0EEEvT1_.uses_vcc, 0
	.set _ZN7rocprim17ROCPRIM_400000_NS6detail17trampoline_kernelINS0_14default_configENS1_20scan_config_selectorIfEEZZNS1_9scan_implILNS1_25lookback_scan_determinismE0ELb0ELb0ES3_PKfPffZZZN2at6native31launch_logcumsumexp_cuda_kernelERKNSB_10TensorBaseESF_lENKUlvE_clEvENKUlvE0_clEvEUlffE_fEEDaPvRmT3_T4_T5_mT6_P12ihipStream_tbENKUlT_T0_E_clISt17integral_constantIbLb1EESV_IbLb0EEEEDaSR_SS_EUlSR_E0_NS1_11comp_targetILNS1_3genE9ELNS1_11target_archE1100ELNS1_3gpuE3ELNS1_3repE0EEENS1_30default_config_static_selectorELNS0_4arch9wavefront6targetE0EEEvT1_.uses_flat_scratch, 0
	.set _ZN7rocprim17ROCPRIM_400000_NS6detail17trampoline_kernelINS0_14default_configENS1_20scan_config_selectorIfEEZZNS1_9scan_implILNS1_25lookback_scan_determinismE0ELb0ELb0ES3_PKfPffZZZN2at6native31launch_logcumsumexp_cuda_kernelERKNSB_10TensorBaseESF_lENKUlvE_clEvENKUlvE0_clEvEUlffE_fEEDaPvRmT3_T4_T5_mT6_P12ihipStream_tbENKUlT_T0_E_clISt17integral_constantIbLb1EESV_IbLb0EEEEDaSR_SS_EUlSR_E0_NS1_11comp_targetILNS1_3genE9ELNS1_11target_archE1100ELNS1_3gpuE3ELNS1_3repE0EEENS1_30default_config_static_selectorELNS0_4arch9wavefront6targetE0EEEvT1_.has_dyn_sized_stack, 0
	.set _ZN7rocprim17ROCPRIM_400000_NS6detail17trampoline_kernelINS0_14default_configENS1_20scan_config_selectorIfEEZZNS1_9scan_implILNS1_25lookback_scan_determinismE0ELb0ELb0ES3_PKfPffZZZN2at6native31launch_logcumsumexp_cuda_kernelERKNSB_10TensorBaseESF_lENKUlvE_clEvENKUlvE0_clEvEUlffE_fEEDaPvRmT3_T4_T5_mT6_P12ihipStream_tbENKUlT_T0_E_clISt17integral_constantIbLb1EESV_IbLb0EEEEDaSR_SS_EUlSR_E0_NS1_11comp_targetILNS1_3genE9ELNS1_11target_archE1100ELNS1_3gpuE3ELNS1_3repE0EEENS1_30default_config_static_selectorELNS0_4arch9wavefront6targetE0EEEvT1_.has_recursion, 0
	.set _ZN7rocprim17ROCPRIM_400000_NS6detail17trampoline_kernelINS0_14default_configENS1_20scan_config_selectorIfEEZZNS1_9scan_implILNS1_25lookback_scan_determinismE0ELb0ELb0ES3_PKfPffZZZN2at6native31launch_logcumsumexp_cuda_kernelERKNSB_10TensorBaseESF_lENKUlvE_clEvENKUlvE0_clEvEUlffE_fEEDaPvRmT3_T4_T5_mT6_P12ihipStream_tbENKUlT_T0_E_clISt17integral_constantIbLb1EESV_IbLb0EEEEDaSR_SS_EUlSR_E0_NS1_11comp_targetILNS1_3genE9ELNS1_11target_archE1100ELNS1_3gpuE3ELNS1_3repE0EEENS1_30default_config_static_selectorELNS0_4arch9wavefront6targetE0EEEvT1_.has_indirect_call, 0
	.section	.AMDGPU.csdata,"",@progbits
; Kernel info:
; codeLenInByte = 0
; TotalNumSgprs: 0
; NumVgprs: 0
; ScratchSize: 0
; MemoryBound: 0
; FloatMode: 240
; IeeeMode: 1
; LDSByteSize: 0 bytes/workgroup (compile time only)
; SGPRBlocks: 0
; VGPRBlocks: 0
; NumSGPRsForWavesPerEU: 1
; NumVGPRsForWavesPerEU: 1
; Occupancy: 16
; WaveLimiterHint : 0
; COMPUTE_PGM_RSRC2:SCRATCH_EN: 0
; COMPUTE_PGM_RSRC2:USER_SGPR: 6
; COMPUTE_PGM_RSRC2:TRAP_HANDLER: 0
; COMPUTE_PGM_RSRC2:TGID_X_EN: 1
; COMPUTE_PGM_RSRC2:TGID_Y_EN: 0
; COMPUTE_PGM_RSRC2:TGID_Z_EN: 0
; COMPUTE_PGM_RSRC2:TIDIG_COMP_CNT: 0
	.section	.text._ZN7rocprim17ROCPRIM_400000_NS6detail17trampoline_kernelINS0_14default_configENS1_20scan_config_selectorIfEEZZNS1_9scan_implILNS1_25lookback_scan_determinismE0ELb0ELb0ES3_PKfPffZZZN2at6native31launch_logcumsumexp_cuda_kernelERKNSB_10TensorBaseESF_lENKUlvE_clEvENKUlvE0_clEvEUlffE_fEEDaPvRmT3_T4_T5_mT6_P12ihipStream_tbENKUlT_T0_E_clISt17integral_constantIbLb1EESV_IbLb0EEEEDaSR_SS_EUlSR_E0_NS1_11comp_targetILNS1_3genE8ELNS1_11target_archE1030ELNS1_3gpuE2ELNS1_3repE0EEENS1_30default_config_static_selectorELNS0_4arch9wavefront6targetE0EEEvT1_,"axG",@progbits,_ZN7rocprim17ROCPRIM_400000_NS6detail17trampoline_kernelINS0_14default_configENS1_20scan_config_selectorIfEEZZNS1_9scan_implILNS1_25lookback_scan_determinismE0ELb0ELb0ES3_PKfPffZZZN2at6native31launch_logcumsumexp_cuda_kernelERKNSB_10TensorBaseESF_lENKUlvE_clEvENKUlvE0_clEvEUlffE_fEEDaPvRmT3_T4_T5_mT6_P12ihipStream_tbENKUlT_T0_E_clISt17integral_constantIbLb1EESV_IbLb0EEEEDaSR_SS_EUlSR_E0_NS1_11comp_targetILNS1_3genE8ELNS1_11target_archE1030ELNS1_3gpuE2ELNS1_3repE0EEENS1_30default_config_static_selectorELNS0_4arch9wavefront6targetE0EEEvT1_,comdat
	.globl	_ZN7rocprim17ROCPRIM_400000_NS6detail17trampoline_kernelINS0_14default_configENS1_20scan_config_selectorIfEEZZNS1_9scan_implILNS1_25lookback_scan_determinismE0ELb0ELb0ES3_PKfPffZZZN2at6native31launch_logcumsumexp_cuda_kernelERKNSB_10TensorBaseESF_lENKUlvE_clEvENKUlvE0_clEvEUlffE_fEEDaPvRmT3_T4_T5_mT6_P12ihipStream_tbENKUlT_T0_E_clISt17integral_constantIbLb1EESV_IbLb0EEEEDaSR_SS_EUlSR_E0_NS1_11comp_targetILNS1_3genE8ELNS1_11target_archE1030ELNS1_3gpuE2ELNS1_3repE0EEENS1_30default_config_static_selectorELNS0_4arch9wavefront6targetE0EEEvT1_ ; -- Begin function _ZN7rocprim17ROCPRIM_400000_NS6detail17trampoline_kernelINS0_14default_configENS1_20scan_config_selectorIfEEZZNS1_9scan_implILNS1_25lookback_scan_determinismE0ELb0ELb0ES3_PKfPffZZZN2at6native31launch_logcumsumexp_cuda_kernelERKNSB_10TensorBaseESF_lENKUlvE_clEvENKUlvE0_clEvEUlffE_fEEDaPvRmT3_T4_T5_mT6_P12ihipStream_tbENKUlT_T0_E_clISt17integral_constantIbLb1EESV_IbLb0EEEEDaSR_SS_EUlSR_E0_NS1_11comp_targetILNS1_3genE8ELNS1_11target_archE1030ELNS1_3gpuE2ELNS1_3repE0EEENS1_30default_config_static_selectorELNS0_4arch9wavefront6targetE0EEEvT1_
	.p2align	8
	.type	_ZN7rocprim17ROCPRIM_400000_NS6detail17trampoline_kernelINS0_14default_configENS1_20scan_config_selectorIfEEZZNS1_9scan_implILNS1_25lookback_scan_determinismE0ELb0ELb0ES3_PKfPffZZZN2at6native31launch_logcumsumexp_cuda_kernelERKNSB_10TensorBaseESF_lENKUlvE_clEvENKUlvE0_clEvEUlffE_fEEDaPvRmT3_T4_T5_mT6_P12ihipStream_tbENKUlT_T0_E_clISt17integral_constantIbLb1EESV_IbLb0EEEEDaSR_SS_EUlSR_E0_NS1_11comp_targetILNS1_3genE8ELNS1_11target_archE1030ELNS1_3gpuE2ELNS1_3repE0EEENS1_30default_config_static_selectorELNS0_4arch9wavefront6targetE0EEEvT1_,@function
_ZN7rocprim17ROCPRIM_400000_NS6detail17trampoline_kernelINS0_14default_configENS1_20scan_config_selectorIfEEZZNS1_9scan_implILNS1_25lookback_scan_determinismE0ELb0ELb0ES3_PKfPffZZZN2at6native31launch_logcumsumexp_cuda_kernelERKNSB_10TensorBaseESF_lENKUlvE_clEvENKUlvE0_clEvEUlffE_fEEDaPvRmT3_T4_T5_mT6_P12ihipStream_tbENKUlT_T0_E_clISt17integral_constantIbLb1EESV_IbLb0EEEEDaSR_SS_EUlSR_E0_NS1_11comp_targetILNS1_3genE8ELNS1_11target_archE1030ELNS1_3gpuE2ELNS1_3repE0EEENS1_30default_config_static_selectorELNS0_4arch9wavefront6targetE0EEEvT1_: ; @_ZN7rocprim17ROCPRIM_400000_NS6detail17trampoline_kernelINS0_14default_configENS1_20scan_config_selectorIfEEZZNS1_9scan_implILNS1_25lookback_scan_determinismE0ELb0ELb0ES3_PKfPffZZZN2at6native31launch_logcumsumexp_cuda_kernelERKNSB_10TensorBaseESF_lENKUlvE_clEvENKUlvE0_clEvEUlffE_fEEDaPvRmT3_T4_T5_mT6_P12ihipStream_tbENKUlT_T0_E_clISt17integral_constantIbLb1EESV_IbLb0EEEEDaSR_SS_EUlSR_E0_NS1_11comp_targetILNS1_3genE8ELNS1_11target_archE1030ELNS1_3gpuE2ELNS1_3repE0EEENS1_30default_config_static_selectorELNS0_4arch9wavefront6targetE0EEEvT1_
; %bb.0:
	s_load_dwordx4 s[16:19], s[4:5], 0x0
	v_lshlrev_b32_e32 v7, 2, v0
	s_waitcnt lgkmcnt(0)
	s_load_dword s8, s[16:17], 0x0
	v_cmp_gt_u32_e32 vcc_lo, s18, v0
	s_waitcnt lgkmcnt(0)
	s_mov_b32 s9, s8
	s_mov_b32 s10, s8
	;; [unrolled: 1-line block ×4, first 2 shown]
	v_mov_b32_e32 v1, s8
	v_mov_b32_e32 v6, s8
	;; [unrolled: 1-line block ×6, first 2 shown]
	s_and_saveexec_b32 s0, vcc_lo
	s_cbranch_execz .LBB151_2
; %bb.1:
	global_load_dword v6, v7, s[16:17]
	v_mov_b32_e32 v1, s8
	v_mov_b32_e32 v2, s9
	;; [unrolled: 1-line block ×5, first 2 shown]
.LBB151_2:
	s_or_b32 exec_lo, exec_lo, s0
	v_or_b32_e32 v1, 64, v0
	v_cmp_gt_u32_e64 s0, s18, v1
	s_and_saveexec_b32 s1, s0
	s_cbranch_execz .LBB151_4
; %bb.3:
	global_load_dword v2, v7, s[16:17] offset:256
.LBB151_4:
	s_or_b32 exec_lo, exec_lo, s1
	v_or_b32_e32 v1, 0x80, v0
	v_cmp_gt_u32_e64 s1, s18, v1
	s_and_saveexec_b32 s2, s1
	s_cbranch_execz .LBB151_6
; %bb.5:
	global_load_dword v3, v7, s[16:17] offset:512
.LBB151_6:
	;; [unrolled: 8-line block ×3, first 2 shown]
	s_or_b32 exec_lo, exec_lo, s3
	v_or_b32_e32 v1, 0x100, v0
	v_cmp_gt_u32_e64 s3, s18, v1
	v_cmp_le_u32_e64 s6, s18, v1
	s_and_saveexec_b32 s7, s6
	s_xor_b32 s6, exec_lo, s7
	s_andn2_saveexec_b32 s6, s6
	s_cbranch_execz .LBB151_10
; %bb.9:
	v_lshlrev_b32_e32 v1, 2, v0
	global_load_dword v5, v1, s[16:17] offset:1024
.LBB151_10:
	s_or_b32 exec_lo, exec_lo, s6
	v_lshlrev_b32_e32 v1, 4, v0
	s_waitcnt vmcnt(0)
	ds_write2st64_b32 v7, v6, v2 offset1:1
	ds_write2st64_b32 v7, v3, v4 offset0:2 offset1:3
	ds_write_b32 v7, v5 offset:1024
	s_waitcnt lgkmcnt(0)
	s_barrier
	v_add_nc_u32_e32 v8, v7, v1
	buffer_gl0_inv
	ds_read2_b32 v[1:2], v8 offset1:1
	ds_read2_b32 v[3:4], v8 offset0:2 offset1:3
	ds_read_b32 v9, v8 offset:16
	s_waitcnt lgkmcnt(0)
	s_barrier
	buffer_gl0_inv
	v_max_f32_e32 v13, v2, v2
	v_max_f32_e32 v15, v1, v1
	v_cmp_u_f32_e64 s10, v1, v1
	v_cmp_u_f32_e64 s6, v2, v2
	v_mov_b32_e32 v18, v1
	v_min_f32_e32 v14, v15, v13
	v_max_f32_e32 v16, v15, v13
	v_cndmask_b32_e64 v5, v14, v1, s10
	v_cndmask_b32_e64 v10, v16, v1, s10
	;; [unrolled: 1-line block ×4, first 2 shown]
	v_cmp_class_f32_e64 s8, v6, 0x1f8
	v_cmp_neq_f32_e64 s7, v6, v5
	s_or_b32 s7, s7, s8
	s_and_saveexec_b32 s8, s7
	s_cbranch_execz .LBB151_12
; %bb.11:
	v_sub_f32_e32 v6, v6, v5
	v_mul_f32_e32 v10, 0x3fb8aa3b, v6
	v_cmp_ngt_f32_e64 s7, 0xc2ce8ed0, v6
	v_fma_f32 v11, 0x3fb8aa3b, v6, -v10
	v_rndne_f32_e32 v12, v10
	v_fmamk_f32 v11, v6, 0x32a5705f, v11
	v_sub_f32_e32 v10, v10, v12
	v_add_f32_e32 v10, v10, v11
	v_cvt_i32_f32_e32 v11, v12
	v_exp_f32_e32 v10, v10
	v_ldexp_f32 v10, v10, v11
	v_cndmask_b32_e64 v10, 0, v10, s7
	v_cmp_nlt_f32_e64 s7, 0x42b17218, v6
	v_cndmask_b32_e64 v6, 0x7f800000, v10, s7
	v_add_f32_e32 v12, 1.0, v6
	v_cvt_f64_f32_e32 v[10:11], v12
	v_frexp_exp_i32_f64_e32 v10, v[10:11]
	v_frexp_mant_f32_e32 v11, v12
	v_cmp_gt_f32_e64 s7, 0x3f2aaaab, v11
	v_add_f32_e32 v11, -1.0, v12
	v_sub_f32_e32 v18, v11, v12
	v_sub_f32_e32 v11, v6, v11
	v_add_f32_e32 v18, 1.0, v18
	v_add_f32_e32 v11, v11, v18
	v_subrev_co_ci_u32_e64 v10, null, 0, v10, s7
	s_mov_b32 s7, 0x3e9b6dac
	v_sub_nc_u32_e32 v17, 0, v10
	v_cvt_f32_i32_e32 v10, v10
	v_ldexp_f32 v12, v12, v17
	v_ldexp_f32 v11, v11, v17
	v_add_f32_e32 v19, 1.0, v12
	v_add_f32_e32 v17, -1.0, v12
	v_add_f32_e32 v18, -1.0, v19
	v_add_f32_e32 v20, 1.0, v17
	v_sub_f32_e32 v18, v12, v18
	v_sub_f32_e32 v12, v12, v20
	v_add_f32_e32 v18, v11, v18
	v_add_f32_e32 v11, v11, v12
	;; [unrolled: 1-line block ×4, first 2 shown]
	v_rcp_f32_e32 v12, v20
	v_sub_f32_e32 v19, v19, v20
	v_sub_f32_e32 v17, v17, v21
	v_add_f32_e32 v18, v18, v19
	v_add_f32_e32 v11, v11, v17
	v_mul_f32_e32 v22, v21, v12
	v_mul_f32_e32 v23, v20, v22
	v_fma_f32 v19, v22, v20, -v23
	v_fmac_f32_e32 v19, v22, v18
	v_add_f32_e32 v24, v23, v19
	v_sub_f32_e32 v25, v21, v24
	v_sub_f32_e32 v17, v24, v23
	v_sub_f32_e32 v21, v21, v25
	v_sub_f32_e32 v17, v17, v19
	v_sub_f32_e32 v21, v21, v24
	v_add_f32_e32 v11, v11, v21
	v_add_f32_e32 v11, v17, v11
	;; [unrolled: 1-line block ×3, first 2 shown]
	v_mul_f32_e32 v19, v12, v17
	v_sub_f32_e32 v24, v25, v17
	v_mul_f32_e32 v21, v20, v19
	v_add_f32_e32 v11, v11, v24
	v_fma_f32 v20, v19, v20, -v21
	v_fmac_f32_e32 v20, v19, v18
	v_add_f32_e32 v18, v21, v20
	v_sub_f32_e32 v23, v17, v18
	v_sub_f32_e32 v21, v18, v21
	;; [unrolled: 1-line block ×5, first 2 shown]
	v_add_f32_e32 v11, v11, v17
	v_add_f32_e32 v17, v22, v19
	;; [unrolled: 1-line block ×3, first 2 shown]
	v_sub_f32_e32 v18, v17, v22
	v_add_f32_e32 v11, v23, v11
	v_sub_f32_e32 v18, v19, v18
	v_mul_f32_e32 v11, v12, v11
	v_add_f32_e32 v11, v18, v11
	v_add_f32_e32 v12, v17, v11
	v_mul_f32_e32 v18, v12, v12
	v_fmaak_f32 v19, s7, v18, 0x3ecc95a3
	v_mul_f32_e32 v20, v12, v18
	v_cmp_neq_f32_e64 s7, 0x7f800000, v6
	v_fmaak_f32 v18, v18, v19, 0x3f2aaada
	v_ldexp_f32 v19, v12, 1
	v_sub_f32_e32 v12, v12, v17
	v_mul_f32_e32 v18, v20, v18
	v_mul_f32_e32 v20, 0x3f317218, v10
	v_sub_f32_e32 v11, v11, v12
	v_add_f32_e32 v17, v19, v18
	v_ldexp_f32 v11, v11, 1
	v_sub_f32_e32 v12, v17, v19
	v_fma_f32 v19, 0x3f317218, v10, -v20
	v_sub_f32_e32 v12, v18, v12
	v_fmamk_f32 v10, v10, 0xb102e308, v19
	v_add_f32_e32 v11, v11, v12
	v_add_f32_e32 v12, v20, v10
	;; [unrolled: 1-line block ×3, first 2 shown]
	v_sub_f32_e32 v20, v12, v20
	v_add_f32_e32 v19, v12, v18
	v_sub_f32_e32 v17, v18, v17
	v_sub_f32_e32 v10, v10, v20
	;; [unrolled: 1-line block ×6, first 2 shown]
	v_add_f32_e32 v18, v10, v11
	v_sub_f32_e32 v12, v12, v22
	v_add_f32_e32 v12, v17, v12
	v_sub_f32_e32 v17, v18, v10
	;; [unrolled: 2-line block ×3, first 2 shown]
	v_sub_f32_e32 v11, v11, v17
	v_add_f32_e32 v20, v19, v12
	v_sub_f32_e32 v10, v10, v18
	v_sub_f32_e32 v17, v20, v19
	v_add_f32_e32 v10, v11, v10
	v_sub_f32_e32 v11, v12, v17
	v_add_f32_e32 v10, v10, v11
	v_add_f32_e32 v10, v20, v10
	v_cndmask_b32_e64 v10, 0x7f800000, v10, s7
	v_cmp_gt_f32_e64 s7, 0x33800000, |v6|
	v_cndmask_b32_e64 v6, v10, v6, s7
	v_add_f32_e32 v18, v5, v6
.LBB151_12:
	s_or_b32 exec_lo, exec_lo, s8
	v_max_f32_e32 v5, v18, v18
	v_max_f32_e32 v10, v3, v3
	v_cmp_u_f32_e64 s7, v18, v18
	v_min_f32_e32 v6, v5, v10
	v_max_f32_e32 v5, v5, v10
	v_cndmask_b32_e64 v6, v6, v18, s7
	v_cndmask_b32_e64 v5, v5, v18, s7
	v_cmp_u_f32_e64 s7, v3, v3
	v_cndmask_b32_e64 v6, v6, v3, s7
	v_cndmask_b32_e64 v5, v5, v3, s7
	v_cmp_class_f32_e64 s9, v6, 0x1f8
	v_cmp_neq_f32_e64 s8, v6, v5
	s_or_b32 s8, s8, s9
	s_and_saveexec_b32 s9, s8
	s_cbranch_execz .LBB151_14
; %bb.13:
	v_sub_f32_e32 v6, v6, v5
	v_mul_f32_e32 v11, 0x3fb8aa3b, v6
	v_cmp_ngt_f32_e64 s8, 0xc2ce8ed0, v6
	v_fma_f32 v12, 0x3fb8aa3b, v6, -v11
	v_rndne_f32_e32 v17, v11
	v_fmamk_f32 v12, v6, 0x32a5705f, v12
	v_sub_f32_e32 v11, v11, v17
	v_add_f32_e32 v11, v11, v12
	v_cvt_i32_f32_e32 v12, v17
	v_exp_f32_e32 v11, v11
	v_ldexp_f32 v11, v11, v12
	v_cndmask_b32_e64 v11, 0, v11, s8
	v_cmp_nlt_f32_e64 s8, 0x42b17218, v6
	v_cndmask_b32_e64 v6, 0x7f800000, v11, s8
	v_add_f32_e32 v17, 1.0, v6
	v_cvt_f64_f32_e32 v[11:12], v17
	v_frexp_exp_i32_f64_e32 v11, v[11:12]
	v_frexp_mant_f32_e32 v12, v17
	v_cmp_gt_f32_e64 s8, 0x3f2aaaab, v12
	v_add_f32_e32 v12, -1.0, v17
	v_sub_f32_e32 v19, v12, v17
	v_sub_f32_e32 v12, v6, v12
	v_add_f32_e32 v19, 1.0, v19
	v_add_f32_e32 v12, v12, v19
	v_subrev_co_ci_u32_e64 v11, null, 0, v11, s8
	s_mov_b32 s8, 0x3e9b6dac
	v_sub_nc_u32_e32 v18, 0, v11
	v_cvt_f32_i32_e32 v11, v11
	v_ldexp_f32 v17, v17, v18
	v_ldexp_f32 v12, v12, v18
	v_add_f32_e32 v20, 1.0, v17
	v_add_f32_e32 v18, -1.0, v17
	v_add_f32_e32 v19, -1.0, v20
	v_add_f32_e32 v21, 1.0, v18
	v_sub_f32_e32 v19, v17, v19
	v_sub_f32_e32 v17, v17, v21
	v_add_f32_e32 v19, v12, v19
	v_add_f32_e32 v12, v12, v17
	v_add_f32_e32 v21, v20, v19
	v_add_f32_e32 v22, v18, v12
	v_rcp_f32_e32 v17, v21
	v_sub_f32_e32 v20, v20, v21
	v_sub_f32_e32 v18, v18, v22
	v_add_f32_e32 v19, v19, v20
	v_add_f32_e32 v12, v12, v18
	v_mul_f32_e32 v23, v22, v17
	v_mul_f32_e32 v24, v21, v23
	v_fma_f32 v20, v23, v21, -v24
	v_fmac_f32_e32 v20, v23, v19
	v_add_f32_e32 v25, v24, v20
	v_sub_f32_e32 v26, v22, v25
	v_sub_f32_e32 v18, v25, v24
	;; [unrolled: 1-line block ×5, first 2 shown]
	v_add_f32_e32 v12, v12, v22
	v_add_f32_e32 v12, v18, v12
	;; [unrolled: 1-line block ×3, first 2 shown]
	v_mul_f32_e32 v20, v17, v18
	v_sub_f32_e32 v25, v26, v18
	v_mul_f32_e32 v22, v21, v20
	v_add_f32_e32 v12, v12, v25
	v_fma_f32 v21, v20, v21, -v22
	v_fmac_f32_e32 v21, v20, v19
	v_add_f32_e32 v19, v22, v21
	v_sub_f32_e32 v24, v18, v19
	v_sub_f32_e32 v22, v19, v22
	;; [unrolled: 1-line block ×5, first 2 shown]
	v_add_f32_e32 v12, v12, v18
	v_add_f32_e32 v18, v23, v20
	v_add_f32_e32 v12, v19, v12
	v_sub_f32_e32 v19, v18, v23
	v_add_f32_e32 v12, v24, v12
	v_sub_f32_e32 v19, v20, v19
	v_mul_f32_e32 v12, v17, v12
	v_add_f32_e32 v12, v19, v12
	v_add_f32_e32 v17, v18, v12
	v_mul_f32_e32 v19, v17, v17
	v_fmaak_f32 v20, s8, v19, 0x3ecc95a3
	v_mul_f32_e32 v21, v17, v19
	v_cmp_neq_f32_e64 s8, 0x7f800000, v6
	v_fmaak_f32 v19, v19, v20, 0x3f2aaada
	v_ldexp_f32 v20, v17, 1
	v_sub_f32_e32 v17, v17, v18
	v_mul_f32_e32 v19, v21, v19
	v_mul_f32_e32 v21, 0x3f317218, v11
	v_sub_f32_e32 v12, v12, v17
	v_add_f32_e32 v18, v20, v19
	v_ldexp_f32 v12, v12, 1
	v_sub_f32_e32 v17, v18, v20
	v_fma_f32 v20, 0x3f317218, v11, -v21
	v_sub_f32_e32 v17, v19, v17
	v_fmamk_f32 v11, v11, 0xb102e308, v20
	v_add_f32_e32 v12, v12, v17
	v_add_f32_e32 v17, v21, v11
	;; [unrolled: 1-line block ×3, first 2 shown]
	v_sub_f32_e32 v21, v17, v21
	v_add_f32_e32 v20, v17, v19
	v_sub_f32_e32 v18, v19, v18
	v_sub_f32_e32 v11, v11, v21
	;; [unrolled: 1-line block ×6, first 2 shown]
	v_add_f32_e32 v19, v11, v12
	v_sub_f32_e32 v17, v17, v23
	v_add_f32_e32 v17, v18, v17
	v_sub_f32_e32 v18, v19, v11
	v_add_f32_e32 v17, v19, v17
	v_sub_f32_e32 v19, v19, v18
	v_sub_f32_e32 v12, v12, v18
	v_add_f32_e32 v21, v20, v17
	v_sub_f32_e32 v11, v11, v19
	v_sub_f32_e32 v18, v21, v20
	v_add_f32_e32 v11, v12, v11
	v_sub_f32_e32 v12, v17, v18
	v_add_f32_e32 v11, v11, v12
	v_add_f32_e32 v11, v21, v11
	v_cndmask_b32_e64 v11, 0x7f800000, v11, s8
	v_cmp_gt_f32_e64 s8, 0x33800000, |v6|
	v_cndmask_b32_e64 v6, v11, v6, s8
	v_add_f32_e32 v18, v5, v6
.LBB151_14:
	s_or_b32 exec_lo, exec_lo, s9
	v_max_f32_e32 v5, v18, v18
	v_max_f32_e32 v11, v4, v4
	v_cmp_u_f32_e64 s8, v18, v18
	v_min_f32_e32 v6, v5, v11
	v_max_f32_e32 v5, v5, v11
	v_cndmask_b32_e64 v6, v6, v18, s8
	v_cndmask_b32_e64 v5, v5, v18, s8
	v_cmp_u_f32_e64 s8, v4, v4
	v_cndmask_b32_e64 v6, v6, v4, s8
	v_cndmask_b32_e64 v5, v5, v4, s8
	v_cmp_class_f32_e64 s11, v6, 0x1f8
	v_cmp_neq_f32_e64 s9, v6, v5
	s_or_b32 s9, s9, s11
	s_and_saveexec_b32 s11, s9
	s_cbranch_execz .LBB151_16
; %bb.15:
	v_sub_f32_e32 v6, v6, v5
	v_mul_f32_e32 v12, 0x3fb8aa3b, v6
	v_cmp_ngt_f32_e64 s9, 0xc2ce8ed0, v6
	v_fma_f32 v17, 0x3fb8aa3b, v6, -v12
	v_rndne_f32_e32 v18, v12
	v_fmamk_f32 v17, v6, 0x32a5705f, v17
	v_sub_f32_e32 v12, v12, v18
	v_add_f32_e32 v12, v12, v17
	v_cvt_i32_f32_e32 v17, v18
	v_exp_f32_e32 v12, v12
	v_ldexp_f32 v12, v12, v17
	v_cndmask_b32_e64 v12, 0, v12, s9
	v_cmp_nlt_f32_e64 s9, 0x42b17218, v6
	v_cndmask_b32_e64 v6, 0x7f800000, v12, s9
	v_add_f32_e32 v12, 1.0, v6
	v_cvt_f64_f32_e32 v[17:18], v12
	v_frexp_exp_i32_f64_e32 v17, v[17:18]
	v_frexp_mant_f32_e32 v18, v12
	v_cmp_gt_f32_e64 s9, 0x3f2aaaab, v18
	v_add_f32_e32 v18, -1.0, v12
	v_sub_f32_e32 v20, v18, v12
	v_sub_f32_e32 v18, v6, v18
	v_add_f32_e32 v20, 1.0, v20
	v_add_f32_e32 v18, v18, v20
	v_subrev_co_ci_u32_e64 v17, null, 0, v17, s9
	s_mov_b32 s9, 0x3e9b6dac
	v_sub_nc_u32_e32 v19, 0, v17
	v_cvt_f32_i32_e32 v17, v17
	v_ldexp_f32 v12, v12, v19
	v_ldexp_f32 v18, v18, v19
	v_add_f32_e32 v21, 1.0, v12
	v_add_f32_e32 v19, -1.0, v12
	v_add_f32_e32 v20, -1.0, v21
	v_add_f32_e32 v22, 1.0, v19
	v_sub_f32_e32 v20, v12, v20
	v_sub_f32_e32 v12, v12, v22
	v_add_f32_e32 v20, v18, v20
	v_add_f32_e32 v12, v18, v12
	;; [unrolled: 1-line block ×4, first 2 shown]
	v_rcp_f32_e32 v18, v22
	v_sub_f32_e32 v21, v21, v22
	v_sub_f32_e32 v19, v19, v23
	v_add_f32_e32 v20, v20, v21
	v_add_f32_e32 v12, v12, v19
	v_mul_f32_e32 v24, v23, v18
	v_mul_f32_e32 v25, v22, v24
	v_fma_f32 v21, v24, v22, -v25
	v_fmac_f32_e32 v21, v24, v20
	v_add_f32_e32 v26, v25, v21
	v_sub_f32_e32 v27, v23, v26
	v_sub_f32_e32 v19, v26, v25
	;; [unrolled: 1-line block ×5, first 2 shown]
	v_add_f32_e32 v12, v12, v23
	v_add_f32_e32 v12, v19, v12
	;; [unrolled: 1-line block ×3, first 2 shown]
	v_mul_f32_e32 v21, v18, v19
	v_sub_f32_e32 v26, v27, v19
	v_mul_f32_e32 v23, v22, v21
	v_add_f32_e32 v12, v12, v26
	v_fma_f32 v22, v21, v22, -v23
	v_fmac_f32_e32 v22, v21, v20
	v_add_f32_e32 v20, v23, v22
	v_sub_f32_e32 v25, v19, v20
	v_sub_f32_e32 v23, v20, v23
	;; [unrolled: 1-line block ×5, first 2 shown]
	v_add_f32_e32 v12, v12, v19
	v_add_f32_e32 v19, v24, v21
	;; [unrolled: 1-line block ×3, first 2 shown]
	v_sub_f32_e32 v20, v19, v24
	v_add_f32_e32 v12, v25, v12
	v_sub_f32_e32 v20, v21, v20
	v_mul_f32_e32 v12, v18, v12
	v_add_f32_e32 v12, v20, v12
	v_add_f32_e32 v18, v19, v12
	v_mul_f32_e32 v20, v18, v18
	v_fmaak_f32 v21, s9, v20, 0x3ecc95a3
	v_mul_f32_e32 v22, v18, v20
	v_cmp_neq_f32_e64 s9, 0x7f800000, v6
	v_fmaak_f32 v20, v20, v21, 0x3f2aaada
	v_ldexp_f32 v21, v18, 1
	v_sub_f32_e32 v18, v18, v19
	v_mul_f32_e32 v20, v22, v20
	v_mul_f32_e32 v22, 0x3f317218, v17
	v_sub_f32_e32 v12, v12, v18
	v_add_f32_e32 v19, v21, v20
	v_ldexp_f32 v12, v12, 1
	v_sub_f32_e32 v18, v19, v21
	v_fma_f32 v21, 0x3f317218, v17, -v22
	v_sub_f32_e32 v18, v20, v18
	v_fmamk_f32 v17, v17, 0xb102e308, v21
	v_add_f32_e32 v12, v12, v18
	v_add_f32_e32 v18, v22, v17
	;; [unrolled: 1-line block ×3, first 2 shown]
	v_sub_f32_e32 v22, v18, v22
	v_add_f32_e32 v21, v18, v20
	v_sub_f32_e32 v19, v20, v19
	v_sub_f32_e32 v17, v17, v22
	;; [unrolled: 1-line block ×6, first 2 shown]
	v_add_f32_e32 v20, v17, v12
	v_sub_f32_e32 v18, v18, v24
	v_add_f32_e32 v18, v19, v18
	v_sub_f32_e32 v19, v20, v17
	;; [unrolled: 2-line block ×3, first 2 shown]
	v_sub_f32_e32 v12, v12, v19
	v_add_f32_e32 v22, v21, v18
	v_sub_f32_e32 v17, v17, v20
	v_sub_f32_e32 v19, v22, v21
	v_add_f32_e32 v12, v12, v17
	v_sub_f32_e32 v17, v18, v19
	v_add_f32_e32 v12, v12, v17
	v_add_f32_e32 v12, v22, v12
	v_cndmask_b32_e64 v12, 0x7f800000, v12, s9
	v_cmp_gt_f32_e64 s9, 0x33800000, |v6|
	v_cndmask_b32_e64 v6, v12, v6, s9
	v_add_f32_e32 v18, v5, v6
.LBB151_16:
	s_or_b32 exec_lo, exec_lo, s11
	v_max_f32_e32 v12, v9, v9
	v_max_f32_e32 v5, v18, v18
	v_cmp_u_f32_e64 s9, v18, v18
	v_min_f32_e32 v6, v5, v12
	v_max_f32_e32 v5, v5, v12
	v_cndmask_b32_e64 v6, v6, v18, s9
	v_cndmask_b32_e64 v5, v5, v18, s9
	v_cmp_u_f32_e64 s9, v9, v9
	v_cndmask_b32_e64 v6, v6, v9, s9
	v_cndmask_b32_e64 v5, v5, v9, s9
	v_cmp_class_f32_e64 s12, v6, 0x1f8
	v_cmp_neq_f32_e64 s11, v6, v5
	s_or_b32 s11, s11, s12
	s_and_saveexec_b32 s12, s11
	s_cbranch_execz .LBB151_18
; %bb.17:
	v_sub_f32_e32 v6, v6, v5
	v_mul_f32_e32 v17, 0x3fb8aa3b, v6
	v_cmp_ngt_f32_e64 s11, 0xc2ce8ed0, v6
	v_fma_f32 v18, 0x3fb8aa3b, v6, -v17
	v_rndne_f32_e32 v19, v17
	v_fmamk_f32 v18, v6, 0x32a5705f, v18
	v_sub_f32_e32 v17, v17, v19
	v_add_f32_e32 v17, v17, v18
	v_cvt_i32_f32_e32 v18, v19
	v_exp_f32_e32 v17, v17
	v_ldexp_f32 v17, v17, v18
	v_cndmask_b32_e64 v17, 0, v17, s11
	v_cmp_nlt_f32_e64 s11, 0x42b17218, v6
	v_cndmask_b32_e64 v6, 0x7f800000, v17, s11
	v_add_f32_e32 v19, 1.0, v6
	v_cvt_f64_f32_e32 v[17:18], v19
	v_frexp_exp_i32_f64_e32 v17, v[17:18]
	v_frexp_mant_f32_e32 v18, v19
	v_cmp_gt_f32_e64 s11, 0x3f2aaaab, v18
	v_add_f32_e32 v18, -1.0, v19
	v_sub_f32_e32 v21, v18, v19
	v_sub_f32_e32 v18, v6, v18
	v_add_f32_e32 v21, 1.0, v21
	v_add_f32_e32 v18, v18, v21
	v_subrev_co_ci_u32_e64 v17, null, 0, v17, s11
	s_mov_b32 s11, 0x3e9b6dac
	v_sub_nc_u32_e32 v20, 0, v17
	v_cvt_f32_i32_e32 v17, v17
	v_ldexp_f32 v19, v19, v20
	v_ldexp_f32 v18, v18, v20
	v_add_f32_e32 v22, 1.0, v19
	v_add_f32_e32 v20, -1.0, v19
	v_add_f32_e32 v21, -1.0, v22
	v_add_f32_e32 v23, 1.0, v20
	v_sub_f32_e32 v21, v19, v21
	v_sub_f32_e32 v19, v19, v23
	v_add_f32_e32 v21, v18, v21
	v_add_f32_e32 v18, v18, v19
	;; [unrolled: 1-line block ×4, first 2 shown]
	v_rcp_f32_e32 v19, v23
	v_sub_f32_e32 v22, v22, v23
	v_sub_f32_e32 v20, v20, v24
	v_add_f32_e32 v21, v21, v22
	v_add_f32_e32 v18, v18, v20
	v_mul_f32_e32 v25, v24, v19
	v_mul_f32_e32 v26, v23, v25
	v_fma_f32 v22, v25, v23, -v26
	v_fmac_f32_e32 v22, v25, v21
	v_add_f32_e32 v27, v26, v22
	v_sub_f32_e32 v28, v24, v27
	v_sub_f32_e32 v20, v27, v26
	;; [unrolled: 1-line block ×5, first 2 shown]
	v_add_f32_e32 v18, v18, v24
	v_add_f32_e32 v18, v20, v18
	;; [unrolled: 1-line block ×3, first 2 shown]
	v_mul_f32_e32 v22, v19, v20
	v_sub_f32_e32 v27, v28, v20
	v_mul_f32_e32 v24, v23, v22
	v_add_f32_e32 v18, v18, v27
	v_fma_f32 v23, v22, v23, -v24
	v_fmac_f32_e32 v23, v22, v21
	v_add_f32_e32 v21, v24, v23
	v_sub_f32_e32 v26, v20, v21
	v_sub_f32_e32 v24, v21, v24
	;; [unrolled: 1-line block ×5, first 2 shown]
	v_add_f32_e32 v18, v18, v20
	v_add_f32_e32 v20, v25, v22
	v_add_f32_e32 v18, v21, v18
	v_sub_f32_e32 v21, v20, v25
	v_add_f32_e32 v18, v26, v18
	v_sub_f32_e32 v21, v22, v21
	v_mul_f32_e32 v18, v19, v18
	v_add_f32_e32 v18, v21, v18
	v_add_f32_e32 v19, v20, v18
	v_mul_f32_e32 v21, v19, v19
	v_fmaak_f32 v22, s11, v21, 0x3ecc95a3
	v_mul_f32_e32 v23, v19, v21
	v_cmp_neq_f32_e64 s11, 0x7f800000, v6
	v_fmaak_f32 v21, v21, v22, 0x3f2aaada
	v_ldexp_f32 v22, v19, 1
	v_sub_f32_e32 v19, v19, v20
	v_mul_f32_e32 v21, v23, v21
	v_mul_f32_e32 v23, 0x3f317218, v17
	v_sub_f32_e32 v18, v18, v19
	v_add_f32_e32 v20, v22, v21
	v_ldexp_f32 v18, v18, 1
	v_sub_f32_e32 v19, v20, v22
	v_fma_f32 v22, 0x3f317218, v17, -v23
	v_sub_f32_e32 v19, v21, v19
	v_fmamk_f32 v17, v17, 0xb102e308, v22
	v_add_f32_e32 v18, v18, v19
	v_add_f32_e32 v19, v23, v17
	;; [unrolled: 1-line block ×3, first 2 shown]
	v_sub_f32_e32 v23, v19, v23
	v_add_f32_e32 v22, v19, v21
	v_sub_f32_e32 v20, v21, v20
	v_sub_f32_e32 v17, v17, v23
	;; [unrolled: 1-line block ×6, first 2 shown]
	v_add_f32_e32 v21, v17, v18
	v_sub_f32_e32 v19, v19, v25
	v_add_f32_e32 v19, v20, v19
	v_sub_f32_e32 v20, v21, v17
	;; [unrolled: 2-line block ×3, first 2 shown]
	v_sub_f32_e32 v18, v18, v20
	v_add_f32_e32 v23, v22, v19
	v_sub_f32_e32 v17, v17, v21
	v_sub_f32_e32 v20, v23, v22
	v_add_f32_e32 v17, v18, v17
	v_sub_f32_e32 v18, v19, v20
	v_add_f32_e32 v17, v17, v18
	v_add_f32_e32 v17, v23, v17
	v_cndmask_b32_e64 v17, 0x7f800000, v17, s11
	v_cmp_gt_f32_e64 s11, 0x33800000, |v6|
	v_cndmask_b32_e64 v6, v17, v6, s11
	v_add_f32_e32 v18, v5, v6
.LBB151_18:
	s_or_b32 exec_lo, exec_lo, s12
	s_load_dwordx2 s[12:13], s[4:5], 0x18
	v_lshrrev_b32_e32 v5, 3, v0
	s_mov_b32 s11, exec_lo
	v_and_b32_e32 v5, 4, v5
	v_lshl_add_u32 v5, v0, 2, v5
	ds_write_b32 v5, v18
	s_waitcnt lgkmcnt(0)
	s_barrier
	buffer_gl0_inv
	v_cmpx_gt_u32_e32 32, v0
	s_cbranch_execz .LBB151_46
; %bb.19:
	v_lshrrev_b32_e32 v5, 2, v0
	v_lshlrev_b32_e32 v6, 3, v0
	v_and_b32_e32 v5, 12, v5
	v_add_nc_u32_e32 v17, v5, v6
	ds_read2_b32 v[5:6], v17 offset1:1
	s_waitcnt lgkmcnt(0)
	v_max_f32_e32 v20, v6, v6
	v_max_f32_e32 v19, v5, v5
	v_cmp_u_f32_e64 s4, v5, v5
	v_cmp_u_f32_e64 s5, v6, v6
	v_min_f32_e32 v21, v19, v20
	v_max_f32_e32 v20, v19, v20
	v_cndmask_b32_e64 v21, v21, v5, s4
	v_cndmask_b32_e64 v22, v20, v5, s4
	;; [unrolled: 1-line block ×4, first 2 shown]
	v_mov_b32_e32 v21, v5
	v_cmp_class_f32_e64 s14, v20, 0x1f8
	v_cmp_neq_f32_e64 s5, v20, v6
	s_or_b32 s5, s5, s14
	s_and_saveexec_b32 s14, s5
	s_cbranch_execz .LBB151_21
; %bb.20:
	v_sub_f32_e32 v20, v20, v6
	v_mul_f32_e32 v21, 0x3fb8aa3b, v20
	v_cmp_ngt_f32_e64 s5, 0xc2ce8ed0, v20
	v_fma_f32 v22, 0x3fb8aa3b, v20, -v21
	v_rndne_f32_e32 v23, v21
	v_fmamk_f32 v22, v20, 0x32a5705f, v22
	v_sub_f32_e32 v21, v21, v23
	v_add_f32_e32 v21, v21, v22
	v_cvt_i32_f32_e32 v22, v23
	v_exp_f32_e32 v21, v21
	v_ldexp_f32 v21, v21, v22
	v_cndmask_b32_e64 v21, 0, v21, s5
	v_cmp_nlt_f32_e64 s5, 0x42b17218, v20
	v_cndmask_b32_e64 v22, 0x7f800000, v21, s5
	v_add_f32_e32 v23, 1.0, v22
	v_cvt_f64_f32_e32 v[20:21], v23
	v_frexp_exp_i32_f64_e32 v20, v[20:21]
	v_frexp_mant_f32_e32 v21, v23
	v_cmp_gt_f32_e64 s5, 0x3f2aaaab, v21
	v_add_f32_e32 v21, -1.0, v23
	v_sub_f32_e32 v25, v21, v23
	v_sub_f32_e32 v21, v22, v21
	v_add_f32_e32 v25, 1.0, v25
	v_add_f32_e32 v21, v21, v25
	v_subrev_co_ci_u32_e64 v20, null, 0, v20, s5
	s_mov_b32 s5, 0x3e9b6dac
	v_sub_nc_u32_e32 v24, 0, v20
	v_cvt_f32_i32_e32 v20, v20
	v_ldexp_f32 v23, v23, v24
	v_ldexp_f32 v21, v21, v24
	v_add_f32_e32 v26, 1.0, v23
	v_add_f32_e32 v24, -1.0, v23
	v_add_f32_e32 v25, -1.0, v26
	v_add_f32_e32 v27, 1.0, v24
	v_sub_f32_e32 v25, v23, v25
	v_sub_f32_e32 v23, v23, v27
	v_add_f32_e32 v25, v21, v25
	v_add_f32_e32 v21, v21, v23
	;; [unrolled: 1-line block ×4, first 2 shown]
	v_rcp_f32_e32 v23, v27
	v_sub_f32_e32 v26, v26, v27
	v_sub_f32_e32 v24, v24, v28
	v_add_f32_e32 v25, v25, v26
	v_add_f32_e32 v21, v21, v24
	v_mul_f32_e32 v29, v28, v23
	v_mul_f32_e32 v30, v27, v29
	v_fma_f32 v26, v29, v27, -v30
	v_fmac_f32_e32 v26, v29, v25
	v_add_f32_e32 v31, v30, v26
	v_sub_f32_e32 v32, v28, v31
	v_sub_f32_e32 v24, v31, v30
	;; [unrolled: 1-line block ×5, first 2 shown]
	v_add_f32_e32 v21, v21, v28
	v_add_f32_e32 v21, v24, v21
	;; [unrolled: 1-line block ×3, first 2 shown]
	v_mul_f32_e32 v26, v23, v24
	v_sub_f32_e32 v31, v32, v24
	v_mul_f32_e32 v28, v27, v26
	v_add_f32_e32 v21, v21, v31
	v_fma_f32 v27, v26, v27, -v28
	v_fmac_f32_e32 v27, v26, v25
	v_add_f32_e32 v25, v28, v27
	v_sub_f32_e32 v30, v24, v25
	v_sub_f32_e32 v28, v25, v28
	;; [unrolled: 1-line block ×5, first 2 shown]
	v_add_f32_e32 v21, v21, v24
	v_add_f32_e32 v24, v29, v26
	;; [unrolled: 1-line block ×3, first 2 shown]
	v_sub_f32_e32 v25, v24, v29
	v_add_f32_e32 v21, v30, v21
	v_sub_f32_e32 v25, v26, v25
	v_mul_f32_e32 v21, v23, v21
	v_add_f32_e32 v21, v25, v21
	v_add_f32_e32 v23, v24, v21
	v_mul_f32_e32 v25, v23, v23
	v_fmaak_f32 v26, s5, v25, 0x3ecc95a3
	v_mul_f32_e32 v27, v23, v25
	v_cmp_neq_f32_e64 s5, 0x7f800000, v22
	v_fmaak_f32 v25, v25, v26, 0x3f2aaada
	v_ldexp_f32 v26, v23, 1
	v_sub_f32_e32 v23, v23, v24
	v_mul_f32_e32 v25, v27, v25
	v_mul_f32_e32 v27, 0x3f317218, v20
	v_sub_f32_e32 v21, v21, v23
	v_add_f32_e32 v24, v26, v25
	v_ldexp_f32 v21, v21, 1
	v_sub_f32_e32 v23, v24, v26
	v_fma_f32 v26, 0x3f317218, v20, -v27
	v_sub_f32_e32 v23, v25, v23
	v_fmamk_f32 v20, v20, 0xb102e308, v26
	v_add_f32_e32 v21, v21, v23
	v_add_f32_e32 v23, v27, v20
	v_add_f32_e32 v25, v24, v21
	v_sub_f32_e32 v27, v23, v27
	v_add_f32_e32 v26, v23, v25
	v_sub_f32_e32 v24, v25, v24
	v_sub_f32_e32 v20, v20, v27
	;; [unrolled: 1-line block ×6, first 2 shown]
	v_add_f32_e32 v25, v20, v21
	v_sub_f32_e32 v23, v23, v29
	v_add_f32_e32 v23, v24, v23
	v_sub_f32_e32 v24, v25, v20
	;; [unrolled: 2-line block ×3, first 2 shown]
	v_sub_f32_e32 v21, v21, v24
	v_add_f32_e32 v27, v26, v23
	v_sub_f32_e32 v20, v20, v25
	v_sub_f32_e32 v24, v27, v26
	v_add_f32_e32 v20, v21, v20
	v_sub_f32_e32 v21, v23, v24
	v_add_f32_e32 v20, v20, v21
	v_add_f32_e32 v20, v27, v20
	v_cndmask_b32_e64 v20, 0x7f800000, v20, s5
	v_cmp_gt_f32_e64 s5, 0x33800000, |v22|
	v_cndmask_b32_e64 v20, v20, v22, s5
	v_add_f32_e32 v21, v6, v20
.LBB151_21:
	s_or_b32 exec_lo, exec_lo, s14
	v_mbcnt_lo_u32_b32 v6, -1, 0
	v_mov_b32_dpp v22, v21 row_shr:1 row_mask:0xf bank_mask:0xf
	s_mov_b32 s14, exec_lo
	v_and_b32_e32 v20, 15, v6
	v_cmpx_ne_u32_e32 0, v20
	s_xor_b32 s14, exec_lo, s14
	s_cbranch_execz .LBB151_25
; %bb.22:
	v_max_f32_e32 v23, v21, v21
	v_max_f32_e32 v24, v22, v22
	v_cmp_u_f32_e64 s5, v22, v22
	v_min_f32_e32 v25, v24, v23
	v_max_f32_e32 v23, v24, v23
	v_cndmask_b32_e64 v24, v25, v22, s5
	v_cndmask_b32_e64 v25, v23, v22, s5
	v_cmp_u_f32_e64 s5, v21, v21
	v_cndmask_b32_e64 v23, v24, v21, s5
	v_cndmask_b32_e64 v21, v25, v21, s5
	v_cmp_class_f32_e64 s15, v23, 0x1f8
	v_cmp_neq_f32_e64 s5, v23, v21
	s_or_b32 s5, s5, s15
	s_and_saveexec_b32 s15, s5
	s_cbranch_execz .LBB151_24
; %bb.23:
	v_sub_f32_e32 v22, v23, v21
	v_mul_f32_e32 v23, 0x3fb8aa3b, v22
	v_cmp_ngt_f32_e64 s5, 0xc2ce8ed0, v22
	v_fma_f32 v24, 0x3fb8aa3b, v22, -v23
	v_rndne_f32_e32 v25, v23
	v_fmamk_f32 v24, v22, 0x32a5705f, v24
	v_sub_f32_e32 v23, v23, v25
	v_add_f32_e32 v23, v23, v24
	v_cvt_i32_f32_e32 v24, v25
	v_exp_f32_e32 v23, v23
	v_ldexp_f32 v23, v23, v24
	v_cndmask_b32_e64 v23, 0, v23, s5
	v_cmp_nlt_f32_e64 s5, 0x42b17218, v22
	v_cndmask_b32_e64 v24, 0x7f800000, v23, s5
	v_add_f32_e32 v25, 1.0, v24
	v_cvt_f64_f32_e32 v[22:23], v25
	v_frexp_exp_i32_f64_e32 v22, v[22:23]
	v_frexp_mant_f32_e32 v23, v25
	v_cmp_gt_f32_e64 s5, 0x3f2aaaab, v23
	v_add_f32_e32 v23, -1.0, v25
	v_sub_f32_e32 v27, v23, v25
	v_sub_f32_e32 v23, v24, v23
	v_add_f32_e32 v27, 1.0, v27
	v_add_f32_e32 v23, v23, v27
	v_subrev_co_ci_u32_e64 v22, null, 0, v22, s5
	s_mov_b32 s5, 0x3e9b6dac
	v_sub_nc_u32_e32 v26, 0, v22
	v_cvt_f32_i32_e32 v22, v22
	v_ldexp_f32 v25, v25, v26
	v_ldexp_f32 v23, v23, v26
	v_add_f32_e32 v28, 1.0, v25
	v_add_f32_e32 v26, -1.0, v25
	v_add_f32_e32 v27, -1.0, v28
	v_add_f32_e32 v29, 1.0, v26
	v_sub_f32_e32 v27, v25, v27
	v_sub_f32_e32 v25, v25, v29
	v_add_f32_e32 v27, v23, v27
	v_add_f32_e32 v23, v23, v25
	;; [unrolled: 1-line block ×4, first 2 shown]
	v_rcp_f32_e32 v25, v29
	v_sub_f32_e32 v28, v28, v29
	v_sub_f32_e32 v26, v26, v30
	v_add_f32_e32 v27, v27, v28
	v_add_f32_e32 v23, v23, v26
	v_mul_f32_e32 v31, v30, v25
	v_mul_f32_e32 v32, v29, v31
	v_fma_f32 v28, v31, v29, -v32
	v_fmac_f32_e32 v28, v31, v27
	v_add_f32_e32 v33, v32, v28
	v_sub_f32_e32 v34, v30, v33
	v_sub_f32_e32 v26, v33, v32
	;; [unrolled: 1-line block ×5, first 2 shown]
	v_add_f32_e32 v23, v23, v30
	v_add_f32_e32 v23, v26, v23
	;; [unrolled: 1-line block ×3, first 2 shown]
	v_mul_f32_e32 v28, v25, v26
	v_sub_f32_e32 v33, v34, v26
	v_mul_f32_e32 v30, v29, v28
	v_add_f32_e32 v23, v23, v33
	v_fma_f32 v29, v28, v29, -v30
	v_fmac_f32_e32 v29, v28, v27
	v_add_f32_e32 v27, v30, v29
	v_sub_f32_e32 v32, v26, v27
	v_sub_f32_e32 v30, v27, v30
	;; [unrolled: 1-line block ×5, first 2 shown]
	v_add_f32_e32 v23, v23, v26
	v_add_f32_e32 v26, v31, v28
	;; [unrolled: 1-line block ×3, first 2 shown]
	v_sub_f32_e32 v27, v26, v31
	v_add_f32_e32 v23, v32, v23
	v_sub_f32_e32 v27, v28, v27
	v_mul_f32_e32 v23, v25, v23
	v_add_f32_e32 v23, v27, v23
	v_add_f32_e32 v25, v26, v23
	v_mul_f32_e32 v27, v25, v25
	v_fmaak_f32 v28, s5, v27, 0x3ecc95a3
	v_mul_f32_e32 v29, v25, v27
	v_cmp_neq_f32_e64 s5, 0x7f800000, v24
	v_fmaak_f32 v27, v27, v28, 0x3f2aaada
	v_ldexp_f32 v28, v25, 1
	v_sub_f32_e32 v25, v25, v26
	v_mul_f32_e32 v27, v29, v27
	v_mul_f32_e32 v29, 0x3f317218, v22
	v_sub_f32_e32 v23, v23, v25
	v_add_f32_e32 v26, v28, v27
	v_ldexp_f32 v23, v23, 1
	v_sub_f32_e32 v25, v26, v28
	v_fma_f32 v28, 0x3f317218, v22, -v29
	v_sub_f32_e32 v25, v27, v25
	v_fmamk_f32 v22, v22, 0xb102e308, v28
	v_add_f32_e32 v23, v23, v25
	v_add_f32_e32 v25, v29, v22
	;; [unrolled: 1-line block ×3, first 2 shown]
	v_sub_f32_e32 v29, v25, v29
	v_add_f32_e32 v28, v25, v27
	v_sub_f32_e32 v26, v27, v26
	v_sub_f32_e32 v22, v22, v29
	v_sub_f32_e32 v30, v28, v25
	v_sub_f32_e32 v23, v23, v26
	v_sub_f32_e32 v31, v28, v30
	v_sub_f32_e32 v26, v27, v30
	v_add_f32_e32 v27, v22, v23
	v_sub_f32_e32 v25, v25, v31
	v_add_f32_e32 v25, v26, v25
	v_sub_f32_e32 v26, v27, v22
	;; [unrolled: 2-line block ×3, first 2 shown]
	v_sub_f32_e32 v23, v23, v26
	v_add_f32_e32 v29, v28, v25
	v_sub_f32_e32 v22, v22, v27
	v_sub_f32_e32 v26, v29, v28
	v_add_f32_e32 v22, v23, v22
	v_sub_f32_e32 v23, v25, v26
	v_add_f32_e32 v22, v22, v23
	v_add_f32_e32 v22, v29, v22
	v_cndmask_b32_e64 v22, 0x7f800000, v22, s5
	v_cmp_gt_f32_e64 s5, 0x33800000, |v24|
	v_cndmask_b32_e64 v22, v22, v24, s5
	v_add_f32_e32 v22, v21, v22
.LBB151_24:
	s_or_b32 exec_lo, exec_lo, s15
	v_mov_b32_e32 v21, v22
.LBB151_25:
	s_or_b32 exec_lo, exec_lo, s14
	v_mov_b32_dpp v22, v21 row_shr:2 row_mask:0xf bank_mask:0xf
	s_mov_b32 s14, exec_lo
	v_cmpx_lt_u32_e32 1, v20
	s_cbranch_execz .LBB151_29
; %bb.26:
	v_max_f32_e32 v23, v21, v21
	v_max_f32_e32 v24, v22, v22
	v_cmp_u_f32_e64 s5, v22, v22
	v_min_f32_e32 v25, v24, v23
	v_max_f32_e32 v23, v24, v23
	v_cndmask_b32_e64 v24, v25, v22, s5
	v_cndmask_b32_e64 v25, v23, v22, s5
	v_cmp_u_f32_e64 s5, v21, v21
	v_cndmask_b32_e64 v23, v24, v21, s5
	v_cndmask_b32_e64 v21, v25, v21, s5
	v_cmp_class_f32_e64 s15, v23, 0x1f8
	v_cmp_neq_f32_e64 s5, v23, v21
	s_or_b32 s5, s5, s15
	s_and_saveexec_b32 s15, s5
	s_cbranch_execz .LBB151_28
; %bb.27:
	v_sub_f32_e32 v22, v23, v21
	v_mul_f32_e32 v23, 0x3fb8aa3b, v22
	v_cmp_ngt_f32_e64 s5, 0xc2ce8ed0, v22
	v_fma_f32 v24, 0x3fb8aa3b, v22, -v23
	v_rndne_f32_e32 v25, v23
	v_fmamk_f32 v24, v22, 0x32a5705f, v24
	v_sub_f32_e32 v23, v23, v25
	v_add_f32_e32 v23, v23, v24
	v_cvt_i32_f32_e32 v24, v25
	v_exp_f32_e32 v23, v23
	v_ldexp_f32 v23, v23, v24
	v_cndmask_b32_e64 v23, 0, v23, s5
	v_cmp_nlt_f32_e64 s5, 0x42b17218, v22
	v_cndmask_b32_e64 v24, 0x7f800000, v23, s5
	v_add_f32_e32 v25, 1.0, v24
	v_cvt_f64_f32_e32 v[22:23], v25
	v_frexp_exp_i32_f64_e32 v22, v[22:23]
	v_frexp_mant_f32_e32 v23, v25
	v_cmp_gt_f32_e64 s5, 0x3f2aaaab, v23
	v_add_f32_e32 v23, -1.0, v25
	v_sub_f32_e32 v27, v23, v25
	v_sub_f32_e32 v23, v24, v23
	v_add_f32_e32 v27, 1.0, v27
	v_add_f32_e32 v23, v23, v27
	v_subrev_co_ci_u32_e64 v22, null, 0, v22, s5
	s_mov_b32 s5, 0x3e9b6dac
	v_sub_nc_u32_e32 v26, 0, v22
	v_cvt_f32_i32_e32 v22, v22
	v_ldexp_f32 v25, v25, v26
	v_ldexp_f32 v23, v23, v26
	v_add_f32_e32 v28, 1.0, v25
	v_add_f32_e32 v26, -1.0, v25
	v_add_f32_e32 v27, -1.0, v28
	v_add_f32_e32 v29, 1.0, v26
	v_sub_f32_e32 v27, v25, v27
	v_sub_f32_e32 v25, v25, v29
	v_add_f32_e32 v27, v23, v27
	v_add_f32_e32 v23, v23, v25
	;; [unrolled: 1-line block ×4, first 2 shown]
	v_rcp_f32_e32 v25, v29
	v_sub_f32_e32 v28, v28, v29
	v_sub_f32_e32 v26, v26, v30
	v_add_f32_e32 v27, v27, v28
	v_add_f32_e32 v23, v23, v26
	v_mul_f32_e32 v31, v30, v25
	v_mul_f32_e32 v32, v29, v31
	v_fma_f32 v28, v31, v29, -v32
	v_fmac_f32_e32 v28, v31, v27
	v_add_f32_e32 v33, v32, v28
	v_sub_f32_e32 v34, v30, v33
	v_sub_f32_e32 v26, v33, v32
	;; [unrolled: 1-line block ×5, first 2 shown]
	v_add_f32_e32 v23, v23, v30
	v_add_f32_e32 v23, v26, v23
	;; [unrolled: 1-line block ×3, first 2 shown]
	v_mul_f32_e32 v28, v25, v26
	v_sub_f32_e32 v33, v34, v26
	v_mul_f32_e32 v30, v29, v28
	v_add_f32_e32 v23, v23, v33
	v_fma_f32 v29, v28, v29, -v30
	v_fmac_f32_e32 v29, v28, v27
	v_add_f32_e32 v27, v30, v29
	v_sub_f32_e32 v32, v26, v27
	v_sub_f32_e32 v30, v27, v30
	;; [unrolled: 1-line block ×5, first 2 shown]
	v_add_f32_e32 v23, v23, v26
	v_add_f32_e32 v26, v31, v28
	;; [unrolled: 1-line block ×3, first 2 shown]
	v_sub_f32_e32 v27, v26, v31
	v_add_f32_e32 v23, v32, v23
	v_sub_f32_e32 v27, v28, v27
	v_mul_f32_e32 v23, v25, v23
	v_add_f32_e32 v23, v27, v23
	v_add_f32_e32 v25, v26, v23
	v_mul_f32_e32 v27, v25, v25
	v_fmaak_f32 v28, s5, v27, 0x3ecc95a3
	v_mul_f32_e32 v29, v25, v27
	v_cmp_neq_f32_e64 s5, 0x7f800000, v24
	v_fmaak_f32 v27, v27, v28, 0x3f2aaada
	v_ldexp_f32 v28, v25, 1
	v_sub_f32_e32 v25, v25, v26
	v_mul_f32_e32 v27, v29, v27
	v_mul_f32_e32 v29, 0x3f317218, v22
	v_sub_f32_e32 v23, v23, v25
	v_add_f32_e32 v26, v28, v27
	v_ldexp_f32 v23, v23, 1
	v_sub_f32_e32 v25, v26, v28
	v_fma_f32 v28, 0x3f317218, v22, -v29
	v_sub_f32_e32 v25, v27, v25
	v_fmamk_f32 v22, v22, 0xb102e308, v28
	v_add_f32_e32 v23, v23, v25
	v_add_f32_e32 v25, v29, v22
	;; [unrolled: 1-line block ×3, first 2 shown]
	v_sub_f32_e32 v29, v25, v29
	v_add_f32_e32 v28, v25, v27
	v_sub_f32_e32 v26, v27, v26
	v_sub_f32_e32 v22, v22, v29
	;; [unrolled: 1-line block ×6, first 2 shown]
	v_add_f32_e32 v27, v22, v23
	v_sub_f32_e32 v25, v25, v31
	v_add_f32_e32 v25, v26, v25
	v_sub_f32_e32 v26, v27, v22
	;; [unrolled: 2-line block ×3, first 2 shown]
	v_sub_f32_e32 v23, v23, v26
	v_add_f32_e32 v29, v28, v25
	v_sub_f32_e32 v22, v22, v27
	v_sub_f32_e32 v26, v29, v28
	v_add_f32_e32 v22, v23, v22
	v_sub_f32_e32 v23, v25, v26
	v_add_f32_e32 v22, v22, v23
	v_add_f32_e32 v22, v29, v22
	v_cndmask_b32_e64 v22, 0x7f800000, v22, s5
	v_cmp_gt_f32_e64 s5, 0x33800000, |v24|
	v_cndmask_b32_e64 v22, v22, v24, s5
	v_add_f32_e32 v22, v21, v22
.LBB151_28:
	s_or_b32 exec_lo, exec_lo, s15
	v_mov_b32_e32 v21, v22
.LBB151_29:
	s_or_b32 exec_lo, exec_lo, s14
	v_mov_b32_dpp v22, v21 row_shr:4 row_mask:0xf bank_mask:0xf
	s_mov_b32 s14, exec_lo
	v_cmpx_lt_u32_e32 3, v20
	s_cbranch_execz .LBB151_33
; %bb.30:
	v_max_f32_e32 v23, v21, v21
	v_max_f32_e32 v24, v22, v22
	v_cmp_u_f32_e64 s5, v22, v22
	v_min_f32_e32 v25, v24, v23
	v_max_f32_e32 v23, v24, v23
	v_cndmask_b32_e64 v24, v25, v22, s5
	v_cndmask_b32_e64 v25, v23, v22, s5
	v_cmp_u_f32_e64 s5, v21, v21
	v_cndmask_b32_e64 v23, v24, v21, s5
	v_cndmask_b32_e64 v21, v25, v21, s5
	v_cmp_class_f32_e64 s15, v23, 0x1f8
	v_cmp_neq_f32_e64 s5, v23, v21
	s_or_b32 s5, s5, s15
	s_and_saveexec_b32 s15, s5
	s_cbranch_execz .LBB151_32
; %bb.31:
	v_sub_f32_e32 v22, v23, v21
	v_mul_f32_e32 v23, 0x3fb8aa3b, v22
	v_cmp_ngt_f32_e64 s5, 0xc2ce8ed0, v22
	v_fma_f32 v24, 0x3fb8aa3b, v22, -v23
	v_rndne_f32_e32 v25, v23
	v_fmamk_f32 v24, v22, 0x32a5705f, v24
	v_sub_f32_e32 v23, v23, v25
	v_add_f32_e32 v23, v23, v24
	v_cvt_i32_f32_e32 v24, v25
	v_exp_f32_e32 v23, v23
	v_ldexp_f32 v23, v23, v24
	v_cndmask_b32_e64 v23, 0, v23, s5
	v_cmp_nlt_f32_e64 s5, 0x42b17218, v22
	v_cndmask_b32_e64 v24, 0x7f800000, v23, s5
	v_add_f32_e32 v25, 1.0, v24
	v_cvt_f64_f32_e32 v[22:23], v25
	v_frexp_exp_i32_f64_e32 v22, v[22:23]
	v_frexp_mant_f32_e32 v23, v25
	v_cmp_gt_f32_e64 s5, 0x3f2aaaab, v23
	v_add_f32_e32 v23, -1.0, v25
	v_sub_f32_e32 v27, v23, v25
	v_sub_f32_e32 v23, v24, v23
	v_add_f32_e32 v27, 1.0, v27
	v_add_f32_e32 v23, v23, v27
	v_subrev_co_ci_u32_e64 v22, null, 0, v22, s5
	s_mov_b32 s5, 0x3e9b6dac
	v_sub_nc_u32_e32 v26, 0, v22
	v_cvt_f32_i32_e32 v22, v22
	v_ldexp_f32 v25, v25, v26
	v_ldexp_f32 v23, v23, v26
	v_add_f32_e32 v28, 1.0, v25
	v_add_f32_e32 v26, -1.0, v25
	v_add_f32_e32 v27, -1.0, v28
	v_add_f32_e32 v29, 1.0, v26
	v_sub_f32_e32 v27, v25, v27
	v_sub_f32_e32 v25, v25, v29
	v_add_f32_e32 v27, v23, v27
	v_add_f32_e32 v23, v23, v25
	;; [unrolled: 1-line block ×4, first 2 shown]
	v_rcp_f32_e32 v25, v29
	v_sub_f32_e32 v28, v28, v29
	v_sub_f32_e32 v26, v26, v30
	v_add_f32_e32 v27, v27, v28
	v_add_f32_e32 v23, v23, v26
	v_mul_f32_e32 v31, v30, v25
	v_mul_f32_e32 v32, v29, v31
	v_fma_f32 v28, v31, v29, -v32
	v_fmac_f32_e32 v28, v31, v27
	v_add_f32_e32 v33, v32, v28
	v_sub_f32_e32 v34, v30, v33
	v_sub_f32_e32 v26, v33, v32
	;; [unrolled: 1-line block ×5, first 2 shown]
	v_add_f32_e32 v23, v23, v30
	v_add_f32_e32 v23, v26, v23
	;; [unrolled: 1-line block ×3, first 2 shown]
	v_mul_f32_e32 v28, v25, v26
	v_sub_f32_e32 v33, v34, v26
	v_mul_f32_e32 v30, v29, v28
	v_add_f32_e32 v23, v23, v33
	v_fma_f32 v29, v28, v29, -v30
	v_fmac_f32_e32 v29, v28, v27
	v_add_f32_e32 v27, v30, v29
	v_sub_f32_e32 v32, v26, v27
	v_sub_f32_e32 v30, v27, v30
	;; [unrolled: 1-line block ×5, first 2 shown]
	v_add_f32_e32 v23, v23, v26
	v_add_f32_e32 v26, v31, v28
	;; [unrolled: 1-line block ×3, first 2 shown]
	v_sub_f32_e32 v27, v26, v31
	v_add_f32_e32 v23, v32, v23
	v_sub_f32_e32 v27, v28, v27
	v_mul_f32_e32 v23, v25, v23
	v_add_f32_e32 v23, v27, v23
	v_add_f32_e32 v25, v26, v23
	v_mul_f32_e32 v27, v25, v25
	v_fmaak_f32 v28, s5, v27, 0x3ecc95a3
	v_mul_f32_e32 v29, v25, v27
	v_cmp_neq_f32_e64 s5, 0x7f800000, v24
	v_fmaak_f32 v27, v27, v28, 0x3f2aaada
	v_ldexp_f32 v28, v25, 1
	v_sub_f32_e32 v25, v25, v26
	v_mul_f32_e32 v27, v29, v27
	v_mul_f32_e32 v29, 0x3f317218, v22
	v_sub_f32_e32 v23, v23, v25
	v_add_f32_e32 v26, v28, v27
	v_ldexp_f32 v23, v23, 1
	v_sub_f32_e32 v25, v26, v28
	v_fma_f32 v28, 0x3f317218, v22, -v29
	v_sub_f32_e32 v25, v27, v25
	v_fmamk_f32 v22, v22, 0xb102e308, v28
	v_add_f32_e32 v23, v23, v25
	v_add_f32_e32 v25, v29, v22
	;; [unrolled: 1-line block ×3, first 2 shown]
	v_sub_f32_e32 v29, v25, v29
	v_add_f32_e32 v28, v25, v27
	v_sub_f32_e32 v26, v27, v26
	v_sub_f32_e32 v22, v22, v29
	;; [unrolled: 1-line block ×6, first 2 shown]
	v_add_f32_e32 v27, v22, v23
	v_sub_f32_e32 v25, v25, v31
	v_add_f32_e32 v25, v26, v25
	v_sub_f32_e32 v26, v27, v22
	;; [unrolled: 2-line block ×3, first 2 shown]
	v_sub_f32_e32 v23, v23, v26
	v_add_f32_e32 v29, v28, v25
	v_sub_f32_e32 v22, v22, v27
	v_sub_f32_e32 v26, v29, v28
	v_add_f32_e32 v22, v23, v22
	v_sub_f32_e32 v23, v25, v26
	v_add_f32_e32 v22, v22, v23
	v_add_f32_e32 v22, v29, v22
	v_cndmask_b32_e64 v22, 0x7f800000, v22, s5
	v_cmp_gt_f32_e64 s5, 0x33800000, |v24|
	v_cndmask_b32_e64 v22, v22, v24, s5
	v_add_f32_e32 v22, v21, v22
.LBB151_32:
	s_or_b32 exec_lo, exec_lo, s15
	v_mov_b32_e32 v21, v22
.LBB151_33:
	s_or_b32 exec_lo, exec_lo, s14
	v_mov_b32_dpp v22, v21 row_shr:8 row_mask:0xf bank_mask:0xf
	s_mov_b32 s14, exec_lo
	v_cmpx_lt_u32_e32 7, v20
	s_cbranch_execz .LBB151_37
; %bb.34:
	v_max_f32_e32 v20, v21, v21
	v_max_f32_e32 v23, v22, v22
	v_cmp_u_f32_e64 s5, v22, v22
	v_min_f32_e32 v24, v23, v20
	v_max_f32_e32 v20, v23, v20
	v_cndmask_b32_e64 v23, v24, v22, s5
	v_cndmask_b32_e64 v20, v20, v22, s5
	v_cmp_u_f32_e64 s5, v21, v21
	v_cndmask_b32_e64 v23, v23, v21, s5
	v_cndmask_b32_e64 v20, v20, v21, s5
	v_cmp_class_f32_e64 s15, v23, 0x1f8
	v_cmp_neq_f32_e64 s5, v23, v20
	s_or_b32 s5, s5, s15
	s_and_saveexec_b32 s15, s5
	s_cbranch_execz .LBB151_36
; %bb.35:
	v_sub_f32_e32 v21, v23, v20
	v_mul_f32_e32 v22, 0x3fb8aa3b, v21
	v_cmp_ngt_f32_e64 s5, 0xc2ce8ed0, v21
	v_fma_f32 v23, 0x3fb8aa3b, v21, -v22
	v_rndne_f32_e32 v24, v22
	v_fmamk_f32 v23, v21, 0x32a5705f, v23
	v_sub_f32_e32 v22, v22, v24
	v_add_f32_e32 v22, v22, v23
	v_cvt_i32_f32_e32 v23, v24
	v_exp_f32_e32 v22, v22
	v_ldexp_f32 v22, v22, v23
	v_cndmask_b32_e64 v22, 0, v22, s5
	v_cmp_nlt_f32_e64 s5, 0x42b17218, v21
	v_cndmask_b32_e64 v23, 0x7f800000, v22, s5
	v_add_f32_e32 v24, 1.0, v23
	v_cvt_f64_f32_e32 v[21:22], v24
	v_frexp_exp_i32_f64_e32 v21, v[21:22]
	v_frexp_mant_f32_e32 v22, v24
	v_cmp_gt_f32_e64 s5, 0x3f2aaaab, v22
	v_add_f32_e32 v22, -1.0, v24
	v_sub_f32_e32 v26, v22, v24
	v_sub_f32_e32 v22, v23, v22
	v_add_f32_e32 v26, 1.0, v26
	v_add_f32_e32 v22, v22, v26
	v_subrev_co_ci_u32_e64 v21, null, 0, v21, s5
	s_mov_b32 s5, 0x3e9b6dac
	v_sub_nc_u32_e32 v25, 0, v21
	v_cvt_f32_i32_e32 v21, v21
	v_ldexp_f32 v24, v24, v25
	v_ldexp_f32 v22, v22, v25
	v_add_f32_e32 v27, 1.0, v24
	v_add_f32_e32 v25, -1.0, v24
	v_add_f32_e32 v26, -1.0, v27
	v_add_f32_e32 v28, 1.0, v25
	v_sub_f32_e32 v26, v24, v26
	v_sub_f32_e32 v24, v24, v28
	v_add_f32_e32 v26, v22, v26
	v_add_f32_e32 v22, v22, v24
	;; [unrolled: 1-line block ×4, first 2 shown]
	v_rcp_f32_e32 v24, v28
	v_sub_f32_e32 v27, v27, v28
	v_sub_f32_e32 v25, v25, v29
	v_add_f32_e32 v26, v26, v27
	v_add_f32_e32 v22, v22, v25
	v_mul_f32_e32 v30, v29, v24
	v_mul_f32_e32 v31, v28, v30
	v_fma_f32 v27, v30, v28, -v31
	v_fmac_f32_e32 v27, v30, v26
	v_add_f32_e32 v32, v31, v27
	v_sub_f32_e32 v33, v29, v32
	v_sub_f32_e32 v25, v32, v31
	;; [unrolled: 1-line block ×5, first 2 shown]
	v_add_f32_e32 v22, v22, v29
	v_add_f32_e32 v22, v25, v22
	;; [unrolled: 1-line block ×3, first 2 shown]
	v_mul_f32_e32 v27, v24, v25
	v_sub_f32_e32 v32, v33, v25
	v_mul_f32_e32 v29, v28, v27
	v_add_f32_e32 v22, v22, v32
	v_fma_f32 v28, v27, v28, -v29
	v_fmac_f32_e32 v28, v27, v26
	v_add_f32_e32 v26, v29, v28
	v_sub_f32_e32 v31, v25, v26
	v_sub_f32_e32 v29, v26, v29
	;; [unrolled: 1-line block ×5, first 2 shown]
	v_add_f32_e32 v22, v22, v25
	v_add_f32_e32 v25, v30, v27
	;; [unrolled: 1-line block ×3, first 2 shown]
	v_sub_f32_e32 v26, v25, v30
	v_add_f32_e32 v22, v31, v22
	v_sub_f32_e32 v26, v27, v26
	v_mul_f32_e32 v22, v24, v22
	v_add_f32_e32 v22, v26, v22
	v_add_f32_e32 v24, v25, v22
	v_mul_f32_e32 v26, v24, v24
	v_fmaak_f32 v27, s5, v26, 0x3ecc95a3
	v_mul_f32_e32 v28, v24, v26
	v_cmp_neq_f32_e64 s5, 0x7f800000, v23
	v_fmaak_f32 v26, v26, v27, 0x3f2aaada
	v_ldexp_f32 v27, v24, 1
	v_sub_f32_e32 v24, v24, v25
	v_mul_f32_e32 v26, v28, v26
	v_mul_f32_e32 v28, 0x3f317218, v21
	v_sub_f32_e32 v22, v22, v24
	v_add_f32_e32 v25, v27, v26
	v_ldexp_f32 v22, v22, 1
	v_sub_f32_e32 v24, v25, v27
	v_fma_f32 v27, 0x3f317218, v21, -v28
	v_sub_f32_e32 v24, v26, v24
	v_fmamk_f32 v21, v21, 0xb102e308, v27
	v_add_f32_e32 v22, v22, v24
	v_add_f32_e32 v24, v28, v21
	;; [unrolled: 1-line block ×3, first 2 shown]
	v_sub_f32_e32 v28, v24, v28
	v_add_f32_e32 v27, v24, v26
	v_sub_f32_e32 v25, v26, v25
	v_sub_f32_e32 v21, v21, v28
	;; [unrolled: 1-line block ×6, first 2 shown]
	v_add_f32_e32 v26, v21, v22
	v_sub_f32_e32 v24, v24, v30
	v_add_f32_e32 v24, v25, v24
	v_sub_f32_e32 v25, v26, v21
	;; [unrolled: 2-line block ×3, first 2 shown]
	v_sub_f32_e32 v22, v22, v25
	v_add_f32_e32 v28, v27, v24
	v_sub_f32_e32 v21, v21, v26
	v_sub_f32_e32 v25, v28, v27
	v_add_f32_e32 v21, v22, v21
	v_sub_f32_e32 v22, v24, v25
	v_add_f32_e32 v21, v21, v22
	v_add_f32_e32 v21, v28, v21
	v_cndmask_b32_e64 v21, 0x7f800000, v21, s5
	v_cmp_gt_f32_e64 s5, 0x33800000, |v23|
	v_cndmask_b32_e64 v21, v21, v23, s5
	v_add_f32_e32 v22, v20, v21
.LBB151_36:
	s_or_b32 exec_lo, exec_lo, s15
	v_mov_b32_e32 v21, v22
.LBB151_37:
	s_or_b32 exec_lo, exec_lo, s14
	ds_swizzle_b32 v22, v21 offset:swizzle(BROADCAST,32,15)
	v_and_b32_e32 v20, 16, v6
	s_mov_b32 s14, exec_lo
	v_cmpx_ne_u32_e32 0, v20
	s_cbranch_execz .LBB151_41
; %bb.38:
	v_max_f32_e32 v20, v21, v21
	s_waitcnt lgkmcnt(0)
	v_max_f32_e32 v23, v22, v22
	v_cmp_u_f32_e64 s5, v22, v22
	v_min_f32_e32 v24, v23, v20
	v_max_f32_e32 v20, v23, v20
	v_cndmask_b32_e64 v23, v24, v22, s5
	v_cndmask_b32_e64 v20, v20, v22, s5
	v_cmp_u_f32_e64 s5, v21, v21
	v_cndmask_b32_e64 v23, v23, v21, s5
	v_cndmask_b32_e64 v20, v20, v21, s5
	v_cmp_class_f32_e64 s15, v23, 0x1f8
	v_cmp_neq_f32_e64 s5, v23, v20
	s_or_b32 s5, s5, s15
	s_and_saveexec_b32 s15, s5
	s_cbranch_execz .LBB151_40
; %bb.39:
	v_sub_f32_e32 v21, v23, v20
	v_mul_f32_e32 v22, 0x3fb8aa3b, v21
	v_cmp_ngt_f32_e64 s5, 0xc2ce8ed0, v21
	v_fma_f32 v23, 0x3fb8aa3b, v21, -v22
	v_rndne_f32_e32 v24, v22
	v_fmamk_f32 v23, v21, 0x32a5705f, v23
	v_sub_f32_e32 v22, v22, v24
	v_add_f32_e32 v22, v22, v23
	v_cvt_i32_f32_e32 v23, v24
	v_exp_f32_e32 v22, v22
	v_ldexp_f32 v22, v22, v23
	v_cndmask_b32_e64 v22, 0, v22, s5
	v_cmp_nlt_f32_e64 s5, 0x42b17218, v21
	v_cndmask_b32_e64 v23, 0x7f800000, v22, s5
	v_add_f32_e32 v24, 1.0, v23
	v_cvt_f64_f32_e32 v[21:22], v24
	v_frexp_exp_i32_f64_e32 v21, v[21:22]
	v_frexp_mant_f32_e32 v22, v24
	v_cmp_gt_f32_e64 s5, 0x3f2aaaab, v22
	v_add_f32_e32 v22, -1.0, v24
	v_sub_f32_e32 v26, v22, v24
	v_sub_f32_e32 v22, v23, v22
	v_add_f32_e32 v26, 1.0, v26
	v_add_f32_e32 v22, v22, v26
	v_subrev_co_ci_u32_e64 v21, null, 0, v21, s5
	s_mov_b32 s5, 0x3e9b6dac
	v_sub_nc_u32_e32 v25, 0, v21
	v_cvt_f32_i32_e32 v21, v21
	v_ldexp_f32 v24, v24, v25
	v_ldexp_f32 v22, v22, v25
	v_add_f32_e32 v27, 1.0, v24
	v_add_f32_e32 v25, -1.0, v24
	v_add_f32_e32 v26, -1.0, v27
	v_add_f32_e32 v28, 1.0, v25
	v_sub_f32_e32 v26, v24, v26
	v_sub_f32_e32 v24, v24, v28
	v_add_f32_e32 v26, v22, v26
	v_add_f32_e32 v22, v22, v24
	;; [unrolled: 1-line block ×4, first 2 shown]
	v_rcp_f32_e32 v24, v28
	v_sub_f32_e32 v27, v27, v28
	v_sub_f32_e32 v25, v25, v29
	v_add_f32_e32 v26, v26, v27
	v_add_f32_e32 v22, v22, v25
	v_mul_f32_e32 v30, v29, v24
	v_mul_f32_e32 v31, v28, v30
	v_fma_f32 v27, v30, v28, -v31
	v_fmac_f32_e32 v27, v30, v26
	v_add_f32_e32 v32, v31, v27
	v_sub_f32_e32 v33, v29, v32
	v_sub_f32_e32 v25, v32, v31
	;; [unrolled: 1-line block ×5, first 2 shown]
	v_add_f32_e32 v22, v22, v29
	v_add_f32_e32 v22, v25, v22
	;; [unrolled: 1-line block ×3, first 2 shown]
	v_mul_f32_e32 v27, v24, v25
	v_sub_f32_e32 v32, v33, v25
	v_mul_f32_e32 v29, v28, v27
	v_add_f32_e32 v22, v22, v32
	v_fma_f32 v28, v27, v28, -v29
	v_fmac_f32_e32 v28, v27, v26
	v_add_f32_e32 v26, v29, v28
	v_sub_f32_e32 v31, v25, v26
	v_sub_f32_e32 v29, v26, v29
	v_sub_f32_e32 v25, v25, v31
	v_sub_f32_e32 v25, v25, v26
	v_sub_f32_e32 v26, v29, v28
	v_add_f32_e32 v22, v22, v25
	v_add_f32_e32 v25, v30, v27
	;; [unrolled: 1-line block ×3, first 2 shown]
	v_sub_f32_e32 v26, v25, v30
	v_add_f32_e32 v22, v31, v22
	v_sub_f32_e32 v26, v27, v26
	v_mul_f32_e32 v22, v24, v22
	v_add_f32_e32 v22, v26, v22
	v_add_f32_e32 v24, v25, v22
	v_mul_f32_e32 v26, v24, v24
	v_fmaak_f32 v27, s5, v26, 0x3ecc95a3
	v_mul_f32_e32 v28, v24, v26
	v_cmp_neq_f32_e64 s5, 0x7f800000, v23
	v_fmaak_f32 v26, v26, v27, 0x3f2aaada
	v_ldexp_f32 v27, v24, 1
	v_sub_f32_e32 v24, v24, v25
	v_mul_f32_e32 v26, v28, v26
	v_mul_f32_e32 v28, 0x3f317218, v21
	v_sub_f32_e32 v22, v22, v24
	v_add_f32_e32 v25, v27, v26
	v_ldexp_f32 v22, v22, 1
	v_sub_f32_e32 v24, v25, v27
	v_fma_f32 v27, 0x3f317218, v21, -v28
	v_sub_f32_e32 v24, v26, v24
	v_fmamk_f32 v21, v21, 0xb102e308, v27
	v_add_f32_e32 v22, v22, v24
	v_add_f32_e32 v24, v28, v21
	;; [unrolled: 1-line block ×3, first 2 shown]
	v_sub_f32_e32 v28, v24, v28
	v_add_f32_e32 v27, v24, v26
	v_sub_f32_e32 v25, v26, v25
	v_sub_f32_e32 v21, v21, v28
	;; [unrolled: 1-line block ×6, first 2 shown]
	v_add_f32_e32 v26, v21, v22
	v_sub_f32_e32 v24, v24, v30
	v_add_f32_e32 v24, v25, v24
	v_sub_f32_e32 v25, v26, v21
	;; [unrolled: 2-line block ×3, first 2 shown]
	v_sub_f32_e32 v22, v22, v25
	v_add_f32_e32 v28, v27, v24
	v_sub_f32_e32 v21, v21, v26
	v_sub_f32_e32 v25, v28, v27
	v_add_f32_e32 v21, v22, v21
	v_sub_f32_e32 v22, v24, v25
	v_add_f32_e32 v21, v21, v22
	v_add_f32_e32 v21, v28, v21
	v_cndmask_b32_e64 v21, 0x7f800000, v21, s5
	v_cmp_gt_f32_e64 s5, 0x33800000, |v23|
	v_cndmask_b32_e64 v21, v21, v23, s5
	v_add_f32_e32 v22, v20, v21
.LBB151_40:
	s_or_b32 exec_lo, exec_lo, s15
	v_mov_b32_e32 v21, v22
.LBB151_41:
	s_or_b32 exec_lo, exec_lo, s14
	v_add_nc_u32_e32 v20, -1, v6
	v_cmp_gt_i32_e64 s5, 0, v20
	v_cndmask_b32_e64 v6, v20, v6, s5
	v_lshlrev_b32_e32 v6, 2, v6
	ds_bpermute_b32 v6, v6, v21
	s_waitcnt lgkmcnt(0)
	v_max_f32_e32 v20, v6, v6
	v_cmp_u_f32_e64 s5, v6, v6
	v_min_f32_e32 v21, v20, v19
	v_max_f32_e32 v19, v20, v19
	v_cndmask_b32_e64 v20, v21, v6, s5
	v_cndmask_b32_e64 v21, v19, v6, s5
	;; [unrolled: 1-line block ×4, first 2 shown]
	v_cmp_class_f32_e64 s5, v19, 0x1f8
	v_cmp_neq_f32_e64 s4, v19, v5
	s_or_b32 s4, s4, s5
	s_and_saveexec_b32 s5, s4
	s_cbranch_execz .LBB151_43
; %bb.42:
	v_sub_f32_e32 v6, v19, v5
	v_mul_f32_e32 v19, 0x3fb8aa3b, v6
	v_cmp_ngt_f32_e64 s4, 0xc2ce8ed0, v6
	v_fma_f32 v20, 0x3fb8aa3b, v6, -v19
	v_rndne_f32_e32 v21, v19
	v_fmamk_f32 v20, v6, 0x32a5705f, v20
	v_sub_f32_e32 v19, v19, v21
	v_add_f32_e32 v19, v19, v20
	v_cvt_i32_f32_e32 v20, v21
	v_exp_f32_e32 v19, v19
	v_ldexp_f32 v19, v19, v20
	v_cndmask_b32_e64 v19, 0, v19, s4
	v_cmp_nlt_f32_e64 s4, 0x42b17218, v6
	v_cndmask_b32_e64 v6, 0x7f800000, v19, s4
	v_add_f32_e32 v21, 1.0, v6
	v_cvt_f64_f32_e32 v[19:20], v21
	v_frexp_exp_i32_f64_e32 v19, v[19:20]
	v_frexp_mant_f32_e32 v20, v21
	v_cmp_gt_f32_e64 s4, 0x3f2aaaab, v20
	v_add_f32_e32 v20, -1.0, v21
	v_sub_f32_e32 v23, v20, v21
	v_sub_f32_e32 v20, v6, v20
	v_add_f32_e32 v23, 1.0, v23
	v_add_f32_e32 v20, v20, v23
	v_subrev_co_ci_u32_e64 v19, null, 0, v19, s4
	s_mov_b32 s4, 0x3e9b6dac
	v_sub_nc_u32_e32 v22, 0, v19
	v_cvt_f32_i32_e32 v19, v19
	v_ldexp_f32 v21, v21, v22
	v_ldexp_f32 v20, v20, v22
	v_add_f32_e32 v24, 1.0, v21
	v_add_f32_e32 v22, -1.0, v21
	v_add_f32_e32 v23, -1.0, v24
	v_add_f32_e32 v25, 1.0, v22
	v_sub_f32_e32 v23, v21, v23
	v_sub_f32_e32 v21, v21, v25
	v_add_f32_e32 v23, v20, v23
	v_add_f32_e32 v20, v20, v21
	v_add_f32_e32 v25, v24, v23
	v_add_f32_e32 v26, v22, v20
	v_rcp_f32_e32 v21, v25
	v_sub_f32_e32 v24, v24, v25
	v_sub_f32_e32 v22, v22, v26
	v_add_f32_e32 v23, v23, v24
	v_add_f32_e32 v20, v20, v22
	v_mul_f32_e32 v27, v26, v21
	v_mul_f32_e32 v28, v25, v27
	v_fma_f32 v24, v27, v25, -v28
	v_fmac_f32_e32 v24, v27, v23
	v_add_f32_e32 v29, v28, v24
	v_sub_f32_e32 v30, v26, v29
	v_sub_f32_e32 v22, v29, v28
	v_sub_f32_e32 v26, v26, v30
	v_sub_f32_e32 v22, v22, v24
	v_sub_f32_e32 v26, v26, v29
	v_add_f32_e32 v20, v20, v26
	v_add_f32_e32 v20, v22, v20
	;; [unrolled: 1-line block ×3, first 2 shown]
	v_mul_f32_e32 v24, v21, v22
	v_sub_f32_e32 v29, v30, v22
	v_mul_f32_e32 v26, v25, v24
	v_add_f32_e32 v20, v20, v29
	v_fma_f32 v25, v24, v25, -v26
	v_fmac_f32_e32 v25, v24, v23
	v_add_f32_e32 v23, v26, v25
	v_sub_f32_e32 v28, v22, v23
	v_sub_f32_e32 v26, v23, v26
	;; [unrolled: 1-line block ×5, first 2 shown]
	v_add_f32_e32 v20, v20, v22
	v_add_f32_e32 v22, v27, v24
	v_add_f32_e32 v20, v23, v20
	v_sub_f32_e32 v23, v22, v27
	v_add_f32_e32 v20, v28, v20
	v_sub_f32_e32 v23, v24, v23
	v_mul_f32_e32 v20, v21, v20
	v_add_f32_e32 v20, v23, v20
	v_add_f32_e32 v21, v22, v20
	v_mul_f32_e32 v23, v21, v21
	v_fmaak_f32 v24, s4, v23, 0x3ecc95a3
	v_mul_f32_e32 v25, v21, v23
	v_cmp_neq_f32_e64 s4, 0x7f800000, v6
	v_fmaak_f32 v23, v23, v24, 0x3f2aaada
	v_ldexp_f32 v24, v21, 1
	v_sub_f32_e32 v21, v21, v22
	v_mul_f32_e32 v23, v25, v23
	v_mul_f32_e32 v25, 0x3f317218, v19
	v_sub_f32_e32 v20, v20, v21
	v_add_f32_e32 v22, v24, v23
	v_ldexp_f32 v20, v20, 1
	v_sub_f32_e32 v21, v22, v24
	v_fma_f32 v24, 0x3f317218, v19, -v25
	v_sub_f32_e32 v21, v23, v21
	v_fmamk_f32 v19, v19, 0xb102e308, v24
	v_add_f32_e32 v20, v20, v21
	v_add_f32_e32 v21, v25, v19
	;; [unrolled: 1-line block ×3, first 2 shown]
	v_sub_f32_e32 v25, v21, v25
	v_add_f32_e32 v24, v21, v23
	v_sub_f32_e32 v22, v23, v22
	v_sub_f32_e32 v19, v19, v25
	;; [unrolled: 1-line block ×6, first 2 shown]
	v_add_f32_e32 v23, v19, v20
	v_sub_f32_e32 v21, v21, v27
	v_add_f32_e32 v21, v22, v21
	v_sub_f32_e32 v22, v23, v19
	;; [unrolled: 2-line block ×3, first 2 shown]
	v_sub_f32_e32 v20, v20, v22
	v_add_f32_e32 v25, v24, v21
	v_sub_f32_e32 v19, v19, v23
	v_sub_f32_e32 v22, v25, v24
	v_add_f32_e32 v19, v20, v19
	v_sub_f32_e32 v20, v21, v22
	v_add_f32_e32 v19, v19, v20
	v_add_f32_e32 v19, v25, v19
	v_cndmask_b32_e64 v19, 0x7f800000, v19, s4
	v_cmp_gt_f32_e64 s4, 0x33800000, |v6|
	v_cndmask_b32_e64 v6, v19, v6, s4
	v_add_f32_e32 v6, v5, v6
.LBB151_43:
	s_or_b32 exec_lo, exec_lo, s5
	v_cmp_eq_u32_e64 s4, 0, v0
	; wave barrier
	v_cndmask_b32_e64 v6, v6, v18, s4
	ds_write_b32 v17, v6
	; wave barrier
	ds_read_b32 v5, v17 offset:4
	v_max_f32_e32 v18, v6, v6
	v_cmp_u_f32_e64 s4, v6, v6
	s_waitcnt lgkmcnt(0)
	v_max_f32_e32 v19, v5, v5
	v_min_f32_e32 v20, v18, v19
	v_max_f32_e32 v18, v18, v19
	v_cndmask_b32_e64 v19, v20, v6, s4
	v_cndmask_b32_e64 v20, v18, v6, s4
	v_cmp_u_f32_e64 s4, v5, v5
	v_cndmask_b32_e64 v18, v19, v5, s4
	v_cndmask_b32_e64 v5, v20, v5, s4
	v_cmp_class_f32_e64 s5, v18, 0x1f8
	v_cmp_neq_f32_e64 s4, v18, v5
	s_or_b32 s4, s4, s5
	s_and_saveexec_b32 s5, s4
	s_cbranch_execz .LBB151_45
; %bb.44:
	v_sub_f32_e32 v6, v18, v5
	v_mul_f32_e32 v18, 0x3fb8aa3b, v6
	v_cmp_ngt_f32_e64 s4, 0xc2ce8ed0, v6
	v_fma_f32 v19, 0x3fb8aa3b, v6, -v18
	v_rndne_f32_e32 v20, v18
	v_fmamk_f32 v19, v6, 0x32a5705f, v19
	v_sub_f32_e32 v18, v18, v20
	v_add_f32_e32 v18, v18, v19
	v_cvt_i32_f32_e32 v19, v20
	v_exp_f32_e32 v18, v18
	v_ldexp_f32 v18, v18, v19
	v_cndmask_b32_e64 v18, 0, v18, s4
	v_cmp_nlt_f32_e64 s4, 0x42b17218, v6
	v_cndmask_b32_e64 v6, 0x7f800000, v18, s4
	v_add_f32_e32 v20, 1.0, v6
	v_cvt_f64_f32_e32 v[18:19], v20
	v_frexp_exp_i32_f64_e32 v18, v[18:19]
	v_frexp_mant_f32_e32 v19, v20
	v_cmp_gt_f32_e64 s4, 0x3f2aaaab, v19
	v_add_f32_e32 v19, -1.0, v20
	v_sub_f32_e32 v22, v19, v20
	v_sub_f32_e32 v19, v6, v19
	v_add_f32_e32 v22, 1.0, v22
	v_add_f32_e32 v19, v19, v22
	v_subrev_co_ci_u32_e64 v18, null, 0, v18, s4
	s_mov_b32 s4, 0x3e9b6dac
	v_sub_nc_u32_e32 v21, 0, v18
	v_cvt_f32_i32_e32 v18, v18
	v_ldexp_f32 v20, v20, v21
	v_ldexp_f32 v19, v19, v21
	v_add_f32_e32 v23, 1.0, v20
	v_add_f32_e32 v21, -1.0, v20
	v_add_f32_e32 v22, -1.0, v23
	v_add_f32_e32 v24, 1.0, v21
	v_sub_f32_e32 v22, v20, v22
	v_sub_f32_e32 v20, v20, v24
	v_add_f32_e32 v22, v19, v22
	v_add_f32_e32 v19, v19, v20
	;; [unrolled: 1-line block ×4, first 2 shown]
	v_rcp_f32_e32 v20, v24
	v_sub_f32_e32 v23, v23, v24
	v_sub_f32_e32 v21, v21, v25
	v_add_f32_e32 v22, v22, v23
	v_add_f32_e32 v19, v19, v21
	v_mul_f32_e32 v26, v25, v20
	v_mul_f32_e32 v27, v24, v26
	v_fma_f32 v23, v26, v24, -v27
	v_fmac_f32_e32 v23, v26, v22
	v_add_f32_e32 v28, v27, v23
	v_sub_f32_e32 v29, v25, v28
	v_sub_f32_e32 v21, v28, v27
	;; [unrolled: 1-line block ×5, first 2 shown]
	v_add_f32_e32 v19, v19, v25
	v_add_f32_e32 v19, v21, v19
	;; [unrolled: 1-line block ×3, first 2 shown]
	v_mul_f32_e32 v23, v20, v21
	v_sub_f32_e32 v28, v29, v21
	v_mul_f32_e32 v25, v24, v23
	v_add_f32_e32 v19, v19, v28
	v_fma_f32 v24, v23, v24, -v25
	v_fmac_f32_e32 v24, v23, v22
	v_add_f32_e32 v22, v25, v24
	v_sub_f32_e32 v27, v21, v22
	v_sub_f32_e32 v25, v22, v25
	;; [unrolled: 1-line block ×5, first 2 shown]
	v_add_f32_e32 v19, v19, v21
	v_add_f32_e32 v21, v26, v23
	;; [unrolled: 1-line block ×3, first 2 shown]
	v_sub_f32_e32 v22, v21, v26
	v_add_f32_e32 v19, v27, v19
	v_sub_f32_e32 v22, v23, v22
	v_mul_f32_e32 v19, v20, v19
	v_add_f32_e32 v19, v22, v19
	v_add_f32_e32 v20, v21, v19
	v_mul_f32_e32 v22, v20, v20
	v_fmaak_f32 v23, s4, v22, 0x3ecc95a3
	v_mul_f32_e32 v24, v20, v22
	v_cmp_neq_f32_e64 s4, 0x7f800000, v6
	v_fmaak_f32 v22, v22, v23, 0x3f2aaada
	v_ldexp_f32 v23, v20, 1
	v_sub_f32_e32 v20, v20, v21
	v_mul_f32_e32 v22, v24, v22
	v_mul_f32_e32 v24, 0x3f317218, v18
	v_sub_f32_e32 v19, v19, v20
	v_add_f32_e32 v21, v23, v22
	v_ldexp_f32 v19, v19, 1
	v_sub_f32_e32 v20, v21, v23
	v_fma_f32 v23, 0x3f317218, v18, -v24
	v_sub_f32_e32 v20, v22, v20
	v_fmamk_f32 v18, v18, 0xb102e308, v23
	v_add_f32_e32 v19, v19, v20
	v_add_f32_e32 v20, v24, v18
	;; [unrolled: 1-line block ×3, first 2 shown]
	v_sub_f32_e32 v24, v20, v24
	v_add_f32_e32 v23, v20, v22
	v_sub_f32_e32 v21, v22, v21
	v_sub_f32_e32 v18, v18, v24
	;; [unrolled: 1-line block ×6, first 2 shown]
	v_add_f32_e32 v22, v18, v19
	v_sub_f32_e32 v20, v20, v26
	v_add_f32_e32 v20, v21, v20
	v_sub_f32_e32 v21, v22, v18
	;; [unrolled: 2-line block ×3, first 2 shown]
	v_sub_f32_e32 v19, v19, v21
	v_add_f32_e32 v24, v23, v20
	v_sub_f32_e32 v18, v18, v22
	v_sub_f32_e32 v21, v24, v23
	v_add_f32_e32 v18, v19, v18
	v_sub_f32_e32 v19, v20, v21
	v_add_f32_e32 v18, v18, v19
	v_add_f32_e32 v18, v24, v18
	v_cndmask_b32_e64 v18, 0x7f800000, v18, s4
	v_cmp_gt_f32_e64 s4, 0x33800000, |v6|
	v_cndmask_b32_e64 v6, v18, v6, s4
	v_add_f32_e32 v6, v5, v6
.LBB151_45:
	s_or_b32 exec_lo, exec_lo, s5
	ds_write_b32 v17, v6 offset:4
.LBB151_46:
	s_or_b32 exec_lo, exec_lo, s11
	s_mov_b32 s5, exec_lo
	s_waitcnt lgkmcnt(0)
	s_barrier
	buffer_gl0_inv
	v_cmpx_ne_u32_e32 0, v0
	s_cbranch_execz .LBB151_50
; %bb.47:
	v_add_nc_u32_e32 v5, -1, v0
	v_lshrrev_b32_e32 v6, 3, v5
	v_and_b32_e32 v6, 0x1ffffffc, v6
	v_lshl_add_u32 v5, v5, 2, v6
	ds_read_b32 v5, v5
	s_waitcnt lgkmcnt(0)
	v_max_f32_e32 v6, v5, v5
	v_cmp_u_f32_e64 s4, v5, v5
	v_min_f32_e32 v14, v6, v15
	v_max_f32_e32 v6, v6, v15
	v_cndmask_b32_e64 v14, v14, v5, s4
	v_cndmask_b32_e64 v15, v6, v5, s4
	;; [unrolled: 1-line block ×4, first 2 shown]
	v_cmp_class_f32_e64 s10, v6, 0x1f8
	v_cmp_neq_f32_e64 s4, v6, v1
	s_or_b32 s4, s4, s10
	s_and_saveexec_b32 s10, s4
	s_cbranch_execz .LBB151_49
; %bb.48:
	v_sub_f32_e32 v5, v6, v1
	v_mul_f32_e32 v6, 0x3fb8aa3b, v5
	v_cmp_ngt_f32_e64 s4, 0xc2ce8ed0, v5
	v_fma_f32 v14, 0x3fb8aa3b, v5, -v6
	v_rndne_f32_e32 v15, v6
	v_fmamk_f32 v14, v5, 0x32a5705f, v14
	v_sub_f32_e32 v6, v6, v15
	v_add_f32_e32 v6, v6, v14
	v_cvt_i32_f32_e32 v14, v15
	v_exp_f32_e32 v6, v6
	v_ldexp_f32 v6, v6, v14
	v_cndmask_b32_e64 v6, 0, v6, s4
	v_cmp_nlt_f32_e64 s4, 0x42b17218, v5
	v_cndmask_b32_e64 v14, 0x7f800000, v6, s4
	v_add_f32_e32 v15, 1.0, v14
	v_cvt_f64_f32_e32 v[5:6], v15
	v_frexp_exp_i32_f64_e32 v5, v[5:6]
	v_frexp_mant_f32_e32 v6, v15
	v_cmp_gt_f32_e64 s4, 0x3f2aaaab, v6
	v_add_f32_e32 v6, -1.0, v15
	v_sub_f32_e32 v17, v6, v15
	v_sub_f32_e32 v6, v14, v6
	v_add_f32_e32 v17, 1.0, v17
	v_add_f32_e32 v6, v6, v17
	v_subrev_co_ci_u32_e64 v5, null, 0, v5, s4
	s_mov_b32 s4, 0x3e9b6dac
	v_sub_nc_u32_e32 v16, 0, v5
	v_cvt_f32_i32_e32 v5, v5
	v_ldexp_f32 v15, v15, v16
	v_ldexp_f32 v6, v6, v16
	v_add_f32_e32 v18, 1.0, v15
	v_add_f32_e32 v16, -1.0, v15
	v_add_f32_e32 v17, -1.0, v18
	v_add_f32_e32 v19, 1.0, v16
	v_sub_f32_e32 v17, v15, v17
	v_sub_f32_e32 v15, v15, v19
	v_add_f32_e32 v17, v6, v17
	v_add_f32_e32 v6, v6, v15
	;; [unrolled: 1-line block ×4, first 2 shown]
	v_rcp_f32_e32 v15, v19
	v_sub_f32_e32 v18, v18, v19
	v_sub_f32_e32 v16, v16, v20
	v_add_f32_e32 v17, v17, v18
	v_add_f32_e32 v6, v6, v16
	v_mul_f32_e32 v21, v20, v15
	v_mul_f32_e32 v22, v19, v21
	v_fma_f32 v18, v21, v19, -v22
	v_fmac_f32_e32 v18, v21, v17
	v_add_f32_e32 v23, v22, v18
	v_sub_f32_e32 v24, v20, v23
	v_sub_f32_e32 v16, v23, v22
	;; [unrolled: 1-line block ×5, first 2 shown]
	v_add_f32_e32 v6, v6, v20
	v_add_f32_e32 v6, v16, v6
	;; [unrolled: 1-line block ×3, first 2 shown]
	v_mul_f32_e32 v18, v15, v16
	v_sub_f32_e32 v23, v24, v16
	v_mul_f32_e32 v20, v19, v18
	v_add_f32_e32 v6, v6, v23
	v_fma_f32 v19, v18, v19, -v20
	v_fmac_f32_e32 v19, v18, v17
	v_add_f32_e32 v17, v20, v19
	v_sub_f32_e32 v22, v16, v17
	v_sub_f32_e32 v20, v17, v20
	;; [unrolled: 1-line block ×5, first 2 shown]
	v_add_f32_e32 v6, v6, v16
	v_add_f32_e32 v16, v21, v18
	;; [unrolled: 1-line block ×3, first 2 shown]
	v_sub_f32_e32 v17, v16, v21
	v_add_f32_e32 v6, v22, v6
	v_sub_f32_e32 v17, v18, v17
	v_mul_f32_e32 v6, v15, v6
	v_add_f32_e32 v6, v17, v6
	v_add_f32_e32 v15, v16, v6
	v_mul_f32_e32 v17, v15, v15
	v_fmaak_f32 v18, s4, v17, 0x3ecc95a3
	v_mul_f32_e32 v19, v15, v17
	v_cmp_neq_f32_e64 s4, 0x7f800000, v14
	v_fmaak_f32 v17, v17, v18, 0x3f2aaada
	v_ldexp_f32 v18, v15, 1
	v_sub_f32_e32 v15, v15, v16
	v_mul_f32_e32 v17, v19, v17
	v_mul_f32_e32 v19, 0x3f317218, v5
	v_sub_f32_e32 v6, v6, v15
	v_add_f32_e32 v16, v18, v17
	v_ldexp_f32 v6, v6, 1
	v_sub_f32_e32 v15, v16, v18
	v_fma_f32 v18, 0x3f317218, v5, -v19
	v_sub_f32_e32 v15, v17, v15
	v_fmamk_f32 v5, v5, 0xb102e308, v18
	v_add_f32_e32 v6, v6, v15
	v_add_f32_e32 v15, v19, v5
	;; [unrolled: 1-line block ×3, first 2 shown]
	v_sub_f32_e32 v19, v15, v19
	v_add_f32_e32 v18, v15, v17
	v_sub_f32_e32 v16, v17, v16
	v_sub_f32_e32 v5, v5, v19
	;; [unrolled: 1-line block ×6, first 2 shown]
	v_add_f32_e32 v17, v5, v6
	v_sub_f32_e32 v15, v15, v21
	v_add_f32_e32 v15, v16, v15
	v_sub_f32_e32 v16, v17, v5
	;; [unrolled: 2-line block ×3, first 2 shown]
	v_sub_f32_e32 v6, v6, v16
	v_add_f32_e32 v19, v18, v15
	v_sub_f32_e32 v5, v5, v17
	v_sub_f32_e32 v16, v19, v18
	v_add_f32_e32 v5, v6, v5
	v_sub_f32_e32 v6, v15, v16
	v_add_f32_e32 v5, v5, v6
	v_add_f32_e32 v5, v19, v5
	v_cndmask_b32_e64 v5, 0x7f800000, v5, s4
	v_cmp_gt_f32_e64 s4, 0x33800000, |v14|
	v_cndmask_b32_e64 v5, v5, v14, s4
	v_add_f32_e32 v5, v1, v5
.LBB151_49:
	s_or_b32 exec_lo, exec_lo, s10
	v_max_f32_e32 v1, v5, v5
	;;#ASMSTART
	;;#ASMEND
	v_min_f32_e32 v14, v1, v13
	v_max_f32_e32 v16, v1, v13
	v_mov_b32_e32 v1, v5
.LBB151_50:
	s_or_b32 exec_lo, exec_lo, s5
	v_cmp_u_f32_e64 s4, v1, v1
	v_cndmask_b32_e64 v5, v14, v1, s4
	v_cndmask_b32_e64 v13, v16, v1, s4
	;; [unrolled: 1-line block ×4, first 2 shown]
	v_mov_b32_e32 v2, v1
	v_cmp_class_f32_e64 s5, v6, 0x1f8
	v_cmp_neq_f32_e64 s4, v6, v5
	s_or_b32 s4, s4, s5
	s_and_saveexec_b32 s5, s4
	s_cbranch_execz .LBB151_52
; %bb.51:
	v_sub_f32_e32 v2, v6, v5
	v_mul_f32_e32 v6, 0x3fb8aa3b, v2
	v_cmp_ngt_f32_e64 s4, 0xc2ce8ed0, v2
	v_fma_f32 v13, 0x3fb8aa3b, v2, -v6
	v_rndne_f32_e32 v14, v6
	v_fmamk_f32 v13, v2, 0x32a5705f, v13
	v_sub_f32_e32 v6, v6, v14
	v_add_f32_e32 v6, v6, v13
	v_cvt_i32_f32_e32 v13, v14
	v_exp_f32_e32 v6, v6
	v_ldexp_f32 v6, v6, v13
	v_cndmask_b32_e64 v6, 0, v6, s4
	v_cmp_nlt_f32_e64 s4, 0x42b17218, v2
	v_cndmask_b32_e64 v2, 0x7f800000, v6, s4
	v_add_f32_e32 v6, 1.0, v2
	v_cvt_f64_f32_e32 v[13:14], v6
	v_frexp_exp_i32_f64_e32 v13, v[13:14]
	v_frexp_mant_f32_e32 v14, v6
	v_cmp_gt_f32_e64 s4, 0x3f2aaaab, v14
	v_add_f32_e32 v14, -1.0, v6
	v_sub_f32_e32 v16, v14, v6
	v_sub_f32_e32 v14, v2, v14
	v_add_f32_e32 v16, 1.0, v16
	v_add_f32_e32 v14, v14, v16
	v_subrev_co_ci_u32_e64 v13, null, 0, v13, s4
	s_mov_b32 s4, 0x3e9b6dac
	v_sub_nc_u32_e32 v15, 0, v13
	v_cvt_f32_i32_e32 v13, v13
	v_ldexp_f32 v6, v6, v15
	v_ldexp_f32 v14, v14, v15
	v_add_f32_e32 v17, 1.0, v6
	v_add_f32_e32 v15, -1.0, v6
	v_add_f32_e32 v16, -1.0, v17
	v_add_f32_e32 v18, 1.0, v15
	v_sub_f32_e32 v16, v6, v16
	v_sub_f32_e32 v6, v6, v18
	v_add_f32_e32 v16, v14, v16
	v_add_f32_e32 v6, v14, v6
	;; [unrolled: 1-line block ×4, first 2 shown]
	v_rcp_f32_e32 v14, v18
	v_sub_f32_e32 v17, v17, v18
	v_sub_f32_e32 v15, v15, v19
	v_add_f32_e32 v16, v16, v17
	v_add_f32_e32 v6, v6, v15
	v_mul_f32_e32 v20, v19, v14
	v_mul_f32_e32 v21, v18, v20
	v_fma_f32 v17, v20, v18, -v21
	v_fmac_f32_e32 v17, v20, v16
	v_add_f32_e32 v22, v21, v17
	v_sub_f32_e32 v23, v19, v22
	v_sub_f32_e32 v15, v22, v21
	;; [unrolled: 1-line block ×5, first 2 shown]
	v_add_f32_e32 v6, v6, v19
	v_add_f32_e32 v6, v15, v6
	;; [unrolled: 1-line block ×3, first 2 shown]
	v_mul_f32_e32 v17, v14, v15
	v_sub_f32_e32 v22, v23, v15
	v_mul_f32_e32 v19, v18, v17
	v_add_f32_e32 v6, v6, v22
	v_fma_f32 v18, v17, v18, -v19
	v_fmac_f32_e32 v18, v17, v16
	v_add_f32_e32 v16, v19, v18
	v_sub_f32_e32 v21, v15, v16
	v_sub_f32_e32 v19, v16, v19
	;; [unrolled: 1-line block ×5, first 2 shown]
	v_add_f32_e32 v6, v6, v15
	v_add_f32_e32 v15, v20, v17
	;; [unrolled: 1-line block ×3, first 2 shown]
	v_sub_f32_e32 v16, v15, v20
	v_add_f32_e32 v6, v21, v6
	v_sub_f32_e32 v16, v17, v16
	v_mul_f32_e32 v6, v14, v6
	v_add_f32_e32 v6, v16, v6
	v_add_f32_e32 v14, v15, v6
	v_mul_f32_e32 v16, v14, v14
	v_fmaak_f32 v17, s4, v16, 0x3ecc95a3
	v_mul_f32_e32 v18, v14, v16
	v_cmp_neq_f32_e64 s4, 0x7f800000, v2
	v_fmaak_f32 v16, v16, v17, 0x3f2aaada
	v_ldexp_f32 v17, v14, 1
	v_sub_f32_e32 v14, v14, v15
	v_mul_f32_e32 v16, v18, v16
	v_mul_f32_e32 v18, 0x3f317218, v13
	v_sub_f32_e32 v6, v6, v14
	v_add_f32_e32 v15, v17, v16
	v_ldexp_f32 v6, v6, 1
	v_sub_f32_e32 v14, v15, v17
	v_fma_f32 v17, 0x3f317218, v13, -v18
	v_sub_f32_e32 v14, v16, v14
	v_fmamk_f32 v13, v13, 0xb102e308, v17
	v_add_f32_e32 v6, v6, v14
	v_add_f32_e32 v14, v18, v13
	;; [unrolled: 1-line block ×3, first 2 shown]
	v_sub_f32_e32 v18, v14, v18
	v_add_f32_e32 v17, v14, v16
	v_sub_f32_e32 v15, v16, v15
	v_sub_f32_e32 v13, v13, v18
	;; [unrolled: 1-line block ×6, first 2 shown]
	v_add_f32_e32 v16, v13, v6
	v_sub_f32_e32 v14, v14, v20
	v_add_f32_e32 v14, v15, v14
	v_sub_f32_e32 v15, v16, v13
	;; [unrolled: 2-line block ×3, first 2 shown]
	v_sub_f32_e32 v6, v6, v15
	v_add_f32_e32 v18, v17, v14
	v_sub_f32_e32 v13, v13, v16
	v_sub_f32_e32 v15, v18, v17
	v_add_f32_e32 v6, v6, v13
	v_sub_f32_e32 v13, v14, v15
	v_add_f32_e32 v6, v6, v13
	v_add_f32_e32 v6, v18, v6
	v_cndmask_b32_e64 v6, 0x7f800000, v6, s4
	v_cmp_gt_f32_e64 s4, 0x33800000, |v2|
	v_cndmask_b32_e64 v2, v6, v2, s4
	v_add_f32_e32 v2, v5, v2
.LBB151_52:
	s_or_b32 exec_lo, exec_lo, s5
	v_max_f32_e32 v5, v2, v2
	v_cmp_u_f32_e64 s4, v2, v2
	v_min_f32_e32 v6, v5, v10
	v_max_f32_e32 v5, v5, v10
	v_cndmask_b32_e64 v6, v6, v2, s4
	v_cndmask_b32_e64 v5, v5, v2, s4
	;; [unrolled: 1-line block ×4, first 2 shown]
	v_mov_b32_e32 v3, v2
	v_cmp_class_f32_e64 s5, v6, 0x1f8
	v_cmp_neq_f32_e64 s4, v6, v5
	s_or_b32 s4, s4, s5
	s_and_saveexec_b32 s5, s4
	s_cbranch_execz .LBB151_54
; %bb.53:
	v_sub_f32_e32 v3, v6, v5
	v_mul_f32_e32 v6, 0x3fb8aa3b, v3
	v_cmp_ngt_f32_e64 s4, 0xc2ce8ed0, v3
	v_fma_f32 v10, 0x3fb8aa3b, v3, -v6
	v_rndne_f32_e32 v13, v6
	v_fmamk_f32 v10, v3, 0x32a5705f, v10
	v_sub_f32_e32 v6, v6, v13
	v_add_f32_e32 v6, v6, v10
	v_cvt_i32_f32_e32 v10, v13
	v_exp_f32_e32 v6, v6
	v_ldexp_f32 v6, v6, v10
	v_cndmask_b32_e64 v6, 0, v6, s4
	v_cmp_nlt_f32_e64 s4, 0x42b17218, v3
	v_cndmask_b32_e64 v3, 0x7f800000, v6, s4
	v_add_f32_e32 v6, 1.0, v3
	v_cvt_f64_f32_e32 v[13:14], v6
	v_frexp_exp_i32_f64_e32 v10, v[13:14]
	v_frexp_mant_f32_e32 v13, v6
	v_cmp_gt_f32_e64 s4, 0x3f2aaaab, v13
	v_add_f32_e32 v13, -1.0, v6
	v_sub_f32_e32 v15, v13, v6
	v_sub_f32_e32 v13, v3, v13
	v_add_f32_e32 v15, 1.0, v15
	v_add_f32_e32 v13, v13, v15
	v_subrev_co_ci_u32_e64 v10, null, 0, v10, s4
	s_mov_b32 s4, 0x3e9b6dac
	v_sub_nc_u32_e32 v14, 0, v10
	v_cvt_f32_i32_e32 v10, v10
	v_ldexp_f32 v6, v6, v14
	v_ldexp_f32 v13, v13, v14
	v_add_f32_e32 v16, 1.0, v6
	v_add_f32_e32 v14, -1.0, v6
	v_add_f32_e32 v15, -1.0, v16
	v_add_f32_e32 v17, 1.0, v14
	v_sub_f32_e32 v15, v6, v15
	v_sub_f32_e32 v6, v6, v17
	v_add_f32_e32 v15, v13, v15
	v_add_f32_e32 v6, v13, v6
	;; [unrolled: 1-line block ×4, first 2 shown]
	v_rcp_f32_e32 v13, v17
	v_sub_f32_e32 v16, v16, v17
	v_sub_f32_e32 v14, v14, v18
	v_add_f32_e32 v15, v15, v16
	v_add_f32_e32 v6, v6, v14
	v_mul_f32_e32 v19, v18, v13
	v_mul_f32_e32 v20, v17, v19
	v_fma_f32 v16, v19, v17, -v20
	v_fmac_f32_e32 v16, v19, v15
	v_add_f32_e32 v21, v20, v16
	v_sub_f32_e32 v22, v18, v21
	v_sub_f32_e32 v14, v21, v20
	;; [unrolled: 1-line block ×5, first 2 shown]
	v_add_f32_e32 v6, v6, v18
	v_add_f32_e32 v6, v14, v6
	v_add_f32_e32 v14, v22, v6
	v_mul_f32_e32 v16, v13, v14
	v_sub_f32_e32 v21, v22, v14
	v_mul_f32_e32 v18, v17, v16
	v_add_f32_e32 v6, v6, v21
	v_fma_f32 v17, v16, v17, -v18
	v_fmac_f32_e32 v17, v16, v15
	v_add_f32_e32 v15, v18, v17
	v_sub_f32_e32 v20, v14, v15
	v_sub_f32_e32 v18, v15, v18
	;; [unrolled: 1-line block ×5, first 2 shown]
	v_add_f32_e32 v6, v6, v14
	v_add_f32_e32 v14, v19, v16
	;; [unrolled: 1-line block ×3, first 2 shown]
	v_sub_f32_e32 v15, v14, v19
	v_add_f32_e32 v6, v20, v6
	v_sub_f32_e32 v15, v16, v15
	v_mul_f32_e32 v6, v13, v6
	v_add_f32_e32 v6, v15, v6
	v_add_f32_e32 v13, v14, v6
	v_mul_f32_e32 v15, v13, v13
	v_fmaak_f32 v16, s4, v15, 0x3ecc95a3
	v_mul_f32_e32 v17, v13, v15
	v_cmp_neq_f32_e64 s4, 0x7f800000, v3
	v_fmaak_f32 v15, v15, v16, 0x3f2aaada
	v_ldexp_f32 v16, v13, 1
	v_sub_f32_e32 v13, v13, v14
	v_mul_f32_e32 v15, v17, v15
	v_mul_f32_e32 v17, 0x3f317218, v10
	v_sub_f32_e32 v6, v6, v13
	v_add_f32_e32 v14, v16, v15
	v_ldexp_f32 v6, v6, 1
	v_sub_f32_e32 v13, v14, v16
	v_fma_f32 v16, 0x3f317218, v10, -v17
	v_sub_f32_e32 v13, v15, v13
	v_fmamk_f32 v10, v10, 0xb102e308, v16
	v_add_f32_e32 v6, v6, v13
	v_add_f32_e32 v13, v17, v10
	;; [unrolled: 1-line block ×3, first 2 shown]
	v_sub_f32_e32 v17, v13, v17
	v_add_f32_e32 v16, v13, v15
	v_sub_f32_e32 v14, v15, v14
	v_sub_f32_e32 v10, v10, v17
	;; [unrolled: 1-line block ×6, first 2 shown]
	v_add_f32_e32 v15, v10, v6
	v_sub_f32_e32 v13, v13, v19
	v_add_f32_e32 v13, v14, v13
	v_sub_f32_e32 v14, v15, v10
	;; [unrolled: 2-line block ×3, first 2 shown]
	v_sub_f32_e32 v6, v6, v14
	v_add_f32_e32 v17, v16, v13
	v_sub_f32_e32 v10, v10, v15
	v_sub_f32_e32 v14, v17, v16
	v_add_f32_e32 v6, v6, v10
	v_sub_f32_e32 v10, v13, v14
	v_add_f32_e32 v6, v6, v10
	v_add_f32_e32 v6, v17, v6
	v_cndmask_b32_e64 v6, 0x7f800000, v6, s4
	v_cmp_gt_f32_e64 s4, 0x33800000, |v3|
	v_cndmask_b32_e64 v3, v6, v3, s4
	v_add_f32_e32 v3, v5, v3
.LBB151_54:
	s_or_b32 exec_lo, exec_lo, s5
	v_max_f32_e32 v5, v3, v3
	v_cmp_u_f32_e64 s4, v3, v3
	v_min_f32_e32 v6, v5, v11
	v_max_f32_e32 v5, v5, v11
	v_cndmask_b32_e64 v6, v6, v3, s4
	v_cndmask_b32_e64 v5, v5, v3, s4
	;; [unrolled: 1-line block ×4, first 2 shown]
	v_mov_b32_e32 v4, v3
	v_cmp_class_f32_e64 s5, v6, 0x1f8
	v_cmp_neq_f32_e64 s4, v6, v5
	s_or_b32 s4, s4, s5
	s_and_saveexec_b32 s5, s4
	s_cbranch_execz .LBB151_56
; %bb.55:
	v_sub_f32_e32 v4, v6, v5
	v_mul_f32_e32 v6, 0x3fb8aa3b, v4
	v_cmp_ngt_f32_e64 s4, 0xc2ce8ed0, v4
	v_fma_f32 v10, 0x3fb8aa3b, v4, -v6
	v_rndne_f32_e32 v11, v6
	v_fmamk_f32 v10, v4, 0x32a5705f, v10
	v_sub_f32_e32 v6, v6, v11
	v_add_f32_e32 v6, v6, v10
	v_cvt_i32_f32_e32 v10, v11
	v_exp_f32_e32 v6, v6
	v_ldexp_f32 v6, v6, v10
	v_cndmask_b32_e64 v6, 0, v6, s4
	v_cmp_nlt_f32_e64 s4, 0x42b17218, v4
	v_cndmask_b32_e64 v4, 0x7f800000, v6, s4
	v_add_f32_e32 v6, 1.0, v4
	v_cvt_f64_f32_e32 v[10:11], v6
	v_frexp_exp_i32_f64_e32 v10, v[10:11]
	v_frexp_mant_f32_e32 v11, v6
	v_cmp_gt_f32_e64 s4, 0x3f2aaaab, v11
	v_add_f32_e32 v11, -1.0, v6
	v_sub_f32_e32 v14, v11, v6
	v_sub_f32_e32 v11, v4, v11
	v_add_f32_e32 v14, 1.0, v14
	v_add_f32_e32 v11, v11, v14
	v_subrev_co_ci_u32_e64 v10, null, 0, v10, s4
	s_mov_b32 s4, 0x3e9b6dac
	v_sub_nc_u32_e32 v13, 0, v10
	v_cvt_f32_i32_e32 v10, v10
	v_ldexp_f32 v6, v6, v13
	v_ldexp_f32 v11, v11, v13
	v_add_f32_e32 v15, 1.0, v6
	v_add_f32_e32 v13, -1.0, v6
	v_add_f32_e32 v14, -1.0, v15
	v_add_f32_e32 v16, 1.0, v13
	v_sub_f32_e32 v14, v6, v14
	v_sub_f32_e32 v6, v6, v16
	v_add_f32_e32 v14, v11, v14
	v_add_f32_e32 v6, v11, v6
	;; [unrolled: 1-line block ×4, first 2 shown]
	v_rcp_f32_e32 v11, v16
	v_sub_f32_e32 v15, v15, v16
	v_sub_f32_e32 v13, v13, v17
	v_add_f32_e32 v14, v14, v15
	v_add_f32_e32 v6, v6, v13
	v_mul_f32_e32 v18, v17, v11
	v_mul_f32_e32 v19, v16, v18
	v_fma_f32 v15, v18, v16, -v19
	v_fmac_f32_e32 v15, v18, v14
	v_add_f32_e32 v20, v19, v15
	v_sub_f32_e32 v21, v17, v20
	v_sub_f32_e32 v13, v20, v19
	;; [unrolled: 1-line block ×5, first 2 shown]
	v_add_f32_e32 v6, v6, v17
	v_add_f32_e32 v6, v13, v6
	;; [unrolled: 1-line block ×3, first 2 shown]
	v_mul_f32_e32 v15, v11, v13
	v_sub_f32_e32 v20, v21, v13
	v_mul_f32_e32 v17, v16, v15
	v_add_f32_e32 v6, v6, v20
	v_fma_f32 v16, v15, v16, -v17
	v_fmac_f32_e32 v16, v15, v14
	v_add_f32_e32 v14, v17, v16
	v_sub_f32_e32 v19, v13, v14
	v_sub_f32_e32 v17, v14, v17
	;; [unrolled: 1-line block ×5, first 2 shown]
	v_add_f32_e32 v6, v6, v13
	v_add_f32_e32 v13, v18, v15
	;; [unrolled: 1-line block ×3, first 2 shown]
	v_sub_f32_e32 v14, v13, v18
	v_add_f32_e32 v6, v19, v6
	v_sub_f32_e32 v14, v15, v14
	v_mul_f32_e32 v6, v11, v6
	v_add_f32_e32 v6, v14, v6
	v_add_f32_e32 v11, v13, v6
	v_mul_f32_e32 v14, v11, v11
	v_fmaak_f32 v15, s4, v14, 0x3ecc95a3
	v_mul_f32_e32 v16, v11, v14
	v_cmp_neq_f32_e64 s4, 0x7f800000, v4
	v_fmaak_f32 v14, v14, v15, 0x3f2aaada
	v_ldexp_f32 v15, v11, 1
	v_sub_f32_e32 v11, v11, v13
	v_mul_f32_e32 v14, v16, v14
	v_mul_f32_e32 v16, 0x3f317218, v10
	v_sub_f32_e32 v6, v6, v11
	v_add_f32_e32 v13, v15, v14
	v_ldexp_f32 v6, v6, 1
	v_sub_f32_e32 v11, v13, v15
	v_fma_f32 v15, 0x3f317218, v10, -v16
	v_sub_f32_e32 v11, v14, v11
	v_fmamk_f32 v10, v10, 0xb102e308, v15
	v_add_f32_e32 v6, v6, v11
	v_add_f32_e32 v11, v16, v10
	;; [unrolled: 1-line block ×3, first 2 shown]
	v_sub_f32_e32 v16, v11, v16
	v_add_f32_e32 v15, v11, v14
	v_sub_f32_e32 v13, v14, v13
	v_sub_f32_e32 v10, v10, v16
	;; [unrolled: 1-line block ×6, first 2 shown]
	v_add_f32_e32 v14, v10, v6
	v_sub_f32_e32 v11, v11, v18
	v_add_f32_e32 v11, v13, v11
	v_sub_f32_e32 v13, v14, v10
	;; [unrolled: 2-line block ×3, first 2 shown]
	v_sub_f32_e32 v6, v6, v13
	v_add_f32_e32 v16, v15, v11
	v_sub_f32_e32 v10, v10, v14
	v_sub_f32_e32 v13, v16, v15
	v_add_f32_e32 v6, v6, v10
	v_sub_f32_e32 v10, v11, v13
	v_add_f32_e32 v6, v6, v10
	v_add_f32_e32 v6, v16, v6
	v_cndmask_b32_e64 v6, 0x7f800000, v6, s4
	v_cmp_gt_f32_e64 s4, 0x33800000, |v4|
	v_cndmask_b32_e64 v4, v6, v4, s4
	v_add_f32_e32 v4, v5, v4
.LBB151_56:
	s_or_b32 exec_lo, exec_lo, s5
	v_max_f32_e32 v5, v4, v4
	v_cmp_u_f32_e64 s4, v4, v4
	v_min_f32_e32 v6, v5, v12
	v_max_f32_e32 v5, v5, v12
	v_cndmask_b32_e64 v6, v6, v4, s4
	v_cndmask_b32_e64 v5, v5, v4, s4
	;; [unrolled: 1-line block ×4, first 2 shown]
	v_mov_b32_e32 v6, v4
	v_cmp_class_f32_e64 s5, v10, 0x1f8
	v_cmp_neq_f32_e64 s4, v10, v5
	s_or_b32 s4, s4, s5
	s_and_saveexec_b32 s5, s4
	s_cbranch_execz .LBB151_58
; %bb.57:
	v_sub_f32_e32 v6, v10, v5
	v_mul_f32_e32 v9, 0x3fb8aa3b, v6
	v_cmp_ngt_f32_e64 s4, 0xc2ce8ed0, v6
	v_fma_f32 v10, 0x3fb8aa3b, v6, -v9
	v_rndne_f32_e32 v11, v9
	v_fmamk_f32 v10, v6, 0x32a5705f, v10
	v_sub_f32_e32 v9, v9, v11
	v_add_f32_e32 v9, v9, v10
	v_cvt_i32_f32_e32 v10, v11
	v_exp_f32_e32 v9, v9
	v_ldexp_f32 v9, v9, v10
	v_cndmask_b32_e64 v9, 0, v9, s4
	v_cmp_nlt_f32_e64 s4, 0x42b17218, v6
	v_cndmask_b32_e64 v6, 0x7f800000, v9, s4
	v_add_f32_e32 v11, 1.0, v6
	v_cvt_f64_f32_e32 v[9:10], v11
	v_frexp_exp_i32_f64_e32 v9, v[9:10]
	v_frexp_mant_f32_e32 v10, v11
	v_cmp_gt_f32_e64 s4, 0x3f2aaaab, v10
	v_add_f32_e32 v10, -1.0, v11
	v_sub_f32_e32 v13, v10, v11
	v_sub_f32_e32 v10, v6, v10
	v_add_f32_e32 v13, 1.0, v13
	v_add_f32_e32 v10, v10, v13
	v_subrev_co_ci_u32_e64 v9, null, 0, v9, s4
	s_mov_b32 s4, 0x3e9b6dac
	v_sub_nc_u32_e32 v12, 0, v9
	v_cvt_f32_i32_e32 v9, v9
	v_ldexp_f32 v11, v11, v12
	v_ldexp_f32 v10, v10, v12
	v_add_f32_e32 v14, 1.0, v11
	v_add_f32_e32 v12, -1.0, v11
	v_add_f32_e32 v13, -1.0, v14
	v_add_f32_e32 v15, 1.0, v12
	v_sub_f32_e32 v13, v11, v13
	v_sub_f32_e32 v11, v11, v15
	v_add_f32_e32 v13, v10, v13
	v_add_f32_e32 v10, v10, v11
	;; [unrolled: 1-line block ×4, first 2 shown]
	v_rcp_f32_e32 v11, v15
	v_sub_f32_e32 v14, v14, v15
	v_sub_f32_e32 v12, v12, v16
	v_add_f32_e32 v13, v13, v14
	v_add_f32_e32 v10, v10, v12
	v_mul_f32_e32 v17, v16, v11
	v_mul_f32_e32 v18, v15, v17
	v_fma_f32 v14, v17, v15, -v18
	v_fmac_f32_e32 v14, v17, v13
	v_add_f32_e32 v19, v18, v14
	v_sub_f32_e32 v20, v16, v19
	v_sub_f32_e32 v12, v19, v18
	;; [unrolled: 1-line block ×5, first 2 shown]
	v_add_f32_e32 v10, v10, v16
	v_add_f32_e32 v10, v12, v10
	;; [unrolled: 1-line block ×3, first 2 shown]
	v_mul_f32_e32 v14, v11, v12
	v_sub_f32_e32 v19, v20, v12
	v_mul_f32_e32 v16, v15, v14
	v_add_f32_e32 v10, v10, v19
	v_fma_f32 v15, v14, v15, -v16
	v_fmac_f32_e32 v15, v14, v13
	v_add_f32_e32 v13, v16, v15
	v_sub_f32_e32 v18, v12, v13
	v_sub_f32_e32 v16, v13, v16
	;; [unrolled: 1-line block ×5, first 2 shown]
	v_add_f32_e32 v10, v10, v12
	v_add_f32_e32 v12, v17, v14
	;; [unrolled: 1-line block ×3, first 2 shown]
	v_sub_f32_e32 v13, v12, v17
	v_add_f32_e32 v10, v18, v10
	v_sub_f32_e32 v13, v14, v13
	v_mul_f32_e32 v10, v11, v10
	v_add_f32_e32 v10, v13, v10
	v_add_f32_e32 v11, v12, v10
	v_mul_f32_e32 v13, v11, v11
	v_fmaak_f32 v14, s4, v13, 0x3ecc95a3
	v_mul_f32_e32 v15, v11, v13
	v_cmp_neq_f32_e64 s4, 0x7f800000, v6
	v_fmaak_f32 v13, v13, v14, 0x3f2aaada
	v_ldexp_f32 v14, v11, 1
	v_sub_f32_e32 v11, v11, v12
	v_mul_f32_e32 v13, v15, v13
	v_mul_f32_e32 v15, 0x3f317218, v9
	v_sub_f32_e32 v10, v10, v11
	v_add_f32_e32 v12, v14, v13
	v_ldexp_f32 v10, v10, 1
	v_sub_f32_e32 v11, v12, v14
	v_fma_f32 v14, 0x3f317218, v9, -v15
	v_sub_f32_e32 v11, v13, v11
	v_fmamk_f32 v9, v9, 0xb102e308, v14
	v_add_f32_e32 v10, v10, v11
	v_add_f32_e32 v11, v15, v9
	;; [unrolled: 1-line block ×3, first 2 shown]
	v_sub_f32_e32 v15, v11, v15
	v_add_f32_e32 v14, v11, v13
	v_sub_f32_e32 v12, v13, v12
	v_sub_f32_e32 v9, v9, v15
	;; [unrolled: 1-line block ×6, first 2 shown]
	v_add_f32_e32 v13, v9, v10
	v_sub_f32_e32 v11, v11, v17
	v_add_f32_e32 v11, v12, v11
	v_sub_f32_e32 v12, v13, v9
	;; [unrolled: 2-line block ×3, first 2 shown]
	v_sub_f32_e32 v10, v10, v12
	v_add_f32_e32 v15, v14, v11
	v_sub_f32_e32 v9, v9, v13
	v_sub_f32_e32 v12, v15, v14
	v_add_f32_e32 v9, v10, v9
	v_sub_f32_e32 v10, v11, v12
	v_add_f32_e32 v9, v9, v10
	v_add_f32_e32 v9, v15, v9
	v_cndmask_b32_e64 v9, 0x7f800000, v9, s4
	v_cmp_gt_f32_e64 s4, 0x33800000, |v6|
	v_cndmask_b32_e64 v6, v9, v6, s4
	v_add_f32_e32 v6, v5, v6
.LBB151_58:
	s_or_b32 exec_lo, exec_lo, s5
	s_barrier
	buffer_gl0_inv
	ds_write2_b32 v8, v1, v2 offset1:1
	ds_write2_b32 v8, v3, v4 offset0:2 offset1:3
	ds_write_b32 v8, v6 offset:16
	s_waitcnt lgkmcnt(0)
	s_barrier
	buffer_gl0_inv
	ds_read2st64_b32 v[5:6], v7 offset0:1 offset1:2
	ds_read2st64_b32 v[1:2], v7 offset0:3 offset1:4
	v_lshlrev_b32_e32 v0, 2, v0
	v_add_co_u32 v3, s4, s12, v0
	v_add_co_ci_u32_e64 v4, null, s13, 0, s4
	s_and_saveexec_b32 s4, vcc_lo
	s_cbranch_execnz .LBB151_64
; %bb.59:
	s_or_b32 exec_lo, exec_lo, s4
	s_and_saveexec_b32 s4, s0
	s_cbranch_execnz .LBB151_65
.LBB151_60:
	s_or_b32 exec_lo, exec_lo, s4
	s_and_saveexec_b32 s0, s1
	s_cbranch_execnz .LBB151_66
.LBB151_61:
	s_or_b32 exec_lo, exec_lo, s0
	s_and_saveexec_b32 s0, s2
	s_cbranch_execnz .LBB151_67
.LBB151_62:
	s_or_b32 exec_lo, exec_lo, s0
	s_and_saveexec_b32 s0, s3
	s_cbranch_execnz .LBB151_68
.LBB151_63:
	s_endpgm
.LBB151_64:
	ds_read_b32 v0, v7
	s_waitcnt lgkmcnt(0)
	global_store_dword v[3:4], v0, off
	s_or_b32 exec_lo, exec_lo, s4
	s_and_saveexec_b32 s4, s0
	s_cbranch_execz .LBB151_60
.LBB151_65:
	s_waitcnt lgkmcnt(1)
	global_store_dword v[3:4], v5, off offset:256
	s_or_b32 exec_lo, exec_lo, s4
	s_and_saveexec_b32 s0, s1
	s_cbranch_execz .LBB151_61
.LBB151_66:
	s_waitcnt lgkmcnt(1)
	global_store_dword v[3:4], v6, off offset:512
	s_or_b32 exec_lo, exec_lo, s0
	s_and_saveexec_b32 s0, s2
	s_cbranch_execz .LBB151_62
.LBB151_67:
	s_waitcnt lgkmcnt(0)
	global_store_dword v[3:4], v1, off offset:768
	s_or_b32 exec_lo, exec_lo, s0
	s_and_saveexec_b32 s0, s3
	s_cbranch_execz .LBB151_63
.LBB151_68:
	s_waitcnt lgkmcnt(0)
	global_store_dword v[3:4], v2, off offset:1024
	s_endpgm
	.section	.rodata,"a",@progbits
	.p2align	6, 0x0
	.amdhsa_kernel _ZN7rocprim17ROCPRIM_400000_NS6detail17trampoline_kernelINS0_14default_configENS1_20scan_config_selectorIfEEZZNS1_9scan_implILNS1_25lookback_scan_determinismE0ELb0ELb0ES3_PKfPffZZZN2at6native31launch_logcumsumexp_cuda_kernelERKNSB_10TensorBaseESF_lENKUlvE_clEvENKUlvE0_clEvEUlffE_fEEDaPvRmT3_T4_T5_mT6_P12ihipStream_tbENKUlT_T0_E_clISt17integral_constantIbLb1EESV_IbLb0EEEEDaSR_SS_EUlSR_E0_NS1_11comp_targetILNS1_3genE8ELNS1_11target_archE1030ELNS1_3gpuE2ELNS1_3repE0EEENS1_30default_config_static_selectorELNS0_4arch9wavefront6targetE0EEEvT1_
		.amdhsa_group_segment_fixed_size 1280
		.amdhsa_private_segment_fixed_size 0
		.amdhsa_kernarg_size 32
		.amdhsa_user_sgpr_count 6
		.amdhsa_user_sgpr_private_segment_buffer 1
		.amdhsa_user_sgpr_dispatch_ptr 0
		.amdhsa_user_sgpr_queue_ptr 0
		.amdhsa_user_sgpr_kernarg_segment_ptr 1
		.amdhsa_user_sgpr_dispatch_id 0
		.amdhsa_user_sgpr_flat_scratch_init 0
		.amdhsa_user_sgpr_private_segment_size 0
		.amdhsa_wavefront_size32 1
		.amdhsa_uses_dynamic_stack 0
		.amdhsa_system_sgpr_private_segment_wavefront_offset 0
		.amdhsa_system_sgpr_workgroup_id_x 1
		.amdhsa_system_sgpr_workgroup_id_y 0
		.amdhsa_system_sgpr_workgroup_id_z 0
		.amdhsa_system_sgpr_workgroup_info 0
		.amdhsa_system_vgpr_workitem_id 0
		.amdhsa_next_free_vgpr 35
		.amdhsa_next_free_sgpr 20
		.amdhsa_reserve_vcc 1
		.amdhsa_reserve_flat_scratch 0
		.amdhsa_float_round_mode_32 0
		.amdhsa_float_round_mode_16_64 0
		.amdhsa_float_denorm_mode_32 3
		.amdhsa_float_denorm_mode_16_64 3
		.amdhsa_dx10_clamp 1
		.amdhsa_ieee_mode 1
		.amdhsa_fp16_overflow 0
		.amdhsa_workgroup_processor_mode 1
		.amdhsa_memory_ordered 1
		.amdhsa_forward_progress 1
		.amdhsa_shared_vgpr_count 0
		.amdhsa_exception_fp_ieee_invalid_op 0
		.amdhsa_exception_fp_denorm_src 0
		.amdhsa_exception_fp_ieee_div_zero 0
		.amdhsa_exception_fp_ieee_overflow 0
		.amdhsa_exception_fp_ieee_underflow 0
		.amdhsa_exception_fp_ieee_inexact 0
		.amdhsa_exception_int_div_zero 0
	.end_amdhsa_kernel
	.section	.text._ZN7rocprim17ROCPRIM_400000_NS6detail17trampoline_kernelINS0_14default_configENS1_20scan_config_selectorIfEEZZNS1_9scan_implILNS1_25lookback_scan_determinismE0ELb0ELb0ES3_PKfPffZZZN2at6native31launch_logcumsumexp_cuda_kernelERKNSB_10TensorBaseESF_lENKUlvE_clEvENKUlvE0_clEvEUlffE_fEEDaPvRmT3_T4_T5_mT6_P12ihipStream_tbENKUlT_T0_E_clISt17integral_constantIbLb1EESV_IbLb0EEEEDaSR_SS_EUlSR_E0_NS1_11comp_targetILNS1_3genE8ELNS1_11target_archE1030ELNS1_3gpuE2ELNS1_3repE0EEENS1_30default_config_static_selectorELNS0_4arch9wavefront6targetE0EEEvT1_,"axG",@progbits,_ZN7rocprim17ROCPRIM_400000_NS6detail17trampoline_kernelINS0_14default_configENS1_20scan_config_selectorIfEEZZNS1_9scan_implILNS1_25lookback_scan_determinismE0ELb0ELb0ES3_PKfPffZZZN2at6native31launch_logcumsumexp_cuda_kernelERKNSB_10TensorBaseESF_lENKUlvE_clEvENKUlvE0_clEvEUlffE_fEEDaPvRmT3_T4_T5_mT6_P12ihipStream_tbENKUlT_T0_E_clISt17integral_constantIbLb1EESV_IbLb0EEEEDaSR_SS_EUlSR_E0_NS1_11comp_targetILNS1_3genE8ELNS1_11target_archE1030ELNS1_3gpuE2ELNS1_3repE0EEENS1_30default_config_static_selectorELNS0_4arch9wavefront6targetE0EEEvT1_,comdat
.Lfunc_end151:
	.size	_ZN7rocprim17ROCPRIM_400000_NS6detail17trampoline_kernelINS0_14default_configENS1_20scan_config_selectorIfEEZZNS1_9scan_implILNS1_25lookback_scan_determinismE0ELb0ELb0ES3_PKfPffZZZN2at6native31launch_logcumsumexp_cuda_kernelERKNSB_10TensorBaseESF_lENKUlvE_clEvENKUlvE0_clEvEUlffE_fEEDaPvRmT3_T4_T5_mT6_P12ihipStream_tbENKUlT_T0_E_clISt17integral_constantIbLb1EESV_IbLb0EEEEDaSR_SS_EUlSR_E0_NS1_11comp_targetILNS1_3genE8ELNS1_11target_archE1030ELNS1_3gpuE2ELNS1_3repE0EEENS1_30default_config_static_selectorELNS0_4arch9wavefront6targetE0EEEvT1_, .Lfunc_end151-_ZN7rocprim17ROCPRIM_400000_NS6detail17trampoline_kernelINS0_14default_configENS1_20scan_config_selectorIfEEZZNS1_9scan_implILNS1_25lookback_scan_determinismE0ELb0ELb0ES3_PKfPffZZZN2at6native31launch_logcumsumexp_cuda_kernelERKNSB_10TensorBaseESF_lENKUlvE_clEvENKUlvE0_clEvEUlffE_fEEDaPvRmT3_T4_T5_mT6_P12ihipStream_tbENKUlT_T0_E_clISt17integral_constantIbLb1EESV_IbLb0EEEEDaSR_SS_EUlSR_E0_NS1_11comp_targetILNS1_3genE8ELNS1_11target_archE1030ELNS1_3gpuE2ELNS1_3repE0EEENS1_30default_config_static_selectorELNS0_4arch9wavefront6targetE0EEEvT1_
                                        ; -- End function
	.set _ZN7rocprim17ROCPRIM_400000_NS6detail17trampoline_kernelINS0_14default_configENS1_20scan_config_selectorIfEEZZNS1_9scan_implILNS1_25lookback_scan_determinismE0ELb0ELb0ES3_PKfPffZZZN2at6native31launch_logcumsumexp_cuda_kernelERKNSB_10TensorBaseESF_lENKUlvE_clEvENKUlvE0_clEvEUlffE_fEEDaPvRmT3_T4_T5_mT6_P12ihipStream_tbENKUlT_T0_E_clISt17integral_constantIbLb1EESV_IbLb0EEEEDaSR_SS_EUlSR_E0_NS1_11comp_targetILNS1_3genE8ELNS1_11target_archE1030ELNS1_3gpuE2ELNS1_3repE0EEENS1_30default_config_static_selectorELNS0_4arch9wavefront6targetE0EEEvT1_.num_vgpr, 35
	.set _ZN7rocprim17ROCPRIM_400000_NS6detail17trampoline_kernelINS0_14default_configENS1_20scan_config_selectorIfEEZZNS1_9scan_implILNS1_25lookback_scan_determinismE0ELb0ELb0ES3_PKfPffZZZN2at6native31launch_logcumsumexp_cuda_kernelERKNSB_10TensorBaseESF_lENKUlvE_clEvENKUlvE0_clEvEUlffE_fEEDaPvRmT3_T4_T5_mT6_P12ihipStream_tbENKUlT_T0_E_clISt17integral_constantIbLb1EESV_IbLb0EEEEDaSR_SS_EUlSR_E0_NS1_11comp_targetILNS1_3genE8ELNS1_11target_archE1030ELNS1_3gpuE2ELNS1_3repE0EEENS1_30default_config_static_selectorELNS0_4arch9wavefront6targetE0EEEvT1_.num_agpr, 0
	.set _ZN7rocprim17ROCPRIM_400000_NS6detail17trampoline_kernelINS0_14default_configENS1_20scan_config_selectorIfEEZZNS1_9scan_implILNS1_25lookback_scan_determinismE0ELb0ELb0ES3_PKfPffZZZN2at6native31launch_logcumsumexp_cuda_kernelERKNSB_10TensorBaseESF_lENKUlvE_clEvENKUlvE0_clEvEUlffE_fEEDaPvRmT3_T4_T5_mT6_P12ihipStream_tbENKUlT_T0_E_clISt17integral_constantIbLb1EESV_IbLb0EEEEDaSR_SS_EUlSR_E0_NS1_11comp_targetILNS1_3genE8ELNS1_11target_archE1030ELNS1_3gpuE2ELNS1_3repE0EEENS1_30default_config_static_selectorELNS0_4arch9wavefront6targetE0EEEvT1_.numbered_sgpr, 20
	.set _ZN7rocprim17ROCPRIM_400000_NS6detail17trampoline_kernelINS0_14default_configENS1_20scan_config_selectorIfEEZZNS1_9scan_implILNS1_25lookback_scan_determinismE0ELb0ELb0ES3_PKfPffZZZN2at6native31launch_logcumsumexp_cuda_kernelERKNSB_10TensorBaseESF_lENKUlvE_clEvENKUlvE0_clEvEUlffE_fEEDaPvRmT3_T4_T5_mT6_P12ihipStream_tbENKUlT_T0_E_clISt17integral_constantIbLb1EESV_IbLb0EEEEDaSR_SS_EUlSR_E0_NS1_11comp_targetILNS1_3genE8ELNS1_11target_archE1030ELNS1_3gpuE2ELNS1_3repE0EEENS1_30default_config_static_selectorELNS0_4arch9wavefront6targetE0EEEvT1_.num_named_barrier, 0
	.set _ZN7rocprim17ROCPRIM_400000_NS6detail17trampoline_kernelINS0_14default_configENS1_20scan_config_selectorIfEEZZNS1_9scan_implILNS1_25lookback_scan_determinismE0ELb0ELb0ES3_PKfPffZZZN2at6native31launch_logcumsumexp_cuda_kernelERKNSB_10TensorBaseESF_lENKUlvE_clEvENKUlvE0_clEvEUlffE_fEEDaPvRmT3_T4_T5_mT6_P12ihipStream_tbENKUlT_T0_E_clISt17integral_constantIbLb1EESV_IbLb0EEEEDaSR_SS_EUlSR_E0_NS1_11comp_targetILNS1_3genE8ELNS1_11target_archE1030ELNS1_3gpuE2ELNS1_3repE0EEENS1_30default_config_static_selectorELNS0_4arch9wavefront6targetE0EEEvT1_.private_seg_size, 0
	.set _ZN7rocprim17ROCPRIM_400000_NS6detail17trampoline_kernelINS0_14default_configENS1_20scan_config_selectorIfEEZZNS1_9scan_implILNS1_25lookback_scan_determinismE0ELb0ELb0ES3_PKfPffZZZN2at6native31launch_logcumsumexp_cuda_kernelERKNSB_10TensorBaseESF_lENKUlvE_clEvENKUlvE0_clEvEUlffE_fEEDaPvRmT3_T4_T5_mT6_P12ihipStream_tbENKUlT_T0_E_clISt17integral_constantIbLb1EESV_IbLb0EEEEDaSR_SS_EUlSR_E0_NS1_11comp_targetILNS1_3genE8ELNS1_11target_archE1030ELNS1_3gpuE2ELNS1_3repE0EEENS1_30default_config_static_selectorELNS0_4arch9wavefront6targetE0EEEvT1_.uses_vcc, 1
	.set _ZN7rocprim17ROCPRIM_400000_NS6detail17trampoline_kernelINS0_14default_configENS1_20scan_config_selectorIfEEZZNS1_9scan_implILNS1_25lookback_scan_determinismE0ELb0ELb0ES3_PKfPffZZZN2at6native31launch_logcumsumexp_cuda_kernelERKNSB_10TensorBaseESF_lENKUlvE_clEvENKUlvE0_clEvEUlffE_fEEDaPvRmT3_T4_T5_mT6_P12ihipStream_tbENKUlT_T0_E_clISt17integral_constantIbLb1EESV_IbLb0EEEEDaSR_SS_EUlSR_E0_NS1_11comp_targetILNS1_3genE8ELNS1_11target_archE1030ELNS1_3gpuE2ELNS1_3repE0EEENS1_30default_config_static_selectorELNS0_4arch9wavefront6targetE0EEEvT1_.uses_flat_scratch, 0
	.set _ZN7rocprim17ROCPRIM_400000_NS6detail17trampoline_kernelINS0_14default_configENS1_20scan_config_selectorIfEEZZNS1_9scan_implILNS1_25lookback_scan_determinismE0ELb0ELb0ES3_PKfPffZZZN2at6native31launch_logcumsumexp_cuda_kernelERKNSB_10TensorBaseESF_lENKUlvE_clEvENKUlvE0_clEvEUlffE_fEEDaPvRmT3_T4_T5_mT6_P12ihipStream_tbENKUlT_T0_E_clISt17integral_constantIbLb1EESV_IbLb0EEEEDaSR_SS_EUlSR_E0_NS1_11comp_targetILNS1_3genE8ELNS1_11target_archE1030ELNS1_3gpuE2ELNS1_3repE0EEENS1_30default_config_static_selectorELNS0_4arch9wavefront6targetE0EEEvT1_.has_dyn_sized_stack, 0
	.set _ZN7rocprim17ROCPRIM_400000_NS6detail17trampoline_kernelINS0_14default_configENS1_20scan_config_selectorIfEEZZNS1_9scan_implILNS1_25lookback_scan_determinismE0ELb0ELb0ES3_PKfPffZZZN2at6native31launch_logcumsumexp_cuda_kernelERKNSB_10TensorBaseESF_lENKUlvE_clEvENKUlvE0_clEvEUlffE_fEEDaPvRmT3_T4_T5_mT6_P12ihipStream_tbENKUlT_T0_E_clISt17integral_constantIbLb1EESV_IbLb0EEEEDaSR_SS_EUlSR_E0_NS1_11comp_targetILNS1_3genE8ELNS1_11target_archE1030ELNS1_3gpuE2ELNS1_3repE0EEENS1_30default_config_static_selectorELNS0_4arch9wavefront6targetE0EEEvT1_.has_recursion, 0
	.set _ZN7rocprim17ROCPRIM_400000_NS6detail17trampoline_kernelINS0_14default_configENS1_20scan_config_selectorIfEEZZNS1_9scan_implILNS1_25lookback_scan_determinismE0ELb0ELb0ES3_PKfPffZZZN2at6native31launch_logcumsumexp_cuda_kernelERKNSB_10TensorBaseESF_lENKUlvE_clEvENKUlvE0_clEvEUlffE_fEEDaPvRmT3_T4_T5_mT6_P12ihipStream_tbENKUlT_T0_E_clISt17integral_constantIbLb1EESV_IbLb0EEEEDaSR_SS_EUlSR_E0_NS1_11comp_targetILNS1_3genE8ELNS1_11target_archE1030ELNS1_3gpuE2ELNS1_3repE0EEENS1_30default_config_static_selectorELNS0_4arch9wavefront6targetE0EEEvT1_.has_indirect_call, 0
	.section	.AMDGPU.csdata,"",@progbits
; Kernel info:
; codeLenInByte = 13504
; TotalNumSgprs: 22
; NumVgprs: 35
; ScratchSize: 0
; MemoryBound: 0
; FloatMode: 240
; IeeeMode: 1
; LDSByteSize: 1280 bytes/workgroup (compile time only)
; SGPRBlocks: 0
; VGPRBlocks: 4
; NumSGPRsForWavesPerEU: 22
; NumVGPRsForWavesPerEU: 35
; Occupancy: 16
; WaveLimiterHint : 0
; COMPUTE_PGM_RSRC2:SCRATCH_EN: 0
; COMPUTE_PGM_RSRC2:USER_SGPR: 6
; COMPUTE_PGM_RSRC2:TRAP_HANDLER: 0
; COMPUTE_PGM_RSRC2:TGID_X_EN: 1
; COMPUTE_PGM_RSRC2:TGID_Y_EN: 0
; COMPUTE_PGM_RSRC2:TGID_Z_EN: 0
; COMPUTE_PGM_RSRC2:TIDIG_COMP_CNT: 0
	.section	.text._ZN7rocprim17ROCPRIM_400000_NS6detail31init_lookback_scan_state_kernelINS1_19lookback_scan_stateIfLb0ELb1EEENS1_16block_id_wrapperIjLb1EEEEEvT_jT0_jPNS7_10value_typeE,"axG",@progbits,_ZN7rocprim17ROCPRIM_400000_NS6detail31init_lookback_scan_state_kernelINS1_19lookback_scan_stateIfLb0ELb1EEENS1_16block_id_wrapperIjLb1EEEEEvT_jT0_jPNS7_10value_typeE,comdat
	.protected	_ZN7rocprim17ROCPRIM_400000_NS6detail31init_lookback_scan_state_kernelINS1_19lookback_scan_stateIfLb0ELb1EEENS1_16block_id_wrapperIjLb1EEEEEvT_jT0_jPNS7_10value_typeE ; -- Begin function _ZN7rocprim17ROCPRIM_400000_NS6detail31init_lookback_scan_state_kernelINS1_19lookback_scan_stateIfLb0ELb1EEENS1_16block_id_wrapperIjLb1EEEEEvT_jT0_jPNS7_10value_typeE
	.globl	_ZN7rocprim17ROCPRIM_400000_NS6detail31init_lookback_scan_state_kernelINS1_19lookback_scan_stateIfLb0ELb1EEENS1_16block_id_wrapperIjLb1EEEEEvT_jT0_jPNS7_10value_typeE
	.p2align	8
	.type	_ZN7rocprim17ROCPRIM_400000_NS6detail31init_lookback_scan_state_kernelINS1_19lookback_scan_stateIfLb0ELb1EEENS1_16block_id_wrapperIjLb1EEEEEvT_jT0_jPNS7_10value_typeE,@function
_ZN7rocprim17ROCPRIM_400000_NS6detail31init_lookback_scan_state_kernelINS1_19lookback_scan_stateIfLb0ELb1EEENS1_16block_id_wrapperIjLb1EEEEEvT_jT0_jPNS7_10value_typeE: ; @_ZN7rocprim17ROCPRIM_400000_NS6detail31init_lookback_scan_state_kernelINS1_19lookback_scan_stateIfLb0ELb1EEENS1_16block_id_wrapperIjLb1EEEEEvT_jT0_jPNS7_10value_typeE
; %bb.0:
	s_clause 0x3
	s_load_dword s7, s[4:5], 0x34
	s_load_dwordx2 s[2:3], s[4:5], 0x20
	s_load_dwordx2 s[0:1], s[4:5], 0x0
	s_load_dword s8, s[4:5], 0x8
	s_waitcnt lgkmcnt(0)
	s_and_b32 s7, s7, 0xffff
	s_cmp_eq_u64 s[2:3], 0
	v_mad_u64_u32 v[0:1], null, s6, s7, v[0:1]
	s_cbranch_scc1 .LBB152_6
; %bb.1:
	s_load_dword s6, s[4:5], 0x18
	s_waitcnt lgkmcnt(0)
	s_cmp_lt_u32 s6, s8
	s_cselect_b32 s7, s6, 0
	v_cmp_eq_u32_e32 vcc_lo, s7, v0
	s_mov_b32 s7, 0
	s_and_saveexec_b32 s9, vcc_lo
	s_cbranch_execz .LBB152_5
; %bb.2:
	s_add_i32 s6, s6, 32
	v_mov_b32_e32 v3, 0
	s_lshl_b64 s[6:7], s[6:7], 3
	s_add_u32 s6, s0, s6
	s_addc_u32 s7, s1, s7
	global_load_dwordx2 v[1:2], v3, s[6:7] glc dlc
	s_waitcnt vmcnt(0)
	v_and_b32_e32 v4, 0xff, v2
	v_cmp_ne_u64_e32 vcc_lo, 0, v[3:4]
	s_cbranch_vccnz .LBB152_4
.LBB152_3:                              ; =>This Inner Loop Header: Depth=1
	global_load_dwordx2 v[1:2], v3, s[6:7] glc dlc
	s_waitcnt vmcnt(0)
	v_and_b32_e32 v4, 0xff, v2
	v_cmp_eq_u64_e32 vcc_lo, 0, v[3:4]
	s_cbranch_vccnz .LBB152_3
.LBB152_4:
	v_mov_b32_e32 v2, 0
	global_store_dword v2, v1, s[2:3]
.LBB152_5:
	s_or_b32 exec_lo, exec_lo, s9
.LBB152_6:
	s_mov_b32 s2, exec_lo
	v_cmpx_eq_u32_e32 0, v0
	s_cbranch_execz .LBB152_8
; %bb.7:
	s_load_dwordx2 s[4:5], s[4:5], 0x10
	v_mov_b32_e32 v1, 0
	s_waitcnt lgkmcnt(0)
	global_store_dword v1, v1, s[4:5]
.LBB152_8:
	s_or_b32 exec_lo, exec_lo, s2
	s_mov_b32 s2, exec_lo
	v_cmpx_gt_u32_e64 s8, v0
	s_cbranch_execz .LBB152_10
; %bb.9:
	v_add_nc_u32_e32 v1, 32, v0
	v_mov_b32_e32 v2, 0
	v_lshlrev_b64 v[3:4], 3, v[1:2]
	v_mov_b32_e32 v1, v2
	v_add_co_u32 v3, vcc_lo, s0, v3
	v_add_co_ci_u32_e64 v4, null, s1, v4, vcc_lo
	global_store_dwordx2 v[3:4], v[1:2], off
.LBB152_10:
	s_or_b32 exec_lo, exec_lo, s2
	s_mov_b32 s2, exec_lo
	v_cmpx_gt_u32_e32 32, v0
	s_cbranch_execz .LBB152_12
; %bb.11:
	v_mov_b32_e32 v1, 0
	v_mov_b32_e32 v4, 0xff
	v_lshlrev_b64 v[2:3], 3, v[0:1]
	v_add_co_u32 v5, vcc_lo, s0, v2
	v_add_co_ci_u32_e64 v6, null, s1, v3, vcc_lo
	v_mov_b32_e32 v3, v1
	global_store_dwordx2 v[5:6], v[3:4], off
.LBB152_12:
	s_endpgm
	.section	.rodata,"a",@progbits
	.p2align	6, 0x0
	.amdhsa_kernel _ZN7rocprim17ROCPRIM_400000_NS6detail31init_lookback_scan_state_kernelINS1_19lookback_scan_stateIfLb0ELb1EEENS1_16block_id_wrapperIjLb1EEEEEvT_jT0_jPNS7_10value_typeE
		.amdhsa_group_segment_fixed_size 0
		.amdhsa_private_segment_fixed_size 0
		.amdhsa_kernarg_size 296
		.amdhsa_user_sgpr_count 6
		.amdhsa_user_sgpr_private_segment_buffer 1
		.amdhsa_user_sgpr_dispatch_ptr 0
		.amdhsa_user_sgpr_queue_ptr 0
		.amdhsa_user_sgpr_kernarg_segment_ptr 1
		.amdhsa_user_sgpr_dispatch_id 0
		.amdhsa_user_sgpr_flat_scratch_init 0
		.amdhsa_user_sgpr_private_segment_size 0
		.amdhsa_wavefront_size32 1
		.amdhsa_uses_dynamic_stack 0
		.amdhsa_system_sgpr_private_segment_wavefront_offset 0
		.amdhsa_system_sgpr_workgroup_id_x 1
		.amdhsa_system_sgpr_workgroup_id_y 0
		.amdhsa_system_sgpr_workgroup_id_z 0
		.amdhsa_system_sgpr_workgroup_info 0
		.amdhsa_system_vgpr_workitem_id 0
		.amdhsa_next_free_vgpr 7
		.amdhsa_next_free_sgpr 10
		.amdhsa_reserve_vcc 1
		.amdhsa_reserve_flat_scratch 0
		.amdhsa_float_round_mode_32 0
		.amdhsa_float_round_mode_16_64 0
		.amdhsa_float_denorm_mode_32 3
		.amdhsa_float_denorm_mode_16_64 3
		.amdhsa_dx10_clamp 1
		.amdhsa_ieee_mode 1
		.amdhsa_fp16_overflow 0
		.amdhsa_workgroup_processor_mode 1
		.amdhsa_memory_ordered 1
		.amdhsa_forward_progress 1
		.amdhsa_shared_vgpr_count 0
		.amdhsa_exception_fp_ieee_invalid_op 0
		.amdhsa_exception_fp_denorm_src 0
		.amdhsa_exception_fp_ieee_div_zero 0
		.amdhsa_exception_fp_ieee_overflow 0
		.amdhsa_exception_fp_ieee_underflow 0
		.amdhsa_exception_fp_ieee_inexact 0
		.amdhsa_exception_int_div_zero 0
	.end_amdhsa_kernel
	.section	.text._ZN7rocprim17ROCPRIM_400000_NS6detail31init_lookback_scan_state_kernelINS1_19lookback_scan_stateIfLb0ELb1EEENS1_16block_id_wrapperIjLb1EEEEEvT_jT0_jPNS7_10value_typeE,"axG",@progbits,_ZN7rocprim17ROCPRIM_400000_NS6detail31init_lookback_scan_state_kernelINS1_19lookback_scan_stateIfLb0ELb1EEENS1_16block_id_wrapperIjLb1EEEEEvT_jT0_jPNS7_10value_typeE,comdat
.Lfunc_end152:
	.size	_ZN7rocprim17ROCPRIM_400000_NS6detail31init_lookback_scan_state_kernelINS1_19lookback_scan_stateIfLb0ELb1EEENS1_16block_id_wrapperIjLb1EEEEEvT_jT0_jPNS7_10value_typeE, .Lfunc_end152-_ZN7rocprim17ROCPRIM_400000_NS6detail31init_lookback_scan_state_kernelINS1_19lookback_scan_stateIfLb0ELb1EEENS1_16block_id_wrapperIjLb1EEEEEvT_jT0_jPNS7_10value_typeE
                                        ; -- End function
	.set _ZN7rocprim17ROCPRIM_400000_NS6detail31init_lookback_scan_state_kernelINS1_19lookback_scan_stateIfLb0ELb1EEENS1_16block_id_wrapperIjLb1EEEEEvT_jT0_jPNS7_10value_typeE.num_vgpr, 7
	.set _ZN7rocprim17ROCPRIM_400000_NS6detail31init_lookback_scan_state_kernelINS1_19lookback_scan_stateIfLb0ELb1EEENS1_16block_id_wrapperIjLb1EEEEEvT_jT0_jPNS7_10value_typeE.num_agpr, 0
	.set _ZN7rocprim17ROCPRIM_400000_NS6detail31init_lookback_scan_state_kernelINS1_19lookback_scan_stateIfLb0ELb1EEENS1_16block_id_wrapperIjLb1EEEEEvT_jT0_jPNS7_10value_typeE.numbered_sgpr, 10
	.set _ZN7rocprim17ROCPRIM_400000_NS6detail31init_lookback_scan_state_kernelINS1_19lookback_scan_stateIfLb0ELb1EEENS1_16block_id_wrapperIjLb1EEEEEvT_jT0_jPNS7_10value_typeE.num_named_barrier, 0
	.set _ZN7rocprim17ROCPRIM_400000_NS6detail31init_lookback_scan_state_kernelINS1_19lookback_scan_stateIfLb0ELb1EEENS1_16block_id_wrapperIjLb1EEEEEvT_jT0_jPNS7_10value_typeE.private_seg_size, 0
	.set _ZN7rocprim17ROCPRIM_400000_NS6detail31init_lookback_scan_state_kernelINS1_19lookback_scan_stateIfLb0ELb1EEENS1_16block_id_wrapperIjLb1EEEEEvT_jT0_jPNS7_10value_typeE.uses_vcc, 1
	.set _ZN7rocprim17ROCPRIM_400000_NS6detail31init_lookback_scan_state_kernelINS1_19lookback_scan_stateIfLb0ELb1EEENS1_16block_id_wrapperIjLb1EEEEEvT_jT0_jPNS7_10value_typeE.uses_flat_scratch, 0
	.set _ZN7rocprim17ROCPRIM_400000_NS6detail31init_lookback_scan_state_kernelINS1_19lookback_scan_stateIfLb0ELb1EEENS1_16block_id_wrapperIjLb1EEEEEvT_jT0_jPNS7_10value_typeE.has_dyn_sized_stack, 0
	.set _ZN7rocprim17ROCPRIM_400000_NS6detail31init_lookback_scan_state_kernelINS1_19lookback_scan_stateIfLb0ELb1EEENS1_16block_id_wrapperIjLb1EEEEEvT_jT0_jPNS7_10value_typeE.has_recursion, 0
	.set _ZN7rocprim17ROCPRIM_400000_NS6detail31init_lookback_scan_state_kernelINS1_19lookback_scan_stateIfLb0ELb1EEENS1_16block_id_wrapperIjLb1EEEEEvT_jT0_jPNS7_10value_typeE.has_indirect_call, 0
	.section	.AMDGPU.csdata,"",@progbits
; Kernel info:
; codeLenInByte = 360
; TotalNumSgprs: 12
; NumVgprs: 7
; ScratchSize: 0
; MemoryBound: 0
; FloatMode: 240
; IeeeMode: 1
; LDSByteSize: 0 bytes/workgroup (compile time only)
; SGPRBlocks: 0
; VGPRBlocks: 0
; NumSGPRsForWavesPerEU: 12
; NumVGPRsForWavesPerEU: 7
; Occupancy: 16
; WaveLimiterHint : 0
; COMPUTE_PGM_RSRC2:SCRATCH_EN: 0
; COMPUTE_PGM_RSRC2:USER_SGPR: 6
; COMPUTE_PGM_RSRC2:TRAP_HANDLER: 0
; COMPUTE_PGM_RSRC2:TGID_X_EN: 1
; COMPUTE_PGM_RSRC2:TGID_Y_EN: 0
; COMPUTE_PGM_RSRC2:TGID_Z_EN: 0
; COMPUTE_PGM_RSRC2:TIDIG_COMP_CNT: 0
	.section	.text._ZN7rocprim17ROCPRIM_400000_NS6detail17trampoline_kernelINS0_14default_configENS1_20scan_config_selectorIfEEZZNS1_9scan_implILNS1_25lookback_scan_determinismE0ELb0ELb0ES3_PKfPffZZZN2at6native31launch_logcumsumexp_cuda_kernelERKNSB_10TensorBaseESF_lENKUlvE_clEvENKUlvE0_clEvEUlffE_fEEDaPvRmT3_T4_T5_mT6_P12ihipStream_tbENKUlT_T0_E_clISt17integral_constantIbLb0EESV_IbLb1EEEEDaSR_SS_EUlSR_E_NS1_11comp_targetILNS1_3genE0ELNS1_11target_archE4294967295ELNS1_3gpuE0ELNS1_3repE0EEENS1_30default_config_static_selectorELNS0_4arch9wavefront6targetE0EEEvT1_,"axG",@progbits,_ZN7rocprim17ROCPRIM_400000_NS6detail17trampoline_kernelINS0_14default_configENS1_20scan_config_selectorIfEEZZNS1_9scan_implILNS1_25lookback_scan_determinismE0ELb0ELb0ES3_PKfPffZZZN2at6native31launch_logcumsumexp_cuda_kernelERKNSB_10TensorBaseESF_lENKUlvE_clEvENKUlvE0_clEvEUlffE_fEEDaPvRmT3_T4_T5_mT6_P12ihipStream_tbENKUlT_T0_E_clISt17integral_constantIbLb0EESV_IbLb1EEEEDaSR_SS_EUlSR_E_NS1_11comp_targetILNS1_3genE0ELNS1_11target_archE4294967295ELNS1_3gpuE0ELNS1_3repE0EEENS1_30default_config_static_selectorELNS0_4arch9wavefront6targetE0EEEvT1_,comdat
	.globl	_ZN7rocprim17ROCPRIM_400000_NS6detail17trampoline_kernelINS0_14default_configENS1_20scan_config_selectorIfEEZZNS1_9scan_implILNS1_25lookback_scan_determinismE0ELb0ELb0ES3_PKfPffZZZN2at6native31launch_logcumsumexp_cuda_kernelERKNSB_10TensorBaseESF_lENKUlvE_clEvENKUlvE0_clEvEUlffE_fEEDaPvRmT3_T4_T5_mT6_P12ihipStream_tbENKUlT_T0_E_clISt17integral_constantIbLb0EESV_IbLb1EEEEDaSR_SS_EUlSR_E_NS1_11comp_targetILNS1_3genE0ELNS1_11target_archE4294967295ELNS1_3gpuE0ELNS1_3repE0EEENS1_30default_config_static_selectorELNS0_4arch9wavefront6targetE0EEEvT1_ ; -- Begin function _ZN7rocprim17ROCPRIM_400000_NS6detail17trampoline_kernelINS0_14default_configENS1_20scan_config_selectorIfEEZZNS1_9scan_implILNS1_25lookback_scan_determinismE0ELb0ELb0ES3_PKfPffZZZN2at6native31launch_logcumsumexp_cuda_kernelERKNSB_10TensorBaseESF_lENKUlvE_clEvENKUlvE0_clEvEUlffE_fEEDaPvRmT3_T4_T5_mT6_P12ihipStream_tbENKUlT_T0_E_clISt17integral_constantIbLb0EESV_IbLb1EEEEDaSR_SS_EUlSR_E_NS1_11comp_targetILNS1_3genE0ELNS1_11target_archE4294967295ELNS1_3gpuE0ELNS1_3repE0EEENS1_30default_config_static_selectorELNS0_4arch9wavefront6targetE0EEEvT1_
	.p2align	8
	.type	_ZN7rocprim17ROCPRIM_400000_NS6detail17trampoline_kernelINS0_14default_configENS1_20scan_config_selectorIfEEZZNS1_9scan_implILNS1_25lookback_scan_determinismE0ELb0ELb0ES3_PKfPffZZZN2at6native31launch_logcumsumexp_cuda_kernelERKNSB_10TensorBaseESF_lENKUlvE_clEvENKUlvE0_clEvEUlffE_fEEDaPvRmT3_T4_T5_mT6_P12ihipStream_tbENKUlT_T0_E_clISt17integral_constantIbLb0EESV_IbLb1EEEEDaSR_SS_EUlSR_E_NS1_11comp_targetILNS1_3genE0ELNS1_11target_archE4294967295ELNS1_3gpuE0ELNS1_3repE0EEENS1_30default_config_static_selectorELNS0_4arch9wavefront6targetE0EEEvT1_,@function
_ZN7rocprim17ROCPRIM_400000_NS6detail17trampoline_kernelINS0_14default_configENS1_20scan_config_selectorIfEEZZNS1_9scan_implILNS1_25lookback_scan_determinismE0ELb0ELb0ES3_PKfPffZZZN2at6native31launch_logcumsumexp_cuda_kernelERKNSB_10TensorBaseESF_lENKUlvE_clEvENKUlvE0_clEvEUlffE_fEEDaPvRmT3_T4_T5_mT6_P12ihipStream_tbENKUlT_T0_E_clISt17integral_constantIbLb0EESV_IbLb1EEEEDaSR_SS_EUlSR_E_NS1_11comp_targetILNS1_3genE0ELNS1_11target_archE4294967295ELNS1_3gpuE0ELNS1_3repE0EEENS1_30default_config_static_selectorELNS0_4arch9wavefront6targetE0EEEvT1_: ; @_ZN7rocprim17ROCPRIM_400000_NS6detail17trampoline_kernelINS0_14default_configENS1_20scan_config_selectorIfEEZZNS1_9scan_implILNS1_25lookback_scan_determinismE0ELb0ELb0ES3_PKfPffZZZN2at6native31launch_logcumsumexp_cuda_kernelERKNSB_10TensorBaseESF_lENKUlvE_clEvENKUlvE0_clEvEUlffE_fEEDaPvRmT3_T4_T5_mT6_P12ihipStream_tbENKUlT_T0_E_clISt17integral_constantIbLb0EESV_IbLb1EEEEDaSR_SS_EUlSR_E_NS1_11comp_targetILNS1_3genE0ELNS1_11target_archE4294967295ELNS1_3gpuE0ELNS1_3repE0EEENS1_30default_config_static_selectorELNS0_4arch9wavefront6targetE0EEEvT1_
; %bb.0:
	.section	.rodata,"a",@progbits
	.p2align	6, 0x0
	.amdhsa_kernel _ZN7rocprim17ROCPRIM_400000_NS6detail17trampoline_kernelINS0_14default_configENS1_20scan_config_selectorIfEEZZNS1_9scan_implILNS1_25lookback_scan_determinismE0ELb0ELb0ES3_PKfPffZZZN2at6native31launch_logcumsumexp_cuda_kernelERKNSB_10TensorBaseESF_lENKUlvE_clEvENKUlvE0_clEvEUlffE_fEEDaPvRmT3_T4_T5_mT6_P12ihipStream_tbENKUlT_T0_E_clISt17integral_constantIbLb0EESV_IbLb1EEEEDaSR_SS_EUlSR_E_NS1_11comp_targetILNS1_3genE0ELNS1_11target_archE4294967295ELNS1_3gpuE0ELNS1_3repE0EEENS1_30default_config_static_selectorELNS0_4arch9wavefront6targetE0EEEvT1_
		.amdhsa_group_segment_fixed_size 0
		.amdhsa_private_segment_fixed_size 0
		.amdhsa_kernarg_size 96
		.amdhsa_user_sgpr_count 6
		.amdhsa_user_sgpr_private_segment_buffer 1
		.amdhsa_user_sgpr_dispatch_ptr 0
		.amdhsa_user_sgpr_queue_ptr 0
		.amdhsa_user_sgpr_kernarg_segment_ptr 1
		.amdhsa_user_sgpr_dispatch_id 0
		.amdhsa_user_sgpr_flat_scratch_init 0
		.amdhsa_user_sgpr_private_segment_size 0
		.amdhsa_wavefront_size32 1
		.amdhsa_uses_dynamic_stack 0
		.amdhsa_system_sgpr_private_segment_wavefront_offset 0
		.amdhsa_system_sgpr_workgroup_id_x 1
		.amdhsa_system_sgpr_workgroup_id_y 0
		.amdhsa_system_sgpr_workgroup_id_z 0
		.amdhsa_system_sgpr_workgroup_info 0
		.amdhsa_system_vgpr_workitem_id 0
		.amdhsa_next_free_vgpr 1
		.amdhsa_next_free_sgpr 1
		.amdhsa_reserve_vcc 0
		.amdhsa_reserve_flat_scratch 0
		.amdhsa_float_round_mode_32 0
		.amdhsa_float_round_mode_16_64 0
		.amdhsa_float_denorm_mode_32 3
		.amdhsa_float_denorm_mode_16_64 3
		.amdhsa_dx10_clamp 1
		.amdhsa_ieee_mode 1
		.amdhsa_fp16_overflow 0
		.amdhsa_workgroup_processor_mode 1
		.amdhsa_memory_ordered 1
		.amdhsa_forward_progress 1
		.amdhsa_shared_vgpr_count 0
		.amdhsa_exception_fp_ieee_invalid_op 0
		.amdhsa_exception_fp_denorm_src 0
		.amdhsa_exception_fp_ieee_div_zero 0
		.amdhsa_exception_fp_ieee_overflow 0
		.amdhsa_exception_fp_ieee_underflow 0
		.amdhsa_exception_fp_ieee_inexact 0
		.amdhsa_exception_int_div_zero 0
	.end_amdhsa_kernel
	.section	.text._ZN7rocprim17ROCPRIM_400000_NS6detail17trampoline_kernelINS0_14default_configENS1_20scan_config_selectorIfEEZZNS1_9scan_implILNS1_25lookback_scan_determinismE0ELb0ELb0ES3_PKfPffZZZN2at6native31launch_logcumsumexp_cuda_kernelERKNSB_10TensorBaseESF_lENKUlvE_clEvENKUlvE0_clEvEUlffE_fEEDaPvRmT3_T4_T5_mT6_P12ihipStream_tbENKUlT_T0_E_clISt17integral_constantIbLb0EESV_IbLb1EEEEDaSR_SS_EUlSR_E_NS1_11comp_targetILNS1_3genE0ELNS1_11target_archE4294967295ELNS1_3gpuE0ELNS1_3repE0EEENS1_30default_config_static_selectorELNS0_4arch9wavefront6targetE0EEEvT1_,"axG",@progbits,_ZN7rocprim17ROCPRIM_400000_NS6detail17trampoline_kernelINS0_14default_configENS1_20scan_config_selectorIfEEZZNS1_9scan_implILNS1_25lookback_scan_determinismE0ELb0ELb0ES3_PKfPffZZZN2at6native31launch_logcumsumexp_cuda_kernelERKNSB_10TensorBaseESF_lENKUlvE_clEvENKUlvE0_clEvEUlffE_fEEDaPvRmT3_T4_T5_mT6_P12ihipStream_tbENKUlT_T0_E_clISt17integral_constantIbLb0EESV_IbLb1EEEEDaSR_SS_EUlSR_E_NS1_11comp_targetILNS1_3genE0ELNS1_11target_archE4294967295ELNS1_3gpuE0ELNS1_3repE0EEENS1_30default_config_static_selectorELNS0_4arch9wavefront6targetE0EEEvT1_,comdat
.Lfunc_end153:
	.size	_ZN7rocprim17ROCPRIM_400000_NS6detail17trampoline_kernelINS0_14default_configENS1_20scan_config_selectorIfEEZZNS1_9scan_implILNS1_25lookback_scan_determinismE0ELb0ELb0ES3_PKfPffZZZN2at6native31launch_logcumsumexp_cuda_kernelERKNSB_10TensorBaseESF_lENKUlvE_clEvENKUlvE0_clEvEUlffE_fEEDaPvRmT3_T4_T5_mT6_P12ihipStream_tbENKUlT_T0_E_clISt17integral_constantIbLb0EESV_IbLb1EEEEDaSR_SS_EUlSR_E_NS1_11comp_targetILNS1_3genE0ELNS1_11target_archE4294967295ELNS1_3gpuE0ELNS1_3repE0EEENS1_30default_config_static_selectorELNS0_4arch9wavefront6targetE0EEEvT1_, .Lfunc_end153-_ZN7rocprim17ROCPRIM_400000_NS6detail17trampoline_kernelINS0_14default_configENS1_20scan_config_selectorIfEEZZNS1_9scan_implILNS1_25lookback_scan_determinismE0ELb0ELb0ES3_PKfPffZZZN2at6native31launch_logcumsumexp_cuda_kernelERKNSB_10TensorBaseESF_lENKUlvE_clEvENKUlvE0_clEvEUlffE_fEEDaPvRmT3_T4_T5_mT6_P12ihipStream_tbENKUlT_T0_E_clISt17integral_constantIbLb0EESV_IbLb1EEEEDaSR_SS_EUlSR_E_NS1_11comp_targetILNS1_3genE0ELNS1_11target_archE4294967295ELNS1_3gpuE0ELNS1_3repE0EEENS1_30default_config_static_selectorELNS0_4arch9wavefront6targetE0EEEvT1_
                                        ; -- End function
	.set _ZN7rocprim17ROCPRIM_400000_NS6detail17trampoline_kernelINS0_14default_configENS1_20scan_config_selectorIfEEZZNS1_9scan_implILNS1_25lookback_scan_determinismE0ELb0ELb0ES3_PKfPffZZZN2at6native31launch_logcumsumexp_cuda_kernelERKNSB_10TensorBaseESF_lENKUlvE_clEvENKUlvE0_clEvEUlffE_fEEDaPvRmT3_T4_T5_mT6_P12ihipStream_tbENKUlT_T0_E_clISt17integral_constantIbLb0EESV_IbLb1EEEEDaSR_SS_EUlSR_E_NS1_11comp_targetILNS1_3genE0ELNS1_11target_archE4294967295ELNS1_3gpuE0ELNS1_3repE0EEENS1_30default_config_static_selectorELNS0_4arch9wavefront6targetE0EEEvT1_.num_vgpr, 0
	.set _ZN7rocprim17ROCPRIM_400000_NS6detail17trampoline_kernelINS0_14default_configENS1_20scan_config_selectorIfEEZZNS1_9scan_implILNS1_25lookback_scan_determinismE0ELb0ELb0ES3_PKfPffZZZN2at6native31launch_logcumsumexp_cuda_kernelERKNSB_10TensorBaseESF_lENKUlvE_clEvENKUlvE0_clEvEUlffE_fEEDaPvRmT3_T4_T5_mT6_P12ihipStream_tbENKUlT_T0_E_clISt17integral_constantIbLb0EESV_IbLb1EEEEDaSR_SS_EUlSR_E_NS1_11comp_targetILNS1_3genE0ELNS1_11target_archE4294967295ELNS1_3gpuE0ELNS1_3repE0EEENS1_30default_config_static_selectorELNS0_4arch9wavefront6targetE0EEEvT1_.num_agpr, 0
	.set _ZN7rocprim17ROCPRIM_400000_NS6detail17trampoline_kernelINS0_14default_configENS1_20scan_config_selectorIfEEZZNS1_9scan_implILNS1_25lookback_scan_determinismE0ELb0ELb0ES3_PKfPffZZZN2at6native31launch_logcumsumexp_cuda_kernelERKNSB_10TensorBaseESF_lENKUlvE_clEvENKUlvE0_clEvEUlffE_fEEDaPvRmT3_T4_T5_mT6_P12ihipStream_tbENKUlT_T0_E_clISt17integral_constantIbLb0EESV_IbLb1EEEEDaSR_SS_EUlSR_E_NS1_11comp_targetILNS1_3genE0ELNS1_11target_archE4294967295ELNS1_3gpuE0ELNS1_3repE0EEENS1_30default_config_static_selectorELNS0_4arch9wavefront6targetE0EEEvT1_.numbered_sgpr, 0
	.set _ZN7rocprim17ROCPRIM_400000_NS6detail17trampoline_kernelINS0_14default_configENS1_20scan_config_selectorIfEEZZNS1_9scan_implILNS1_25lookback_scan_determinismE0ELb0ELb0ES3_PKfPffZZZN2at6native31launch_logcumsumexp_cuda_kernelERKNSB_10TensorBaseESF_lENKUlvE_clEvENKUlvE0_clEvEUlffE_fEEDaPvRmT3_T4_T5_mT6_P12ihipStream_tbENKUlT_T0_E_clISt17integral_constantIbLb0EESV_IbLb1EEEEDaSR_SS_EUlSR_E_NS1_11comp_targetILNS1_3genE0ELNS1_11target_archE4294967295ELNS1_3gpuE0ELNS1_3repE0EEENS1_30default_config_static_selectorELNS0_4arch9wavefront6targetE0EEEvT1_.num_named_barrier, 0
	.set _ZN7rocprim17ROCPRIM_400000_NS6detail17trampoline_kernelINS0_14default_configENS1_20scan_config_selectorIfEEZZNS1_9scan_implILNS1_25lookback_scan_determinismE0ELb0ELb0ES3_PKfPffZZZN2at6native31launch_logcumsumexp_cuda_kernelERKNSB_10TensorBaseESF_lENKUlvE_clEvENKUlvE0_clEvEUlffE_fEEDaPvRmT3_T4_T5_mT6_P12ihipStream_tbENKUlT_T0_E_clISt17integral_constantIbLb0EESV_IbLb1EEEEDaSR_SS_EUlSR_E_NS1_11comp_targetILNS1_3genE0ELNS1_11target_archE4294967295ELNS1_3gpuE0ELNS1_3repE0EEENS1_30default_config_static_selectorELNS0_4arch9wavefront6targetE0EEEvT1_.private_seg_size, 0
	.set _ZN7rocprim17ROCPRIM_400000_NS6detail17trampoline_kernelINS0_14default_configENS1_20scan_config_selectorIfEEZZNS1_9scan_implILNS1_25lookback_scan_determinismE0ELb0ELb0ES3_PKfPffZZZN2at6native31launch_logcumsumexp_cuda_kernelERKNSB_10TensorBaseESF_lENKUlvE_clEvENKUlvE0_clEvEUlffE_fEEDaPvRmT3_T4_T5_mT6_P12ihipStream_tbENKUlT_T0_E_clISt17integral_constantIbLb0EESV_IbLb1EEEEDaSR_SS_EUlSR_E_NS1_11comp_targetILNS1_3genE0ELNS1_11target_archE4294967295ELNS1_3gpuE0ELNS1_3repE0EEENS1_30default_config_static_selectorELNS0_4arch9wavefront6targetE0EEEvT1_.uses_vcc, 0
	.set _ZN7rocprim17ROCPRIM_400000_NS6detail17trampoline_kernelINS0_14default_configENS1_20scan_config_selectorIfEEZZNS1_9scan_implILNS1_25lookback_scan_determinismE0ELb0ELb0ES3_PKfPffZZZN2at6native31launch_logcumsumexp_cuda_kernelERKNSB_10TensorBaseESF_lENKUlvE_clEvENKUlvE0_clEvEUlffE_fEEDaPvRmT3_T4_T5_mT6_P12ihipStream_tbENKUlT_T0_E_clISt17integral_constantIbLb0EESV_IbLb1EEEEDaSR_SS_EUlSR_E_NS1_11comp_targetILNS1_3genE0ELNS1_11target_archE4294967295ELNS1_3gpuE0ELNS1_3repE0EEENS1_30default_config_static_selectorELNS0_4arch9wavefront6targetE0EEEvT1_.uses_flat_scratch, 0
	.set _ZN7rocprim17ROCPRIM_400000_NS6detail17trampoline_kernelINS0_14default_configENS1_20scan_config_selectorIfEEZZNS1_9scan_implILNS1_25lookback_scan_determinismE0ELb0ELb0ES3_PKfPffZZZN2at6native31launch_logcumsumexp_cuda_kernelERKNSB_10TensorBaseESF_lENKUlvE_clEvENKUlvE0_clEvEUlffE_fEEDaPvRmT3_T4_T5_mT6_P12ihipStream_tbENKUlT_T0_E_clISt17integral_constantIbLb0EESV_IbLb1EEEEDaSR_SS_EUlSR_E_NS1_11comp_targetILNS1_3genE0ELNS1_11target_archE4294967295ELNS1_3gpuE0ELNS1_3repE0EEENS1_30default_config_static_selectorELNS0_4arch9wavefront6targetE0EEEvT1_.has_dyn_sized_stack, 0
	.set _ZN7rocprim17ROCPRIM_400000_NS6detail17trampoline_kernelINS0_14default_configENS1_20scan_config_selectorIfEEZZNS1_9scan_implILNS1_25lookback_scan_determinismE0ELb0ELb0ES3_PKfPffZZZN2at6native31launch_logcumsumexp_cuda_kernelERKNSB_10TensorBaseESF_lENKUlvE_clEvENKUlvE0_clEvEUlffE_fEEDaPvRmT3_T4_T5_mT6_P12ihipStream_tbENKUlT_T0_E_clISt17integral_constantIbLb0EESV_IbLb1EEEEDaSR_SS_EUlSR_E_NS1_11comp_targetILNS1_3genE0ELNS1_11target_archE4294967295ELNS1_3gpuE0ELNS1_3repE0EEENS1_30default_config_static_selectorELNS0_4arch9wavefront6targetE0EEEvT1_.has_recursion, 0
	.set _ZN7rocprim17ROCPRIM_400000_NS6detail17trampoline_kernelINS0_14default_configENS1_20scan_config_selectorIfEEZZNS1_9scan_implILNS1_25lookback_scan_determinismE0ELb0ELb0ES3_PKfPffZZZN2at6native31launch_logcumsumexp_cuda_kernelERKNSB_10TensorBaseESF_lENKUlvE_clEvENKUlvE0_clEvEUlffE_fEEDaPvRmT3_T4_T5_mT6_P12ihipStream_tbENKUlT_T0_E_clISt17integral_constantIbLb0EESV_IbLb1EEEEDaSR_SS_EUlSR_E_NS1_11comp_targetILNS1_3genE0ELNS1_11target_archE4294967295ELNS1_3gpuE0ELNS1_3repE0EEENS1_30default_config_static_selectorELNS0_4arch9wavefront6targetE0EEEvT1_.has_indirect_call, 0
	.section	.AMDGPU.csdata,"",@progbits
; Kernel info:
; codeLenInByte = 0
; TotalNumSgprs: 0
; NumVgprs: 0
; ScratchSize: 0
; MemoryBound: 0
; FloatMode: 240
; IeeeMode: 1
; LDSByteSize: 0 bytes/workgroup (compile time only)
; SGPRBlocks: 0
; VGPRBlocks: 0
; NumSGPRsForWavesPerEU: 1
; NumVGPRsForWavesPerEU: 1
; Occupancy: 16
; WaveLimiterHint : 0
; COMPUTE_PGM_RSRC2:SCRATCH_EN: 0
; COMPUTE_PGM_RSRC2:USER_SGPR: 6
; COMPUTE_PGM_RSRC2:TRAP_HANDLER: 0
; COMPUTE_PGM_RSRC2:TGID_X_EN: 1
; COMPUTE_PGM_RSRC2:TGID_Y_EN: 0
; COMPUTE_PGM_RSRC2:TGID_Z_EN: 0
; COMPUTE_PGM_RSRC2:TIDIG_COMP_CNT: 0
	.section	.text._ZN7rocprim17ROCPRIM_400000_NS6detail17trampoline_kernelINS0_14default_configENS1_20scan_config_selectorIfEEZZNS1_9scan_implILNS1_25lookback_scan_determinismE0ELb0ELb0ES3_PKfPffZZZN2at6native31launch_logcumsumexp_cuda_kernelERKNSB_10TensorBaseESF_lENKUlvE_clEvENKUlvE0_clEvEUlffE_fEEDaPvRmT3_T4_T5_mT6_P12ihipStream_tbENKUlT_T0_E_clISt17integral_constantIbLb0EESV_IbLb1EEEEDaSR_SS_EUlSR_E_NS1_11comp_targetILNS1_3genE5ELNS1_11target_archE942ELNS1_3gpuE9ELNS1_3repE0EEENS1_30default_config_static_selectorELNS0_4arch9wavefront6targetE0EEEvT1_,"axG",@progbits,_ZN7rocprim17ROCPRIM_400000_NS6detail17trampoline_kernelINS0_14default_configENS1_20scan_config_selectorIfEEZZNS1_9scan_implILNS1_25lookback_scan_determinismE0ELb0ELb0ES3_PKfPffZZZN2at6native31launch_logcumsumexp_cuda_kernelERKNSB_10TensorBaseESF_lENKUlvE_clEvENKUlvE0_clEvEUlffE_fEEDaPvRmT3_T4_T5_mT6_P12ihipStream_tbENKUlT_T0_E_clISt17integral_constantIbLb0EESV_IbLb1EEEEDaSR_SS_EUlSR_E_NS1_11comp_targetILNS1_3genE5ELNS1_11target_archE942ELNS1_3gpuE9ELNS1_3repE0EEENS1_30default_config_static_selectorELNS0_4arch9wavefront6targetE0EEEvT1_,comdat
	.globl	_ZN7rocprim17ROCPRIM_400000_NS6detail17trampoline_kernelINS0_14default_configENS1_20scan_config_selectorIfEEZZNS1_9scan_implILNS1_25lookback_scan_determinismE0ELb0ELb0ES3_PKfPffZZZN2at6native31launch_logcumsumexp_cuda_kernelERKNSB_10TensorBaseESF_lENKUlvE_clEvENKUlvE0_clEvEUlffE_fEEDaPvRmT3_T4_T5_mT6_P12ihipStream_tbENKUlT_T0_E_clISt17integral_constantIbLb0EESV_IbLb1EEEEDaSR_SS_EUlSR_E_NS1_11comp_targetILNS1_3genE5ELNS1_11target_archE942ELNS1_3gpuE9ELNS1_3repE0EEENS1_30default_config_static_selectorELNS0_4arch9wavefront6targetE0EEEvT1_ ; -- Begin function _ZN7rocprim17ROCPRIM_400000_NS6detail17trampoline_kernelINS0_14default_configENS1_20scan_config_selectorIfEEZZNS1_9scan_implILNS1_25lookback_scan_determinismE0ELb0ELb0ES3_PKfPffZZZN2at6native31launch_logcumsumexp_cuda_kernelERKNSB_10TensorBaseESF_lENKUlvE_clEvENKUlvE0_clEvEUlffE_fEEDaPvRmT3_T4_T5_mT6_P12ihipStream_tbENKUlT_T0_E_clISt17integral_constantIbLb0EESV_IbLb1EEEEDaSR_SS_EUlSR_E_NS1_11comp_targetILNS1_3genE5ELNS1_11target_archE942ELNS1_3gpuE9ELNS1_3repE0EEENS1_30default_config_static_selectorELNS0_4arch9wavefront6targetE0EEEvT1_
	.p2align	8
	.type	_ZN7rocprim17ROCPRIM_400000_NS6detail17trampoline_kernelINS0_14default_configENS1_20scan_config_selectorIfEEZZNS1_9scan_implILNS1_25lookback_scan_determinismE0ELb0ELb0ES3_PKfPffZZZN2at6native31launch_logcumsumexp_cuda_kernelERKNSB_10TensorBaseESF_lENKUlvE_clEvENKUlvE0_clEvEUlffE_fEEDaPvRmT3_T4_T5_mT6_P12ihipStream_tbENKUlT_T0_E_clISt17integral_constantIbLb0EESV_IbLb1EEEEDaSR_SS_EUlSR_E_NS1_11comp_targetILNS1_3genE5ELNS1_11target_archE942ELNS1_3gpuE9ELNS1_3repE0EEENS1_30default_config_static_selectorELNS0_4arch9wavefront6targetE0EEEvT1_,@function
_ZN7rocprim17ROCPRIM_400000_NS6detail17trampoline_kernelINS0_14default_configENS1_20scan_config_selectorIfEEZZNS1_9scan_implILNS1_25lookback_scan_determinismE0ELb0ELb0ES3_PKfPffZZZN2at6native31launch_logcumsumexp_cuda_kernelERKNSB_10TensorBaseESF_lENKUlvE_clEvENKUlvE0_clEvEUlffE_fEEDaPvRmT3_T4_T5_mT6_P12ihipStream_tbENKUlT_T0_E_clISt17integral_constantIbLb0EESV_IbLb1EEEEDaSR_SS_EUlSR_E_NS1_11comp_targetILNS1_3genE5ELNS1_11target_archE942ELNS1_3gpuE9ELNS1_3repE0EEENS1_30default_config_static_selectorELNS0_4arch9wavefront6targetE0EEEvT1_: ; @_ZN7rocprim17ROCPRIM_400000_NS6detail17trampoline_kernelINS0_14default_configENS1_20scan_config_selectorIfEEZZNS1_9scan_implILNS1_25lookback_scan_determinismE0ELb0ELb0ES3_PKfPffZZZN2at6native31launch_logcumsumexp_cuda_kernelERKNSB_10TensorBaseESF_lENKUlvE_clEvENKUlvE0_clEvEUlffE_fEEDaPvRmT3_T4_T5_mT6_P12ihipStream_tbENKUlT_T0_E_clISt17integral_constantIbLb0EESV_IbLb1EEEEDaSR_SS_EUlSR_E_NS1_11comp_targetILNS1_3genE5ELNS1_11target_archE942ELNS1_3gpuE9ELNS1_3repE0EEENS1_30default_config_static_selectorELNS0_4arch9wavefront6targetE0EEEvT1_
; %bb.0:
	.section	.rodata,"a",@progbits
	.p2align	6, 0x0
	.amdhsa_kernel _ZN7rocprim17ROCPRIM_400000_NS6detail17trampoline_kernelINS0_14default_configENS1_20scan_config_selectorIfEEZZNS1_9scan_implILNS1_25lookback_scan_determinismE0ELb0ELb0ES3_PKfPffZZZN2at6native31launch_logcumsumexp_cuda_kernelERKNSB_10TensorBaseESF_lENKUlvE_clEvENKUlvE0_clEvEUlffE_fEEDaPvRmT3_T4_T5_mT6_P12ihipStream_tbENKUlT_T0_E_clISt17integral_constantIbLb0EESV_IbLb1EEEEDaSR_SS_EUlSR_E_NS1_11comp_targetILNS1_3genE5ELNS1_11target_archE942ELNS1_3gpuE9ELNS1_3repE0EEENS1_30default_config_static_selectorELNS0_4arch9wavefront6targetE0EEEvT1_
		.amdhsa_group_segment_fixed_size 0
		.amdhsa_private_segment_fixed_size 0
		.amdhsa_kernarg_size 96
		.amdhsa_user_sgpr_count 6
		.amdhsa_user_sgpr_private_segment_buffer 1
		.amdhsa_user_sgpr_dispatch_ptr 0
		.amdhsa_user_sgpr_queue_ptr 0
		.amdhsa_user_sgpr_kernarg_segment_ptr 1
		.amdhsa_user_sgpr_dispatch_id 0
		.amdhsa_user_sgpr_flat_scratch_init 0
		.amdhsa_user_sgpr_private_segment_size 0
		.amdhsa_wavefront_size32 1
		.amdhsa_uses_dynamic_stack 0
		.amdhsa_system_sgpr_private_segment_wavefront_offset 0
		.amdhsa_system_sgpr_workgroup_id_x 1
		.amdhsa_system_sgpr_workgroup_id_y 0
		.amdhsa_system_sgpr_workgroup_id_z 0
		.amdhsa_system_sgpr_workgroup_info 0
		.amdhsa_system_vgpr_workitem_id 0
		.amdhsa_next_free_vgpr 1
		.amdhsa_next_free_sgpr 1
		.amdhsa_reserve_vcc 0
		.amdhsa_reserve_flat_scratch 0
		.amdhsa_float_round_mode_32 0
		.amdhsa_float_round_mode_16_64 0
		.amdhsa_float_denorm_mode_32 3
		.amdhsa_float_denorm_mode_16_64 3
		.amdhsa_dx10_clamp 1
		.amdhsa_ieee_mode 1
		.amdhsa_fp16_overflow 0
		.amdhsa_workgroup_processor_mode 1
		.amdhsa_memory_ordered 1
		.amdhsa_forward_progress 1
		.amdhsa_shared_vgpr_count 0
		.amdhsa_exception_fp_ieee_invalid_op 0
		.amdhsa_exception_fp_denorm_src 0
		.amdhsa_exception_fp_ieee_div_zero 0
		.amdhsa_exception_fp_ieee_overflow 0
		.amdhsa_exception_fp_ieee_underflow 0
		.amdhsa_exception_fp_ieee_inexact 0
		.amdhsa_exception_int_div_zero 0
	.end_amdhsa_kernel
	.section	.text._ZN7rocprim17ROCPRIM_400000_NS6detail17trampoline_kernelINS0_14default_configENS1_20scan_config_selectorIfEEZZNS1_9scan_implILNS1_25lookback_scan_determinismE0ELb0ELb0ES3_PKfPffZZZN2at6native31launch_logcumsumexp_cuda_kernelERKNSB_10TensorBaseESF_lENKUlvE_clEvENKUlvE0_clEvEUlffE_fEEDaPvRmT3_T4_T5_mT6_P12ihipStream_tbENKUlT_T0_E_clISt17integral_constantIbLb0EESV_IbLb1EEEEDaSR_SS_EUlSR_E_NS1_11comp_targetILNS1_3genE5ELNS1_11target_archE942ELNS1_3gpuE9ELNS1_3repE0EEENS1_30default_config_static_selectorELNS0_4arch9wavefront6targetE0EEEvT1_,"axG",@progbits,_ZN7rocprim17ROCPRIM_400000_NS6detail17trampoline_kernelINS0_14default_configENS1_20scan_config_selectorIfEEZZNS1_9scan_implILNS1_25lookback_scan_determinismE0ELb0ELb0ES3_PKfPffZZZN2at6native31launch_logcumsumexp_cuda_kernelERKNSB_10TensorBaseESF_lENKUlvE_clEvENKUlvE0_clEvEUlffE_fEEDaPvRmT3_T4_T5_mT6_P12ihipStream_tbENKUlT_T0_E_clISt17integral_constantIbLb0EESV_IbLb1EEEEDaSR_SS_EUlSR_E_NS1_11comp_targetILNS1_3genE5ELNS1_11target_archE942ELNS1_3gpuE9ELNS1_3repE0EEENS1_30default_config_static_selectorELNS0_4arch9wavefront6targetE0EEEvT1_,comdat
.Lfunc_end154:
	.size	_ZN7rocprim17ROCPRIM_400000_NS6detail17trampoline_kernelINS0_14default_configENS1_20scan_config_selectorIfEEZZNS1_9scan_implILNS1_25lookback_scan_determinismE0ELb0ELb0ES3_PKfPffZZZN2at6native31launch_logcumsumexp_cuda_kernelERKNSB_10TensorBaseESF_lENKUlvE_clEvENKUlvE0_clEvEUlffE_fEEDaPvRmT3_T4_T5_mT6_P12ihipStream_tbENKUlT_T0_E_clISt17integral_constantIbLb0EESV_IbLb1EEEEDaSR_SS_EUlSR_E_NS1_11comp_targetILNS1_3genE5ELNS1_11target_archE942ELNS1_3gpuE9ELNS1_3repE0EEENS1_30default_config_static_selectorELNS0_4arch9wavefront6targetE0EEEvT1_, .Lfunc_end154-_ZN7rocprim17ROCPRIM_400000_NS6detail17trampoline_kernelINS0_14default_configENS1_20scan_config_selectorIfEEZZNS1_9scan_implILNS1_25lookback_scan_determinismE0ELb0ELb0ES3_PKfPffZZZN2at6native31launch_logcumsumexp_cuda_kernelERKNSB_10TensorBaseESF_lENKUlvE_clEvENKUlvE0_clEvEUlffE_fEEDaPvRmT3_T4_T5_mT6_P12ihipStream_tbENKUlT_T0_E_clISt17integral_constantIbLb0EESV_IbLb1EEEEDaSR_SS_EUlSR_E_NS1_11comp_targetILNS1_3genE5ELNS1_11target_archE942ELNS1_3gpuE9ELNS1_3repE0EEENS1_30default_config_static_selectorELNS0_4arch9wavefront6targetE0EEEvT1_
                                        ; -- End function
	.set _ZN7rocprim17ROCPRIM_400000_NS6detail17trampoline_kernelINS0_14default_configENS1_20scan_config_selectorIfEEZZNS1_9scan_implILNS1_25lookback_scan_determinismE0ELb0ELb0ES3_PKfPffZZZN2at6native31launch_logcumsumexp_cuda_kernelERKNSB_10TensorBaseESF_lENKUlvE_clEvENKUlvE0_clEvEUlffE_fEEDaPvRmT3_T4_T5_mT6_P12ihipStream_tbENKUlT_T0_E_clISt17integral_constantIbLb0EESV_IbLb1EEEEDaSR_SS_EUlSR_E_NS1_11comp_targetILNS1_3genE5ELNS1_11target_archE942ELNS1_3gpuE9ELNS1_3repE0EEENS1_30default_config_static_selectorELNS0_4arch9wavefront6targetE0EEEvT1_.num_vgpr, 0
	.set _ZN7rocprim17ROCPRIM_400000_NS6detail17trampoline_kernelINS0_14default_configENS1_20scan_config_selectorIfEEZZNS1_9scan_implILNS1_25lookback_scan_determinismE0ELb0ELb0ES3_PKfPffZZZN2at6native31launch_logcumsumexp_cuda_kernelERKNSB_10TensorBaseESF_lENKUlvE_clEvENKUlvE0_clEvEUlffE_fEEDaPvRmT3_T4_T5_mT6_P12ihipStream_tbENKUlT_T0_E_clISt17integral_constantIbLb0EESV_IbLb1EEEEDaSR_SS_EUlSR_E_NS1_11comp_targetILNS1_3genE5ELNS1_11target_archE942ELNS1_3gpuE9ELNS1_3repE0EEENS1_30default_config_static_selectorELNS0_4arch9wavefront6targetE0EEEvT1_.num_agpr, 0
	.set _ZN7rocprim17ROCPRIM_400000_NS6detail17trampoline_kernelINS0_14default_configENS1_20scan_config_selectorIfEEZZNS1_9scan_implILNS1_25lookback_scan_determinismE0ELb0ELb0ES3_PKfPffZZZN2at6native31launch_logcumsumexp_cuda_kernelERKNSB_10TensorBaseESF_lENKUlvE_clEvENKUlvE0_clEvEUlffE_fEEDaPvRmT3_T4_T5_mT6_P12ihipStream_tbENKUlT_T0_E_clISt17integral_constantIbLb0EESV_IbLb1EEEEDaSR_SS_EUlSR_E_NS1_11comp_targetILNS1_3genE5ELNS1_11target_archE942ELNS1_3gpuE9ELNS1_3repE0EEENS1_30default_config_static_selectorELNS0_4arch9wavefront6targetE0EEEvT1_.numbered_sgpr, 0
	.set _ZN7rocprim17ROCPRIM_400000_NS6detail17trampoline_kernelINS0_14default_configENS1_20scan_config_selectorIfEEZZNS1_9scan_implILNS1_25lookback_scan_determinismE0ELb0ELb0ES3_PKfPffZZZN2at6native31launch_logcumsumexp_cuda_kernelERKNSB_10TensorBaseESF_lENKUlvE_clEvENKUlvE0_clEvEUlffE_fEEDaPvRmT3_T4_T5_mT6_P12ihipStream_tbENKUlT_T0_E_clISt17integral_constantIbLb0EESV_IbLb1EEEEDaSR_SS_EUlSR_E_NS1_11comp_targetILNS1_3genE5ELNS1_11target_archE942ELNS1_3gpuE9ELNS1_3repE0EEENS1_30default_config_static_selectorELNS0_4arch9wavefront6targetE0EEEvT1_.num_named_barrier, 0
	.set _ZN7rocprim17ROCPRIM_400000_NS6detail17trampoline_kernelINS0_14default_configENS1_20scan_config_selectorIfEEZZNS1_9scan_implILNS1_25lookback_scan_determinismE0ELb0ELb0ES3_PKfPffZZZN2at6native31launch_logcumsumexp_cuda_kernelERKNSB_10TensorBaseESF_lENKUlvE_clEvENKUlvE0_clEvEUlffE_fEEDaPvRmT3_T4_T5_mT6_P12ihipStream_tbENKUlT_T0_E_clISt17integral_constantIbLb0EESV_IbLb1EEEEDaSR_SS_EUlSR_E_NS1_11comp_targetILNS1_3genE5ELNS1_11target_archE942ELNS1_3gpuE9ELNS1_3repE0EEENS1_30default_config_static_selectorELNS0_4arch9wavefront6targetE0EEEvT1_.private_seg_size, 0
	.set _ZN7rocprim17ROCPRIM_400000_NS6detail17trampoline_kernelINS0_14default_configENS1_20scan_config_selectorIfEEZZNS1_9scan_implILNS1_25lookback_scan_determinismE0ELb0ELb0ES3_PKfPffZZZN2at6native31launch_logcumsumexp_cuda_kernelERKNSB_10TensorBaseESF_lENKUlvE_clEvENKUlvE0_clEvEUlffE_fEEDaPvRmT3_T4_T5_mT6_P12ihipStream_tbENKUlT_T0_E_clISt17integral_constantIbLb0EESV_IbLb1EEEEDaSR_SS_EUlSR_E_NS1_11comp_targetILNS1_3genE5ELNS1_11target_archE942ELNS1_3gpuE9ELNS1_3repE0EEENS1_30default_config_static_selectorELNS0_4arch9wavefront6targetE0EEEvT1_.uses_vcc, 0
	.set _ZN7rocprim17ROCPRIM_400000_NS6detail17trampoline_kernelINS0_14default_configENS1_20scan_config_selectorIfEEZZNS1_9scan_implILNS1_25lookback_scan_determinismE0ELb0ELb0ES3_PKfPffZZZN2at6native31launch_logcumsumexp_cuda_kernelERKNSB_10TensorBaseESF_lENKUlvE_clEvENKUlvE0_clEvEUlffE_fEEDaPvRmT3_T4_T5_mT6_P12ihipStream_tbENKUlT_T0_E_clISt17integral_constantIbLb0EESV_IbLb1EEEEDaSR_SS_EUlSR_E_NS1_11comp_targetILNS1_3genE5ELNS1_11target_archE942ELNS1_3gpuE9ELNS1_3repE0EEENS1_30default_config_static_selectorELNS0_4arch9wavefront6targetE0EEEvT1_.uses_flat_scratch, 0
	.set _ZN7rocprim17ROCPRIM_400000_NS6detail17trampoline_kernelINS0_14default_configENS1_20scan_config_selectorIfEEZZNS1_9scan_implILNS1_25lookback_scan_determinismE0ELb0ELb0ES3_PKfPffZZZN2at6native31launch_logcumsumexp_cuda_kernelERKNSB_10TensorBaseESF_lENKUlvE_clEvENKUlvE0_clEvEUlffE_fEEDaPvRmT3_T4_T5_mT6_P12ihipStream_tbENKUlT_T0_E_clISt17integral_constantIbLb0EESV_IbLb1EEEEDaSR_SS_EUlSR_E_NS1_11comp_targetILNS1_3genE5ELNS1_11target_archE942ELNS1_3gpuE9ELNS1_3repE0EEENS1_30default_config_static_selectorELNS0_4arch9wavefront6targetE0EEEvT1_.has_dyn_sized_stack, 0
	.set _ZN7rocprim17ROCPRIM_400000_NS6detail17trampoline_kernelINS0_14default_configENS1_20scan_config_selectorIfEEZZNS1_9scan_implILNS1_25lookback_scan_determinismE0ELb0ELb0ES3_PKfPffZZZN2at6native31launch_logcumsumexp_cuda_kernelERKNSB_10TensorBaseESF_lENKUlvE_clEvENKUlvE0_clEvEUlffE_fEEDaPvRmT3_T4_T5_mT6_P12ihipStream_tbENKUlT_T0_E_clISt17integral_constantIbLb0EESV_IbLb1EEEEDaSR_SS_EUlSR_E_NS1_11comp_targetILNS1_3genE5ELNS1_11target_archE942ELNS1_3gpuE9ELNS1_3repE0EEENS1_30default_config_static_selectorELNS0_4arch9wavefront6targetE0EEEvT1_.has_recursion, 0
	.set _ZN7rocprim17ROCPRIM_400000_NS6detail17trampoline_kernelINS0_14default_configENS1_20scan_config_selectorIfEEZZNS1_9scan_implILNS1_25lookback_scan_determinismE0ELb0ELb0ES3_PKfPffZZZN2at6native31launch_logcumsumexp_cuda_kernelERKNSB_10TensorBaseESF_lENKUlvE_clEvENKUlvE0_clEvEUlffE_fEEDaPvRmT3_T4_T5_mT6_P12ihipStream_tbENKUlT_T0_E_clISt17integral_constantIbLb0EESV_IbLb1EEEEDaSR_SS_EUlSR_E_NS1_11comp_targetILNS1_3genE5ELNS1_11target_archE942ELNS1_3gpuE9ELNS1_3repE0EEENS1_30default_config_static_selectorELNS0_4arch9wavefront6targetE0EEEvT1_.has_indirect_call, 0
	.section	.AMDGPU.csdata,"",@progbits
; Kernel info:
; codeLenInByte = 0
; TotalNumSgprs: 0
; NumVgprs: 0
; ScratchSize: 0
; MemoryBound: 0
; FloatMode: 240
; IeeeMode: 1
; LDSByteSize: 0 bytes/workgroup (compile time only)
; SGPRBlocks: 0
; VGPRBlocks: 0
; NumSGPRsForWavesPerEU: 1
; NumVGPRsForWavesPerEU: 1
; Occupancy: 16
; WaveLimiterHint : 0
; COMPUTE_PGM_RSRC2:SCRATCH_EN: 0
; COMPUTE_PGM_RSRC2:USER_SGPR: 6
; COMPUTE_PGM_RSRC2:TRAP_HANDLER: 0
; COMPUTE_PGM_RSRC2:TGID_X_EN: 1
; COMPUTE_PGM_RSRC2:TGID_Y_EN: 0
; COMPUTE_PGM_RSRC2:TGID_Z_EN: 0
; COMPUTE_PGM_RSRC2:TIDIG_COMP_CNT: 0
	.section	.text._ZN7rocprim17ROCPRIM_400000_NS6detail17trampoline_kernelINS0_14default_configENS1_20scan_config_selectorIfEEZZNS1_9scan_implILNS1_25lookback_scan_determinismE0ELb0ELb0ES3_PKfPffZZZN2at6native31launch_logcumsumexp_cuda_kernelERKNSB_10TensorBaseESF_lENKUlvE_clEvENKUlvE0_clEvEUlffE_fEEDaPvRmT3_T4_T5_mT6_P12ihipStream_tbENKUlT_T0_E_clISt17integral_constantIbLb0EESV_IbLb1EEEEDaSR_SS_EUlSR_E_NS1_11comp_targetILNS1_3genE4ELNS1_11target_archE910ELNS1_3gpuE8ELNS1_3repE0EEENS1_30default_config_static_selectorELNS0_4arch9wavefront6targetE0EEEvT1_,"axG",@progbits,_ZN7rocprim17ROCPRIM_400000_NS6detail17trampoline_kernelINS0_14default_configENS1_20scan_config_selectorIfEEZZNS1_9scan_implILNS1_25lookback_scan_determinismE0ELb0ELb0ES3_PKfPffZZZN2at6native31launch_logcumsumexp_cuda_kernelERKNSB_10TensorBaseESF_lENKUlvE_clEvENKUlvE0_clEvEUlffE_fEEDaPvRmT3_T4_T5_mT6_P12ihipStream_tbENKUlT_T0_E_clISt17integral_constantIbLb0EESV_IbLb1EEEEDaSR_SS_EUlSR_E_NS1_11comp_targetILNS1_3genE4ELNS1_11target_archE910ELNS1_3gpuE8ELNS1_3repE0EEENS1_30default_config_static_selectorELNS0_4arch9wavefront6targetE0EEEvT1_,comdat
	.globl	_ZN7rocprim17ROCPRIM_400000_NS6detail17trampoline_kernelINS0_14default_configENS1_20scan_config_selectorIfEEZZNS1_9scan_implILNS1_25lookback_scan_determinismE0ELb0ELb0ES3_PKfPffZZZN2at6native31launch_logcumsumexp_cuda_kernelERKNSB_10TensorBaseESF_lENKUlvE_clEvENKUlvE0_clEvEUlffE_fEEDaPvRmT3_T4_T5_mT6_P12ihipStream_tbENKUlT_T0_E_clISt17integral_constantIbLb0EESV_IbLb1EEEEDaSR_SS_EUlSR_E_NS1_11comp_targetILNS1_3genE4ELNS1_11target_archE910ELNS1_3gpuE8ELNS1_3repE0EEENS1_30default_config_static_selectorELNS0_4arch9wavefront6targetE0EEEvT1_ ; -- Begin function _ZN7rocprim17ROCPRIM_400000_NS6detail17trampoline_kernelINS0_14default_configENS1_20scan_config_selectorIfEEZZNS1_9scan_implILNS1_25lookback_scan_determinismE0ELb0ELb0ES3_PKfPffZZZN2at6native31launch_logcumsumexp_cuda_kernelERKNSB_10TensorBaseESF_lENKUlvE_clEvENKUlvE0_clEvEUlffE_fEEDaPvRmT3_T4_T5_mT6_P12ihipStream_tbENKUlT_T0_E_clISt17integral_constantIbLb0EESV_IbLb1EEEEDaSR_SS_EUlSR_E_NS1_11comp_targetILNS1_3genE4ELNS1_11target_archE910ELNS1_3gpuE8ELNS1_3repE0EEENS1_30default_config_static_selectorELNS0_4arch9wavefront6targetE0EEEvT1_
	.p2align	8
	.type	_ZN7rocprim17ROCPRIM_400000_NS6detail17trampoline_kernelINS0_14default_configENS1_20scan_config_selectorIfEEZZNS1_9scan_implILNS1_25lookback_scan_determinismE0ELb0ELb0ES3_PKfPffZZZN2at6native31launch_logcumsumexp_cuda_kernelERKNSB_10TensorBaseESF_lENKUlvE_clEvENKUlvE0_clEvEUlffE_fEEDaPvRmT3_T4_T5_mT6_P12ihipStream_tbENKUlT_T0_E_clISt17integral_constantIbLb0EESV_IbLb1EEEEDaSR_SS_EUlSR_E_NS1_11comp_targetILNS1_3genE4ELNS1_11target_archE910ELNS1_3gpuE8ELNS1_3repE0EEENS1_30default_config_static_selectorELNS0_4arch9wavefront6targetE0EEEvT1_,@function
_ZN7rocprim17ROCPRIM_400000_NS6detail17trampoline_kernelINS0_14default_configENS1_20scan_config_selectorIfEEZZNS1_9scan_implILNS1_25lookback_scan_determinismE0ELb0ELb0ES3_PKfPffZZZN2at6native31launch_logcumsumexp_cuda_kernelERKNSB_10TensorBaseESF_lENKUlvE_clEvENKUlvE0_clEvEUlffE_fEEDaPvRmT3_T4_T5_mT6_P12ihipStream_tbENKUlT_T0_E_clISt17integral_constantIbLb0EESV_IbLb1EEEEDaSR_SS_EUlSR_E_NS1_11comp_targetILNS1_3genE4ELNS1_11target_archE910ELNS1_3gpuE8ELNS1_3repE0EEENS1_30default_config_static_selectorELNS0_4arch9wavefront6targetE0EEEvT1_: ; @_ZN7rocprim17ROCPRIM_400000_NS6detail17trampoline_kernelINS0_14default_configENS1_20scan_config_selectorIfEEZZNS1_9scan_implILNS1_25lookback_scan_determinismE0ELb0ELb0ES3_PKfPffZZZN2at6native31launch_logcumsumexp_cuda_kernelERKNSB_10TensorBaseESF_lENKUlvE_clEvENKUlvE0_clEvEUlffE_fEEDaPvRmT3_T4_T5_mT6_P12ihipStream_tbENKUlT_T0_E_clISt17integral_constantIbLb0EESV_IbLb1EEEEDaSR_SS_EUlSR_E_NS1_11comp_targetILNS1_3genE4ELNS1_11target_archE910ELNS1_3gpuE8ELNS1_3repE0EEENS1_30default_config_static_selectorELNS0_4arch9wavefront6targetE0EEEvT1_
; %bb.0:
	.section	.rodata,"a",@progbits
	.p2align	6, 0x0
	.amdhsa_kernel _ZN7rocprim17ROCPRIM_400000_NS6detail17trampoline_kernelINS0_14default_configENS1_20scan_config_selectorIfEEZZNS1_9scan_implILNS1_25lookback_scan_determinismE0ELb0ELb0ES3_PKfPffZZZN2at6native31launch_logcumsumexp_cuda_kernelERKNSB_10TensorBaseESF_lENKUlvE_clEvENKUlvE0_clEvEUlffE_fEEDaPvRmT3_T4_T5_mT6_P12ihipStream_tbENKUlT_T0_E_clISt17integral_constantIbLb0EESV_IbLb1EEEEDaSR_SS_EUlSR_E_NS1_11comp_targetILNS1_3genE4ELNS1_11target_archE910ELNS1_3gpuE8ELNS1_3repE0EEENS1_30default_config_static_selectorELNS0_4arch9wavefront6targetE0EEEvT1_
		.amdhsa_group_segment_fixed_size 0
		.amdhsa_private_segment_fixed_size 0
		.amdhsa_kernarg_size 96
		.amdhsa_user_sgpr_count 6
		.amdhsa_user_sgpr_private_segment_buffer 1
		.amdhsa_user_sgpr_dispatch_ptr 0
		.amdhsa_user_sgpr_queue_ptr 0
		.amdhsa_user_sgpr_kernarg_segment_ptr 1
		.amdhsa_user_sgpr_dispatch_id 0
		.amdhsa_user_sgpr_flat_scratch_init 0
		.amdhsa_user_sgpr_private_segment_size 0
		.amdhsa_wavefront_size32 1
		.amdhsa_uses_dynamic_stack 0
		.amdhsa_system_sgpr_private_segment_wavefront_offset 0
		.amdhsa_system_sgpr_workgroup_id_x 1
		.amdhsa_system_sgpr_workgroup_id_y 0
		.amdhsa_system_sgpr_workgroup_id_z 0
		.amdhsa_system_sgpr_workgroup_info 0
		.amdhsa_system_vgpr_workitem_id 0
		.amdhsa_next_free_vgpr 1
		.amdhsa_next_free_sgpr 1
		.amdhsa_reserve_vcc 0
		.amdhsa_reserve_flat_scratch 0
		.amdhsa_float_round_mode_32 0
		.amdhsa_float_round_mode_16_64 0
		.amdhsa_float_denorm_mode_32 3
		.amdhsa_float_denorm_mode_16_64 3
		.amdhsa_dx10_clamp 1
		.amdhsa_ieee_mode 1
		.amdhsa_fp16_overflow 0
		.amdhsa_workgroup_processor_mode 1
		.amdhsa_memory_ordered 1
		.amdhsa_forward_progress 1
		.amdhsa_shared_vgpr_count 0
		.amdhsa_exception_fp_ieee_invalid_op 0
		.amdhsa_exception_fp_denorm_src 0
		.amdhsa_exception_fp_ieee_div_zero 0
		.amdhsa_exception_fp_ieee_overflow 0
		.amdhsa_exception_fp_ieee_underflow 0
		.amdhsa_exception_fp_ieee_inexact 0
		.amdhsa_exception_int_div_zero 0
	.end_amdhsa_kernel
	.section	.text._ZN7rocprim17ROCPRIM_400000_NS6detail17trampoline_kernelINS0_14default_configENS1_20scan_config_selectorIfEEZZNS1_9scan_implILNS1_25lookback_scan_determinismE0ELb0ELb0ES3_PKfPffZZZN2at6native31launch_logcumsumexp_cuda_kernelERKNSB_10TensorBaseESF_lENKUlvE_clEvENKUlvE0_clEvEUlffE_fEEDaPvRmT3_T4_T5_mT6_P12ihipStream_tbENKUlT_T0_E_clISt17integral_constantIbLb0EESV_IbLb1EEEEDaSR_SS_EUlSR_E_NS1_11comp_targetILNS1_3genE4ELNS1_11target_archE910ELNS1_3gpuE8ELNS1_3repE0EEENS1_30default_config_static_selectorELNS0_4arch9wavefront6targetE0EEEvT1_,"axG",@progbits,_ZN7rocprim17ROCPRIM_400000_NS6detail17trampoline_kernelINS0_14default_configENS1_20scan_config_selectorIfEEZZNS1_9scan_implILNS1_25lookback_scan_determinismE0ELb0ELb0ES3_PKfPffZZZN2at6native31launch_logcumsumexp_cuda_kernelERKNSB_10TensorBaseESF_lENKUlvE_clEvENKUlvE0_clEvEUlffE_fEEDaPvRmT3_T4_T5_mT6_P12ihipStream_tbENKUlT_T0_E_clISt17integral_constantIbLb0EESV_IbLb1EEEEDaSR_SS_EUlSR_E_NS1_11comp_targetILNS1_3genE4ELNS1_11target_archE910ELNS1_3gpuE8ELNS1_3repE0EEENS1_30default_config_static_selectorELNS0_4arch9wavefront6targetE0EEEvT1_,comdat
.Lfunc_end155:
	.size	_ZN7rocprim17ROCPRIM_400000_NS6detail17trampoline_kernelINS0_14default_configENS1_20scan_config_selectorIfEEZZNS1_9scan_implILNS1_25lookback_scan_determinismE0ELb0ELb0ES3_PKfPffZZZN2at6native31launch_logcumsumexp_cuda_kernelERKNSB_10TensorBaseESF_lENKUlvE_clEvENKUlvE0_clEvEUlffE_fEEDaPvRmT3_T4_T5_mT6_P12ihipStream_tbENKUlT_T0_E_clISt17integral_constantIbLb0EESV_IbLb1EEEEDaSR_SS_EUlSR_E_NS1_11comp_targetILNS1_3genE4ELNS1_11target_archE910ELNS1_3gpuE8ELNS1_3repE0EEENS1_30default_config_static_selectorELNS0_4arch9wavefront6targetE0EEEvT1_, .Lfunc_end155-_ZN7rocprim17ROCPRIM_400000_NS6detail17trampoline_kernelINS0_14default_configENS1_20scan_config_selectorIfEEZZNS1_9scan_implILNS1_25lookback_scan_determinismE0ELb0ELb0ES3_PKfPffZZZN2at6native31launch_logcumsumexp_cuda_kernelERKNSB_10TensorBaseESF_lENKUlvE_clEvENKUlvE0_clEvEUlffE_fEEDaPvRmT3_T4_T5_mT6_P12ihipStream_tbENKUlT_T0_E_clISt17integral_constantIbLb0EESV_IbLb1EEEEDaSR_SS_EUlSR_E_NS1_11comp_targetILNS1_3genE4ELNS1_11target_archE910ELNS1_3gpuE8ELNS1_3repE0EEENS1_30default_config_static_selectorELNS0_4arch9wavefront6targetE0EEEvT1_
                                        ; -- End function
	.set _ZN7rocprim17ROCPRIM_400000_NS6detail17trampoline_kernelINS0_14default_configENS1_20scan_config_selectorIfEEZZNS1_9scan_implILNS1_25lookback_scan_determinismE0ELb0ELb0ES3_PKfPffZZZN2at6native31launch_logcumsumexp_cuda_kernelERKNSB_10TensorBaseESF_lENKUlvE_clEvENKUlvE0_clEvEUlffE_fEEDaPvRmT3_T4_T5_mT6_P12ihipStream_tbENKUlT_T0_E_clISt17integral_constantIbLb0EESV_IbLb1EEEEDaSR_SS_EUlSR_E_NS1_11comp_targetILNS1_3genE4ELNS1_11target_archE910ELNS1_3gpuE8ELNS1_3repE0EEENS1_30default_config_static_selectorELNS0_4arch9wavefront6targetE0EEEvT1_.num_vgpr, 0
	.set _ZN7rocprim17ROCPRIM_400000_NS6detail17trampoline_kernelINS0_14default_configENS1_20scan_config_selectorIfEEZZNS1_9scan_implILNS1_25lookback_scan_determinismE0ELb0ELb0ES3_PKfPffZZZN2at6native31launch_logcumsumexp_cuda_kernelERKNSB_10TensorBaseESF_lENKUlvE_clEvENKUlvE0_clEvEUlffE_fEEDaPvRmT3_T4_T5_mT6_P12ihipStream_tbENKUlT_T0_E_clISt17integral_constantIbLb0EESV_IbLb1EEEEDaSR_SS_EUlSR_E_NS1_11comp_targetILNS1_3genE4ELNS1_11target_archE910ELNS1_3gpuE8ELNS1_3repE0EEENS1_30default_config_static_selectorELNS0_4arch9wavefront6targetE0EEEvT1_.num_agpr, 0
	.set _ZN7rocprim17ROCPRIM_400000_NS6detail17trampoline_kernelINS0_14default_configENS1_20scan_config_selectorIfEEZZNS1_9scan_implILNS1_25lookback_scan_determinismE0ELb0ELb0ES3_PKfPffZZZN2at6native31launch_logcumsumexp_cuda_kernelERKNSB_10TensorBaseESF_lENKUlvE_clEvENKUlvE0_clEvEUlffE_fEEDaPvRmT3_T4_T5_mT6_P12ihipStream_tbENKUlT_T0_E_clISt17integral_constantIbLb0EESV_IbLb1EEEEDaSR_SS_EUlSR_E_NS1_11comp_targetILNS1_3genE4ELNS1_11target_archE910ELNS1_3gpuE8ELNS1_3repE0EEENS1_30default_config_static_selectorELNS0_4arch9wavefront6targetE0EEEvT1_.numbered_sgpr, 0
	.set _ZN7rocprim17ROCPRIM_400000_NS6detail17trampoline_kernelINS0_14default_configENS1_20scan_config_selectorIfEEZZNS1_9scan_implILNS1_25lookback_scan_determinismE0ELb0ELb0ES3_PKfPffZZZN2at6native31launch_logcumsumexp_cuda_kernelERKNSB_10TensorBaseESF_lENKUlvE_clEvENKUlvE0_clEvEUlffE_fEEDaPvRmT3_T4_T5_mT6_P12ihipStream_tbENKUlT_T0_E_clISt17integral_constantIbLb0EESV_IbLb1EEEEDaSR_SS_EUlSR_E_NS1_11comp_targetILNS1_3genE4ELNS1_11target_archE910ELNS1_3gpuE8ELNS1_3repE0EEENS1_30default_config_static_selectorELNS0_4arch9wavefront6targetE0EEEvT1_.num_named_barrier, 0
	.set _ZN7rocprim17ROCPRIM_400000_NS6detail17trampoline_kernelINS0_14default_configENS1_20scan_config_selectorIfEEZZNS1_9scan_implILNS1_25lookback_scan_determinismE0ELb0ELb0ES3_PKfPffZZZN2at6native31launch_logcumsumexp_cuda_kernelERKNSB_10TensorBaseESF_lENKUlvE_clEvENKUlvE0_clEvEUlffE_fEEDaPvRmT3_T4_T5_mT6_P12ihipStream_tbENKUlT_T0_E_clISt17integral_constantIbLb0EESV_IbLb1EEEEDaSR_SS_EUlSR_E_NS1_11comp_targetILNS1_3genE4ELNS1_11target_archE910ELNS1_3gpuE8ELNS1_3repE0EEENS1_30default_config_static_selectorELNS0_4arch9wavefront6targetE0EEEvT1_.private_seg_size, 0
	.set _ZN7rocprim17ROCPRIM_400000_NS6detail17trampoline_kernelINS0_14default_configENS1_20scan_config_selectorIfEEZZNS1_9scan_implILNS1_25lookback_scan_determinismE0ELb0ELb0ES3_PKfPffZZZN2at6native31launch_logcumsumexp_cuda_kernelERKNSB_10TensorBaseESF_lENKUlvE_clEvENKUlvE0_clEvEUlffE_fEEDaPvRmT3_T4_T5_mT6_P12ihipStream_tbENKUlT_T0_E_clISt17integral_constantIbLb0EESV_IbLb1EEEEDaSR_SS_EUlSR_E_NS1_11comp_targetILNS1_3genE4ELNS1_11target_archE910ELNS1_3gpuE8ELNS1_3repE0EEENS1_30default_config_static_selectorELNS0_4arch9wavefront6targetE0EEEvT1_.uses_vcc, 0
	.set _ZN7rocprim17ROCPRIM_400000_NS6detail17trampoline_kernelINS0_14default_configENS1_20scan_config_selectorIfEEZZNS1_9scan_implILNS1_25lookback_scan_determinismE0ELb0ELb0ES3_PKfPffZZZN2at6native31launch_logcumsumexp_cuda_kernelERKNSB_10TensorBaseESF_lENKUlvE_clEvENKUlvE0_clEvEUlffE_fEEDaPvRmT3_T4_T5_mT6_P12ihipStream_tbENKUlT_T0_E_clISt17integral_constantIbLb0EESV_IbLb1EEEEDaSR_SS_EUlSR_E_NS1_11comp_targetILNS1_3genE4ELNS1_11target_archE910ELNS1_3gpuE8ELNS1_3repE0EEENS1_30default_config_static_selectorELNS0_4arch9wavefront6targetE0EEEvT1_.uses_flat_scratch, 0
	.set _ZN7rocprim17ROCPRIM_400000_NS6detail17trampoline_kernelINS0_14default_configENS1_20scan_config_selectorIfEEZZNS1_9scan_implILNS1_25lookback_scan_determinismE0ELb0ELb0ES3_PKfPffZZZN2at6native31launch_logcumsumexp_cuda_kernelERKNSB_10TensorBaseESF_lENKUlvE_clEvENKUlvE0_clEvEUlffE_fEEDaPvRmT3_T4_T5_mT6_P12ihipStream_tbENKUlT_T0_E_clISt17integral_constantIbLb0EESV_IbLb1EEEEDaSR_SS_EUlSR_E_NS1_11comp_targetILNS1_3genE4ELNS1_11target_archE910ELNS1_3gpuE8ELNS1_3repE0EEENS1_30default_config_static_selectorELNS0_4arch9wavefront6targetE0EEEvT1_.has_dyn_sized_stack, 0
	.set _ZN7rocprim17ROCPRIM_400000_NS6detail17trampoline_kernelINS0_14default_configENS1_20scan_config_selectorIfEEZZNS1_9scan_implILNS1_25lookback_scan_determinismE0ELb0ELb0ES3_PKfPffZZZN2at6native31launch_logcumsumexp_cuda_kernelERKNSB_10TensorBaseESF_lENKUlvE_clEvENKUlvE0_clEvEUlffE_fEEDaPvRmT3_T4_T5_mT6_P12ihipStream_tbENKUlT_T0_E_clISt17integral_constantIbLb0EESV_IbLb1EEEEDaSR_SS_EUlSR_E_NS1_11comp_targetILNS1_3genE4ELNS1_11target_archE910ELNS1_3gpuE8ELNS1_3repE0EEENS1_30default_config_static_selectorELNS0_4arch9wavefront6targetE0EEEvT1_.has_recursion, 0
	.set _ZN7rocprim17ROCPRIM_400000_NS6detail17trampoline_kernelINS0_14default_configENS1_20scan_config_selectorIfEEZZNS1_9scan_implILNS1_25lookback_scan_determinismE0ELb0ELb0ES3_PKfPffZZZN2at6native31launch_logcumsumexp_cuda_kernelERKNSB_10TensorBaseESF_lENKUlvE_clEvENKUlvE0_clEvEUlffE_fEEDaPvRmT3_T4_T5_mT6_P12ihipStream_tbENKUlT_T0_E_clISt17integral_constantIbLb0EESV_IbLb1EEEEDaSR_SS_EUlSR_E_NS1_11comp_targetILNS1_3genE4ELNS1_11target_archE910ELNS1_3gpuE8ELNS1_3repE0EEENS1_30default_config_static_selectorELNS0_4arch9wavefront6targetE0EEEvT1_.has_indirect_call, 0
	.section	.AMDGPU.csdata,"",@progbits
; Kernel info:
; codeLenInByte = 0
; TotalNumSgprs: 0
; NumVgprs: 0
; ScratchSize: 0
; MemoryBound: 0
; FloatMode: 240
; IeeeMode: 1
; LDSByteSize: 0 bytes/workgroup (compile time only)
; SGPRBlocks: 0
; VGPRBlocks: 0
; NumSGPRsForWavesPerEU: 1
; NumVGPRsForWavesPerEU: 1
; Occupancy: 16
; WaveLimiterHint : 0
; COMPUTE_PGM_RSRC2:SCRATCH_EN: 0
; COMPUTE_PGM_RSRC2:USER_SGPR: 6
; COMPUTE_PGM_RSRC2:TRAP_HANDLER: 0
; COMPUTE_PGM_RSRC2:TGID_X_EN: 1
; COMPUTE_PGM_RSRC2:TGID_Y_EN: 0
; COMPUTE_PGM_RSRC2:TGID_Z_EN: 0
; COMPUTE_PGM_RSRC2:TIDIG_COMP_CNT: 0
	.section	.text._ZN7rocprim17ROCPRIM_400000_NS6detail17trampoline_kernelINS0_14default_configENS1_20scan_config_selectorIfEEZZNS1_9scan_implILNS1_25lookback_scan_determinismE0ELb0ELb0ES3_PKfPffZZZN2at6native31launch_logcumsumexp_cuda_kernelERKNSB_10TensorBaseESF_lENKUlvE_clEvENKUlvE0_clEvEUlffE_fEEDaPvRmT3_T4_T5_mT6_P12ihipStream_tbENKUlT_T0_E_clISt17integral_constantIbLb0EESV_IbLb1EEEEDaSR_SS_EUlSR_E_NS1_11comp_targetILNS1_3genE3ELNS1_11target_archE908ELNS1_3gpuE7ELNS1_3repE0EEENS1_30default_config_static_selectorELNS0_4arch9wavefront6targetE0EEEvT1_,"axG",@progbits,_ZN7rocprim17ROCPRIM_400000_NS6detail17trampoline_kernelINS0_14default_configENS1_20scan_config_selectorIfEEZZNS1_9scan_implILNS1_25lookback_scan_determinismE0ELb0ELb0ES3_PKfPffZZZN2at6native31launch_logcumsumexp_cuda_kernelERKNSB_10TensorBaseESF_lENKUlvE_clEvENKUlvE0_clEvEUlffE_fEEDaPvRmT3_T4_T5_mT6_P12ihipStream_tbENKUlT_T0_E_clISt17integral_constantIbLb0EESV_IbLb1EEEEDaSR_SS_EUlSR_E_NS1_11comp_targetILNS1_3genE3ELNS1_11target_archE908ELNS1_3gpuE7ELNS1_3repE0EEENS1_30default_config_static_selectorELNS0_4arch9wavefront6targetE0EEEvT1_,comdat
	.globl	_ZN7rocprim17ROCPRIM_400000_NS6detail17trampoline_kernelINS0_14default_configENS1_20scan_config_selectorIfEEZZNS1_9scan_implILNS1_25lookback_scan_determinismE0ELb0ELb0ES3_PKfPffZZZN2at6native31launch_logcumsumexp_cuda_kernelERKNSB_10TensorBaseESF_lENKUlvE_clEvENKUlvE0_clEvEUlffE_fEEDaPvRmT3_T4_T5_mT6_P12ihipStream_tbENKUlT_T0_E_clISt17integral_constantIbLb0EESV_IbLb1EEEEDaSR_SS_EUlSR_E_NS1_11comp_targetILNS1_3genE3ELNS1_11target_archE908ELNS1_3gpuE7ELNS1_3repE0EEENS1_30default_config_static_selectorELNS0_4arch9wavefront6targetE0EEEvT1_ ; -- Begin function _ZN7rocprim17ROCPRIM_400000_NS6detail17trampoline_kernelINS0_14default_configENS1_20scan_config_selectorIfEEZZNS1_9scan_implILNS1_25lookback_scan_determinismE0ELb0ELb0ES3_PKfPffZZZN2at6native31launch_logcumsumexp_cuda_kernelERKNSB_10TensorBaseESF_lENKUlvE_clEvENKUlvE0_clEvEUlffE_fEEDaPvRmT3_T4_T5_mT6_P12ihipStream_tbENKUlT_T0_E_clISt17integral_constantIbLb0EESV_IbLb1EEEEDaSR_SS_EUlSR_E_NS1_11comp_targetILNS1_3genE3ELNS1_11target_archE908ELNS1_3gpuE7ELNS1_3repE0EEENS1_30default_config_static_selectorELNS0_4arch9wavefront6targetE0EEEvT1_
	.p2align	8
	.type	_ZN7rocprim17ROCPRIM_400000_NS6detail17trampoline_kernelINS0_14default_configENS1_20scan_config_selectorIfEEZZNS1_9scan_implILNS1_25lookback_scan_determinismE0ELb0ELb0ES3_PKfPffZZZN2at6native31launch_logcumsumexp_cuda_kernelERKNSB_10TensorBaseESF_lENKUlvE_clEvENKUlvE0_clEvEUlffE_fEEDaPvRmT3_T4_T5_mT6_P12ihipStream_tbENKUlT_T0_E_clISt17integral_constantIbLb0EESV_IbLb1EEEEDaSR_SS_EUlSR_E_NS1_11comp_targetILNS1_3genE3ELNS1_11target_archE908ELNS1_3gpuE7ELNS1_3repE0EEENS1_30default_config_static_selectorELNS0_4arch9wavefront6targetE0EEEvT1_,@function
_ZN7rocprim17ROCPRIM_400000_NS6detail17trampoline_kernelINS0_14default_configENS1_20scan_config_selectorIfEEZZNS1_9scan_implILNS1_25lookback_scan_determinismE0ELb0ELb0ES3_PKfPffZZZN2at6native31launch_logcumsumexp_cuda_kernelERKNSB_10TensorBaseESF_lENKUlvE_clEvENKUlvE0_clEvEUlffE_fEEDaPvRmT3_T4_T5_mT6_P12ihipStream_tbENKUlT_T0_E_clISt17integral_constantIbLb0EESV_IbLb1EEEEDaSR_SS_EUlSR_E_NS1_11comp_targetILNS1_3genE3ELNS1_11target_archE908ELNS1_3gpuE7ELNS1_3repE0EEENS1_30default_config_static_selectorELNS0_4arch9wavefront6targetE0EEEvT1_: ; @_ZN7rocprim17ROCPRIM_400000_NS6detail17trampoline_kernelINS0_14default_configENS1_20scan_config_selectorIfEEZZNS1_9scan_implILNS1_25lookback_scan_determinismE0ELb0ELb0ES3_PKfPffZZZN2at6native31launch_logcumsumexp_cuda_kernelERKNSB_10TensorBaseESF_lENKUlvE_clEvENKUlvE0_clEvEUlffE_fEEDaPvRmT3_T4_T5_mT6_P12ihipStream_tbENKUlT_T0_E_clISt17integral_constantIbLb0EESV_IbLb1EEEEDaSR_SS_EUlSR_E_NS1_11comp_targetILNS1_3genE3ELNS1_11target_archE908ELNS1_3gpuE7ELNS1_3repE0EEENS1_30default_config_static_selectorELNS0_4arch9wavefront6targetE0EEEvT1_
; %bb.0:
	.section	.rodata,"a",@progbits
	.p2align	6, 0x0
	.amdhsa_kernel _ZN7rocprim17ROCPRIM_400000_NS6detail17trampoline_kernelINS0_14default_configENS1_20scan_config_selectorIfEEZZNS1_9scan_implILNS1_25lookback_scan_determinismE0ELb0ELb0ES3_PKfPffZZZN2at6native31launch_logcumsumexp_cuda_kernelERKNSB_10TensorBaseESF_lENKUlvE_clEvENKUlvE0_clEvEUlffE_fEEDaPvRmT3_T4_T5_mT6_P12ihipStream_tbENKUlT_T0_E_clISt17integral_constantIbLb0EESV_IbLb1EEEEDaSR_SS_EUlSR_E_NS1_11comp_targetILNS1_3genE3ELNS1_11target_archE908ELNS1_3gpuE7ELNS1_3repE0EEENS1_30default_config_static_selectorELNS0_4arch9wavefront6targetE0EEEvT1_
		.amdhsa_group_segment_fixed_size 0
		.amdhsa_private_segment_fixed_size 0
		.amdhsa_kernarg_size 96
		.amdhsa_user_sgpr_count 6
		.amdhsa_user_sgpr_private_segment_buffer 1
		.amdhsa_user_sgpr_dispatch_ptr 0
		.amdhsa_user_sgpr_queue_ptr 0
		.amdhsa_user_sgpr_kernarg_segment_ptr 1
		.amdhsa_user_sgpr_dispatch_id 0
		.amdhsa_user_sgpr_flat_scratch_init 0
		.amdhsa_user_sgpr_private_segment_size 0
		.amdhsa_wavefront_size32 1
		.amdhsa_uses_dynamic_stack 0
		.amdhsa_system_sgpr_private_segment_wavefront_offset 0
		.amdhsa_system_sgpr_workgroup_id_x 1
		.amdhsa_system_sgpr_workgroup_id_y 0
		.amdhsa_system_sgpr_workgroup_id_z 0
		.amdhsa_system_sgpr_workgroup_info 0
		.amdhsa_system_vgpr_workitem_id 0
		.amdhsa_next_free_vgpr 1
		.amdhsa_next_free_sgpr 1
		.amdhsa_reserve_vcc 0
		.amdhsa_reserve_flat_scratch 0
		.amdhsa_float_round_mode_32 0
		.amdhsa_float_round_mode_16_64 0
		.amdhsa_float_denorm_mode_32 3
		.amdhsa_float_denorm_mode_16_64 3
		.amdhsa_dx10_clamp 1
		.amdhsa_ieee_mode 1
		.amdhsa_fp16_overflow 0
		.amdhsa_workgroup_processor_mode 1
		.amdhsa_memory_ordered 1
		.amdhsa_forward_progress 1
		.amdhsa_shared_vgpr_count 0
		.amdhsa_exception_fp_ieee_invalid_op 0
		.amdhsa_exception_fp_denorm_src 0
		.amdhsa_exception_fp_ieee_div_zero 0
		.amdhsa_exception_fp_ieee_overflow 0
		.amdhsa_exception_fp_ieee_underflow 0
		.amdhsa_exception_fp_ieee_inexact 0
		.amdhsa_exception_int_div_zero 0
	.end_amdhsa_kernel
	.section	.text._ZN7rocprim17ROCPRIM_400000_NS6detail17trampoline_kernelINS0_14default_configENS1_20scan_config_selectorIfEEZZNS1_9scan_implILNS1_25lookback_scan_determinismE0ELb0ELb0ES3_PKfPffZZZN2at6native31launch_logcumsumexp_cuda_kernelERKNSB_10TensorBaseESF_lENKUlvE_clEvENKUlvE0_clEvEUlffE_fEEDaPvRmT3_T4_T5_mT6_P12ihipStream_tbENKUlT_T0_E_clISt17integral_constantIbLb0EESV_IbLb1EEEEDaSR_SS_EUlSR_E_NS1_11comp_targetILNS1_3genE3ELNS1_11target_archE908ELNS1_3gpuE7ELNS1_3repE0EEENS1_30default_config_static_selectorELNS0_4arch9wavefront6targetE0EEEvT1_,"axG",@progbits,_ZN7rocprim17ROCPRIM_400000_NS6detail17trampoline_kernelINS0_14default_configENS1_20scan_config_selectorIfEEZZNS1_9scan_implILNS1_25lookback_scan_determinismE0ELb0ELb0ES3_PKfPffZZZN2at6native31launch_logcumsumexp_cuda_kernelERKNSB_10TensorBaseESF_lENKUlvE_clEvENKUlvE0_clEvEUlffE_fEEDaPvRmT3_T4_T5_mT6_P12ihipStream_tbENKUlT_T0_E_clISt17integral_constantIbLb0EESV_IbLb1EEEEDaSR_SS_EUlSR_E_NS1_11comp_targetILNS1_3genE3ELNS1_11target_archE908ELNS1_3gpuE7ELNS1_3repE0EEENS1_30default_config_static_selectorELNS0_4arch9wavefront6targetE0EEEvT1_,comdat
.Lfunc_end156:
	.size	_ZN7rocprim17ROCPRIM_400000_NS6detail17trampoline_kernelINS0_14default_configENS1_20scan_config_selectorIfEEZZNS1_9scan_implILNS1_25lookback_scan_determinismE0ELb0ELb0ES3_PKfPffZZZN2at6native31launch_logcumsumexp_cuda_kernelERKNSB_10TensorBaseESF_lENKUlvE_clEvENKUlvE0_clEvEUlffE_fEEDaPvRmT3_T4_T5_mT6_P12ihipStream_tbENKUlT_T0_E_clISt17integral_constantIbLb0EESV_IbLb1EEEEDaSR_SS_EUlSR_E_NS1_11comp_targetILNS1_3genE3ELNS1_11target_archE908ELNS1_3gpuE7ELNS1_3repE0EEENS1_30default_config_static_selectorELNS0_4arch9wavefront6targetE0EEEvT1_, .Lfunc_end156-_ZN7rocprim17ROCPRIM_400000_NS6detail17trampoline_kernelINS0_14default_configENS1_20scan_config_selectorIfEEZZNS1_9scan_implILNS1_25lookback_scan_determinismE0ELb0ELb0ES3_PKfPffZZZN2at6native31launch_logcumsumexp_cuda_kernelERKNSB_10TensorBaseESF_lENKUlvE_clEvENKUlvE0_clEvEUlffE_fEEDaPvRmT3_T4_T5_mT6_P12ihipStream_tbENKUlT_T0_E_clISt17integral_constantIbLb0EESV_IbLb1EEEEDaSR_SS_EUlSR_E_NS1_11comp_targetILNS1_3genE3ELNS1_11target_archE908ELNS1_3gpuE7ELNS1_3repE0EEENS1_30default_config_static_selectorELNS0_4arch9wavefront6targetE0EEEvT1_
                                        ; -- End function
	.set _ZN7rocprim17ROCPRIM_400000_NS6detail17trampoline_kernelINS0_14default_configENS1_20scan_config_selectorIfEEZZNS1_9scan_implILNS1_25lookback_scan_determinismE0ELb0ELb0ES3_PKfPffZZZN2at6native31launch_logcumsumexp_cuda_kernelERKNSB_10TensorBaseESF_lENKUlvE_clEvENKUlvE0_clEvEUlffE_fEEDaPvRmT3_T4_T5_mT6_P12ihipStream_tbENKUlT_T0_E_clISt17integral_constantIbLb0EESV_IbLb1EEEEDaSR_SS_EUlSR_E_NS1_11comp_targetILNS1_3genE3ELNS1_11target_archE908ELNS1_3gpuE7ELNS1_3repE0EEENS1_30default_config_static_selectorELNS0_4arch9wavefront6targetE0EEEvT1_.num_vgpr, 0
	.set _ZN7rocprim17ROCPRIM_400000_NS6detail17trampoline_kernelINS0_14default_configENS1_20scan_config_selectorIfEEZZNS1_9scan_implILNS1_25lookback_scan_determinismE0ELb0ELb0ES3_PKfPffZZZN2at6native31launch_logcumsumexp_cuda_kernelERKNSB_10TensorBaseESF_lENKUlvE_clEvENKUlvE0_clEvEUlffE_fEEDaPvRmT3_T4_T5_mT6_P12ihipStream_tbENKUlT_T0_E_clISt17integral_constantIbLb0EESV_IbLb1EEEEDaSR_SS_EUlSR_E_NS1_11comp_targetILNS1_3genE3ELNS1_11target_archE908ELNS1_3gpuE7ELNS1_3repE0EEENS1_30default_config_static_selectorELNS0_4arch9wavefront6targetE0EEEvT1_.num_agpr, 0
	.set _ZN7rocprim17ROCPRIM_400000_NS6detail17trampoline_kernelINS0_14default_configENS1_20scan_config_selectorIfEEZZNS1_9scan_implILNS1_25lookback_scan_determinismE0ELb0ELb0ES3_PKfPffZZZN2at6native31launch_logcumsumexp_cuda_kernelERKNSB_10TensorBaseESF_lENKUlvE_clEvENKUlvE0_clEvEUlffE_fEEDaPvRmT3_T4_T5_mT6_P12ihipStream_tbENKUlT_T0_E_clISt17integral_constantIbLb0EESV_IbLb1EEEEDaSR_SS_EUlSR_E_NS1_11comp_targetILNS1_3genE3ELNS1_11target_archE908ELNS1_3gpuE7ELNS1_3repE0EEENS1_30default_config_static_selectorELNS0_4arch9wavefront6targetE0EEEvT1_.numbered_sgpr, 0
	.set _ZN7rocprim17ROCPRIM_400000_NS6detail17trampoline_kernelINS0_14default_configENS1_20scan_config_selectorIfEEZZNS1_9scan_implILNS1_25lookback_scan_determinismE0ELb0ELb0ES3_PKfPffZZZN2at6native31launch_logcumsumexp_cuda_kernelERKNSB_10TensorBaseESF_lENKUlvE_clEvENKUlvE0_clEvEUlffE_fEEDaPvRmT3_T4_T5_mT6_P12ihipStream_tbENKUlT_T0_E_clISt17integral_constantIbLb0EESV_IbLb1EEEEDaSR_SS_EUlSR_E_NS1_11comp_targetILNS1_3genE3ELNS1_11target_archE908ELNS1_3gpuE7ELNS1_3repE0EEENS1_30default_config_static_selectorELNS0_4arch9wavefront6targetE0EEEvT1_.num_named_barrier, 0
	.set _ZN7rocprim17ROCPRIM_400000_NS6detail17trampoline_kernelINS0_14default_configENS1_20scan_config_selectorIfEEZZNS1_9scan_implILNS1_25lookback_scan_determinismE0ELb0ELb0ES3_PKfPffZZZN2at6native31launch_logcumsumexp_cuda_kernelERKNSB_10TensorBaseESF_lENKUlvE_clEvENKUlvE0_clEvEUlffE_fEEDaPvRmT3_T4_T5_mT6_P12ihipStream_tbENKUlT_T0_E_clISt17integral_constantIbLb0EESV_IbLb1EEEEDaSR_SS_EUlSR_E_NS1_11comp_targetILNS1_3genE3ELNS1_11target_archE908ELNS1_3gpuE7ELNS1_3repE0EEENS1_30default_config_static_selectorELNS0_4arch9wavefront6targetE0EEEvT1_.private_seg_size, 0
	.set _ZN7rocprim17ROCPRIM_400000_NS6detail17trampoline_kernelINS0_14default_configENS1_20scan_config_selectorIfEEZZNS1_9scan_implILNS1_25lookback_scan_determinismE0ELb0ELb0ES3_PKfPffZZZN2at6native31launch_logcumsumexp_cuda_kernelERKNSB_10TensorBaseESF_lENKUlvE_clEvENKUlvE0_clEvEUlffE_fEEDaPvRmT3_T4_T5_mT6_P12ihipStream_tbENKUlT_T0_E_clISt17integral_constantIbLb0EESV_IbLb1EEEEDaSR_SS_EUlSR_E_NS1_11comp_targetILNS1_3genE3ELNS1_11target_archE908ELNS1_3gpuE7ELNS1_3repE0EEENS1_30default_config_static_selectorELNS0_4arch9wavefront6targetE0EEEvT1_.uses_vcc, 0
	.set _ZN7rocprim17ROCPRIM_400000_NS6detail17trampoline_kernelINS0_14default_configENS1_20scan_config_selectorIfEEZZNS1_9scan_implILNS1_25lookback_scan_determinismE0ELb0ELb0ES3_PKfPffZZZN2at6native31launch_logcumsumexp_cuda_kernelERKNSB_10TensorBaseESF_lENKUlvE_clEvENKUlvE0_clEvEUlffE_fEEDaPvRmT3_T4_T5_mT6_P12ihipStream_tbENKUlT_T0_E_clISt17integral_constantIbLb0EESV_IbLb1EEEEDaSR_SS_EUlSR_E_NS1_11comp_targetILNS1_3genE3ELNS1_11target_archE908ELNS1_3gpuE7ELNS1_3repE0EEENS1_30default_config_static_selectorELNS0_4arch9wavefront6targetE0EEEvT1_.uses_flat_scratch, 0
	.set _ZN7rocprim17ROCPRIM_400000_NS6detail17trampoline_kernelINS0_14default_configENS1_20scan_config_selectorIfEEZZNS1_9scan_implILNS1_25lookback_scan_determinismE0ELb0ELb0ES3_PKfPffZZZN2at6native31launch_logcumsumexp_cuda_kernelERKNSB_10TensorBaseESF_lENKUlvE_clEvENKUlvE0_clEvEUlffE_fEEDaPvRmT3_T4_T5_mT6_P12ihipStream_tbENKUlT_T0_E_clISt17integral_constantIbLb0EESV_IbLb1EEEEDaSR_SS_EUlSR_E_NS1_11comp_targetILNS1_3genE3ELNS1_11target_archE908ELNS1_3gpuE7ELNS1_3repE0EEENS1_30default_config_static_selectorELNS0_4arch9wavefront6targetE0EEEvT1_.has_dyn_sized_stack, 0
	.set _ZN7rocprim17ROCPRIM_400000_NS6detail17trampoline_kernelINS0_14default_configENS1_20scan_config_selectorIfEEZZNS1_9scan_implILNS1_25lookback_scan_determinismE0ELb0ELb0ES3_PKfPffZZZN2at6native31launch_logcumsumexp_cuda_kernelERKNSB_10TensorBaseESF_lENKUlvE_clEvENKUlvE0_clEvEUlffE_fEEDaPvRmT3_T4_T5_mT6_P12ihipStream_tbENKUlT_T0_E_clISt17integral_constantIbLb0EESV_IbLb1EEEEDaSR_SS_EUlSR_E_NS1_11comp_targetILNS1_3genE3ELNS1_11target_archE908ELNS1_3gpuE7ELNS1_3repE0EEENS1_30default_config_static_selectorELNS0_4arch9wavefront6targetE0EEEvT1_.has_recursion, 0
	.set _ZN7rocprim17ROCPRIM_400000_NS6detail17trampoline_kernelINS0_14default_configENS1_20scan_config_selectorIfEEZZNS1_9scan_implILNS1_25lookback_scan_determinismE0ELb0ELb0ES3_PKfPffZZZN2at6native31launch_logcumsumexp_cuda_kernelERKNSB_10TensorBaseESF_lENKUlvE_clEvENKUlvE0_clEvEUlffE_fEEDaPvRmT3_T4_T5_mT6_P12ihipStream_tbENKUlT_T0_E_clISt17integral_constantIbLb0EESV_IbLb1EEEEDaSR_SS_EUlSR_E_NS1_11comp_targetILNS1_3genE3ELNS1_11target_archE908ELNS1_3gpuE7ELNS1_3repE0EEENS1_30default_config_static_selectorELNS0_4arch9wavefront6targetE0EEEvT1_.has_indirect_call, 0
	.section	.AMDGPU.csdata,"",@progbits
; Kernel info:
; codeLenInByte = 0
; TotalNumSgprs: 0
; NumVgprs: 0
; ScratchSize: 0
; MemoryBound: 0
; FloatMode: 240
; IeeeMode: 1
; LDSByteSize: 0 bytes/workgroup (compile time only)
; SGPRBlocks: 0
; VGPRBlocks: 0
; NumSGPRsForWavesPerEU: 1
; NumVGPRsForWavesPerEU: 1
; Occupancy: 16
; WaveLimiterHint : 0
; COMPUTE_PGM_RSRC2:SCRATCH_EN: 0
; COMPUTE_PGM_RSRC2:USER_SGPR: 6
; COMPUTE_PGM_RSRC2:TRAP_HANDLER: 0
; COMPUTE_PGM_RSRC2:TGID_X_EN: 1
; COMPUTE_PGM_RSRC2:TGID_Y_EN: 0
; COMPUTE_PGM_RSRC2:TGID_Z_EN: 0
; COMPUTE_PGM_RSRC2:TIDIG_COMP_CNT: 0
	.section	.text._ZN7rocprim17ROCPRIM_400000_NS6detail17trampoline_kernelINS0_14default_configENS1_20scan_config_selectorIfEEZZNS1_9scan_implILNS1_25lookback_scan_determinismE0ELb0ELb0ES3_PKfPffZZZN2at6native31launch_logcumsumexp_cuda_kernelERKNSB_10TensorBaseESF_lENKUlvE_clEvENKUlvE0_clEvEUlffE_fEEDaPvRmT3_T4_T5_mT6_P12ihipStream_tbENKUlT_T0_E_clISt17integral_constantIbLb0EESV_IbLb1EEEEDaSR_SS_EUlSR_E_NS1_11comp_targetILNS1_3genE2ELNS1_11target_archE906ELNS1_3gpuE6ELNS1_3repE0EEENS1_30default_config_static_selectorELNS0_4arch9wavefront6targetE0EEEvT1_,"axG",@progbits,_ZN7rocprim17ROCPRIM_400000_NS6detail17trampoline_kernelINS0_14default_configENS1_20scan_config_selectorIfEEZZNS1_9scan_implILNS1_25lookback_scan_determinismE0ELb0ELb0ES3_PKfPffZZZN2at6native31launch_logcumsumexp_cuda_kernelERKNSB_10TensorBaseESF_lENKUlvE_clEvENKUlvE0_clEvEUlffE_fEEDaPvRmT3_T4_T5_mT6_P12ihipStream_tbENKUlT_T0_E_clISt17integral_constantIbLb0EESV_IbLb1EEEEDaSR_SS_EUlSR_E_NS1_11comp_targetILNS1_3genE2ELNS1_11target_archE906ELNS1_3gpuE6ELNS1_3repE0EEENS1_30default_config_static_selectorELNS0_4arch9wavefront6targetE0EEEvT1_,comdat
	.globl	_ZN7rocprim17ROCPRIM_400000_NS6detail17trampoline_kernelINS0_14default_configENS1_20scan_config_selectorIfEEZZNS1_9scan_implILNS1_25lookback_scan_determinismE0ELb0ELb0ES3_PKfPffZZZN2at6native31launch_logcumsumexp_cuda_kernelERKNSB_10TensorBaseESF_lENKUlvE_clEvENKUlvE0_clEvEUlffE_fEEDaPvRmT3_T4_T5_mT6_P12ihipStream_tbENKUlT_T0_E_clISt17integral_constantIbLb0EESV_IbLb1EEEEDaSR_SS_EUlSR_E_NS1_11comp_targetILNS1_3genE2ELNS1_11target_archE906ELNS1_3gpuE6ELNS1_3repE0EEENS1_30default_config_static_selectorELNS0_4arch9wavefront6targetE0EEEvT1_ ; -- Begin function _ZN7rocprim17ROCPRIM_400000_NS6detail17trampoline_kernelINS0_14default_configENS1_20scan_config_selectorIfEEZZNS1_9scan_implILNS1_25lookback_scan_determinismE0ELb0ELb0ES3_PKfPffZZZN2at6native31launch_logcumsumexp_cuda_kernelERKNSB_10TensorBaseESF_lENKUlvE_clEvENKUlvE0_clEvEUlffE_fEEDaPvRmT3_T4_T5_mT6_P12ihipStream_tbENKUlT_T0_E_clISt17integral_constantIbLb0EESV_IbLb1EEEEDaSR_SS_EUlSR_E_NS1_11comp_targetILNS1_3genE2ELNS1_11target_archE906ELNS1_3gpuE6ELNS1_3repE0EEENS1_30default_config_static_selectorELNS0_4arch9wavefront6targetE0EEEvT1_
	.p2align	8
	.type	_ZN7rocprim17ROCPRIM_400000_NS6detail17trampoline_kernelINS0_14default_configENS1_20scan_config_selectorIfEEZZNS1_9scan_implILNS1_25lookback_scan_determinismE0ELb0ELb0ES3_PKfPffZZZN2at6native31launch_logcumsumexp_cuda_kernelERKNSB_10TensorBaseESF_lENKUlvE_clEvENKUlvE0_clEvEUlffE_fEEDaPvRmT3_T4_T5_mT6_P12ihipStream_tbENKUlT_T0_E_clISt17integral_constantIbLb0EESV_IbLb1EEEEDaSR_SS_EUlSR_E_NS1_11comp_targetILNS1_3genE2ELNS1_11target_archE906ELNS1_3gpuE6ELNS1_3repE0EEENS1_30default_config_static_selectorELNS0_4arch9wavefront6targetE0EEEvT1_,@function
_ZN7rocprim17ROCPRIM_400000_NS6detail17trampoline_kernelINS0_14default_configENS1_20scan_config_selectorIfEEZZNS1_9scan_implILNS1_25lookback_scan_determinismE0ELb0ELb0ES3_PKfPffZZZN2at6native31launch_logcumsumexp_cuda_kernelERKNSB_10TensorBaseESF_lENKUlvE_clEvENKUlvE0_clEvEUlffE_fEEDaPvRmT3_T4_T5_mT6_P12ihipStream_tbENKUlT_T0_E_clISt17integral_constantIbLb0EESV_IbLb1EEEEDaSR_SS_EUlSR_E_NS1_11comp_targetILNS1_3genE2ELNS1_11target_archE906ELNS1_3gpuE6ELNS1_3repE0EEENS1_30default_config_static_selectorELNS0_4arch9wavefront6targetE0EEEvT1_: ; @_ZN7rocprim17ROCPRIM_400000_NS6detail17trampoline_kernelINS0_14default_configENS1_20scan_config_selectorIfEEZZNS1_9scan_implILNS1_25lookback_scan_determinismE0ELb0ELb0ES3_PKfPffZZZN2at6native31launch_logcumsumexp_cuda_kernelERKNSB_10TensorBaseESF_lENKUlvE_clEvENKUlvE0_clEvEUlffE_fEEDaPvRmT3_T4_T5_mT6_P12ihipStream_tbENKUlT_T0_E_clISt17integral_constantIbLb0EESV_IbLb1EEEEDaSR_SS_EUlSR_E_NS1_11comp_targetILNS1_3genE2ELNS1_11target_archE906ELNS1_3gpuE6ELNS1_3repE0EEENS1_30default_config_static_selectorELNS0_4arch9wavefront6targetE0EEEvT1_
; %bb.0:
	.section	.rodata,"a",@progbits
	.p2align	6, 0x0
	.amdhsa_kernel _ZN7rocprim17ROCPRIM_400000_NS6detail17trampoline_kernelINS0_14default_configENS1_20scan_config_selectorIfEEZZNS1_9scan_implILNS1_25lookback_scan_determinismE0ELb0ELb0ES3_PKfPffZZZN2at6native31launch_logcumsumexp_cuda_kernelERKNSB_10TensorBaseESF_lENKUlvE_clEvENKUlvE0_clEvEUlffE_fEEDaPvRmT3_T4_T5_mT6_P12ihipStream_tbENKUlT_T0_E_clISt17integral_constantIbLb0EESV_IbLb1EEEEDaSR_SS_EUlSR_E_NS1_11comp_targetILNS1_3genE2ELNS1_11target_archE906ELNS1_3gpuE6ELNS1_3repE0EEENS1_30default_config_static_selectorELNS0_4arch9wavefront6targetE0EEEvT1_
		.amdhsa_group_segment_fixed_size 0
		.amdhsa_private_segment_fixed_size 0
		.amdhsa_kernarg_size 96
		.amdhsa_user_sgpr_count 6
		.amdhsa_user_sgpr_private_segment_buffer 1
		.amdhsa_user_sgpr_dispatch_ptr 0
		.amdhsa_user_sgpr_queue_ptr 0
		.amdhsa_user_sgpr_kernarg_segment_ptr 1
		.amdhsa_user_sgpr_dispatch_id 0
		.amdhsa_user_sgpr_flat_scratch_init 0
		.amdhsa_user_sgpr_private_segment_size 0
		.amdhsa_wavefront_size32 1
		.amdhsa_uses_dynamic_stack 0
		.amdhsa_system_sgpr_private_segment_wavefront_offset 0
		.amdhsa_system_sgpr_workgroup_id_x 1
		.amdhsa_system_sgpr_workgroup_id_y 0
		.amdhsa_system_sgpr_workgroup_id_z 0
		.amdhsa_system_sgpr_workgroup_info 0
		.amdhsa_system_vgpr_workitem_id 0
		.amdhsa_next_free_vgpr 1
		.amdhsa_next_free_sgpr 1
		.amdhsa_reserve_vcc 0
		.amdhsa_reserve_flat_scratch 0
		.amdhsa_float_round_mode_32 0
		.amdhsa_float_round_mode_16_64 0
		.amdhsa_float_denorm_mode_32 3
		.amdhsa_float_denorm_mode_16_64 3
		.amdhsa_dx10_clamp 1
		.amdhsa_ieee_mode 1
		.amdhsa_fp16_overflow 0
		.amdhsa_workgroup_processor_mode 1
		.amdhsa_memory_ordered 1
		.amdhsa_forward_progress 1
		.amdhsa_shared_vgpr_count 0
		.amdhsa_exception_fp_ieee_invalid_op 0
		.amdhsa_exception_fp_denorm_src 0
		.amdhsa_exception_fp_ieee_div_zero 0
		.amdhsa_exception_fp_ieee_overflow 0
		.amdhsa_exception_fp_ieee_underflow 0
		.amdhsa_exception_fp_ieee_inexact 0
		.amdhsa_exception_int_div_zero 0
	.end_amdhsa_kernel
	.section	.text._ZN7rocprim17ROCPRIM_400000_NS6detail17trampoline_kernelINS0_14default_configENS1_20scan_config_selectorIfEEZZNS1_9scan_implILNS1_25lookback_scan_determinismE0ELb0ELb0ES3_PKfPffZZZN2at6native31launch_logcumsumexp_cuda_kernelERKNSB_10TensorBaseESF_lENKUlvE_clEvENKUlvE0_clEvEUlffE_fEEDaPvRmT3_T4_T5_mT6_P12ihipStream_tbENKUlT_T0_E_clISt17integral_constantIbLb0EESV_IbLb1EEEEDaSR_SS_EUlSR_E_NS1_11comp_targetILNS1_3genE2ELNS1_11target_archE906ELNS1_3gpuE6ELNS1_3repE0EEENS1_30default_config_static_selectorELNS0_4arch9wavefront6targetE0EEEvT1_,"axG",@progbits,_ZN7rocprim17ROCPRIM_400000_NS6detail17trampoline_kernelINS0_14default_configENS1_20scan_config_selectorIfEEZZNS1_9scan_implILNS1_25lookback_scan_determinismE0ELb0ELb0ES3_PKfPffZZZN2at6native31launch_logcumsumexp_cuda_kernelERKNSB_10TensorBaseESF_lENKUlvE_clEvENKUlvE0_clEvEUlffE_fEEDaPvRmT3_T4_T5_mT6_P12ihipStream_tbENKUlT_T0_E_clISt17integral_constantIbLb0EESV_IbLb1EEEEDaSR_SS_EUlSR_E_NS1_11comp_targetILNS1_3genE2ELNS1_11target_archE906ELNS1_3gpuE6ELNS1_3repE0EEENS1_30default_config_static_selectorELNS0_4arch9wavefront6targetE0EEEvT1_,comdat
.Lfunc_end157:
	.size	_ZN7rocprim17ROCPRIM_400000_NS6detail17trampoline_kernelINS0_14default_configENS1_20scan_config_selectorIfEEZZNS1_9scan_implILNS1_25lookback_scan_determinismE0ELb0ELb0ES3_PKfPffZZZN2at6native31launch_logcumsumexp_cuda_kernelERKNSB_10TensorBaseESF_lENKUlvE_clEvENKUlvE0_clEvEUlffE_fEEDaPvRmT3_T4_T5_mT6_P12ihipStream_tbENKUlT_T0_E_clISt17integral_constantIbLb0EESV_IbLb1EEEEDaSR_SS_EUlSR_E_NS1_11comp_targetILNS1_3genE2ELNS1_11target_archE906ELNS1_3gpuE6ELNS1_3repE0EEENS1_30default_config_static_selectorELNS0_4arch9wavefront6targetE0EEEvT1_, .Lfunc_end157-_ZN7rocprim17ROCPRIM_400000_NS6detail17trampoline_kernelINS0_14default_configENS1_20scan_config_selectorIfEEZZNS1_9scan_implILNS1_25lookback_scan_determinismE0ELb0ELb0ES3_PKfPffZZZN2at6native31launch_logcumsumexp_cuda_kernelERKNSB_10TensorBaseESF_lENKUlvE_clEvENKUlvE0_clEvEUlffE_fEEDaPvRmT3_T4_T5_mT6_P12ihipStream_tbENKUlT_T0_E_clISt17integral_constantIbLb0EESV_IbLb1EEEEDaSR_SS_EUlSR_E_NS1_11comp_targetILNS1_3genE2ELNS1_11target_archE906ELNS1_3gpuE6ELNS1_3repE0EEENS1_30default_config_static_selectorELNS0_4arch9wavefront6targetE0EEEvT1_
                                        ; -- End function
	.set _ZN7rocprim17ROCPRIM_400000_NS6detail17trampoline_kernelINS0_14default_configENS1_20scan_config_selectorIfEEZZNS1_9scan_implILNS1_25lookback_scan_determinismE0ELb0ELb0ES3_PKfPffZZZN2at6native31launch_logcumsumexp_cuda_kernelERKNSB_10TensorBaseESF_lENKUlvE_clEvENKUlvE0_clEvEUlffE_fEEDaPvRmT3_T4_T5_mT6_P12ihipStream_tbENKUlT_T0_E_clISt17integral_constantIbLb0EESV_IbLb1EEEEDaSR_SS_EUlSR_E_NS1_11comp_targetILNS1_3genE2ELNS1_11target_archE906ELNS1_3gpuE6ELNS1_3repE0EEENS1_30default_config_static_selectorELNS0_4arch9wavefront6targetE0EEEvT1_.num_vgpr, 0
	.set _ZN7rocprim17ROCPRIM_400000_NS6detail17trampoline_kernelINS0_14default_configENS1_20scan_config_selectorIfEEZZNS1_9scan_implILNS1_25lookback_scan_determinismE0ELb0ELb0ES3_PKfPffZZZN2at6native31launch_logcumsumexp_cuda_kernelERKNSB_10TensorBaseESF_lENKUlvE_clEvENKUlvE0_clEvEUlffE_fEEDaPvRmT3_T4_T5_mT6_P12ihipStream_tbENKUlT_T0_E_clISt17integral_constantIbLb0EESV_IbLb1EEEEDaSR_SS_EUlSR_E_NS1_11comp_targetILNS1_3genE2ELNS1_11target_archE906ELNS1_3gpuE6ELNS1_3repE0EEENS1_30default_config_static_selectorELNS0_4arch9wavefront6targetE0EEEvT1_.num_agpr, 0
	.set _ZN7rocprim17ROCPRIM_400000_NS6detail17trampoline_kernelINS0_14default_configENS1_20scan_config_selectorIfEEZZNS1_9scan_implILNS1_25lookback_scan_determinismE0ELb0ELb0ES3_PKfPffZZZN2at6native31launch_logcumsumexp_cuda_kernelERKNSB_10TensorBaseESF_lENKUlvE_clEvENKUlvE0_clEvEUlffE_fEEDaPvRmT3_T4_T5_mT6_P12ihipStream_tbENKUlT_T0_E_clISt17integral_constantIbLb0EESV_IbLb1EEEEDaSR_SS_EUlSR_E_NS1_11comp_targetILNS1_3genE2ELNS1_11target_archE906ELNS1_3gpuE6ELNS1_3repE0EEENS1_30default_config_static_selectorELNS0_4arch9wavefront6targetE0EEEvT1_.numbered_sgpr, 0
	.set _ZN7rocprim17ROCPRIM_400000_NS6detail17trampoline_kernelINS0_14default_configENS1_20scan_config_selectorIfEEZZNS1_9scan_implILNS1_25lookback_scan_determinismE0ELb0ELb0ES3_PKfPffZZZN2at6native31launch_logcumsumexp_cuda_kernelERKNSB_10TensorBaseESF_lENKUlvE_clEvENKUlvE0_clEvEUlffE_fEEDaPvRmT3_T4_T5_mT6_P12ihipStream_tbENKUlT_T0_E_clISt17integral_constantIbLb0EESV_IbLb1EEEEDaSR_SS_EUlSR_E_NS1_11comp_targetILNS1_3genE2ELNS1_11target_archE906ELNS1_3gpuE6ELNS1_3repE0EEENS1_30default_config_static_selectorELNS0_4arch9wavefront6targetE0EEEvT1_.num_named_barrier, 0
	.set _ZN7rocprim17ROCPRIM_400000_NS6detail17trampoline_kernelINS0_14default_configENS1_20scan_config_selectorIfEEZZNS1_9scan_implILNS1_25lookback_scan_determinismE0ELb0ELb0ES3_PKfPffZZZN2at6native31launch_logcumsumexp_cuda_kernelERKNSB_10TensorBaseESF_lENKUlvE_clEvENKUlvE0_clEvEUlffE_fEEDaPvRmT3_T4_T5_mT6_P12ihipStream_tbENKUlT_T0_E_clISt17integral_constantIbLb0EESV_IbLb1EEEEDaSR_SS_EUlSR_E_NS1_11comp_targetILNS1_3genE2ELNS1_11target_archE906ELNS1_3gpuE6ELNS1_3repE0EEENS1_30default_config_static_selectorELNS0_4arch9wavefront6targetE0EEEvT1_.private_seg_size, 0
	.set _ZN7rocprim17ROCPRIM_400000_NS6detail17trampoline_kernelINS0_14default_configENS1_20scan_config_selectorIfEEZZNS1_9scan_implILNS1_25lookback_scan_determinismE0ELb0ELb0ES3_PKfPffZZZN2at6native31launch_logcumsumexp_cuda_kernelERKNSB_10TensorBaseESF_lENKUlvE_clEvENKUlvE0_clEvEUlffE_fEEDaPvRmT3_T4_T5_mT6_P12ihipStream_tbENKUlT_T0_E_clISt17integral_constantIbLb0EESV_IbLb1EEEEDaSR_SS_EUlSR_E_NS1_11comp_targetILNS1_3genE2ELNS1_11target_archE906ELNS1_3gpuE6ELNS1_3repE0EEENS1_30default_config_static_selectorELNS0_4arch9wavefront6targetE0EEEvT1_.uses_vcc, 0
	.set _ZN7rocprim17ROCPRIM_400000_NS6detail17trampoline_kernelINS0_14default_configENS1_20scan_config_selectorIfEEZZNS1_9scan_implILNS1_25lookback_scan_determinismE0ELb0ELb0ES3_PKfPffZZZN2at6native31launch_logcumsumexp_cuda_kernelERKNSB_10TensorBaseESF_lENKUlvE_clEvENKUlvE0_clEvEUlffE_fEEDaPvRmT3_T4_T5_mT6_P12ihipStream_tbENKUlT_T0_E_clISt17integral_constantIbLb0EESV_IbLb1EEEEDaSR_SS_EUlSR_E_NS1_11comp_targetILNS1_3genE2ELNS1_11target_archE906ELNS1_3gpuE6ELNS1_3repE0EEENS1_30default_config_static_selectorELNS0_4arch9wavefront6targetE0EEEvT1_.uses_flat_scratch, 0
	.set _ZN7rocprim17ROCPRIM_400000_NS6detail17trampoline_kernelINS0_14default_configENS1_20scan_config_selectorIfEEZZNS1_9scan_implILNS1_25lookback_scan_determinismE0ELb0ELb0ES3_PKfPffZZZN2at6native31launch_logcumsumexp_cuda_kernelERKNSB_10TensorBaseESF_lENKUlvE_clEvENKUlvE0_clEvEUlffE_fEEDaPvRmT3_T4_T5_mT6_P12ihipStream_tbENKUlT_T0_E_clISt17integral_constantIbLb0EESV_IbLb1EEEEDaSR_SS_EUlSR_E_NS1_11comp_targetILNS1_3genE2ELNS1_11target_archE906ELNS1_3gpuE6ELNS1_3repE0EEENS1_30default_config_static_selectorELNS0_4arch9wavefront6targetE0EEEvT1_.has_dyn_sized_stack, 0
	.set _ZN7rocprim17ROCPRIM_400000_NS6detail17trampoline_kernelINS0_14default_configENS1_20scan_config_selectorIfEEZZNS1_9scan_implILNS1_25lookback_scan_determinismE0ELb0ELb0ES3_PKfPffZZZN2at6native31launch_logcumsumexp_cuda_kernelERKNSB_10TensorBaseESF_lENKUlvE_clEvENKUlvE0_clEvEUlffE_fEEDaPvRmT3_T4_T5_mT6_P12ihipStream_tbENKUlT_T0_E_clISt17integral_constantIbLb0EESV_IbLb1EEEEDaSR_SS_EUlSR_E_NS1_11comp_targetILNS1_3genE2ELNS1_11target_archE906ELNS1_3gpuE6ELNS1_3repE0EEENS1_30default_config_static_selectorELNS0_4arch9wavefront6targetE0EEEvT1_.has_recursion, 0
	.set _ZN7rocprim17ROCPRIM_400000_NS6detail17trampoline_kernelINS0_14default_configENS1_20scan_config_selectorIfEEZZNS1_9scan_implILNS1_25lookback_scan_determinismE0ELb0ELb0ES3_PKfPffZZZN2at6native31launch_logcumsumexp_cuda_kernelERKNSB_10TensorBaseESF_lENKUlvE_clEvENKUlvE0_clEvEUlffE_fEEDaPvRmT3_T4_T5_mT6_P12ihipStream_tbENKUlT_T0_E_clISt17integral_constantIbLb0EESV_IbLb1EEEEDaSR_SS_EUlSR_E_NS1_11comp_targetILNS1_3genE2ELNS1_11target_archE906ELNS1_3gpuE6ELNS1_3repE0EEENS1_30default_config_static_selectorELNS0_4arch9wavefront6targetE0EEEvT1_.has_indirect_call, 0
	.section	.AMDGPU.csdata,"",@progbits
; Kernel info:
; codeLenInByte = 0
; TotalNumSgprs: 0
; NumVgprs: 0
; ScratchSize: 0
; MemoryBound: 0
; FloatMode: 240
; IeeeMode: 1
; LDSByteSize: 0 bytes/workgroup (compile time only)
; SGPRBlocks: 0
; VGPRBlocks: 0
; NumSGPRsForWavesPerEU: 1
; NumVGPRsForWavesPerEU: 1
; Occupancy: 16
; WaveLimiterHint : 0
; COMPUTE_PGM_RSRC2:SCRATCH_EN: 0
; COMPUTE_PGM_RSRC2:USER_SGPR: 6
; COMPUTE_PGM_RSRC2:TRAP_HANDLER: 0
; COMPUTE_PGM_RSRC2:TGID_X_EN: 1
; COMPUTE_PGM_RSRC2:TGID_Y_EN: 0
; COMPUTE_PGM_RSRC2:TGID_Z_EN: 0
; COMPUTE_PGM_RSRC2:TIDIG_COMP_CNT: 0
	.section	.text._ZN7rocprim17ROCPRIM_400000_NS6detail17trampoline_kernelINS0_14default_configENS1_20scan_config_selectorIfEEZZNS1_9scan_implILNS1_25lookback_scan_determinismE0ELb0ELb0ES3_PKfPffZZZN2at6native31launch_logcumsumexp_cuda_kernelERKNSB_10TensorBaseESF_lENKUlvE_clEvENKUlvE0_clEvEUlffE_fEEDaPvRmT3_T4_T5_mT6_P12ihipStream_tbENKUlT_T0_E_clISt17integral_constantIbLb0EESV_IbLb1EEEEDaSR_SS_EUlSR_E_NS1_11comp_targetILNS1_3genE10ELNS1_11target_archE1201ELNS1_3gpuE5ELNS1_3repE0EEENS1_30default_config_static_selectorELNS0_4arch9wavefront6targetE0EEEvT1_,"axG",@progbits,_ZN7rocprim17ROCPRIM_400000_NS6detail17trampoline_kernelINS0_14default_configENS1_20scan_config_selectorIfEEZZNS1_9scan_implILNS1_25lookback_scan_determinismE0ELb0ELb0ES3_PKfPffZZZN2at6native31launch_logcumsumexp_cuda_kernelERKNSB_10TensorBaseESF_lENKUlvE_clEvENKUlvE0_clEvEUlffE_fEEDaPvRmT3_T4_T5_mT6_P12ihipStream_tbENKUlT_T0_E_clISt17integral_constantIbLb0EESV_IbLb1EEEEDaSR_SS_EUlSR_E_NS1_11comp_targetILNS1_3genE10ELNS1_11target_archE1201ELNS1_3gpuE5ELNS1_3repE0EEENS1_30default_config_static_selectorELNS0_4arch9wavefront6targetE0EEEvT1_,comdat
	.globl	_ZN7rocprim17ROCPRIM_400000_NS6detail17trampoline_kernelINS0_14default_configENS1_20scan_config_selectorIfEEZZNS1_9scan_implILNS1_25lookback_scan_determinismE0ELb0ELb0ES3_PKfPffZZZN2at6native31launch_logcumsumexp_cuda_kernelERKNSB_10TensorBaseESF_lENKUlvE_clEvENKUlvE0_clEvEUlffE_fEEDaPvRmT3_T4_T5_mT6_P12ihipStream_tbENKUlT_T0_E_clISt17integral_constantIbLb0EESV_IbLb1EEEEDaSR_SS_EUlSR_E_NS1_11comp_targetILNS1_3genE10ELNS1_11target_archE1201ELNS1_3gpuE5ELNS1_3repE0EEENS1_30default_config_static_selectorELNS0_4arch9wavefront6targetE0EEEvT1_ ; -- Begin function _ZN7rocprim17ROCPRIM_400000_NS6detail17trampoline_kernelINS0_14default_configENS1_20scan_config_selectorIfEEZZNS1_9scan_implILNS1_25lookback_scan_determinismE0ELb0ELb0ES3_PKfPffZZZN2at6native31launch_logcumsumexp_cuda_kernelERKNSB_10TensorBaseESF_lENKUlvE_clEvENKUlvE0_clEvEUlffE_fEEDaPvRmT3_T4_T5_mT6_P12ihipStream_tbENKUlT_T0_E_clISt17integral_constantIbLb0EESV_IbLb1EEEEDaSR_SS_EUlSR_E_NS1_11comp_targetILNS1_3genE10ELNS1_11target_archE1201ELNS1_3gpuE5ELNS1_3repE0EEENS1_30default_config_static_selectorELNS0_4arch9wavefront6targetE0EEEvT1_
	.p2align	8
	.type	_ZN7rocprim17ROCPRIM_400000_NS6detail17trampoline_kernelINS0_14default_configENS1_20scan_config_selectorIfEEZZNS1_9scan_implILNS1_25lookback_scan_determinismE0ELb0ELb0ES3_PKfPffZZZN2at6native31launch_logcumsumexp_cuda_kernelERKNSB_10TensorBaseESF_lENKUlvE_clEvENKUlvE0_clEvEUlffE_fEEDaPvRmT3_T4_T5_mT6_P12ihipStream_tbENKUlT_T0_E_clISt17integral_constantIbLb0EESV_IbLb1EEEEDaSR_SS_EUlSR_E_NS1_11comp_targetILNS1_3genE10ELNS1_11target_archE1201ELNS1_3gpuE5ELNS1_3repE0EEENS1_30default_config_static_selectorELNS0_4arch9wavefront6targetE0EEEvT1_,@function
_ZN7rocprim17ROCPRIM_400000_NS6detail17trampoline_kernelINS0_14default_configENS1_20scan_config_selectorIfEEZZNS1_9scan_implILNS1_25lookback_scan_determinismE0ELb0ELb0ES3_PKfPffZZZN2at6native31launch_logcumsumexp_cuda_kernelERKNSB_10TensorBaseESF_lENKUlvE_clEvENKUlvE0_clEvEUlffE_fEEDaPvRmT3_T4_T5_mT6_P12ihipStream_tbENKUlT_T0_E_clISt17integral_constantIbLb0EESV_IbLb1EEEEDaSR_SS_EUlSR_E_NS1_11comp_targetILNS1_3genE10ELNS1_11target_archE1201ELNS1_3gpuE5ELNS1_3repE0EEENS1_30default_config_static_selectorELNS0_4arch9wavefront6targetE0EEEvT1_: ; @_ZN7rocprim17ROCPRIM_400000_NS6detail17trampoline_kernelINS0_14default_configENS1_20scan_config_selectorIfEEZZNS1_9scan_implILNS1_25lookback_scan_determinismE0ELb0ELb0ES3_PKfPffZZZN2at6native31launch_logcumsumexp_cuda_kernelERKNSB_10TensorBaseESF_lENKUlvE_clEvENKUlvE0_clEvEUlffE_fEEDaPvRmT3_T4_T5_mT6_P12ihipStream_tbENKUlT_T0_E_clISt17integral_constantIbLb0EESV_IbLb1EEEEDaSR_SS_EUlSR_E_NS1_11comp_targetILNS1_3genE10ELNS1_11target_archE1201ELNS1_3gpuE5ELNS1_3repE0EEENS1_30default_config_static_selectorELNS0_4arch9wavefront6targetE0EEEvT1_
; %bb.0:
	.section	.rodata,"a",@progbits
	.p2align	6, 0x0
	.amdhsa_kernel _ZN7rocprim17ROCPRIM_400000_NS6detail17trampoline_kernelINS0_14default_configENS1_20scan_config_selectorIfEEZZNS1_9scan_implILNS1_25lookback_scan_determinismE0ELb0ELb0ES3_PKfPffZZZN2at6native31launch_logcumsumexp_cuda_kernelERKNSB_10TensorBaseESF_lENKUlvE_clEvENKUlvE0_clEvEUlffE_fEEDaPvRmT3_T4_T5_mT6_P12ihipStream_tbENKUlT_T0_E_clISt17integral_constantIbLb0EESV_IbLb1EEEEDaSR_SS_EUlSR_E_NS1_11comp_targetILNS1_3genE10ELNS1_11target_archE1201ELNS1_3gpuE5ELNS1_3repE0EEENS1_30default_config_static_selectorELNS0_4arch9wavefront6targetE0EEEvT1_
		.amdhsa_group_segment_fixed_size 0
		.amdhsa_private_segment_fixed_size 0
		.amdhsa_kernarg_size 96
		.amdhsa_user_sgpr_count 6
		.amdhsa_user_sgpr_private_segment_buffer 1
		.amdhsa_user_sgpr_dispatch_ptr 0
		.amdhsa_user_sgpr_queue_ptr 0
		.amdhsa_user_sgpr_kernarg_segment_ptr 1
		.amdhsa_user_sgpr_dispatch_id 0
		.amdhsa_user_sgpr_flat_scratch_init 0
		.amdhsa_user_sgpr_private_segment_size 0
		.amdhsa_wavefront_size32 1
		.amdhsa_uses_dynamic_stack 0
		.amdhsa_system_sgpr_private_segment_wavefront_offset 0
		.amdhsa_system_sgpr_workgroup_id_x 1
		.amdhsa_system_sgpr_workgroup_id_y 0
		.amdhsa_system_sgpr_workgroup_id_z 0
		.amdhsa_system_sgpr_workgroup_info 0
		.amdhsa_system_vgpr_workitem_id 0
		.amdhsa_next_free_vgpr 1
		.amdhsa_next_free_sgpr 1
		.amdhsa_reserve_vcc 0
		.amdhsa_reserve_flat_scratch 0
		.amdhsa_float_round_mode_32 0
		.amdhsa_float_round_mode_16_64 0
		.amdhsa_float_denorm_mode_32 3
		.amdhsa_float_denorm_mode_16_64 3
		.amdhsa_dx10_clamp 1
		.amdhsa_ieee_mode 1
		.amdhsa_fp16_overflow 0
		.amdhsa_workgroup_processor_mode 1
		.amdhsa_memory_ordered 1
		.amdhsa_forward_progress 1
		.amdhsa_shared_vgpr_count 0
		.amdhsa_exception_fp_ieee_invalid_op 0
		.amdhsa_exception_fp_denorm_src 0
		.amdhsa_exception_fp_ieee_div_zero 0
		.amdhsa_exception_fp_ieee_overflow 0
		.amdhsa_exception_fp_ieee_underflow 0
		.amdhsa_exception_fp_ieee_inexact 0
		.amdhsa_exception_int_div_zero 0
	.end_amdhsa_kernel
	.section	.text._ZN7rocprim17ROCPRIM_400000_NS6detail17trampoline_kernelINS0_14default_configENS1_20scan_config_selectorIfEEZZNS1_9scan_implILNS1_25lookback_scan_determinismE0ELb0ELb0ES3_PKfPffZZZN2at6native31launch_logcumsumexp_cuda_kernelERKNSB_10TensorBaseESF_lENKUlvE_clEvENKUlvE0_clEvEUlffE_fEEDaPvRmT3_T4_T5_mT6_P12ihipStream_tbENKUlT_T0_E_clISt17integral_constantIbLb0EESV_IbLb1EEEEDaSR_SS_EUlSR_E_NS1_11comp_targetILNS1_3genE10ELNS1_11target_archE1201ELNS1_3gpuE5ELNS1_3repE0EEENS1_30default_config_static_selectorELNS0_4arch9wavefront6targetE0EEEvT1_,"axG",@progbits,_ZN7rocprim17ROCPRIM_400000_NS6detail17trampoline_kernelINS0_14default_configENS1_20scan_config_selectorIfEEZZNS1_9scan_implILNS1_25lookback_scan_determinismE0ELb0ELb0ES3_PKfPffZZZN2at6native31launch_logcumsumexp_cuda_kernelERKNSB_10TensorBaseESF_lENKUlvE_clEvENKUlvE0_clEvEUlffE_fEEDaPvRmT3_T4_T5_mT6_P12ihipStream_tbENKUlT_T0_E_clISt17integral_constantIbLb0EESV_IbLb1EEEEDaSR_SS_EUlSR_E_NS1_11comp_targetILNS1_3genE10ELNS1_11target_archE1201ELNS1_3gpuE5ELNS1_3repE0EEENS1_30default_config_static_selectorELNS0_4arch9wavefront6targetE0EEEvT1_,comdat
.Lfunc_end158:
	.size	_ZN7rocprim17ROCPRIM_400000_NS6detail17trampoline_kernelINS0_14default_configENS1_20scan_config_selectorIfEEZZNS1_9scan_implILNS1_25lookback_scan_determinismE0ELb0ELb0ES3_PKfPffZZZN2at6native31launch_logcumsumexp_cuda_kernelERKNSB_10TensorBaseESF_lENKUlvE_clEvENKUlvE0_clEvEUlffE_fEEDaPvRmT3_T4_T5_mT6_P12ihipStream_tbENKUlT_T0_E_clISt17integral_constantIbLb0EESV_IbLb1EEEEDaSR_SS_EUlSR_E_NS1_11comp_targetILNS1_3genE10ELNS1_11target_archE1201ELNS1_3gpuE5ELNS1_3repE0EEENS1_30default_config_static_selectorELNS0_4arch9wavefront6targetE0EEEvT1_, .Lfunc_end158-_ZN7rocprim17ROCPRIM_400000_NS6detail17trampoline_kernelINS0_14default_configENS1_20scan_config_selectorIfEEZZNS1_9scan_implILNS1_25lookback_scan_determinismE0ELb0ELb0ES3_PKfPffZZZN2at6native31launch_logcumsumexp_cuda_kernelERKNSB_10TensorBaseESF_lENKUlvE_clEvENKUlvE0_clEvEUlffE_fEEDaPvRmT3_T4_T5_mT6_P12ihipStream_tbENKUlT_T0_E_clISt17integral_constantIbLb0EESV_IbLb1EEEEDaSR_SS_EUlSR_E_NS1_11comp_targetILNS1_3genE10ELNS1_11target_archE1201ELNS1_3gpuE5ELNS1_3repE0EEENS1_30default_config_static_selectorELNS0_4arch9wavefront6targetE0EEEvT1_
                                        ; -- End function
	.set _ZN7rocprim17ROCPRIM_400000_NS6detail17trampoline_kernelINS0_14default_configENS1_20scan_config_selectorIfEEZZNS1_9scan_implILNS1_25lookback_scan_determinismE0ELb0ELb0ES3_PKfPffZZZN2at6native31launch_logcumsumexp_cuda_kernelERKNSB_10TensorBaseESF_lENKUlvE_clEvENKUlvE0_clEvEUlffE_fEEDaPvRmT3_T4_T5_mT6_P12ihipStream_tbENKUlT_T0_E_clISt17integral_constantIbLb0EESV_IbLb1EEEEDaSR_SS_EUlSR_E_NS1_11comp_targetILNS1_3genE10ELNS1_11target_archE1201ELNS1_3gpuE5ELNS1_3repE0EEENS1_30default_config_static_selectorELNS0_4arch9wavefront6targetE0EEEvT1_.num_vgpr, 0
	.set _ZN7rocprim17ROCPRIM_400000_NS6detail17trampoline_kernelINS0_14default_configENS1_20scan_config_selectorIfEEZZNS1_9scan_implILNS1_25lookback_scan_determinismE0ELb0ELb0ES3_PKfPffZZZN2at6native31launch_logcumsumexp_cuda_kernelERKNSB_10TensorBaseESF_lENKUlvE_clEvENKUlvE0_clEvEUlffE_fEEDaPvRmT3_T4_T5_mT6_P12ihipStream_tbENKUlT_T0_E_clISt17integral_constantIbLb0EESV_IbLb1EEEEDaSR_SS_EUlSR_E_NS1_11comp_targetILNS1_3genE10ELNS1_11target_archE1201ELNS1_3gpuE5ELNS1_3repE0EEENS1_30default_config_static_selectorELNS0_4arch9wavefront6targetE0EEEvT1_.num_agpr, 0
	.set _ZN7rocprim17ROCPRIM_400000_NS6detail17trampoline_kernelINS0_14default_configENS1_20scan_config_selectorIfEEZZNS1_9scan_implILNS1_25lookback_scan_determinismE0ELb0ELb0ES3_PKfPffZZZN2at6native31launch_logcumsumexp_cuda_kernelERKNSB_10TensorBaseESF_lENKUlvE_clEvENKUlvE0_clEvEUlffE_fEEDaPvRmT3_T4_T5_mT6_P12ihipStream_tbENKUlT_T0_E_clISt17integral_constantIbLb0EESV_IbLb1EEEEDaSR_SS_EUlSR_E_NS1_11comp_targetILNS1_3genE10ELNS1_11target_archE1201ELNS1_3gpuE5ELNS1_3repE0EEENS1_30default_config_static_selectorELNS0_4arch9wavefront6targetE0EEEvT1_.numbered_sgpr, 0
	.set _ZN7rocprim17ROCPRIM_400000_NS6detail17trampoline_kernelINS0_14default_configENS1_20scan_config_selectorIfEEZZNS1_9scan_implILNS1_25lookback_scan_determinismE0ELb0ELb0ES3_PKfPffZZZN2at6native31launch_logcumsumexp_cuda_kernelERKNSB_10TensorBaseESF_lENKUlvE_clEvENKUlvE0_clEvEUlffE_fEEDaPvRmT3_T4_T5_mT6_P12ihipStream_tbENKUlT_T0_E_clISt17integral_constantIbLb0EESV_IbLb1EEEEDaSR_SS_EUlSR_E_NS1_11comp_targetILNS1_3genE10ELNS1_11target_archE1201ELNS1_3gpuE5ELNS1_3repE0EEENS1_30default_config_static_selectorELNS0_4arch9wavefront6targetE0EEEvT1_.num_named_barrier, 0
	.set _ZN7rocprim17ROCPRIM_400000_NS6detail17trampoline_kernelINS0_14default_configENS1_20scan_config_selectorIfEEZZNS1_9scan_implILNS1_25lookback_scan_determinismE0ELb0ELb0ES3_PKfPffZZZN2at6native31launch_logcumsumexp_cuda_kernelERKNSB_10TensorBaseESF_lENKUlvE_clEvENKUlvE0_clEvEUlffE_fEEDaPvRmT3_T4_T5_mT6_P12ihipStream_tbENKUlT_T0_E_clISt17integral_constantIbLb0EESV_IbLb1EEEEDaSR_SS_EUlSR_E_NS1_11comp_targetILNS1_3genE10ELNS1_11target_archE1201ELNS1_3gpuE5ELNS1_3repE0EEENS1_30default_config_static_selectorELNS0_4arch9wavefront6targetE0EEEvT1_.private_seg_size, 0
	.set _ZN7rocprim17ROCPRIM_400000_NS6detail17trampoline_kernelINS0_14default_configENS1_20scan_config_selectorIfEEZZNS1_9scan_implILNS1_25lookback_scan_determinismE0ELb0ELb0ES3_PKfPffZZZN2at6native31launch_logcumsumexp_cuda_kernelERKNSB_10TensorBaseESF_lENKUlvE_clEvENKUlvE0_clEvEUlffE_fEEDaPvRmT3_T4_T5_mT6_P12ihipStream_tbENKUlT_T0_E_clISt17integral_constantIbLb0EESV_IbLb1EEEEDaSR_SS_EUlSR_E_NS1_11comp_targetILNS1_3genE10ELNS1_11target_archE1201ELNS1_3gpuE5ELNS1_3repE0EEENS1_30default_config_static_selectorELNS0_4arch9wavefront6targetE0EEEvT1_.uses_vcc, 0
	.set _ZN7rocprim17ROCPRIM_400000_NS6detail17trampoline_kernelINS0_14default_configENS1_20scan_config_selectorIfEEZZNS1_9scan_implILNS1_25lookback_scan_determinismE0ELb0ELb0ES3_PKfPffZZZN2at6native31launch_logcumsumexp_cuda_kernelERKNSB_10TensorBaseESF_lENKUlvE_clEvENKUlvE0_clEvEUlffE_fEEDaPvRmT3_T4_T5_mT6_P12ihipStream_tbENKUlT_T0_E_clISt17integral_constantIbLb0EESV_IbLb1EEEEDaSR_SS_EUlSR_E_NS1_11comp_targetILNS1_3genE10ELNS1_11target_archE1201ELNS1_3gpuE5ELNS1_3repE0EEENS1_30default_config_static_selectorELNS0_4arch9wavefront6targetE0EEEvT1_.uses_flat_scratch, 0
	.set _ZN7rocprim17ROCPRIM_400000_NS6detail17trampoline_kernelINS0_14default_configENS1_20scan_config_selectorIfEEZZNS1_9scan_implILNS1_25lookback_scan_determinismE0ELb0ELb0ES3_PKfPffZZZN2at6native31launch_logcumsumexp_cuda_kernelERKNSB_10TensorBaseESF_lENKUlvE_clEvENKUlvE0_clEvEUlffE_fEEDaPvRmT3_T4_T5_mT6_P12ihipStream_tbENKUlT_T0_E_clISt17integral_constantIbLb0EESV_IbLb1EEEEDaSR_SS_EUlSR_E_NS1_11comp_targetILNS1_3genE10ELNS1_11target_archE1201ELNS1_3gpuE5ELNS1_3repE0EEENS1_30default_config_static_selectorELNS0_4arch9wavefront6targetE0EEEvT1_.has_dyn_sized_stack, 0
	.set _ZN7rocprim17ROCPRIM_400000_NS6detail17trampoline_kernelINS0_14default_configENS1_20scan_config_selectorIfEEZZNS1_9scan_implILNS1_25lookback_scan_determinismE0ELb0ELb0ES3_PKfPffZZZN2at6native31launch_logcumsumexp_cuda_kernelERKNSB_10TensorBaseESF_lENKUlvE_clEvENKUlvE0_clEvEUlffE_fEEDaPvRmT3_T4_T5_mT6_P12ihipStream_tbENKUlT_T0_E_clISt17integral_constantIbLb0EESV_IbLb1EEEEDaSR_SS_EUlSR_E_NS1_11comp_targetILNS1_3genE10ELNS1_11target_archE1201ELNS1_3gpuE5ELNS1_3repE0EEENS1_30default_config_static_selectorELNS0_4arch9wavefront6targetE0EEEvT1_.has_recursion, 0
	.set _ZN7rocprim17ROCPRIM_400000_NS6detail17trampoline_kernelINS0_14default_configENS1_20scan_config_selectorIfEEZZNS1_9scan_implILNS1_25lookback_scan_determinismE0ELb0ELb0ES3_PKfPffZZZN2at6native31launch_logcumsumexp_cuda_kernelERKNSB_10TensorBaseESF_lENKUlvE_clEvENKUlvE0_clEvEUlffE_fEEDaPvRmT3_T4_T5_mT6_P12ihipStream_tbENKUlT_T0_E_clISt17integral_constantIbLb0EESV_IbLb1EEEEDaSR_SS_EUlSR_E_NS1_11comp_targetILNS1_3genE10ELNS1_11target_archE1201ELNS1_3gpuE5ELNS1_3repE0EEENS1_30default_config_static_selectorELNS0_4arch9wavefront6targetE0EEEvT1_.has_indirect_call, 0
	.section	.AMDGPU.csdata,"",@progbits
; Kernel info:
; codeLenInByte = 0
; TotalNumSgprs: 0
; NumVgprs: 0
; ScratchSize: 0
; MemoryBound: 0
; FloatMode: 240
; IeeeMode: 1
; LDSByteSize: 0 bytes/workgroup (compile time only)
; SGPRBlocks: 0
; VGPRBlocks: 0
; NumSGPRsForWavesPerEU: 1
; NumVGPRsForWavesPerEU: 1
; Occupancy: 16
; WaveLimiterHint : 0
; COMPUTE_PGM_RSRC2:SCRATCH_EN: 0
; COMPUTE_PGM_RSRC2:USER_SGPR: 6
; COMPUTE_PGM_RSRC2:TRAP_HANDLER: 0
; COMPUTE_PGM_RSRC2:TGID_X_EN: 1
; COMPUTE_PGM_RSRC2:TGID_Y_EN: 0
; COMPUTE_PGM_RSRC2:TGID_Z_EN: 0
; COMPUTE_PGM_RSRC2:TIDIG_COMP_CNT: 0
	.section	.text._ZN7rocprim17ROCPRIM_400000_NS6detail17trampoline_kernelINS0_14default_configENS1_20scan_config_selectorIfEEZZNS1_9scan_implILNS1_25lookback_scan_determinismE0ELb0ELb0ES3_PKfPffZZZN2at6native31launch_logcumsumexp_cuda_kernelERKNSB_10TensorBaseESF_lENKUlvE_clEvENKUlvE0_clEvEUlffE_fEEDaPvRmT3_T4_T5_mT6_P12ihipStream_tbENKUlT_T0_E_clISt17integral_constantIbLb0EESV_IbLb1EEEEDaSR_SS_EUlSR_E_NS1_11comp_targetILNS1_3genE10ELNS1_11target_archE1200ELNS1_3gpuE4ELNS1_3repE0EEENS1_30default_config_static_selectorELNS0_4arch9wavefront6targetE0EEEvT1_,"axG",@progbits,_ZN7rocprim17ROCPRIM_400000_NS6detail17trampoline_kernelINS0_14default_configENS1_20scan_config_selectorIfEEZZNS1_9scan_implILNS1_25lookback_scan_determinismE0ELb0ELb0ES3_PKfPffZZZN2at6native31launch_logcumsumexp_cuda_kernelERKNSB_10TensorBaseESF_lENKUlvE_clEvENKUlvE0_clEvEUlffE_fEEDaPvRmT3_T4_T5_mT6_P12ihipStream_tbENKUlT_T0_E_clISt17integral_constantIbLb0EESV_IbLb1EEEEDaSR_SS_EUlSR_E_NS1_11comp_targetILNS1_3genE10ELNS1_11target_archE1200ELNS1_3gpuE4ELNS1_3repE0EEENS1_30default_config_static_selectorELNS0_4arch9wavefront6targetE0EEEvT1_,comdat
	.globl	_ZN7rocprim17ROCPRIM_400000_NS6detail17trampoline_kernelINS0_14default_configENS1_20scan_config_selectorIfEEZZNS1_9scan_implILNS1_25lookback_scan_determinismE0ELb0ELb0ES3_PKfPffZZZN2at6native31launch_logcumsumexp_cuda_kernelERKNSB_10TensorBaseESF_lENKUlvE_clEvENKUlvE0_clEvEUlffE_fEEDaPvRmT3_T4_T5_mT6_P12ihipStream_tbENKUlT_T0_E_clISt17integral_constantIbLb0EESV_IbLb1EEEEDaSR_SS_EUlSR_E_NS1_11comp_targetILNS1_3genE10ELNS1_11target_archE1200ELNS1_3gpuE4ELNS1_3repE0EEENS1_30default_config_static_selectorELNS0_4arch9wavefront6targetE0EEEvT1_ ; -- Begin function _ZN7rocprim17ROCPRIM_400000_NS6detail17trampoline_kernelINS0_14default_configENS1_20scan_config_selectorIfEEZZNS1_9scan_implILNS1_25lookback_scan_determinismE0ELb0ELb0ES3_PKfPffZZZN2at6native31launch_logcumsumexp_cuda_kernelERKNSB_10TensorBaseESF_lENKUlvE_clEvENKUlvE0_clEvEUlffE_fEEDaPvRmT3_T4_T5_mT6_P12ihipStream_tbENKUlT_T0_E_clISt17integral_constantIbLb0EESV_IbLb1EEEEDaSR_SS_EUlSR_E_NS1_11comp_targetILNS1_3genE10ELNS1_11target_archE1200ELNS1_3gpuE4ELNS1_3repE0EEENS1_30default_config_static_selectorELNS0_4arch9wavefront6targetE0EEEvT1_
	.p2align	8
	.type	_ZN7rocprim17ROCPRIM_400000_NS6detail17trampoline_kernelINS0_14default_configENS1_20scan_config_selectorIfEEZZNS1_9scan_implILNS1_25lookback_scan_determinismE0ELb0ELb0ES3_PKfPffZZZN2at6native31launch_logcumsumexp_cuda_kernelERKNSB_10TensorBaseESF_lENKUlvE_clEvENKUlvE0_clEvEUlffE_fEEDaPvRmT3_T4_T5_mT6_P12ihipStream_tbENKUlT_T0_E_clISt17integral_constantIbLb0EESV_IbLb1EEEEDaSR_SS_EUlSR_E_NS1_11comp_targetILNS1_3genE10ELNS1_11target_archE1200ELNS1_3gpuE4ELNS1_3repE0EEENS1_30default_config_static_selectorELNS0_4arch9wavefront6targetE0EEEvT1_,@function
_ZN7rocprim17ROCPRIM_400000_NS6detail17trampoline_kernelINS0_14default_configENS1_20scan_config_selectorIfEEZZNS1_9scan_implILNS1_25lookback_scan_determinismE0ELb0ELb0ES3_PKfPffZZZN2at6native31launch_logcumsumexp_cuda_kernelERKNSB_10TensorBaseESF_lENKUlvE_clEvENKUlvE0_clEvEUlffE_fEEDaPvRmT3_T4_T5_mT6_P12ihipStream_tbENKUlT_T0_E_clISt17integral_constantIbLb0EESV_IbLb1EEEEDaSR_SS_EUlSR_E_NS1_11comp_targetILNS1_3genE10ELNS1_11target_archE1200ELNS1_3gpuE4ELNS1_3repE0EEENS1_30default_config_static_selectorELNS0_4arch9wavefront6targetE0EEEvT1_: ; @_ZN7rocprim17ROCPRIM_400000_NS6detail17trampoline_kernelINS0_14default_configENS1_20scan_config_selectorIfEEZZNS1_9scan_implILNS1_25lookback_scan_determinismE0ELb0ELb0ES3_PKfPffZZZN2at6native31launch_logcumsumexp_cuda_kernelERKNSB_10TensorBaseESF_lENKUlvE_clEvENKUlvE0_clEvEUlffE_fEEDaPvRmT3_T4_T5_mT6_P12ihipStream_tbENKUlT_T0_E_clISt17integral_constantIbLb0EESV_IbLb1EEEEDaSR_SS_EUlSR_E_NS1_11comp_targetILNS1_3genE10ELNS1_11target_archE1200ELNS1_3gpuE4ELNS1_3repE0EEENS1_30default_config_static_selectorELNS0_4arch9wavefront6targetE0EEEvT1_
; %bb.0:
	.section	.rodata,"a",@progbits
	.p2align	6, 0x0
	.amdhsa_kernel _ZN7rocprim17ROCPRIM_400000_NS6detail17trampoline_kernelINS0_14default_configENS1_20scan_config_selectorIfEEZZNS1_9scan_implILNS1_25lookback_scan_determinismE0ELb0ELb0ES3_PKfPffZZZN2at6native31launch_logcumsumexp_cuda_kernelERKNSB_10TensorBaseESF_lENKUlvE_clEvENKUlvE0_clEvEUlffE_fEEDaPvRmT3_T4_T5_mT6_P12ihipStream_tbENKUlT_T0_E_clISt17integral_constantIbLb0EESV_IbLb1EEEEDaSR_SS_EUlSR_E_NS1_11comp_targetILNS1_3genE10ELNS1_11target_archE1200ELNS1_3gpuE4ELNS1_3repE0EEENS1_30default_config_static_selectorELNS0_4arch9wavefront6targetE0EEEvT1_
		.amdhsa_group_segment_fixed_size 0
		.amdhsa_private_segment_fixed_size 0
		.amdhsa_kernarg_size 96
		.amdhsa_user_sgpr_count 6
		.amdhsa_user_sgpr_private_segment_buffer 1
		.amdhsa_user_sgpr_dispatch_ptr 0
		.amdhsa_user_sgpr_queue_ptr 0
		.amdhsa_user_sgpr_kernarg_segment_ptr 1
		.amdhsa_user_sgpr_dispatch_id 0
		.amdhsa_user_sgpr_flat_scratch_init 0
		.amdhsa_user_sgpr_private_segment_size 0
		.amdhsa_wavefront_size32 1
		.amdhsa_uses_dynamic_stack 0
		.amdhsa_system_sgpr_private_segment_wavefront_offset 0
		.amdhsa_system_sgpr_workgroup_id_x 1
		.amdhsa_system_sgpr_workgroup_id_y 0
		.amdhsa_system_sgpr_workgroup_id_z 0
		.amdhsa_system_sgpr_workgroup_info 0
		.amdhsa_system_vgpr_workitem_id 0
		.amdhsa_next_free_vgpr 1
		.amdhsa_next_free_sgpr 1
		.amdhsa_reserve_vcc 0
		.amdhsa_reserve_flat_scratch 0
		.amdhsa_float_round_mode_32 0
		.amdhsa_float_round_mode_16_64 0
		.amdhsa_float_denorm_mode_32 3
		.amdhsa_float_denorm_mode_16_64 3
		.amdhsa_dx10_clamp 1
		.amdhsa_ieee_mode 1
		.amdhsa_fp16_overflow 0
		.amdhsa_workgroup_processor_mode 1
		.amdhsa_memory_ordered 1
		.amdhsa_forward_progress 1
		.amdhsa_shared_vgpr_count 0
		.amdhsa_exception_fp_ieee_invalid_op 0
		.amdhsa_exception_fp_denorm_src 0
		.amdhsa_exception_fp_ieee_div_zero 0
		.amdhsa_exception_fp_ieee_overflow 0
		.amdhsa_exception_fp_ieee_underflow 0
		.amdhsa_exception_fp_ieee_inexact 0
		.amdhsa_exception_int_div_zero 0
	.end_amdhsa_kernel
	.section	.text._ZN7rocprim17ROCPRIM_400000_NS6detail17trampoline_kernelINS0_14default_configENS1_20scan_config_selectorIfEEZZNS1_9scan_implILNS1_25lookback_scan_determinismE0ELb0ELb0ES3_PKfPffZZZN2at6native31launch_logcumsumexp_cuda_kernelERKNSB_10TensorBaseESF_lENKUlvE_clEvENKUlvE0_clEvEUlffE_fEEDaPvRmT3_T4_T5_mT6_P12ihipStream_tbENKUlT_T0_E_clISt17integral_constantIbLb0EESV_IbLb1EEEEDaSR_SS_EUlSR_E_NS1_11comp_targetILNS1_3genE10ELNS1_11target_archE1200ELNS1_3gpuE4ELNS1_3repE0EEENS1_30default_config_static_selectorELNS0_4arch9wavefront6targetE0EEEvT1_,"axG",@progbits,_ZN7rocprim17ROCPRIM_400000_NS6detail17trampoline_kernelINS0_14default_configENS1_20scan_config_selectorIfEEZZNS1_9scan_implILNS1_25lookback_scan_determinismE0ELb0ELb0ES3_PKfPffZZZN2at6native31launch_logcumsumexp_cuda_kernelERKNSB_10TensorBaseESF_lENKUlvE_clEvENKUlvE0_clEvEUlffE_fEEDaPvRmT3_T4_T5_mT6_P12ihipStream_tbENKUlT_T0_E_clISt17integral_constantIbLb0EESV_IbLb1EEEEDaSR_SS_EUlSR_E_NS1_11comp_targetILNS1_3genE10ELNS1_11target_archE1200ELNS1_3gpuE4ELNS1_3repE0EEENS1_30default_config_static_selectorELNS0_4arch9wavefront6targetE0EEEvT1_,comdat
.Lfunc_end159:
	.size	_ZN7rocprim17ROCPRIM_400000_NS6detail17trampoline_kernelINS0_14default_configENS1_20scan_config_selectorIfEEZZNS1_9scan_implILNS1_25lookback_scan_determinismE0ELb0ELb0ES3_PKfPffZZZN2at6native31launch_logcumsumexp_cuda_kernelERKNSB_10TensorBaseESF_lENKUlvE_clEvENKUlvE0_clEvEUlffE_fEEDaPvRmT3_T4_T5_mT6_P12ihipStream_tbENKUlT_T0_E_clISt17integral_constantIbLb0EESV_IbLb1EEEEDaSR_SS_EUlSR_E_NS1_11comp_targetILNS1_3genE10ELNS1_11target_archE1200ELNS1_3gpuE4ELNS1_3repE0EEENS1_30default_config_static_selectorELNS0_4arch9wavefront6targetE0EEEvT1_, .Lfunc_end159-_ZN7rocprim17ROCPRIM_400000_NS6detail17trampoline_kernelINS0_14default_configENS1_20scan_config_selectorIfEEZZNS1_9scan_implILNS1_25lookback_scan_determinismE0ELb0ELb0ES3_PKfPffZZZN2at6native31launch_logcumsumexp_cuda_kernelERKNSB_10TensorBaseESF_lENKUlvE_clEvENKUlvE0_clEvEUlffE_fEEDaPvRmT3_T4_T5_mT6_P12ihipStream_tbENKUlT_T0_E_clISt17integral_constantIbLb0EESV_IbLb1EEEEDaSR_SS_EUlSR_E_NS1_11comp_targetILNS1_3genE10ELNS1_11target_archE1200ELNS1_3gpuE4ELNS1_3repE0EEENS1_30default_config_static_selectorELNS0_4arch9wavefront6targetE0EEEvT1_
                                        ; -- End function
	.set _ZN7rocprim17ROCPRIM_400000_NS6detail17trampoline_kernelINS0_14default_configENS1_20scan_config_selectorIfEEZZNS1_9scan_implILNS1_25lookback_scan_determinismE0ELb0ELb0ES3_PKfPffZZZN2at6native31launch_logcumsumexp_cuda_kernelERKNSB_10TensorBaseESF_lENKUlvE_clEvENKUlvE0_clEvEUlffE_fEEDaPvRmT3_T4_T5_mT6_P12ihipStream_tbENKUlT_T0_E_clISt17integral_constantIbLb0EESV_IbLb1EEEEDaSR_SS_EUlSR_E_NS1_11comp_targetILNS1_3genE10ELNS1_11target_archE1200ELNS1_3gpuE4ELNS1_3repE0EEENS1_30default_config_static_selectorELNS0_4arch9wavefront6targetE0EEEvT1_.num_vgpr, 0
	.set _ZN7rocprim17ROCPRIM_400000_NS6detail17trampoline_kernelINS0_14default_configENS1_20scan_config_selectorIfEEZZNS1_9scan_implILNS1_25lookback_scan_determinismE0ELb0ELb0ES3_PKfPffZZZN2at6native31launch_logcumsumexp_cuda_kernelERKNSB_10TensorBaseESF_lENKUlvE_clEvENKUlvE0_clEvEUlffE_fEEDaPvRmT3_T4_T5_mT6_P12ihipStream_tbENKUlT_T0_E_clISt17integral_constantIbLb0EESV_IbLb1EEEEDaSR_SS_EUlSR_E_NS1_11comp_targetILNS1_3genE10ELNS1_11target_archE1200ELNS1_3gpuE4ELNS1_3repE0EEENS1_30default_config_static_selectorELNS0_4arch9wavefront6targetE0EEEvT1_.num_agpr, 0
	.set _ZN7rocprim17ROCPRIM_400000_NS6detail17trampoline_kernelINS0_14default_configENS1_20scan_config_selectorIfEEZZNS1_9scan_implILNS1_25lookback_scan_determinismE0ELb0ELb0ES3_PKfPffZZZN2at6native31launch_logcumsumexp_cuda_kernelERKNSB_10TensorBaseESF_lENKUlvE_clEvENKUlvE0_clEvEUlffE_fEEDaPvRmT3_T4_T5_mT6_P12ihipStream_tbENKUlT_T0_E_clISt17integral_constantIbLb0EESV_IbLb1EEEEDaSR_SS_EUlSR_E_NS1_11comp_targetILNS1_3genE10ELNS1_11target_archE1200ELNS1_3gpuE4ELNS1_3repE0EEENS1_30default_config_static_selectorELNS0_4arch9wavefront6targetE0EEEvT1_.numbered_sgpr, 0
	.set _ZN7rocprim17ROCPRIM_400000_NS6detail17trampoline_kernelINS0_14default_configENS1_20scan_config_selectorIfEEZZNS1_9scan_implILNS1_25lookback_scan_determinismE0ELb0ELb0ES3_PKfPffZZZN2at6native31launch_logcumsumexp_cuda_kernelERKNSB_10TensorBaseESF_lENKUlvE_clEvENKUlvE0_clEvEUlffE_fEEDaPvRmT3_T4_T5_mT6_P12ihipStream_tbENKUlT_T0_E_clISt17integral_constantIbLb0EESV_IbLb1EEEEDaSR_SS_EUlSR_E_NS1_11comp_targetILNS1_3genE10ELNS1_11target_archE1200ELNS1_3gpuE4ELNS1_3repE0EEENS1_30default_config_static_selectorELNS0_4arch9wavefront6targetE0EEEvT1_.num_named_barrier, 0
	.set _ZN7rocprim17ROCPRIM_400000_NS6detail17trampoline_kernelINS0_14default_configENS1_20scan_config_selectorIfEEZZNS1_9scan_implILNS1_25lookback_scan_determinismE0ELb0ELb0ES3_PKfPffZZZN2at6native31launch_logcumsumexp_cuda_kernelERKNSB_10TensorBaseESF_lENKUlvE_clEvENKUlvE0_clEvEUlffE_fEEDaPvRmT3_T4_T5_mT6_P12ihipStream_tbENKUlT_T0_E_clISt17integral_constantIbLb0EESV_IbLb1EEEEDaSR_SS_EUlSR_E_NS1_11comp_targetILNS1_3genE10ELNS1_11target_archE1200ELNS1_3gpuE4ELNS1_3repE0EEENS1_30default_config_static_selectorELNS0_4arch9wavefront6targetE0EEEvT1_.private_seg_size, 0
	.set _ZN7rocprim17ROCPRIM_400000_NS6detail17trampoline_kernelINS0_14default_configENS1_20scan_config_selectorIfEEZZNS1_9scan_implILNS1_25lookback_scan_determinismE0ELb0ELb0ES3_PKfPffZZZN2at6native31launch_logcumsumexp_cuda_kernelERKNSB_10TensorBaseESF_lENKUlvE_clEvENKUlvE0_clEvEUlffE_fEEDaPvRmT3_T4_T5_mT6_P12ihipStream_tbENKUlT_T0_E_clISt17integral_constantIbLb0EESV_IbLb1EEEEDaSR_SS_EUlSR_E_NS1_11comp_targetILNS1_3genE10ELNS1_11target_archE1200ELNS1_3gpuE4ELNS1_3repE0EEENS1_30default_config_static_selectorELNS0_4arch9wavefront6targetE0EEEvT1_.uses_vcc, 0
	.set _ZN7rocprim17ROCPRIM_400000_NS6detail17trampoline_kernelINS0_14default_configENS1_20scan_config_selectorIfEEZZNS1_9scan_implILNS1_25lookback_scan_determinismE0ELb0ELb0ES3_PKfPffZZZN2at6native31launch_logcumsumexp_cuda_kernelERKNSB_10TensorBaseESF_lENKUlvE_clEvENKUlvE0_clEvEUlffE_fEEDaPvRmT3_T4_T5_mT6_P12ihipStream_tbENKUlT_T0_E_clISt17integral_constantIbLb0EESV_IbLb1EEEEDaSR_SS_EUlSR_E_NS1_11comp_targetILNS1_3genE10ELNS1_11target_archE1200ELNS1_3gpuE4ELNS1_3repE0EEENS1_30default_config_static_selectorELNS0_4arch9wavefront6targetE0EEEvT1_.uses_flat_scratch, 0
	.set _ZN7rocprim17ROCPRIM_400000_NS6detail17trampoline_kernelINS0_14default_configENS1_20scan_config_selectorIfEEZZNS1_9scan_implILNS1_25lookback_scan_determinismE0ELb0ELb0ES3_PKfPffZZZN2at6native31launch_logcumsumexp_cuda_kernelERKNSB_10TensorBaseESF_lENKUlvE_clEvENKUlvE0_clEvEUlffE_fEEDaPvRmT3_T4_T5_mT6_P12ihipStream_tbENKUlT_T0_E_clISt17integral_constantIbLb0EESV_IbLb1EEEEDaSR_SS_EUlSR_E_NS1_11comp_targetILNS1_3genE10ELNS1_11target_archE1200ELNS1_3gpuE4ELNS1_3repE0EEENS1_30default_config_static_selectorELNS0_4arch9wavefront6targetE0EEEvT1_.has_dyn_sized_stack, 0
	.set _ZN7rocprim17ROCPRIM_400000_NS6detail17trampoline_kernelINS0_14default_configENS1_20scan_config_selectorIfEEZZNS1_9scan_implILNS1_25lookback_scan_determinismE0ELb0ELb0ES3_PKfPffZZZN2at6native31launch_logcumsumexp_cuda_kernelERKNSB_10TensorBaseESF_lENKUlvE_clEvENKUlvE0_clEvEUlffE_fEEDaPvRmT3_T4_T5_mT6_P12ihipStream_tbENKUlT_T0_E_clISt17integral_constantIbLb0EESV_IbLb1EEEEDaSR_SS_EUlSR_E_NS1_11comp_targetILNS1_3genE10ELNS1_11target_archE1200ELNS1_3gpuE4ELNS1_3repE0EEENS1_30default_config_static_selectorELNS0_4arch9wavefront6targetE0EEEvT1_.has_recursion, 0
	.set _ZN7rocprim17ROCPRIM_400000_NS6detail17trampoline_kernelINS0_14default_configENS1_20scan_config_selectorIfEEZZNS1_9scan_implILNS1_25lookback_scan_determinismE0ELb0ELb0ES3_PKfPffZZZN2at6native31launch_logcumsumexp_cuda_kernelERKNSB_10TensorBaseESF_lENKUlvE_clEvENKUlvE0_clEvEUlffE_fEEDaPvRmT3_T4_T5_mT6_P12ihipStream_tbENKUlT_T0_E_clISt17integral_constantIbLb0EESV_IbLb1EEEEDaSR_SS_EUlSR_E_NS1_11comp_targetILNS1_3genE10ELNS1_11target_archE1200ELNS1_3gpuE4ELNS1_3repE0EEENS1_30default_config_static_selectorELNS0_4arch9wavefront6targetE0EEEvT1_.has_indirect_call, 0
	.section	.AMDGPU.csdata,"",@progbits
; Kernel info:
; codeLenInByte = 0
; TotalNumSgprs: 0
; NumVgprs: 0
; ScratchSize: 0
; MemoryBound: 0
; FloatMode: 240
; IeeeMode: 1
; LDSByteSize: 0 bytes/workgroup (compile time only)
; SGPRBlocks: 0
; VGPRBlocks: 0
; NumSGPRsForWavesPerEU: 1
; NumVGPRsForWavesPerEU: 1
; Occupancy: 16
; WaveLimiterHint : 0
; COMPUTE_PGM_RSRC2:SCRATCH_EN: 0
; COMPUTE_PGM_RSRC2:USER_SGPR: 6
; COMPUTE_PGM_RSRC2:TRAP_HANDLER: 0
; COMPUTE_PGM_RSRC2:TGID_X_EN: 1
; COMPUTE_PGM_RSRC2:TGID_Y_EN: 0
; COMPUTE_PGM_RSRC2:TGID_Z_EN: 0
; COMPUTE_PGM_RSRC2:TIDIG_COMP_CNT: 0
	.section	.text._ZN7rocprim17ROCPRIM_400000_NS6detail17trampoline_kernelINS0_14default_configENS1_20scan_config_selectorIfEEZZNS1_9scan_implILNS1_25lookback_scan_determinismE0ELb0ELb0ES3_PKfPffZZZN2at6native31launch_logcumsumexp_cuda_kernelERKNSB_10TensorBaseESF_lENKUlvE_clEvENKUlvE0_clEvEUlffE_fEEDaPvRmT3_T4_T5_mT6_P12ihipStream_tbENKUlT_T0_E_clISt17integral_constantIbLb0EESV_IbLb1EEEEDaSR_SS_EUlSR_E_NS1_11comp_targetILNS1_3genE9ELNS1_11target_archE1100ELNS1_3gpuE3ELNS1_3repE0EEENS1_30default_config_static_selectorELNS0_4arch9wavefront6targetE0EEEvT1_,"axG",@progbits,_ZN7rocprim17ROCPRIM_400000_NS6detail17trampoline_kernelINS0_14default_configENS1_20scan_config_selectorIfEEZZNS1_9scan_implILNS1_25lookback_scan_determinismE0ELb0ELb0ES3_PKfPffZZZN2at6native31launch_logcumsumexp_cuda_kernelERKNSB_10TensorBaseESF_lENKUlvE_clEvENKUlvE0_clEvEUlffE_fEEDaPvRmT3_T4_T5_mT6_P12ihipStream_tbENKUlT_T0_E_clISt17integral_constantIbLb0EESV_IbLb1EEEEDaSR_SS_EUlSR_E_NS1_11comp_targetILNS1_3genE9ELNS1_11target_archE1100ELNS1_3gpuE3ELNS1_3repE0EEENS1_30default_config_static_selectorELNS0_4arch9wavefront6targetE0EEEvT1_,comdat
	.globl	_ZN7rocprim17ROCPRIM_400000_NS6detail17trampoline_kernelINS0_14default_configENS1_20scan_config_selectorIfEEZZNS1_9scan_implILNS1_25lookback_scan_determinismE0ELb0ELb0ES3_PKfPffZZZN2at6native31launch_logcumsumexp_cuda_kernelERKNSB_10TensorBaseESF_lENKUlvE_clEvENKUlvE0_clEvEUlffE_fEEDaPvRmT3_T4_T5_mT6_P12ihipStream_tbENKUlT_T0_E_clISt17integral_constantIbLb0EESV_IbLb1EEEEDaSR_SS_EUlSR_E_NS1_11comp_targetILNS1_3genE9ELNS1_11target_archE1100ELNS1_3gpuE3ELNS1_3repE0EEENS1_30default_config_static_selectorELNS0_4arch9wavefront6targetE0EEEvT1_ ; -- Begin function _ZN7rocprim17ROCPRIM_400000_NS6detail17trampoline_kernelINS0_14default_configENS1_20scan_config_selectorIfEEZZNS1_9scan_implILNS1_25lookback_scan_determinismE0ELb0ELb0ES3_PKfPffZZZN2at6native31launch_logcumsumexp_cuda_kernelERKNSB_10TensorBaseESF_lENKUlvE_clEvENKUlvE0_clEvEUlffE_fEEDaPvRmT3_T4_T5_mT6_P12ihipStream_tbENKUlT_T0_E_clISt17integral_constantIbLb0EESV_IbLb1EEEEDaSR_SS_EUlSR_E_NS1_11comp_targetILNS1_3genE9ELNS1_11target_archE1100ELNS1_3gpuE3ELNS1_3repE0EEENS1_30default_config_static_selectorELNS0_4arch9wavefront6targetE0EEEvT1_
	.p2align	8
	.type	_ZN7rocprim17ROCPRIM_400000_NS6detail17trampoline_kernelINS0_14default_configENS1_20scan_config_selectorIfEEZZNS1_9scan_implILNS1_25lookback_scan_determinismE0ELb0ELb0ES3_PKfPffZZZN2at6native31launch_logcumsumexp_cuda_kernelERKNSB_10TensorBaseESF_lENKUlvE_clEvENKUlvE0_clEvEUlffE_fEEDaPvRmT3_T4_T5_mT6_P12ihipStream_tbENKUlT_T0_E_clISt17integral_constantIbLb0EESV_IbLb1EEEEDaSR_SS_EUlSR_E_NS1_11comp_targetILNS1_3genE9ELNS1_11target_archE1100ELNS1_3gpuE3ELNS1_3repE0EEENS1_30default_config_static_selectorELNS0_4arch9wavefront6targetE0EEEvT1_,@function
_ZN7rocprim17ROCPRIM_400000_NS6detail17trampoline_kernelINS0_14default_configENS1_20scan_config_selectorIfEEZZNS1_9scan_implILNS1_25lookback_scan_determinismE0ELb0ELb0ES3_PKfPffZZZN2at6native31launch_logcumsumexp_cuda_kernelERKNSB_10TensorBaseESF_lENKUlvE_clEvENKUlvE0_clEvEUlffE_fEEDaPvRmT3_T4_T5_mT6_P12ihipStream_tbENKUlT_T0_E_clISt17integral_constantIbLb0EESV_IbLb1EEEEDaSR_SS_EUlSR_E_NS1_11comp_targetILNS1_3genE9ELNS1_11target_archE1100ELNS1_3gpuE3ELNS1_3repE0EEENS1_30default_config_static_selectorELNS0_4arch9wavefront6targetE0EEEvT1_: ; @_ZN7rocprim17ROCPRIM_400000_NS6detail17trampoline_kernelINS0_14default_configENS1_20scan_config_selectorIfEEZZNS1_9scan_implILNS1_25lookback_scan_determinismE0ELb0ELb0ES3_PKfPffZZZN2at6native31launch_logcumsumexp_cuda_kernelERKNSB_10TensorBaseESF_lENKUlvE_clEvENKUlvE0_clEvEUlffE_fEEDaPvRmT3_T4_T5_mT6_P12ihipStream_tbENKUlT_T0_E_clISt17integral_constantIbLb0EESV_IbLb1EEEEDaSR_SS_EUlSR_E_NS1_11comp_targetILNS1_3genE9ELNS1_11target_archE1100ELNS1_3gpuE3ELNS1_3repE0EEENS1_30default_config_static_selectorELNS0_4arch9wavefront6targetE0EEEvT1_
; %bb.0:
	.section	.rodata,"a",@progbits
	.p2align	6, 0x0
	.amdhsa_kernel _ZN7rocprim17ROCPRIM_400000_NS6detail17trampoline_kernelINS0_14default_configENS1_20scan_config_selectorIfEEZZNS1_9scan_implILNS1_25lookback_scan_determinismE0ELb0ELb0ES3_PKfPffZZZN2at6native31launch_logcumsumexp_cuda_kernelERKNSB_10TensorBaseESF_lENKUlvE_clEvENKUlvE0_clEvEUlffE_fEEDaPvRmT3_T4_T5_mT6_P12ihipStream_tbENKUlT_T0_E_clISt17integral_constantIbLb0EESV_IbLb1EEEEDaSR_SS_EUlSR_E_NS1_11comp_targetILNS1_3genE9ELNS1_11target_archE1100ELNS1_3gpuE3ELNS1_3repE0EEENS1_30default_config_static_selectorELNS0_4arch9wavefront6targetE0EEEvT1_
		.amdhsa_group_segment_fixed_size 0
		.amdhsa_private_segment_fixed_size 0
		.amdhsa_kernarg_size 96
		.amdhsa_user_sgpr_count 6
		.amdhsa_user_sgpr_private_segment_buffer 1
		.amdhsa_user_sgpr_dispatch_ptr 0
		.amdhsa_user_sgpr_queue_ptr 0
		.amdhsa_user_sgpr_kernarg_segment_ptr 1
		.amdhsa_user_sgpr_dispatch_id 0
		.amdhsa_user_sgpr_flat_scratch_init 0
		.amdhsa_user_sgpr_private_segment_size 0
		.amdhsa_wavefront_size32 1
		.amdhsa_uses_dynamic_stack 0
		.amdhsa_system_sgpr_private_segment_wavefront_offset 0
		.amdhsa_system_sgpr_workgroup_id_x 1
		.amdhsa_system_sgpr_workgroup_id_y 0
		.amdhsa_system_sgpr_workgroup_id_z 0
		.amdhsa_system_sgpr_workgroup_info 0
		.amdhsa_system_vgpr_workitem_id 0
		.amdhsa_next_free_vgpr 1
		.amdhsa_next_free_sgpr 1
		.amdhsa_reserve_vcc 0
		.amdhsa_reserve_flat_scratch 0
		.amdhsa_float_round_mode_32 0
		.amdhsa_float_round_mode_16_64 0
		.amdhsa_float_denorm_mode_32 3
		.amdhsa_float_denorm_mode_16_64 3
		.amdhsa_dx10_clamp 1
		.amdhsa_ieee_mode 1
		.amdhsa_fp16_overflow 0
		.amdhsa_workgroup_processor_mode 1
		.amdhsa_memory_ordered 1
		.amdhsa_forward_progress 1
		.amdhsa_shared_vgpr_count 0
		.amdhsa_exception_fp_ieee_invalid_op 0
		.amdhsa_exception_fp_denorm_src 0
		.amdhsa_exception_fp_ieee_div_zero 0
		.amdhsa_exception_fp_ieee_overflow 0
		.amdhsa_exception_fp_ieee_underflow 0
		.amdhsa_exception_fp_ieee_inexact 0
		.amdhsa_exception_int_div_zero 0
	.end_amdhsa_kernel
	.section	.text._ZN7rocprim17ROCPRIM_400000_NS6detail17trampoline_kernelINS0_14default_configENS1_20scan_config_selectorIfEEZZNS1_9scan_implILNS1_25lookback_scan_determinismE0ELb0ELb0ES3_PKfPffZZZN2at6native31launch_logcumsumexp_cuda_kernelERKNSB_10TensorBaseESF_lENKUlvE_clEvENKUlvE0_clEvEUlffE_fEEDaPvRmT3_T4_T5_mT6_P12ihipStream_tbENKUlT_T0_E_clISt17integral_constantIbLb0EESV_IbLb1EEEEDaSR_SS_EUlSR_E_NS1_11comp_targetILNS1_3genE9ELNS1_11target_archE1100ELNS1_3gpuE3ELNS1_3repE0EEENS1_30default_config_static_selectorELNS0_4arch9wavefront6targetE0EEEvT1_,"axG",@progbits,_ZN7rocprim17ROCPRIM_400000_NS6detail17trampoline_kernelINS0_14default_configENS1_20scan_config_selectorIfEEZZNS1_9scan_implILNS1_25lookback_scan_determinismE0ELb0ELb0ES3_PKfPffZZZN2at6native31launch_logcumsumexp_cuda_kernelERKNSB_10TensorBaseESF_lENKUlvE_clEvENKUlvE0_clEvEUlffE_fEEDaPvRmT3_T4_T5_mT6_P12ihipStream_tbENKUlT_T0_E_clISt17integral_constantIbLb0EESV_IbLb1EEEEDaSR_SS_EUlSR_E_NS1_11comp_targetILNS1_3genE9ELNS1_11target_archE1100ELNS1_3gpuE3ELNS1_3repE0EEENS1_30default_config_static_selectorELNS0_4arch9wavefront6targetE0EEEvT1_,comdat
.Lfunc_end160:
	.size	_ZN7rocprim17ROCPRIM_400000_NS6detail17trampoline_kernelINS0_14default_configENS1_20scan_config_selectorIfEEZZNS1_9scan_implILNS1_25lookback_scan_determinismE0ELb0ELb0ES3_PKfPffZZZN2at6native31launch_logcumsumexp_cuda_kernelERKNSB_10TensorBaseESF_lENKUlvE_clEvENKUlvE0_clEvEUlffE_fEEDaPvRmT3_T4_T5_mT6_P12ihipStream_tbENKUlT_T0_E_clISt17integral_constantIbLb0EESV_IbLb1EEEEDaSR_SS_EUlSR_E_NS1_11comp_targetILNS1_3genE9ELNS1_11target_archE1100ELNS1_3gpuE3ELNS1_3repE0EEENS1_30default_config_static_selectorELNS0_4arch9wavefront6targetE0EEEvT1_, .Lfunc_end160-_ZN7rocprim17ROCPRIM_400000_NS6detail17trampoline_kernelINS0_14default_configENS1_20scan_config_selectorIfEEZZNS1_9scan_implILNS1_25lookback_scan_determinismE0ELb0ELb0ES3_PKfPffZZZN2at6native31launch_logcumsumexp_cuda_kernelERKNSB_10TensorBaseESF_lENKUlvE_clEvENKUlvE0_clEvEUlffE_fEEDaPvRmT3_T4_T5_mT6_P12ihipStream_tbENKUlT_T0_E_clISt17integral_constantIbLb0EESV_IbLb1EEEEDaSR_SS_EUlSR_E_NS1_11comp_targetILNS1_3genE9ELNS1_11target_archE1100ELNS1_3gpuE3ELNS1_3repE0EEENS1_30default_config_static_selectorELNS0_4arch9wavefront6targetE0EEEvT1_
                                        ; -- End function
	.set _ZN7rocprim17ROCPRIM_400000_NS6detail17trampoline_kernelINS0_14default_configENS1_20scan_config_selectorIfEEZZNS1_9scan_implILNS1_25lookback_scan_determinismE0ELb0ELb0ES3_PKfPffZZZN2at6native31launch_logcumsumexp_cuda_kernelERKNSB_10TensorBaseESF_lENKUlvE_clEvENKUlvE0_clEvEUlffE_fEEDaPvRmT3_T4_T5_mT6_P12ihipStream_tbENKUlT_T0_E_clISt17integral_constantIbLb0EESV_IbLb1EEEEDaSR_SS_EUlSR_E_NS1_11comp_targetILNS1_3genE9ELNS1_11target_archE1100ELNS1_3gpuE3ELNS1_3repE0EEENS1_30default_config_static_selectorELNS0_4arch9wavefront6targetE0EEEvT1_.num_vgpr, 0
	.set _ZN7rocprim17ROCPRIM_400000_NS6detail17trampoline_kernelINS0_14default_configENS1_20scan_config_selectorIfEEZZNS1_9scan_implILNS1_25lookback_scan_determinismE0ELb0ELb0ES3_PKfPffZZZN2at6native31launch_logcumsumexp_cuda_kernelERKNSB_10TensorBaseESF_lENKUlvE_clEvENKUlvE0_clEvEUlffE_fEEDaPvRmT3_T4_T5_mT6_P12ihipStream_tbENKUlT_T0_E_clISt17integral_constantIbLb0EESV_IbLb1EEEEDaSR_SS_EUlSR_E_NS1_11comp_targetILNS1_3genE9ELNS1_11target_archE1100ELNS1_3gpuE3ELNS1_3repE0EEENS1_30default_config_static_selectorELNS0_4arch9wavefront6targetE0EEEvT1_.num_agpr, 0
	.set _ZN7rocprim17ROCPRIM_400000_NS6detail17trampoline_kernelINS0_14default_configENS1_20scan_config_selectorIfEEZZNS1_9scan_implILNS1_25lookback_scan_determinismE0ELb0ELb0ES3_PKfPffZZZN2at6native31launch_logcumsumexp_cuda_kernelERKNSB_10TensorBaseESF_lENKUlvE_clEvENKUlvE0_clEvEUlffE_fEEDaPvRmT3_T4_T5_mT6_P12ihipStream_tbENKUlT_T0_E_clISt17integral_constantIbLb0EESV_IbLb1EEEEDaSR_SS_EUlSR_E_NS1_11comp_targetILNS1_3genE9ELNS1_11target_archE1100ELNS1_3gpuE3ELNS1_3repE0EEENS1_30default_config_static_selectorELNS0_4arch9wavefront6targetE0EEEvT1_.numbered_sgpr, 0
	.set _ZN7rocprim17ROCPRIM_400000_NS6detail17trampoline_kernelINS0_14default_configENS1_20scan_config_selectorIfEEZZNS1_9scan_implILNS1_25lookback_scan_determinismE0ELb0ELb0ES3_PKfPffZZZN2at6native31launch_logcumsumexp_cuda_kernelERKNSB_10TensorBaseESF_lENKUlvE_clEvENKUlvE0_clEvEUlffE_fEEDaPvRmT3_T4_T5_mT6_P12ihipStream_tbENKUlT_T0_E_clISt17integral_constantIbLb0EESV_IbLb1EEEEDaSR_SS_EUlSR_E_NS1_11comp_targetILNS1_3genE9ELNS1_11target_archE1100ELNS1_3gpuE3ELNS1_3repE0EEENS1_30default_config_static_selectorELNS0_4arch9wavefront6targetE0EEEvT1_.num_named_barrier, 0
	.set _ZN7rocprim17ROCPRIM_400000_NS6detail17trampoline_kernelINS0_14default_configENS1_20scan_config_selectorIfEEZZNS1_9scan_implILNS1_25lookback_scan_determinismE0ELb0ELb0ES3_PKfPffZZZN2at6native31launch_logcumsumexp_cuda_kernelERKNSB_10TensorBaseESF_lENKUlvE_clEvENKUlvE0_clEvEUlffE_fEEDaPvRmT3_T4_T5_mT6_P12ihipStream_tbENKUlT_T0_E_clISt17integral_constantIbLb0EESV_IbLb1EEEEDaSR_SS_EUlSR_E_NS1_11comp_targetILNS1_3genE9ELNS1_11target_archE1100ELNS1_3gpuE3ELNS1_3repE0EEENS1_30default_config_static_selectorELNS0_4arch9wavefront6targetE0EEEvT1_.private_seg_size, 0
	.set _ZN7rocprim17ROCPRIM_400000_NS6detail17trampoline_kernelINS0_14default_configENS1_20scan_config_selectorIfEEZZNS1_9scan_implILNS1_25lookback_scan_determinismE0ELb0ELb0ES3_PKfPffZZZN2at6native31launch_logcumsumexp_cuda_kernelERKNSB_10TensorBaseESF_lENKUlvE_clEvENKUlvE0_clEvEUlffE_fEEDaPvRmT3_T4_T5_mT6_P12ihipStream_tbENKUlT_T0_E_clISt17integral_constantIbLb0EESV_IbLb1EEEEDaSR_SS_EUlSR_E_NS1_11comp_targetILNS1_3genE9ELNS1_11target_archE1100ELNS1_3gpuE3ELNS1_3repE0EEENS1_30default_config_static_selectorELNS0_4arch9wavefront6targetE0EEEvT1_.uses_vcc, 0
	.set _ZN7rocprim17ROCPRIM_400000_NS6detail17trampoline_kernelINS0_14default_configENS1_20scan_config_selectorIfEEZZNS1_9scan_implILNS1_25lookback_scan_determinismE0ELb0ELb0ES3_PKfPffZZZN2at6native31launch_logcumsumexp_cuda_kernelERKNSB_10TensorBaseESF_lENKUlvE_clEvENKUlvE0_clEvEUlffE_fEEDaPvRmT3_T4_T5_mT6_P12ihipStream_tbENKUlT_T0_E_clISt17integral_constantIbLb0EESV_IbLb1EEEEDaSR_SS_EUlSR_E_NS1_11comp_targetILNS1_3genE9ELNS1_11target_archE1100ELNS1_3gpuE3ELNS1_3repE0EEENS1_30default_config_static_selectorELNS0_4arch9wavefront6targetE0EEEvT1_.uses_flat_scratch, 0
	.set _ZN7rocprim17ROCPRIM_400000_NS6detail17trampoline_kernelINS0_14default_configENS1_20scan_config_selectorIfEEZZNS1_9scan_implILNS1_25lookback_scan_determinismE0ELb0ELb0ES3_PKfPffZZZN2at6native31launch_logcumsumexp_cuda_kernelERKNSB_10TensorBaseESF_lENKUlvE_clEvENKUlvE0_clEvEUlffE_fEEDaPvRmT3_T4_T5_mT6_P12ihipStream_tbENKUlT_T0_E_clISt17integral_constantIbLb0EESV_IbLb1EEEEDaSR_SS_EUlSR_E_NS1_11comp_targetILNS1_3genE9ELNS1_11target_archE1100ELNS1_3gpuE3ELNS1_3repE0EEENS1_30default_config_static_selectorELNS0_4arch9wavefront6targetE0EEEvT1_.has_dyn_sized_stack, 0
	.set _ZN7rocprim17ROCPRIM_400000_NS6detail17trampoline_kernelINS0_14default_configENS1_20scan_config_selectorIfEEZZNS1_9scan_implILNS1_25lookback_scan_determinismE0ELb0ELb0ES3_PKfPffZZZN2at6native31launch_logcumsumexp_cuda_kernelERKNSB_10TensorBaseESF_lENKUlvE_clEvENKUlvE0_clEvEUlffE_fEEDaPvRmT3_T4_T5_mT6_P12ihipStream_tbENKUlT_T0_E_clISt17integral_constantIbLb0EESV_IbLb1EEEEDaSR_SS_EUlSR_E_NS1_11comp_targetILNS1_3genE9ELNS1_11target_archE1100ELNS1_3gpuE3ELNS1_3repE0EEENS1_30default_config_static_selectorELNS0_4arch9wavefront6targetE0EEEvT1_.has_recursion, 0
	.set _ZN7rocprim17ROCPRIM_400000_NS6detail17trampoline_kernelINS0_14default_configENS1_20scan_config_selectorIfEEZZNS1_9scan_implILNS1_25lookback_scan_determinismE0ELb0ELb0ES3_PKfPffZZZN2at6native31launch_logcumsumexp_cuda_kernelERKNSB_10TensorBaseESF_lENKUlvE_clEvENKUlvE0_clEvEUlffE_fEEDaPvRmT3_T4_T5_mT6_P12ihipStream_tbENKUlT_T0_E_clISt17integral_constantIbLb0EESV_IbLb1EEEEDaSR_SS_EUlSR_E_NS1_11comp_targetILNS1_3genE9ELNS1_11target_archE1100ELNS1_3gpuE3ELNS1_3repE0EEENS1_30default_config_static_selectorELNS0_4arch9wavefront6targetE0EEEvT1_.has_indirect_call, 0
	.section	.AMDGPU.csdata,"",@progbits
; Kernel info:
; codeLenInByte = 0
; TotalNumSgprs: 0
; NumVgprs: 0
; ScratchSize: 0
; MemoryBound: 0
; FloatMode: 240
; IeeeMode: 1
; LDSByteSize: 0 bytes/workgroup (compile time only)
; SGPRBlocks: 0
; VGPRBlocks: 0
; NumSGPRsForWavesPerEU: 1
; NumVGPRsForWavesPerEU: 1
; Occupancy: 16
; WaveLimiterHint : 0
; COMPUTE_PGM_RSRC2:SCRATCH_EN: 0
; COMPUTE_PGM_RSRC2:USER_SGPR: 6
; COMPUTE_PGM_RSRC2:TRAP_HANDLER: 0
; COMPUTE_PGM_RSRC2:TGID_X_EN: 1
; COMPUTE_PGM_RSRC2:TGID_Y_EN: 0
; COMPUTE_PGM_RSRC2:TGID_Z_EN: 0
; COMPUTE_PGM_RSRC2:TIDIG_COMP_CNT: 0
	.section	.text._ZN7rocprim17ROCPRIM_400000_NS6detail17trampoline_kernelINS0_14default_configENS1_20scan_config_selectorIfEEZZNS1_9scan_implILNS1_25lookback_scan_determinismE0ELb0ELb0ES3_PKfPffZZZN2at6native31launch_logcumsumexp_cuda_kernelERKNSB_10TensorBaseESF_lENKUlvE_clEvENKUlvE0_clEvEUlffE_fEEDaPvRmT3_T4_T5_mT6_P12ihipStream_tbENKUlT_T0_E_clISt17integral_constantIbLb0EESV_IbLb1EEEEDaSR_SS_EUlSR_E_NS1_11comp_targetILNS1_3genE8ELNS1_11target_archE1030ELNS1_3gpuE2ELNS1_3repE0EEENS1_30default_config_static_selectorELNS0_4arch9wavefront6targetE0EEEvT1_,"axG",@progbits,_ZN7rocprim17ROCPRIM_400000_NS6detail17trampoline_kernelINS0_14default_configENS1_20scan_config_selectorIfEEZZNS1_9scan_implILNS1_25lookback_scan_determinismE0ELb0ELb0ES3_PKfPffZZZN2at6native31launch_logcumsumexp_cuda_kernelERKNSB_10TensorBaseESF_lENKUlvE_clEvENKUlvE0_clEvEUlffE_fEEDaPvRmT3_T4_T5_mT6_P12ihipStream_tbENKUlT_T0_E_clISt17integral_constantIbLb0EESV_IbLb1EEEEDaSR_SS_EUlSR_E_NS1_11comp_targetILNS1_3genE8ELNS1_11target_archE1030ELNS1_3gpuE2ELNS1_3repE0EEENS1_30default_config_static_selectorELNS0_4arch9wavefront6targetE0EEEvT1_,comdat
	.globl	_ZN7rocprim17ROCPRIM_400000_NS6detail17trampoline_kernelINS0_14default_configENS1_20scan_config_selectorIfEEZZNS1_9scan_implILNS1_25lookback_scan_determinismE0ELb0ELb0ES3_PKfPffZZZN2at6native31launch_logcumsumexp_cuda_kernelERKNSB_10TensorBaseESF_lENKUlvE_clEvENKUlvE0_clEvEUlffE_fEEDaPvRmT3_T4_T5_mT6_P12ihipStream_tbENKUlT_T0_E_clISt17integral_constantIbLb0EESV_IbLb1EEEEDaSR_SS_EUlSR_E_NS1_11comp_targetILNS1_3genE8ELNS1_11target_archE1030ELNS1_3gpuE2ELNS1_3repE0EEENS1_30default_config_static_selectorELNS0_4arch9wavefront6targetE0EEEvT1_ ; -- Begin function _ZN7rocprim17ROCPRIM_400000_NS6detail17trampoline_kernelINS0_14default_configENS1_20scan_config_selectorIfEEZZNS1_9scan_implILNS1_25lookback_scan_determinismE0ELb0ELb0ES3_PKfPffZZZN2at6native31launch_logcumsumexp_cuda_kernelERKNSB_10TensorBaseESF_lENKUlvE_clEvENKUlvE0_clEvEUlffE_fEEDaPvRmT3_T4_T5_mT6_P12ihipStream_tbENKUlT_T0_E_clISt17integral_constantIbLb0EESV_IbLb1EEEEDaSR_SS_EUlSR_E_NS1_11comp_targetILNS1_3genE8ELNS1_11target_archE1030ELNS1_3gpuE2ELNS1_3repE0EEENS1_30default_config_static_selectorELNS0_4arch9wavefront6targetE0EEEvT1_
	.p2align	8
	.type	_ZN7rocprim17ROCPRIM_400000_NS6detail17trampoline_kernelINS0_14default_configENS1_20scan_config_selectorIfEEZZNS1_9scan_implILNS1_25lookback_scan_determinismE0ELb0ELb0ES3_PKfPffZZZN2at6native31launch_logcumsumexp_cuda_kernelERKNSB_10TensorBaseESF_lENKUlvE_clEvENKUlvE0_clEvEUlffE_fEEDaPvRmT3_T4_T5_mT6_P12ihipStream_tbENKUlT_T0_E_clISt17integral_constantIbLb0EESV_IbLb1EEEEDaSR_SS_EUlSR_E_NS1_11comp_targetILNS1_3genE8ELNS1_11target_archE1030ELNS1_3gpuE2ELNS1_3repE0EEENS1_30default_config_static_selectorELNS0_4arch9wavefront6targetE0EEEvT1_,@function
_ZN7rocprim17ROCPRIM_400000_NS6detail17trampoline_kernelINS0_14default_configENS1_20scan_config_selectorIfEEZZNS1_9scan_implILNS1_25lookback_scan_determinismE0ELb0ELb0ES3_PKfPffZZZN2at6native31launch_logcumsumexp_cuda_kernelERKNSB_10TensorBaseESF_lENKUlvE_clEvENKUlvE0_clEvEUlffE_fEEDaPvRmT3_T4_T5_mT6_P12ihipStream_tbENKUlT_T0_E_clISt17integral_constantIbLb0EESV_IbLb1EEEEDaSR_SS_EUlSR_E_NS1_11comp_targetILNS1_3genE8ELNS1_11target_archE1030ELNS1_3gpuE2ELNS1_3repE0EEENS1_30default_config_static_selectorELNS0_4arch9wavefront6targetE0EEEvT1_: ; @_ZN7rocprim17ROCPRIM_400000_NS6detail17trampoline_kernelINS0_14default_configENS1_20scan_config_selectorIfEEZZNS1_9scan_implILNS1_25lookback_scan_determinismE0ELb0ELb0ES3_PKfPffZZZN2at6native31launch_logcumsumexp_cuda_kernelERKNSB_10TensorBaseESF_lENKUlvE_clEvENKUlvE0_clEvEUlffE_fEEDaPvRmT3_T4_T5_mT6_P12ihipStream_tbENKUlT_T0_E_clISt17integral_constantIbLb0EESV_IbLb1EEEEDaSR_SS_EUlSR_E_NS1_11comp_targetILNS1_3genE8ELNS1_11target_archE1030ELNS1_3gpuE2ELNS1_3repE0EEENS1_30default_config_static_selectorELNS0_4arch9wavefront6targetE0EEEvT1_
; %bb.0:
	s_load_dwordx2 s[10:11], s[4:5], 0x28
	v_cmp_ne_u32_e64 s1, 0, v0
	v_cmp_eq_u32_e64 s2, 0, v0
	s_and_saveexec_b32 s0, s2
	s_cbranch_execz .LBB161_4
; %bb.1:
	s_mov_b32 s6, exec_lo
	s_mov_b32 s3, exec_lo
	v_mbcnt_lo_u32_b32 v1, s6, 0
                                        ; implicit-def: $vgpr2
	v_cmpx_eq_u32_e32 0, v1
	s_cbranch_execz .LBB161_3
; %bb.2:
	s_load_dwordx2 s[8:9], s[4:5], 0x58
	s_bcnt1_i32_b32 s6, s6
	v_mov_b32_e32 v2, 0
	v_mov_b32_e32 v3, s6
	s_waitcnt lgkmcnt(0)
	global_atomic_add v2, v2, v3, s[8:9] glc
.LBB161_3:
	s_or_b32 exec_lo, exec_lo, s3
	s_waitcnt vmcnt(0)
	v_readfirstlane_b32 s3, v2
	v_mov_b32_e32 v2, 0
	v_add_nc_u32_e32 v1, s3, v1
	ds_write_b32 v2, v1
.LBB161_4:
	s_or_b32 exec_lo, exec_lo, s0
	v_mov_b32_e32 v1, 0
	s_clause 0x2
	s_load_dwordx8 s[20:27], s[4:5], 0x0
	s_load_dword s0, s[4:5], 0x30
	s_load_dwordx8 s[12:19], s[4:5], 0x38
	s_waitcnt lgkmcnt(0)
	s_barrier
	buffer_gl0_inv
	ds_read_b32 v1, v1
	s_mov_b32 s5, 0
	v_lshlrev_b32_e32 v14, 2, v0
	s_waitcnt lgkmcnt(0)
	s_barrier
	buffer_gl0_inv
	s_lshl_b64 s[22:23], s[22:23], 2
	s_add_u32 s3, s20, s22
	s_addc_u32 s6, s21, s23
	s_add_i32 s0, s0, -1
	s_mul_i32 s4, s0, 0x140
	v_readfirstlane_b32 s30, v1
	s_sub_u32 s28, s26, s4
	v_cmp_ne_u32_e64 s0, s0, v1
	s_subb_u32 s29, s27, 0
	s_mul_i32 s4, s30, 0x140
	s_lshl_b64 s[20:21], s[4:5], 2
	s_add_u32 s4, s3, s20
	s_addc_u32 s5, s6, s21
	s_and_b32 vcc_lo, exec_lo, s0
	s_mov_b32 s6, -1
	s_cbranch_vccz .LBB161_6
; %bb.5:
	s_clause 0x4
	global_load_dword v1, v14, s[4:5]
	global_load_dword v2, v14, s[4:5] offset:256
	global_load_dword v3, v14, s[4:5] offset:512
	;; [unrolled: 1-line block ×4, first 2 shown]
	s_mov_b32 s6, 0
	s_waitcnt vmcnt(3)
	ds_write2st64_b32 v14, v1, v2 offset1:1
	s_waitcnt vmcnt(1)
	ds_write2st64_b32 v14, v3, v4 offset0:2 offset1:3
	s_waitcnt vmcnt(0)
	ds_write_b32 v14, v5 offset:1024
	s_waitcnt lgkmcnt(0)
	s_barrier
.LBB161_6:
	v_cmp_gt_u32_e64 s3, s28, v0
	s_andn2_b32 vcc_lo, exec_lo, s6
	s_cbranch_vccnz .LBB161_18
; %bb.7:
	v_mov_b32_e32 v1, 0
	global_load_dword v1, v1, s[4:5]
	s_waitcnt vmcnt(0)
	v_mov_b32_e32 v2, v1
	v_mov_b32_e32 v4, v1
	;; [unrolled: 1-line block ×4, first 2 shown]
	s_and_saveexec_b32 s6, s3
	s_cbranch_execz .LBB161_9
; %bb.8:
	global_load_dword v5, v14, s[4:5]
.LBB161_9:
	s_or_b32 exec_lo, exec_lo, s6
	v_or_b32_e32 v6, 64, v0
	s_mov_b32 s3, exec_lo
	v_cmpx_gt_u32_e64 s28, v6
	s_cbranch_execz .LBB161_11
; %bb.10:
	global_load_dword v1, v14, s[4:5] offset:256
.LBB161_11:
	s_or_b32 exec_lo, exec_lo, s3
	v_or_b32_e32 v6, 0x80, v0
	s_mov_b32 s3, exec_lo
	v_cmpx_gt_u32_e64 s28, v6
	s_cbranch_execz .LBB161_13
; %bb.12:
	global_load_dword v2, v14, s[4:5] offset:512
.LBB161_13:
	;; [unrolled: 8-line block ×4, first 2 shown]
	s_or_b32 exec_lo, exec_lo, s3
	s_waitcnt vmcnt(0)
	ds_write2st64_b32 v14, v5, v1 offset1:1
	ds_write2st64_b32 v14, v2, v4 offset0:2 offset1:3
	ds_write_b32 v14, v3 offset:1024
	s_waitcnt lgkmcnt(0)
	s_barrier
.LBB161_18:
	v_mul_u32_u24_e32 v15, 20, v0
	buffer_gl0_inv
	s_cmp_lg_u32 s30, 0
	ds_read2_b32 v[1:2], v15 offset1:1
	ds_read2_b32 v[8:9], v15 offset0:2 offset1:3
	ds_read_b32 v16, v15 offset:16
	s_waitcnt lgkmcnt(0)
	s_barrier
	buffer_gl0_inv
	v_cmp_u_f32_e64 s3, v2, v2
	v_max_f32_e32 v17, v2, v2
	s_cbranch_scc0 .LBB161_114
; %bb.19:
	v_max_f32_e32 v21, v1, v1
	v_cmp_u_f32_e64 s7, v1, v1
	v_mov_b32_e32 v22, v1
	v_min_f32_e32 v3, v21, v17
	v_max_f32_e32 v4, v21, v17
	v_cndmask_b32_e64 v3, v3, v1, s7
	v_cndmask_b32_e64 v5, v4, v1, s7
	;; [unrolled: 1-line block ×4, first 2 shown]
	v_cmp_class_f32_e64 s4, v4, 0x1f8
	v_cmp_neq_f32_e32 vcc_lo, v4, v3
	s_or_b32 s5, vcc_lo, s4
	s_and_saveexec_b32 s4, s5
	s_cbranch_execz .LBB161_21
; %bb.20:
	v_sub_f32_e32 v4, v4, v3
	s_mov_b32 s5, 0x3e9b6dac
	v_mul_f32_e32 v5, 0x3fb8aa3b, v4
	v_cmp_ngt_f32_e32 vcc_lo, 0xc2ce8ed0, v4
	v_fma_f32 v6, 0x3fb8aa3b, v4, -v5
	v_rndne_f32_e32 v7, v5
	v_fmamk_f32 v6, v4, 0x32a5705f, v6
	v_sub_f32_e32 v5, v5, v7
	v_add_f32_e32 v5, v5, v6
	v_cvt_i32_f32_e32 v6, v7
	v_exp_f32_e32 v5, v5
	v_ldexp_f32 v5, v5, v6
	v_cndmask_b32_e32 v5, 0, v5, vcc_lo
	v_cmp_nlt_f32_e32 vcc_lo, 0x42b17218, v4
	v_cndmask_b32_e32 v6, 0x7f800000, v5, vcc_lo
	v_add_f32_e32 v7, 1.0, v6
	v_cvt_f64_f32_e32 v[4:5], v7
	v_frexp_exp_i32_f64_e32 v4, v[4:5]
	v_frexp_mant_f32_e32 v5, v7
	v_cmp_gt_f32_e32 vcc_lo, 0x3f2aaaab, v5
	v_add_f32_e32 v5, -1.0, v7
	v_sub_f32_e32 v11, v5, v7
	v_sub_f32_e32 v5, v6, v5
	v_add_f32_e32 v11, 1.0, v11
	v_add_f32_e32 v5, v5, v11
	v_subrev_co_ci_u32_e64 v4, null, 0, v4, vcc_lo
	v_cmp_neq_f32_e32 vcc_lo, 0x7f800000, v6
	v_sub_nc_u32_e32 v10, 0, v4
	v_cvt_f32_i32_e32 v4, v4
	v_ldexp_f32 v7, v7, v10
	v_ldexp_f32 v5, v5, v10
	v_add_f32_e32 v12, 1.0, v7
	v_add_f32_e32 v10, -1.0, v7
	v_add_f32_e32 v11, -1.0, v12
	v_add_f32_e32 v13, 1.0, v10
	v_sub_f32_e32 v11, v7, v11
	v_sub_f32_e32 v7, v7, v13
	v_add_f32_e32 v11, v5, v11
	v_add_f32_e32 v5, v5, v7
	;; [unrolled: 1-line block ×4, first 2 shown]
	v_rcp_f32_e32 v7, v13
	v_sub_f32_e32 v12, v12, v13
	v_sub_f32_e32 v10, v10, v18
	v_add_f32_e32 v11, v11, v12
	v_add_f32_e32 v5, v5, v10
	v_mul_f32_e32 v19, v18, v7
	v_mul_f32_e32 v20, v13, v19
	v_fma_f32 v12, v19, v13, -v20
	v_fmac_f32_e32 v12, v19, v11
	v_add_f32_e32 v22, v20, v12
	v_sub_f32_e32 v23, v18, v22
	v_sub_f32_e32 v10, v22, v20
	;; [unrolled: 1-line block ×5, first 2 shown]
	v_add_f32_e32 v5, v5, v18
	v_add_f32_e32 v5, v10, v5
	;; [unrolled: 1-line block ×3, first 2 shown]
	v_mul_f32_e32 v12, v7, v10
	v_sub_f32_e32 v22, v23, v10
	v_mul_f32_e32 v18, v13, v12
	v_add_f32_e32 v5, v5, v22
	v_fma_f32 v13, v12, v13, -v18
	v_fmac_f32_e32 v13, v12, v11
	v_add_f32_e32 v11, v18, v13
	v_sub_f32_e32 v20, v10, v11
	v_sub_f32_e32 v18, v11, v18
	;; [unrolled: 1-line block ×5, first 2 shown]
	v_add_f32_e32 v5, v5, v10
	v_add_f32_e32 v10, v19, v12
	;; [unrolled: 1-line block ×3, first 2 shown]
	v_sub_f32_e32 v11, v10, v19
	v_add_f32_e32 v5, v20, v5
	v_sub_f32_e32 v11, v12, v11
	v_mul_f32_e32 v5, v7, v5
	v_add_f32_e32 v5, v11, v5
	v_add_f32_e32 v7, v10, v5
	v_mul_f32_e32 v11, v7, v7
	v_fmaak_f32 v12, s5, v11, 0x3ecc95a3
	v_mul_f32_e32 v13, v7, v11
	v_fmaak_f32 v11, v11, v12, 0x3f2aaada
	v_ldexp_f32 v12, v7, 1
	v_sub_f32_e32 v7, v7, v10
	v_mul_f32_e32 v11, v13, v11
	v_mul_f32_e32 v13, 0x3f317218, v4
	v_sub_f32_e32 v5, v5, v7
	v_add_f32_e32 v10, v12, v11
	v_ldexp_f32 v5, v5, 1
	v_sub_f32_e32 v7, v10, v12
	v_fma_f32 v12, 0x3f317218, v4, -v13
	v_sub_f32_e32 v7, v11, v7
	v_fmamk_f32 v4, v4, 0xb102e308, v12
	v_add_f32_e32 v5, v5, v7
	v_add_f32_e32 v7, v13, v4
	;; [unrolled: 1-line block ×3, first 2 shown]
	v_sub_f32_e32 v13, v7, v13
	v_add_f32_e32 v12, v7, v11
	v_sub_f32_e32 v10, v11, v10
	v_sub_f32_e32 v4, v4, v13
	;; [unrolled: 1-line block ×6, first 2 shown]
	v_add_f32_e32 v11, v4, v5
	v_sub_f32_e32 v7, v7, v19
	v_add_f32_e32 v7, v10, v7
	v_sub_f32_e32 v10, v11, v4
	;; [unrolled: 2-line block ×3, first 2 shown]
	v_sub_f32_e32 v5, v5, v10
	v_add_f32_e32 v13, v12, v7
	v_sub_f32_e32 v4, v4, v11
	v_sub_f32_e32 v10, v13, v12
	v_add_f32_e32 v4, v5, v4
	v_sub_f32_e32 v5, v7, v10
	v_add_f32_e32 v4, v4, v5
	v_add_f32_e32 v4, v13, v4
	v_cndmask_b32_e32 v4, 0x7f800000, v4, vcc_lo
	v_cmp_gt_f32_e64 vcc_lo, 0x33800000, |v6|
	v_cndmask_b32_e32 v4, v4, v6, vcc_lo
	v_add_f32_e32 v22, v3, v4
.LBB161_21:
	s_or_b32 exec_lo, exec_lo, s4
	v_max_f32_e32 v18, v8, v8
	v_max_f32_e32 v3, v22, v22
	v_cmp_u_f32_e32 vcc_lo, v22, v22
	v_cmp_u_f32_e64 s4, v8, v8
	v_min_f32_e32 v4, v3, v18
	v_max_f32_e32 v3, v3, v18
	v_cndmask_b32_e32 v4, v4, v22, vcc_lo
	v_cndmask_b32_e32 v3, v3, v22, vcc_lo
	v_cndmask_b32_e64 v4, v4, v8, s4
	v_cndmask_b32_e64 v3, v3, v8, s4
	v_cmp_class_f32_e64 s5, v4, 0x1f8
	v_cmp_neq_f32_e32 vcc_lo, v4, v3
	s_or_b32 s6, vcc_lo, s5
	s_and_saveexec_b32 s5, s6
	s_cbranch_execz .LBB161_23
; %bb.22:
	v_sub_f32_e32 v4, v4, v3
	s_mov_b32 s6, 0x3e9b6dac
	v_mul_f32_e32 v5, 0x3fb8aa3b, v4
	v_cmp_ngt_f32_e32 vcc_lo, 0xc2ce8ed0, v4
	v_fma_f32 v6, 0x3fb8aa3b, v4, -v5
	v_rndne_f32_e32 v7, v5
	v_fmamk_f32 v6, v4, 0x32a5705f, v6
	v_sub_f32_e32 v5, v5, v7
	v_add_f32_e32 v5, v5, v6
	v_cvt_i32_f32_e32 v6, v7
	v_exp_f32_e32 v5, v5
	v_ldexp_f32 v5, v5, v6
	v_cndmask_b32_e32 v5, 0, v5, vcc_lo
	v_cmp_nlt_f32_e32 vcc_lo, 0x42b17218, v4
	v_cndmask_b32_e32 v6, 0x7f800000, v5, vcc_lo
	v_add_f32_e32 v7, 1.0, v6
	v_cvt_f64_f32_e32 v[4:5], v7
	v_frexp_exp_i32_f64_e32 v4, v[4:5]
	v_frexp_mant_f32_e32 v5, v7
	v_cmp_gt_f32_e32 vcc_lo, 0x3f2aaaab, v5
	v_add_f32_e32 v5, -1.0, v7
	v_sub_f32_e32 v11, v5, v7
	v_sub_f32_e32 v5, v6, v5
	v_add_f32_e32 v11, 1.0, v11
	v_add_f32_e32 v5, v5, v11
	v_subrev_co_ci_u32_e64 v4, null, 0, v4, vcc_lo
	v_cmp_neq_f32_e32 vcc_lo, 0x7f800000, v6
	v_sub_nc_u32_e32 v10, 0, v4
	v_cvt_f32_i32_e32 v4, v4
	v_ldexp_f32 v7, v7, v10
	v_ldexp_f32 v5, v5, v10
	v_add_f32_e32 v12, 1.0, v7
	v_add_f32_e32 v10, -1.0, v7
	v_add_f32_e32 v11, -1.0, v12
	v_add_f32_e32 v13, 1.0, v10
	v_sub_f32_e32 v11, v7, v11
	v_sub_f32_e32 v7, v7, v13
	v_add_f32_e32 v11, v5, v11
	v_add_f32_e32 v5, v5, v7
	;; [unrolled: 1-line block ×4, first 2 shown]
	v_rcp_f32_e32 v7, v13
	v_sub_f32_e32 v12, v12, v13
	v_sub_f32_e32 v10, v10, v19
	v_add_f32_e32 v11, v11, v12
	v_add_f32_e32 v5, v5, v10
	v_mul_f32_e32 v20, v19, v7
	v_mul_f32_e32 v22, v13, v20
	v_fma_f32 v12, v20, v13, -v22
	v_fmac_f32_e32 v12, v20, v11
	v_add_f32_e32 v23, v22, v12
	v_sub_f32_e32 v24, v19, v23
	v_sub_f32_e32 v10, v23, v22
	;; [unrolled: 1-line block ×5, first 2 shown]
	v_add_f32_e32 v5, v5, v19
	v_add_f32_e32 v5, v10, v5
	v_add_f32_e32 v10, v24, v5
	v_mul_f32_e32 v12, v7, v10
	v_sub_f32_e32 v23, v24, v10
	v_mul_f32_e32 v19, v13, v12
	v_add_f32_e32 v5, v5, v23
	v_fma_f32 v13, v12, v13, -v19
	v_fmac_f32_e32 v13, v12, v11
	v_add_f32_e32 v11, v19, v13
	v_sub_f32_e32 v22, v10, v11
	v_sub_f32_e32 v19, v11, v19
	;; [unrolled: 1-line block ×5, first 2 shown]
	v_add_f32_e32 v5, v5, v10
	v_add_f32_e32 v10, v20, v12
	;; [unrolled: 1-line block ×3, first 2 shown]
	v_sub_f32_e32 v11, v10, v20
	v_add_f32_e32 v5, v22, v5
	v_sub_f32_e32 v11, v12, v11
	v_mul_f32_e32 v5, v7, v5
	v_add_f32_e32 v5, v11, v5
	v_add_f32_e32 v7, v10, v5
	v_mul_f32_e32 v11, v7, v7
	v_fmaak_f32 v12, s6, v11, 0x3ecc95a3
	v_mul_f32_e32 v13, v7, v11
	v_fmaak_f32 v11, v11, v12, 0x3f2aaada
	v_ldexp_f32 v12, v7, 1
	v_sub_f32_e32 v7, v7, v10
	v_mul_f32_e32 v11, v13, v11
	v_mul_f32_e32 v13, 0x3f317218, v4
	v_sub_f32_e32 v5, v5, v7
	v_add_f32_e32 v10, v12, v11
	v_ldexp_f32 v5, v5, 1
	v_sub_f32_e32 v7, v10, v12
	v_fma_f32 v12, 0x3f317218, v4, -v13
	v_sub_f32_e32 v7, v11, v7
	v_fmamk_f32 v4, v4, 0xb102e308, v12
	v_add_f32_e32 v5, v5, v7
	v_add_f32_e32 v7, v13, v4
	;; [unrolled: 1-line block ×3, first 2 shown]
	v_sub_f32_e32 v13, v7, v13
	v_add_f32_e32 v12, v7, v11
	v_sub_f32_e32 v10, v11, v10
	v_sub_f32_e32 v4, v4, v13
	;; [unrolled: 1-line block ×6, first 2 shown]
	v_add_f32_e32 v11, v4, v5
	v_sub_f32_e32 v7, v7, v20
	v_add_f32_e32 v7, v10, v7
	v_sub_f32_e32 v10, v11, v4
	;; [unrolled: 2-line block ×3, first 2 shown]
	v_sub_f32_e32 v5, v5, v10
	v_add_f32_e32 v13, v12, v7
	v_sub_f32_e32 v4, v4, v11
	v_sub_f32_e32 v10, v13, v12
	v_add_f32_e32 v4, v5, v4
	v_sub_f32_e32 v5, v7, v10
	v_add_f32_e32 v4, v4, v5
	v_add_f32_e32 v4, v13, v4
	v_cndmask_b32_e32 v4, 0x7f800000, v4, vcc_lo
	v_cmp_gt_f32_e64 vcc_lo, 0x33800000, |v6|
	v_cndmask_b32_e32 v4, v4, v6, vcc_lo
	v_add_f32_e32 v22, v3, v4
.LBB161_23:
	s_or_b32 exec_lo, exec_lo, s5
	v_max_f32_e32 v19, v9, v9
	v_max_f32_e32 v3, v22, v22
	v_cmp_u_f32_e32 vcc_lo, v22, v22
	v_cmp_u_f32_e64 s5, v9, v9
	v_min_f32_e32 v4, v3, v19
	v_max_f32_e32 v3, v3, v19
	v_cndmask_b32_e32 v4, v4, v22, vcc_lo
	v_cndmask_b32_e32 v3, v3, v22, vcc_lo
	v_cndmask_b32_e64 v4, v4, v9, s5
	v_cndmask_b32_e64 v3, v3, v9, s5
	v_cmp_class_f32_e64 s6, v4, 0x1f8
	v_cmp_neq_f32_e32 vcc_lo, v4, v3
	s_or_b32 s8, vcc_lo, s6
	s_and_saveexec_b32 s6, s8
	s_cbranch_execz .LBB161_25
; %bb.24:
	v_sub_f32_e32 v4, v4, v3
	s_mov_b32 s8, 0x3e9b6dac
	v_mul_f32_e32 v5, 0x3fb8aa3b, v4
	v_cmp_ngt_f32_e32 vcc_lo, 0xc2ce8ed0, v4
	v_fma_f32 v6, 0x3fb8aa3b, v4, -v5
	v_rndne_f32_e32 v7, v5
	v_fmamk_f32 v6, v4, 0x32a5705f, v6
	v_sub_f32_e32 v5, v5, v7
	v_add_f32_e32 v5, v5, v6
	v_cvt_i32_f32_e32 v6, v7
	v_exp_f32_e32 v5, v5
	v_ldexp_f32 v5, v5, v6
	v_cndmask_b32_e32 v5, 0, v5, vcc_lo
	v_cmp_nlt_f32_e32 vcc_lo, 0x42b17218, v4
	v_cndmask_b32_e32 v6, 0x7f800000, v5, vcc_lo
	v_add_f32_e32 v7, 1.0, v6
	v_cvt_f64_f32_e32 v[4:5], v7
	v_frexp_exp_i32_f64_e32 v4, v[4:5]
	v_frexp_mant_f32_e32 v5, v7
	v_cmp_gt_f32_e32 vcc_lo, 0x3f2aaaab, v5
	v_add_f32_e32 v5, -1.0, v7
	v_sub_f32_e32 v11, v5, v7
	v_sub_f32_e32 v5, v6, v5
	v_add_f32_e32 v11, 1.0, v11
	v_add_f32_e32 v5, v5, v11
	v_subrev_co_ci_u32_e64 v4, null, 0, v4, vcc_lo
	v_cmp_neq_f32_e32 vcc_lo, 0x7f800000, v6
	v_sub_nc_u32_e32 v10, 0, v4
	v_cvt_f32_i32_e32 v4, v4
	v_ldexp_f32 v7, v7, v10
	v_ldexp_f32 v5, v5, v10
	v_add_f32_e32 v12, 1.0, v7
	v_add_f32_e32 v10, -1.0, v7
	v_add_f32_e32 v11, -1.0, v12
	v_add_f32_e32 v13, 1.0, v10
	v_sub_f32_e32 v11, v7, v11
	v_sub_f32_e32 v7, v7, v13
	v_add_f32_e32 v11, v5, v11
	v_add_f32_e32 v5, v5, v7
	;; [unrolled: 1-line block ×4, first 2 shown]
	v_rcp_f32_e32 v7, v13
	v_sub_f32_e32 v12, v12, v13
	v_sub_f32_e32 v10, v10, v20
	v_add_f32_e32 v11, v11, v12
	v_add_f32_e32 v5, v5, v10
	v_mul_f32_e32 v22, v20, v7
	v_mul_f32_e32 v23, v13, v22
	v_fma_f32 v12, v22, v13, -v23
	v_fmac_f32_e32 v12, v22, v11
	v_add_f32_e32 v24, v23, v12
	v_sub_f32_e32 v25, v20, v24
	v_sub_f32_e32 v10, v24, v23
	;; [unrolled: 1-line block ×5, first 2 shown]
	v_add_f32_e32 v5, v5, v20
	v_add_f32_e32 v5, v10, v5
	;; [unrolled: 1-line block ×3, first 2 shown]
	v_mul_f32_e32 v12, v7, v10
	v_sub_f32_e32 v24, v25, v10
	v_mul_f32_e32 v20, v13, v12
	v_add_f32_e32 v5, v5, v24
	v_fma_f32 v13, v12, v13, -v20
	v_fmac_f32_e32 v13, v12, v11
	v_add_f32_e32 v11, v20, v13
	v_sub_f32_e32 v23, v10, v11
	v_sub_f32_e32 v20, v11, v20
	v_sub_f32_e32 v10, v10, v23
	v_sub_f32_e32 v10, v10, v11
	v_sub_f32_e32 v11, v20, v13
	v_add_f32_e32 v5, v5, v10
	v_add_f32_e32 v10, v22, v12
	;; [unrolled: 1-line block ×3, first 2 shown]
	v_sub_f32_e32 v11, v10, v22
	v_add_f32_e32 v5, v23, v5
	v_sub_f32_e32 v11, v12, v11
	v_mul_f32_e32 v5, v7, v5
	v_add_f32_e32 v5, v11, v5
	v_add_f32_e32 v7, v10, v5
	v_mul_f32_e32 v11, v7, v7
	v_fmaak_f32 v12, s8, v11, 0x3ecc95a3
	v_mul_f32_e32 v13, v7, v11
	v_fmaak_f32 v11, v11, v12, 0x3f2aaada
	v_ldexp_f32 v12, v7, 1
	v_sub_f32_e32 v7, v7, v10
	v_mul_f32_e32 v11, v13, v11
	v_mul_f32_e32 v13, 0x3f317218, v4
	v_sub_f32_e32 v5, v5, v7
	v_add_f32_e32 v10, v12, v11
	v_ldexp_f32 v5, v5, 1
	v_sub_f32_e32 v7, v10, v12
	v_fma_f32 v12, 0x3f317218, v4, -v13
	v_sub_f32_e32 v7, v11, v7
	v_fmamk_f32 v4, v4, 0xb102e308, v12
	v_add_f32_e32 v5, v5, v7
	v_add_f32_e32 v7, v13, v4
	;; [unrolled: 1-line block ×3, first 2 shown]
	v_sub_f32_e32 v13, v7, v13
	v_add_f32_e32 v12, v7, v11
	v_sub_f32_e32 v10, v11, v10
	v_sub_f32_e32 v4, v4, v13
	;; [unrolled: 1-line block ×6, first 2 shown]
	v_add_f32_e32 v11, v4, v5
	v_sub_f32_e32 v7, v7, v22
	v_add_f32_e32 v7, v10, v7
	v_sub_f32_e32 v10, v11, v4
	;; [unrolled: 2-line block ×3, first 2 shown]
	v_sub_f32_e32 v5, v5, v10
	v_add_f32_e32 v13, v12, v7
	v_sub_f32_e32 v4, v4, v11
	v_sub_f32_e32 v10, v13, v12
	v_add_f32_e32 v4, v5, v4
	v_sub_f32_e32 v5, v7, v10
	v_add_f32_e32 v4, v4, v5
	v_add_f32_e32 v4, v13, v4
	v_cndmask_b32_e32 v4, 0x7f800000, v4, vcc_lo
	v_cmp_gt_f32_e64 vcc_lo, 0x33800000, |v6|
	v_cndmask_b32_e32 v4, v4, v6, vcc_lo
	v_add_f32_e32 v22, v3, v4
.LBB161_25:
	s_or_b32 exec_lo, exec_lo, s6
	v_max_f32_e32 v20, v16, v16
	v_max_f32_e32 v3, v22, v22
	v_cmp_u_f32_e32 vcc_lo, v22, v22
	v_cmp_u_f32_e64 s6, v16, v16
	v_min_f32_e32 v4, v3, v20
	v_max_f32_e32 v3, v3, v20
	v_cndmask_b32_e32 v4, v4, v22, vcc_lo
	v_cndmask_b32_e32 v3, v3, v22, vcc_lo
	v_cndmask_b32_e64 v4, v4, v16, s6
	v_cndmask_b32_e64 v3, v3, v16, s6
	v_cmp_class_f32_e64 s8, v4, 0x1f8
	v_cmp_neq_f32_e32 vcc_lo, v4, v3
	s_or_b32 s9, vcc_lo, s8
	s_and_saveexec_b32 s8, s9
	s_cbranch_execz .LBB161_27
; %bb.26:
	v_sub_f32_e32 v4, v4, v3
	s_mov_b32 s9, 0x3e9b6dac
	v_mul_f32_e32 v5, 0x3fb8aa3b, v4
	v_cmp_ngt_f32_e32 vcc_lo, 0xc2ce8ed0, v4
	v_fma_f32 v6, 0x3fb8aa3b, v4, -v5
	v_rndne_f32_e32 v7, v5
	v_fmamk_f32 v6, v4, 0x32a5705f, v6
	v_sub_f32_e32 v5, v5, v7
	v_add_f32_e32 v5, v5, v6
	v_cvt_i32_f32_e32 v6, v7
	v_exp_f32_e32 v5, v5
	v_ldexp_f32 v5, v5, v6
	v_cndmask_b32_e32 v5, 0, v5, vcc_lo
	v_cmp_nlt_f32_e32 vcc_lo, 0x42b17218, v4
	v_cndmask_b32_e32 v6, 0x7f800000, v5, vcc_lo
	v_add_f32_e32 v7, 1.0, v6
	v_cvt_f64_f32_e32 v[4:5], v7
	v_frexp_exp_i32_f64_e32 v4, v[4:5]
	v_frexp_mant_f32_e32 v5, v7
	v_cmp_gt_f32_e32 vcc_lo, 0x3f2aaaab, v5
	v_add_f32_e32 v5, -1.0, v7
	v_sub_f32_e32 v11, v5, v7
	v_sub_f32_e32 v5, v6, v5
	v_add_f32_e32 v11, 1.0, v11
	v_add_f32_e32 v5, v5, v11
	v_subrev_co_ci_u32_e64 v4, null, 0, v4, vcc_lo
	v_cmp_neq_f32_e32 vcc_lo, 0x7f800000, v6
	v_sub_nc_u32_e32 v10, 0, v4
	v_cvt_f32_i32_e32 v4, v4
	v_ldexp_f32 v7, v7, v10
	v_ldexp_f32 v5, v5, v10
	v_add_f32_e32 v12, 1.0, v7
	v_add_f32_e32 v10, -1.0, v7
	v_add_f32_e32 v11, -1.0, v12
	v_add_f32_e32 v13, 1.0, v10
	v_sub_f32_e32 v11, v7, v11
	v_sub_f32_e32 v7, v7, v13
	v_add_f32_e32 v11, v5, v11
	v_add_f32_e32 v5, v5, v7
	;; [unrolled: 1-line block ×4, first 2 shown]
	v_rcp_f32_e32 v7, v13
	v_sub_f32_e32 v12, v12, v13
	v_sub_f32_e32 v10, v10, v22
	v_add_f32_e32 v11, v11, v12
	v_add_f32_e32 v5, v5, v10
	v_mul_f32_e32 v23, v22, v7
	v_mul_f32_e32 v24, v13, v23
	v_fma_f32 v12, v23, v13, -v24
	v_fmac_f32_e32 v12, v23, v11
	v_add_f32_e32 v25, v24, v12
	v_sub_f32_e32 v26, v22, v25
	v_sub_f32_e32 v10, v25, v24
	;; [unrolled: 1-line block ×5, first 2 shown]
	v_add_f32_e32 v5, v5, v22
	v_add_f32_e32 v5, v10, v5
	;; [unrolled: 1-line block ×3, first 2 shown]
	v_mul_f32_e32 v12, v7, v10
	v_sub_f32_e32 v25, v26, v10
	v_mul_f32_e32 v22, v13, v12
	v_add_f32_e32 v5, v5, v25
	v_fma_f32 v13, v12, v13, -v22
	v_fmac_f32_e32 v13, v12, v11
	v_add_f32_e32 v11, v22, v13
	v_sub_f32_e32 v24, v10, v11
	v_sub_f32_e32 v22, v11, v22
	v_sub_f32_e32 v10, v10, v24
	v_sub_f32_e32 v10, v10, v11
	v_sub_f32_e32 v11, v22, v13
	v_add_f32_e32 v5, v5, v10
	v_add_f32_e32 v10, v23, v12
	;; [unrolled: 1-line block ×3, first 2 shown]
	v_sub_f32_e32 v11, v10, v23
	v_add_f32_e32 v5, v24, v5
	v_sub_f32_e32 v11, v12, v11
	v_mul_f32_e32 v5, v7, v5
	v_add_f32_e32 v5, v11, v5
	v_add_f32_e32 v7, v10, v5
	v_mul_f32_e32 v11, v7, v7
	v_fmaak_f32 v12, s9, v11, 0x3ecc95a3
	v_mul_f32_e32 v13, v7, v11
	v_fmaak_f32 v11, v11, v12, 0x3f2aaada
	v_ldexp_f32 v12, v7, 1
	v_sub_f32_e32 v7, v7, v10
	v_mul_f32_e32 v11, v13, v11
	v_mul_f32_e32 v13, 0x3f317218, v4
	v_sub_f32_e32 v5, v5, v7
	v_add_f32_e32 v10, v12, v11
	v_ldexp_f32 v5, v5, 1
	v_sub_f32_e32 v7, v10, v12
	v_fma_f32 v12, 0x3f317218, v4, -v13
	v_sub_f32_e32 v7, v11, v7
	v_fmamk_f32 v4, v4, 0xb102e308, v12
	v_add_f32_e32 v5, v5, v7
	v_add_f32_e32 v7, v13, v4
	;; [unrolled: 1-line block ×3, first 2 shown]
	v_sub_f32_e32 v13, v7, v13
	v_add_f32_e32 v12, v7, v11
	v_sub_f32_e32 v10, v11, v10
	v_sub_f32_e32 v4, v4, v13
	;; [unrolled: 1-line block ×6, first 2 shown]
	v_add_f32_e32 v11, v4, v5
	v_sub_f32_e32 v7, v7, v23
	v_add_f32_e32 v7, v10, v7
	v_sub_f32_e32 v10, v11, v4
	;; [unrolled: 2-line block ×3, first 2 shown]
	v_sub_f32_e32 v5, v5, v10
	v_add_f32_e32 v13, v12, v7
	v_sub_f32_e32 v4, v4, v11
	v_sub_f32_e32 v10, v13, v12
	v_add_f32_e32 v4, v5, v4
	v_sub_f32_e32 v5, v7, v10
	v_add_f32_e32 v4, v4, v5
	v_add_f32_e32 v4, v13, v4
	v_cndmask_b32_e32 v4, 0x7f800000, v4, vcc_lo
	v_cmp_gt_f32_e64 vcc_lo, 0x33800000, |v6|
	v_cndmask_b32_e32 v4, v4, v6, vcc_lo
	v_add_f32_e32 v22, v3, v4
.LBB161_27:
	s_or_b32 exec_lo, exec_lo, s8
	v_lshrrev_b32_e32 v3, 3, v0
	v_cmp_gt_u32_e32 vcc_lo, 32, v0
	v_and_b32_e32 v3, 4, v3
	v_lshl_add_u32 v3, v0, 2, v3
	ds_write_b32 v3, v22
	s_waitcnt lgkmcnt(0)
	s_barrier
	buffer_gl0_inv
	s_and_saveexec_b32 s26, vcc_lo
	s_cbranch_execz .LBB161_55
; %bb.28:
	v_lshrrev_b32_e32 v3, 2, v0
	v_lshlrev_b32_e32 v4, 3, v0
	v_and_b32_e32 v3, 12, v3
	v_add_nc_u32_e32 v5, v3, v4
	ds_read2_b32 v[3:4], v5 offset1:1
	s_waitcnt lgkmcnt(0)
	v_max_f32_e32 v7, v4, v4
	v_max_f32_e32 v6, v3, v3
	v_cmp_u_f32_e64 s8, v3, v3
	v_cmp_u_f32_e64 s9, v4, v4
	v_min_f32_e32 v10, v6, v7
	v_max_f32_e32 v7, v6, v7
	v_cndmask_b32_e64 v10, v10, v3, s8
	v_cndmask_b32_e64 v11, v7, v3, s8
	;; [unrolled: 1-line block ×4, first 2 shown]
	v_mov_b32_e32 v10, v3
	v_cmp_class_f32_e64 s27, v7, 0x1f8
	v_cmp_neq_f32_e64 s9, v7, v4
	s_or_b32 s9, s9, s27
	s_and_saveexec_b32 s27, s9
	s_cbranch_execz .LBB161_30
; %bb.29:
	v_sub_f32_e32 v7, v7, v4
	v_mul_f32_e32 v10, 0x3fb8aa3b, v7
	v_cmp_ngt_f32_e64 s9, 0xc2ce8ed0, v7
	v_fma_f32 v11, 0x3fb8aa3b, v7, -v10
	v_rndne_f32_e32 v12, v10
	v_fmamk_f32 v11, v7, 0x32a5705f, v11
	v_sub_f32_e32 v10, v10, v12
	v_add_f32_e32 v10, v10, v11
	v_cvt_i32_f32_e32 v11, v12
	v_exp_f32_e32 v10, v10
	v_ldexp_f32 v10, v10, v11
	v_cndmask_b32_e64 v10, 0, v10, s9
	v_cmp_nlt_f32_e64 s9, 0x42b17218, v7
	v_cndmask_b32_e64 v7, 0x7f800000, v10, s9
	v_add_f32_e32 v12, 1.0, v7
	v_cvt_f64_f32_e32 v[10:11], v12
	v_frexp_exp_i32_f64_e32 v10, v[10:11]
	v_frexp_mant_f32_e32 v11, v12
	v_cmp_gt_f32_e64 s9, 0x3f2aaaab, v11
	v_add_f32_e32 v11, -1.0, v12
	v_sub_f32_e32 v23, v11, v12
	v_sub_f32_e32 v11, v7, v11
	v_add_f32_e32 v23, 1.0, v23
	v_add_f32_e32 v11, v11, v23
	v_subrev_co_ci_u32_e64 v10, null, 0, v10, s9
	s_mov_b32 s9, 0x3e9b6dac
	v_sub_nc_u32_e32 v13, 0, v10
	v_cvt_f32_i32_e32 v10, v10
	v_ldexp_f32 v12, v12, v13
	v_ldexp_f32 v11, v11, v13
	v_add_f32_e32 v24, 1.0, v12
	v_add_f32_e32 v13, -1.0, v12
	v_add_f32_e32 v23, -1.0, v24
	v_add_f32_e32 v25, 1.0, v13
	v_sub_f32_e32 v23, v12, v23
	v_sub_f32_e32 v12, v12, v25
	v_add_f32_e32 v23, v11, v23
	v_add_f32_e32 v11, v11, v12
	;; [unrolled: 1-line block ×4, first 2 shown]
	v_rcp_f32_e32 v12, v25
	v_sub_f32_e32 v24, v24, v25
	v_sub_f32_e32 v13, v13, v26
	v_add_f32_e32 v23, v23, v24
	v_add_f32_e32 v11, v11, v13
	v_mul_f32_e32 v27, v26, v12
	v_mul_f32_e32 v28, v25, v27
	v_fma_f32 v24, v27, v25, -v28
	v_fmac_f32_e32 v24, v27, v23
	v_add_f32_e32 v29, v28, v24
	v_sub_f32_e32 v30, v26, v29
	v_sub_f32_e32 v13, v29, v28
	;; [unrolled: 1-line block ×5, first 2 shown]
	v_add_f32_e32 v11, v11, v26
	v_add_f32_e32 v11, v13, v11
	;; [unrolled: 1-line block ×3, first 2 shown]
	v_mul_f32_e32 v24, v12, v13
	v_sub_f32_e32 v29, v30, v13
	v_mul_f32_e32 v26, v25, v24
	v_add_f32_e32 v11, v11, v29
	v_fma_f32 v25, v24, v25, -v26
	v_fmac_f32_e32 v25, v24, v23
	v_add_f32_e32 v23, v26, v25
	v_sub_f32_e32 v28, v13, v23
	v_sub_f32_e32 v26, v23, v26
	;; [unrolled: 1-line block ×5, first 2 shown]
	v_add_f32_e32 v11, v11, v13
	v_add_f32_e32 v13, v27, v24
	;; [unrolled: 1-line block ×3, first 2 shown]
	v_sub_f32_e32 v23, v13, v27
	v_add_f32_e32 v11, v28, v11
	v_sub_f32_e32 v23, v24, v23
	v_mul_f32_e32 v11, v12, v11
	v_add_f32_e32 v11, v23, v11
	v_add_f32_e32 v12, v13, v11
	v_mul_f32_e32 v23, v12, v12
	v_fmaak_f32 v24, s9, v23, 0x3ecc95a3
	v_mul_f32_e32 v25, v12, v23
	v_cmp_neq_f32_e64 s9, 0x7f800000, v7
	v_fmaak_f32 v23, v23, v24, 0x3f2aaada
	v_ldexp_f32 v24, v12, 1
	v_sub_f32_e32 v12, v12, v13
	v_mul_f32_e32 v23, v25, v23
	v_mul_f32_e32 v25, 0x3f317218, v10
	v_sub_f32_e32 v11, v11, v12
	v_add_f32_e32 v13, v24, v23
	v_ldexp_f32 v11, v11, 1
	v_sub_f32_e32 v12, v13, v24
	v_fma_f32 v24, 0x3f317218, v10, -v25
	v_sub_f32_e32 v12, v23, v12
	v_fmamk_f32 v10, v10, 0xb102e308, v24
	v_add_f32_e32 v11, v11, v12
	v_add_f32_e32 v12, v25, v10
	;; [unrolled: 1-line block ×3, first 2 shown]
	v_sub_f32_e32 v25, v12, v25
	v_add_f32_e32 v24, v12, v23
	v_sub_f32_e32 v13, v23, v13
	v_sub_f32_e32 v10, v10, v25
	;; [unrolled: 1-line block ×6, first 2 shown]
	v_add_f32_e32 v23, v10, v11
	v_sub_f32_e32 v12, v12, v27
	v_add_f32_e32 v12, v13, v12
	v_sub_f32_e32 v13, v23, v10
	;; [unrolled: 2-line block ×3, first 2 shown]
	v_sub_f32_e32 v11, v11, v13
	v_add_f32_e32 v25, v24, v12
	v_sub_f32_e32 v10, v10, v23
	v_sub_f32_e32 v13, v25, v24
	v_add_f32_e32 v10, v11, v10
	v_sub_f32_e32 v11, v12, v13
	v_add_f32_e32 v10, v10, v11
	v_add_f32_e32 v10, v25, v10
	v_cndmask_b32_e64 v10, 0x7f800000, v10, s9
	v_cmp_gt_f32_e64 s9, 0x33800000, |v7|
	v_cndmask_b32_e64 v7, v10, v7, s9
	v_add_f32_e32 v10, v4, v7
.LBB161_30:
	s_or_b32 exec_lo, exec_lo, s27
	v_mbcnt_lo_u32_b32 v4, -1, 0
	v_mov_b32_dpp v11, v10 row_shr:1 row_mask:0xf bank_mask:0xf
	s_mov_b32 s27, exec_lo
	v_and_b32_e32 v7, 15, v4
	v_cmpx_ne_u32_e32 0, v7
	s_xor_b32 s27, exec_lo, s27
	s_cbranch_execz .LBB161_34
; %bb.31:
	v_max_f32_e32 v12, v10, v10
	v_max_f32_e32 v13, v11, v11
	v_cmp_u_f32_e64 s9, v11, v11
	v_min_f32_e32 v23, v13, v12
	v_max_f32_e32 v12, v13, v12
	v_cndmask_b32_e64 v13, v23, v11, s9
	v_cndmask_b32_e64 v23, v12, v11, s9
	v_cmp_u_f32_e64 s9, v10, v10
	v_cndmask_b32_e64 v12, v13, v10, s9
	v_cndmask_b32_e64 v10, v23, v10, s9
	v_cmp_class_f32_e64 s31, v12, 0x1f8
	v_cmp_neq_f32_e64 s9, v12, v10
	s_or_b32 s9, s9, s31
	s_and_saveexec_b32 s31, s9
	s_cbranch_execz .LBB161_33
; %bb.32:
	v_sub_f32_e32 v11, v12, v10
	v_mul_f32_e32 v12, 0x3fb8aa3b, v11
	v_cmp_ngt_f32_e64 s9, 0xc2ce8ed0, v11
	v_fma_f32 v13, 0x3fb8aa3b, v11, -v12
	v_rndne_f32_e32 v23, v12
	v_fmamk_f32 v13, v11, 0x32a5705f, v13
	v_sub_f32_e32 v12, v12, v23
	v_add_f32_e32 v12, v12, v13
	v_cvt_i32_f32_e32 v13, v23
	v_exp_f32_e32 v12, v12
	v_ldexp_f32 v12, v12, v13
	v_cndmask_b32_e64 v12, 0, v12, s9
	v_cmp_nlt_f32_e64 s9, 0x42b17218, v11
	v_cndmask_b32_e64 v13, 0x7f800000, v12, s9
	v_add_f32_e32 v23, 1.0, v13
	v_cvt_f64_f32_e32 v[11:12], v23
	v_frexp_exp_i32_f64_e32 v11, v[11:12]
	v_frexp_mant_f32_e32 v12, v23
	v_cmp_gt_f32_e64 s9, 0x3f2aaaab, v12
	v_add_f32_e32 v12, -1.0, v23
	v_sub_f32_e32 v25, v12, v23
	v_sub_f32_e32 v12, v13, v12
	v_add_f32_e32 v25, 1.0, v25
	v_add_f32_e32 v12, v12, v25
	v_subrev_co_ci_u32_e64 v11, null, 0, v11, s9
	s_mov_b32 s9, 0x3e9b6dac
	v_sub_nc_u32_e32 v24, 0, v11
	v_cvt_f32_i32_e32 v11, v11
	v_ldexp_f32 v23, v23, v24
	v_ldexp_f32 v12, v12, v24
	v_add_f32_e32 v26, 1.0, v23
	v_add_f32_e32 v24, -1.0, v23
	v_add_f32_e32 v25, -1.0, v26
	v_add_f32_e32 v27, 1.0, v24
	v_sub_f32_e32 v25, v23, v25
	v_sub_f32_e32 v23, v23, v27
	v_add_f32_e32 v25, v12, v25
	v_add_f32_e32 v12, v12, v23
	;; [unrolled: 1-line block ×4, first 2 shown]
	v_rcp_f32_e32 v23, v27
	v_sub_f32_e32 v26, v26, v27
	v_sub_f32_e32 v24, v24, v28
	v_add_f32_e32 v25, v25, v26
	v_add_f32_e32 v12, v12, v24
	v_mul_f32_e32 v29, v28, v23
	v_mul_f32_e32 v30, v27, v29
	v_fma_f32 v26, v29, v27, -v30
	v_fmac_f32_e32 v26, v29, v25
	v_add_f32_e32 v31, v30, v26
	v_sub_f32_e32 v32, v28, v31
	v_sub_f32_e32 v24, v31, v30
	;; [unrolled: 1-line block ×5, first 2 shown]
	v_add_f32_e32 v12, v12, v28
	v_add_f32_e32 v12, v24, v12
	;; [unrolled: 1-line block ×3, first 2 shown]
	v_mul_f32_e32 v26, v23, v24
	v_sub_f32_e32 v31, v32, v24
	v_mul_f32_e32 v28, v27, v26
	v_add_f32_e32 v12, v12, v31
	v_fma_f32 v27, v26, v27, -v28
	v_fmac_f32_e32 v27, v26, v25
	v_add_f32_e32 v25, v28, v27
	v_sub_f32_e32 v30, v24, v25
	v_sub_f32_e32 v28, v25, v28
	;; [unrolled: 1-line block ×5, first 2 shown]
	v_add_f32_e32 v12, v12, v24
	v_add_f32_e32 v24, v29, v26
	;; [unrolled: 1-line block ×3, first 2 shown]
	v_sub_f32_e32 v25, v24, v29
	v_add_f32_e32 v12, v30, v12
	v_sub_f32_e32 v25, v26, v25
	v_mul_f32_e32 v12, v23, v12
	v_add_f32_e32 v12, v25, v12
	v_add_f32_e32 v23, v24, v12
	v_mul_f32_e32 v25, v23, v23
	v_fmaak_f32 v26, s9, v25, 0x3ecc95a3
	v_mul_f32_e32 v27, v23, v25
	v_cmp_neq_f32_e64 s9, 0x7f800000, v13
	v_fmaak_f32 v25, v25, v26, 0x3f2aaada
	v_ldexp_f32 v26, v23, 1
	v_sub_f32_e32 v23, v23, v24
	v_mul_f32_e32 v25, v27, v25
	v_mul_f32_e32 v27, 0x3f317218, v11
	v_sub_f32_e32 v12, v12, v23
	v_add_f32_e32 v24, v26, v25
	v_ldexp_f32 v12, v12, 1
	v_sub_f32_e32 v23, v24, v26
	v_fma_f32 v26, 0x3f317218, v11, -v27
	v_sub_f32_e32 v23, v25, v23
	v_fmamk_f32 v11, v11, 0xb102e308, v26
	v_add_f32_e32 v12, v12, v23
	v_add_f32_e32 v23, v27, v11
	;; [unrolled: 1-line block ×3, first 2 shown]
	v_sub_f32_e32 v27, v23, v27
	v_add_f32_e32 v26, v23, v25
	v_sub_f32_e32 v24, v25, v24
	v_sub_f32_e32 v11, v11, v27
	;; [unrolled: 1-line block ×6, first 2 shown]
	v_add_f32_e32 v25, v11, v12
	v_sub_f32_e32 v23, v23, v29
	v_add_f32_e32 v23, v24, v23
	v_sub_f32_e32 v24, v25, v11
	;; [unrolled: 2-line block ×3, first 2 shown]
	v_sub_f32_e32 v12, v12, v24
	v_add_f32_e32 v27, v26, v23
	v_sub_f32_e32 v11, v11, v25
	v_sub_f32_e32 v24, v27, v26
	v_add_f32_e32 v11, v12, v11
	v_sub_f32_e32 v12, v23, v24
	v_add_f32_e32 v11, v11, v12
	v_add_f32_e32 v11, v27, v11
	v_cndmask_b32_e64 v11, 0x7f800000, v11, s9
	v_cmp_gt_f32_e64 s9, 0x33800000, |v13|
	v_cndmask_b32_e64 v11, v11, v13, s9
	v_add_f32_e32 v11, v10, v11
.LBB161_33:
	s_or_b32 exec_lo, exec_lo, s31
	v_mov_b32_e32 v10, v11
.LBB161_34:
	s_or_b32 exec_lo, exec_lo, s27
	v_mov_b32_dpp v11, v10 row_shr:2 row_mask:0xf bank_mask:0xf
	s_mov_b32 s27, exec_lo
	v_cmpx_lt_u32_e32 1, v7
	s_cbranch_execz .LBB161_38
; %bb.35:
	v_max_f32_e32 v12, v10, v10
	v_max_f32_e32 v13, v11, v11
	v_cmp_u_f32_e64 s9, v11, v11
	v_min_f32_e32 v23, v13, v12
	v_max_f32_e32 v12, v13, v12
	v_cndmask_b32_e64 v13, v23, v11, s9
	v_cndmask_b32_e64 v23, v12, v11, s9
	v_cmp_u_f32_e64 s9, v10, v10
	v_cndmask_b32_e64 v12, v13, v10, s9
	v_cndmask_b32_e64 v10, v23, v10, s9
	v_cmp_class_f32_e64 s31, v12, 0x1f8
	v_cmp_neq_f32_e64 s9, v12, v10
	s_or_b32 s9, s9, s31
	s_and_saveexec_b32 s31, s9
	s_cbranch_execz .LBB161_37
; %bb.36:
	v_sub_f32_e32 v11, v12, v10
	v_mul_f32_e32 v12, 0x3fb8aa3b, v11
	v_cmp_ngt_f32_e64 s9, 0xc2ce8ed0, v11
	v_fma_f32 v13, 0x3fb8aa3b, v11, -v12
	v_rndne_f32_e32 v23, v12
	v_fmamk_f32 v13, v11, 0x32a5705f, v13
	v_sub_f32_e32 v12, v12, v23
	v_add_f32_e32 v12, v12, v13
	v_cvt_i32_f32_e32 v13, v23
	v_exp_f32_e32 v12, v12
	v_ldexp_f32 v12, v12, v13
	v_cndmask_b32_e64 v12, 0, v12, s9
	v_cmp_nlt_f32_e64 s9, 0x42b17218, v11
	v_cndmask_b32_e64 v13, 0x7f800000, v12, s9
	v_add_f32_e32 v23, 1.0, v13
	v_cvt_f64_f32_e32 v[11:12], v23
	v_frexp_exp_i32_f64_e32 v11, v[11:12]
	v_frexp_mant_f32_e32 v12, v23
	v_cmp_gt_f32_e64 s9, 0x3f2aaaab, v12
	v_add_f32_e32 v12, -1.0, v23
	v_sub_f32_e32 v25, v12, v23
	v_sub_f32_e32 v12, v13, v12
	v_add_f32_e32 v25, 1.0, v25
	v_add_f32_e32 v12, v12, v25
	v_subrev_co_ci_u32_e64 v11, null, 0, v11, s9
	s_mov_b32 s9, 0x3e9b6dac
	v_sub_nc_u32_e32 v24, 0, v11
	v_cvt_f32_i32_e32 v11, v11
	v_ldexp_f32 v23, v23, v24
	v_ldexp_f32 v12, v12, v24
	v_add_f32_e32 v26, 1.0, v23
	v_add_f32_e32 v24, -1.0, v23
	v_add_f32_e32 v25, -1.0, v26
	v_add_f32_e32 v27, 1.0, v24
	v_sub_f32_e32 v25, v23, v25
	v_sub_f32_e32 v23, v23, v27
	v_add_f32_e32 v25, v12, v25
	v_add_f32_e32 v12, v12, v23
	;; [unrolled: 1-line block ×4, first 2 shown]
	v_rcp_f32_e32 v23, v27
	v_sub_f32_e32 v26, v26, v27
	v_sub_f32_e32 v24, v24, v28
	v_add_f32_e32 v25, v25, v26
	v_add_f32_e32 v12, v12, v24
	v_mul_f32_e32 v29, v28, v23
	v_mul_f32_e32 v30, v27, v29
	v_fma_f32 v26, v29, v27, -v30
	v_fmac_f32_e32 v26, v29, v25
	v_add_f32_e32 v31, v30, v26
	v_sub_f32_e32 v32, v28, v31
	v_sub_f32_e32 v24, v31, v30
	;; [unrolled: 1-line block ×5, first 2 shown]
	v_add_f32_e32 v12, v12, v28
	v_add_f32_e32 v12, v24, v12
	;; [unrolled: 1-line block ×3, first 2 shown]
	v_mul_f32_e32 v26, v23, v24
	v_sub_f32_e32 v31, v32, v24
	v_mul_f32_e32 v28, v27, v26
	v_add_f32_e32 v12, v12, v31
	v_fma_f32 v27, v26, v27, -v28
	v_fmac_f32_e32 v27, v26, v25
	v_add_f32_e32 v25, v28, v27
	v_sub_f32_e32 v30, v24, v25
	v_sub_f32_e32 v28, v25, v28
	;; [unrolled: 1-line block ×5, first 2 shown]
	v_add_f32_e32 v12, v12, v24
	v_add_f32_e32 v24, v29, v26
	;; [unrolled: 1-line block ×3, first 2 shown]
	v_sub_f32_e32 v25, v24, v29
	v_add_f32_e32 v12, v30, v12
	v_sub_f32_e32 v25, v26, v25
	v_mul_f32_e32 v12, v23, v12
	v_add_f32_e32 v12, v25, v12
	v_add_f32_e32 v23, v24, v12
	v_mul_f32_e32 v25, v23, v23
	v_fmaak_f32 v26, s9, v25, 0x3ecc95a3
	v_mul_f32_e32 v27, v23, v25
	v_cmp_neq_f32_e64 s9, 0x7f800000, v13
	v_fmaak_f32 v25, v25, v26, 0x3f2aaada
	v_ldexp_f32 v26, v23, 1
	v_sub_f32_e32 v23, v23, v24
	v_mul_f32_e32 v25, v27, v25
	v_mul_f32_e32 v27, 0x3f317218, v11
	v_sub_f32_e32 v12, v12, v23
	v_add_f32_e32 v24, v26, v25
	v_ldexp_f32 v12, v12, 1
	v_sub_f32_e32 v23, v24, v26
	v_fma_f32 v26, 0x3f317218, v11, -v27
	v_sub_f32_e32 v23, v25, v23
	v_fmamk_f32 v11, v11, 0xb102e308, v26
	v_add_f32_e32 v12, v12, v23
	v_add_f32_e32 v23, v27, v11
	;; [unrolled: 1-line block ×3, first 2 shown]
	v_sub_f32_e32 v27, v23, v27
	v_add_f32_e32 v26, v23, v25
	v_sub_f32_e32 v24, v25, v24
	v_sub_f32_e32 v11, v11, v27
	;; [unrolled: 1-line block ×6, first 2 shown]
	v_add_f32_e32 v25, v11, v12
	v_sub_f32_e32 v23, v23, v29
	v_add_f32_e32 v23, v24, v23
	v_sub_f32_e32 v24, v25, v11
	;; [unrolled: 2-line block ×3, first 2 shown]
	v_sub_f32_e32 v12, v12, v24
	v_add_f32_e32 v27, v26, v23
	v_sub_f32_e32 v11, v11, v25
	v_sub_f32_e32 v24, v27, v26
	v_add_f32_e32 v11, v12, v11
	v_sub_f32_e32 v12, v23, v24
	v_add_f32_e32 v11, v11, v12
	v_add_f32_e32 v11, v27, v11
	v_cndmask_b32_e64 v11, 0x7f800000, v11, s9
	v_cmp_gt_f32_e64 s9, 0x33800000, |v13|
	v_cndmask_b32_e64 v11, v11, v13, s9
	v_add_f32_e32 v11, v10, v11
.LBB161_37:
	s_or_b32 exec_lo, exec_lo, s31
	v_mov_b32_e32 v10, v11
.LBB161_38:
	s_or_b32 exec_lo, exec_lo, s27
	v_mov_b32_dpp v11, v10 row_shr:4 row_mask:0xf bank_mask:0xf
	s_mov_b32 s27, exec_lo
	v_cmpx_lt_u32_e32 3, v7
	s_cbranch_execz .LBB161_42
; %bb.39:
	v_max_f32_e32 v12, v10, v10
	v_max_f32_e32 v13, v11, v11
	v_cmp_u_f32_e64 s9, v11, v11
	v_min_f32_e32 v23, v13, v12
	v_max_f32_e32 v12, v13, v12
	v_cndmask_b32_e64 v13, v23, v11, s9
	v_cndmask_b32_e64 v23, v12, v11, s9
	v_cmp_u_f32_e64 s9, v10, v10
	v_cndmask_b32_e64 v12, v13, v10, s9
	v_cndmask_b32_e64 v10, v23, v10, s9
	v_cmp_class_f32_e64 s31, v12, 0x1f8
	v_cmp_neq_f32_e64 s9, v12, v10
	s_or_b32 s9, s9, s31
	s_and_saveexec_b32 s31, s9
	s_cbranch_execz .LBB161_41
; %bb.40:
	v_sub_f32_e32 v11, v12, v10
	v_mul_f32_e32 v12, 0x3fb8aa3b, v11
	v_cmp_ngt_f32_e64 s9, 0xc2ce8ed0, v11
	v_fma_f32 v13, 0x3fb8aa3b, v11, -v12
	v_rndne_f32_e32 v23, v12
	v_fmamk_f32 v13, v11, 0x32a5705f, v13
	v_sub_f32_e32 v12, v12, v23
	v_add_f32_e32 v12, v12, v13
	v_cvt_i32_f32_e32 v13, v23
	v_exp_f32_e32 v12, v12
	v_ldexp_f32 v12, v12, v13
	v_cndmask_b32_e64 v12, 0, v12, s9
	v_cmp_nlt_f32_e64 s9, 0x42b17218, v11
	v_cndmask_b32_e64 v13, 0x7f800000, v12, s9
	v_add_f32_e32 v23, 1.0, v13
	v_cvt_f64_f32_e32 v[11:12], v23
	v_frexp_exp_i32_f64_e32 v11, v[11:12]
	v_frexp_mant_f32_e32 v12, v23
	v_cmp_gt_f32_e64 s9, 0x3f2aaaab, v12
	v_add_f32_e32 v12, -1.0, v23
	v_sub_f32_e32 v25, v12, v23
	v_sub_f32_e32 v12, v13, v12
	v_add_f32_e32 v25, 1.0, v25
	v_add_f32_e32 v12, v12, v25
	v_subrev_co_ci_u32_e64 v11, null, 0, v11, s9
	s_mov_b32 s9, 0x3e9b6dac
	v_sub_nc_u32_e32 v24, 0, v11
	v_cvt_f32_i32_e32 v11, v11
	v_ldexp_f32 v23, v23, v24
	v_ldexp_f32 v12, v12, v24
	v_add_f32_e32 v26, 1.0, v23
	v_add_f32_e32 v24, -1.0, v23
	v_add_f32_e32 v25, -1.0, v26
	v_add_f32_e32 v27, 1.0, v24
	v_sub_f32_e32 v25, v23, v25
	v_sub_f32_e32 v23, v23, v27
	v_add_f32_e32 v25, v12, v25
	v_add_f32_e32 v12, v12, v23
	;; [unrolled: 1-line block ×4, first 2 shown]
	v_rcp_f32_e32 v23, v27
	v_sub_f32_e32 v26, v26, v27
	v_sub_f32_e32 v24, v24, v28
	v_add_f32_e32 v25, v25, v26
	v_add_f32_e32 v12, v12, v24
	v_mul_f32_e32 v29, v28, v23
	v_mul_f32_e32 v30, v27, v29
	v_fma_f32 v26, v29, v27, -v30
	v_fmac_f32_e32 v26, v29, v25
	v_add_f32_e32 v31, v30, v26
	v_sub_f32_e32 v32, v28, v31
	v_sub_f32_e32 v24, v31, v30
	;; [unrolled: 1-line block ×5, first 2 shown]
	v_add_f32_e32 v12, v12, v28
	v_add_f32_e32 v12, v24, v12
	;; [unrolled: 1-line block ×3, first 2 shown]
	v_mul_f32_e32 v26, v23, v24
	v_sub_f32_e32 v31, v32, v24
	v_mul_f32_e32 v28, v27, v26
	v_add_f32_e32 v12, v12, v31
	v_fma_f32 v27, v26, v27, -v28
	v_fmac_f32_e32 v27, v26, v25
	v_add_f32_e32 v25, v28, v27
	v_sub_f32_e32 v30, v24, v25
	v_sub_f32_e32 v28, v25, v28
	;; [unrolled: 1-line block ×5, first 2 shown]
	v_add_f32_e32 v12, v12, v24
	v_add_f32_e32 v24, v29, v26
	;; [unrolled: 1-line block ×3, first 2 shown]
	v_sub_f32_e32 v25, v24, v29
	v_add_f32_e32 v12, v30, v12
	v_sub_f32_e32 v25, v26, v25
	v_mul_f32_e32 v12, v23, v12
	v_add_f32_e32 v12, v25, v12
	v_add_f32_e32 v23, v24, v12
	v_mul_f32_e32 v25, v23, v23
	v_fmaak_f32 v26, s9, v25, 0x3ecc95a3
	v_mul_f32_e32 v27, v23, v25
	v_cmp_neq_f32_e64 s9, 0x7f800000, v13
	v_fmaak_f32 v25, v25, v26, 0x3f2aaada
	v_ldexp_f32 v26, v23, 1
	v_sub_f32_e32 v23, v23, v24
	v_mul_f32_e32 v25, v27, v25
	v_mul_f32_e32 v27, 0x3f317218, v11
	v_sub_f32_e32 v12, v12, v23
	v_add_f32_e32 v24, v26, v25
	v_ldexp_f32 v12, v12, 1
	v_sub_f32_e32 v23, v24, v26
	v_fma_f32 v26, 0x3f317218, v11, -v27
	v_sub_f32_e32 v23, v25, v23
	v_fmamk_f32 v11, v11, 0xb102e308, v26
	v_add_f32_e32 v12, v12, v23
	v_add_f32_e32 v23, v27, v11
	;; [unrolled: 1-line block ×3, first 2 shown]
	v_sub_f32_e32 v27, v23, v27
	v_add_f32_e32 v26, v23, v25
	v_sub_f32_e32 v24, v25, v24
	v_sub_f32_e32 v11, v11, v27
	;; [unrolled: 1-line block ×6, first 2 shown]
	v_add_f32_e32 v25, v11, v12
	v_sub_f32_e32 v23, v23, v29
	v_add_f32_e32 v23, v24, v23
	v_sub_f32_e32 v24, v25, v11
	;; [unrolled: 2-line block ×3, first 2 shown]
	v_sub_f32_e32 v12, v12, v24
	v_add_f32_e32 v27, v26, v23
	v_sub_f32_e32 v11, v11, v25
	v_sub_f32_e32 v24, v27, v26
	v_add_f32_e32 v11, v12, v11
	v_sub_f32_e32 v12, v23, v24
	v_add_f32_e32 v11, v11, v12
	v_add_f32_e32 v11, v27, v11
	v_cndmask_b32_e64 v11, 0x7f800000, v11, s9
	v_cmp_gt_f32_e64 s9, 0x33800000, |v13|
	v_cndmask_b32_e64 v11, v11, v13, s9
	v_add_f32_e32 v11, v10, v11
.LBB161_41:
	s_or_b32 exec_lo, exec_lo, s31
	v_mov_b32_e32 v10, v11
.LBB161_42:
	s_or_b32 exec_lo, exec_lo, s27
	v_mov_b32_dpp v11, v10 row_shr:8 row_mask:0xf bank_mask:0xf
	s_mov_b32 s27, exec_lo
	v_cmpx_lt_u32_e32 7, v7
	s_cbranch_execz .LBB161_46
; %bb.43:
	v_max_f32_e32 v7, v10, v10
	v_max_f32_e32 v12, v11, v11
	v_cmp_u_f32_e64 s9, v11, v11
	v_min_f32_e32 v13, v12, v7
	v_max_f32_e32 v7, v12, v7
	v_cndmask_b32_e64 v12, v13, v11, s9
	v_cndmask_b32_e64 v7, v7, v11, s9
	v_cmp_u_f32_e64 s9, v10, v10
	v_cndmask_b32_e64 v12, v12, v10, s9
	v_cndmask_b32_e64 v7, v7, v10, s9
	v_cmp_class_f32_e64 s31, v12, 0x1f8
	v_cmp_neq_f32_e64 s9, v12, v7
	s_or_b32 s9, s9, s31
	s_and_saveexec_b32 s31, s9
	s_cbranch_execz .LBB161_45
; %bb.44:
	v_sub_f32_e32 v10, v12, v7
	v_mul_f32_e32 v11, 0x3fb8aa3b, v10
	v_cmp_ngt_f32_e64 s9, 0xc2ce8ed0, v10
	v_fma_f32 v12, 0x3fb8aa3b, v10, -v11
	v_rndne_f32_e32 v13, v11
	v_fmamk_f32 v12, v10, 0x32a5705f, v12
	v_sub_f32_e32 v11, v11, v13
	v_add_f32_e32 v11, v11, v12
	v_cvt_i32_f32_e32 v12, v13
	v_exp_f32_e32 v11, v11
	v_ldexp_f32 v11, v11, v12
	v_cndmask_b32_e64 v11, 0, v11, s9
	v_cmp_nlt_f32_e64 s9, 0x42b17218, v10
	v_cndmask_b32_e64 v12, 0x7f800000, v11, s9
	v_add_f32_e32 v13, 1.0, v12
	v_cvt_f64_f32_e32 v[10:11], v13
	v_frexp_exp_i32_f64_e32 v10, v[10:11]
	v_frexp_mant_f32_e32 v11, v13
	v_cmp_gt_f32_e64 s9, 0x3f2aaaab, v11
	v_add_f32_e32 v11, -1.0, v13
	v_sub_f32_e32 v24, v11, v13
	v_sub_f32_e32 v11, v12, v11
	v_add_f32_e32 v24, 1.0, v24
	v_add_f32_e32 v11, v11, v24
	v_subrev_co_ci_u32_e64 v10, null, 0, v10, s9
	s_mov_b32 s9, 0x3e9b6dac
	v_sub_nc_u32_e32 v23, 0, v10
	v_cvt_f32_i32_e32 v10, v10
	v_ldexp_f32 v13, v13, v23
	v_ldexp_f32 v11, v11, v23
	v_add_f32_e32 v25, 1.0, v13
	v_add_f32_e32 v23, -1.0, v13
	v_add_f32_e32 v24, -1.0, v25
	v_add_f32_e32 v26, 1.0, v23
	v_sub_f32_e32 v24, v13, v24
	v_sub_f32_e32 v13, v13, v26
	v_add_f32_e32 v24, v11, v24
	v_add_f32_e32 v11, v11, v13
	;; [unrolled: 1-line block ×4, first 2 shown]
	v_rcp_f32_e32 v13, v26
	v_sub_f32_e32 v25, v25, v26
	v_sub_f32_e32 v23, v23, v27
	v_add_f32_e32 v24, v24, v25
	v_add_f32_e32 v11, v11, v23
	v_mul_f32_e32 v28, v27, v13
	v_mul_f32_e32 v29, v26, v28
	v_fma_f32 v25, v28, v26, -v29
	v_fmac_f32_e32 v25, v28, v24
	v_add_f32_e32 v30, v29, v25
	v_sub_f32_e32 v31, v27, v30
	v_sub_f32_e32 v23, v30, v29
	;; [unrolled: 1-line block ×5, first 2 shown]
	v_add_f32_e32 v11, v11, v27
	v_add_f32_e32 v11, v23, v11
	;; [unrolled: 1-line block ×3, first 2 shown]
	v_mul_f32_e32 v25, v13, v23
	v_sub_f32_e32 v30, v31, v23
	v_mul_f32_e32 v27, v26, v25
	v_add_f32_e32 v11, v11, v30
	v_fma_f32 v26, v25, v26, -v27
	v_fmac_f32_e32 v26, v25, v24
	v_add_f32_e32 v24, v27, v26
	v_sub_f32_e32 v29, v23, v24
	v_sub_f32_e32 v27, v24, v27
	;; [unrolled: 1-line block ×5, first 2 shown]
	v_add_f32_e32 v11, v11, v23
	v_add_f32_e32 v23, v28, v25
	;; [unrolled: 1-line block ×3, first 2 shown]
	v_sub_f32_e32 v24, v23, v28
	v_add_f32_e32 v11, v29, v11
	v_sub_f32_e32 v24, v25, v24
	v_mul_f32_e32 v11, v13, v11
	v_add_f32_e32 v11, v24, v11
	v_add_f32_e32 v13, v23, v11
	v_mul_f32_e32 v24, v13, v13
	v_fmaak_f32 v25, s9, v24, 0x3ecc95a3
	v_mul_f32_e32 v26, v13, v24
	v_cmp_neq_f32_e64 s9, 0x7f800000, v12
	v_fmaak_f32 v24, v24, v25, 0x3f2aaada
	v_ldexp_f32 v25, v13, 1
	v_sub_f32_e32 v13, v13, v23
	v_mul_f32_e32 v24, v26, v24
	v_mul_f32_e32 v26, 0x3f317218, v10
	v_sub_f32_e32 v11, v11, v13
	v_add_f32_e32 v23, v25, v24
	v_ldexp_f32 v11, v11, 1
	v_sub_f32_e32 v13, v23, v25
	v_fma_f32 v25, 0x3f317218, v10, -v26
	v_sub_f32_e32 v13, v24, v13
	v_fmamk_f32 v10, v10, 0xb102e308, v25
	v_add_f32_e32 v11, v11, v13
	v_add_f32_e32 v13, v26, v10
	;; [unrolled: 1-line block ×3, first 2 shown]
	v_sub_f32_e32 v26, v13, v26
	v_add_f32_e32 v25, v13, v24
	v_sub_f32_e32 v23, v24, v23
	v_sub_f32_e32 v10, v10, v26
	;; [unrolled: 1-line block ×6, first 2 shown]
	v_add_f32_e32 v24, v10, v11
	v_sub_f32_e32 v13, v13, v28
	v_add_f32_e32 v13, v23, v13
	v_sub_f32_e32 v23, v24, v10
	;; [unrolled: 2-line block ×3, first 2 shown]
	v_sub_f32_e32 v11, v11, v23
	v_add_f32_e32 v26, v25, v13
	v_sub_f32_e32 v10, v10, v24
	v_sub_f32_e32 v23, v26, v25
	v_add_f32_e32 v10, v11, v10
	v_sub_f32_e32 v11, v13, v23
	v_add_f32_e32 v10, v10, v11
	v_add_f32_e32 v10, v26, v10
	v_cndmask_b32_e64 v10, 0x7f800000, v10, s9
	v_cmp_gt_f32_e64 s9, 0x33800000, |v12|
	v_cndmask_b32_e64 v10, v10, v12, s9
	v_add_f32_e32 v11, v7, v10
.LBB161_45:
	s_or_b32 exec_lo, exec_lo, s31
	v_mov_b32_e32 v10, v11
.LBB161_46:
	s_or_b32 exec_lo, exec_lo, s27
	ds_swizzle_b32 v11, v10 offset:swizzle(BROADCAST,32,15)
	v_and_b32_e32 v7, 16, v4
	s_mov_b32 s27, exec_lo
	v_cmpx_ne_u32_e32 0, v7
	s_cbranch_execz .LBB161_50
; %bb.47:
	v_max_f32_e32 v7, v10, v10
	s_waitcnt lgkmcnt(0)
	v_max_f32_e32 v12, v11, v11
	v_cmp_u_f32_e64 s9, v11, v11
	v_min_f32_e32 v13, v12, v7
	v_max_f32_e32 v7, v12, v7
	v_cndmask_b32_e64 v12, v13, v11, s9
	v_cndmask_b32_e64 v7, v7, v11, s9
	v_cmp_u_f32_e64 s9, v10, v10
	v_cndmask_b32_e64 v12, v12, v10, s9
	v_cndmask_b32_e64 v7, v7, v10, s9
	v_cmp_class_f32_e64 s31, v12, 0x1f8
	v_cmp_neq_f32_e64 s9, v12, v7
	s_or_b32 s9, s9, s31
	s_and_saveexec_b32 s31, s9
	s_cbranch_execz .LBB161_49
; %bb.48:
	v_sub_f32_e32 v10, v12, v7
	v_mul_f32_e32 v11, 0x3fb8aa3b, v10
	v_cmp_ngt_f32_e64 s9, 0xc2ce8ed0, v10
	v_fma_f32 v12, 0x3fb8aa3b, v10, -v11
	v_rndne_f32_e32 v13, v11
	v_fmamk_f32 v12, v10, 0x32a5705f, v12
	v_sub_f32_e32 v11, v11, v13
	v_add_f32_e32 v11, v11, v12
	v_cvt_i32_f32_e32 v12, v13
	v_exp_f32_e32 v11, v11
	v_ldexp_f32 v11, v11, v12
	v_cndmask_b32_e64 v11, 0, v11, s9
	v_cmp_nlt_f32_e64 s9, 0x42b17218, v10
	v_cndmask_b32_e64 v12, 0x7f800000, v11, s9
	v_add_f32_e32 v13, 1.0, v12
	v_cvt_f64_f32_e32 v[10:11], v13
	v_frexp_exp_i32_f64_e32 v10, v[10:11]
	v_frexp_mant_f32_e32 v11, v13
	v_cmp_gt_f32_e64 s9, 0x3f2aaaab, v11
	v_add_f32_e32 v11, -1.0, v13
	v_sub_f32_e32 v24, v11, v13
	v_sub_f32_e32 v11, v12, v11
	v_add_f32_e32 v24, 1.0, v24
	v_add_f32_e32 v11, v11, v24
	v_subrev_co_ci_u32_e64 v10, null, 0, v10, s9
	s_mov_b32 s9, 0x3e9b6dac
	v_sub_nc_u32_e32 v23, 0, v10
	v_cvt_f32_i32_e32 v10, v10
	v_ldexp_f32 v13, v13, v23
	v_ldexp_f32 v11, v11, v23
	v_add_f32_e32 v25, 1.0, v13
	v_add_f32_e32 v23, -1.0, v13
	v_add_f32_e32 v24, -1.0, v25
	v_add_f32_e32 v26, 1.0, v23
	v_sub_f32_e32 v24, v13, v24
	v_sub_f32_e32 v13, v13, v26
	v_add_f32_e32 v24, v11, v24
	v_add_f32_e32 v11, v11, v13
	;; [unrolled: 1-line block ×4, first 2 shown]
	v_rcp_f32_e32 v13, v26
	v_sub_f32_e32 v25, v25, v26
	v_sub_f32_e32 v23, v23, v27
	v_add_f32_e32 v24, v24, v25
	v_add_f32_e32 v11, v11, v23
	v_mul_f32_e32 v28, v27, v13
	v_mul_f32_e32 v29, v26, v28
	v_fma_f32 v25, v28, v26, -v29
	v_fmac_f32_e32 v25, v28, v24
	v_add_f32_e32 v30, v29, v25
	v_sub_f32_e32 v31, v27, v30
	v_sub_f32_e32 v23, v30, v29
	;; [unrolled: 1-line block ×5, first 2 shown]
	v_add_f32_e32 v11, v11, v27
	v_add_f32_e32 v11, v23, v11
	v_add_f32_e32 v23, v31, v11
	v_mul_f32_e32 v25, v13, v23
	v_sub_f32_e32 v30, v31, v23
	v_mul_f32_e32 v27, v26, v25
	v_add_f32_e32 v11, v11, v30
	v_fma_f32 v26, v25, v26, -v27
	v_fmac_f32_e32 v26, v25, v24
	v_add_f32_e32 v24, v27, v26
	v_sub_f32_e32 v29, v23, v24
	v_sub_f32_e32 v27, v24, v27
	;; [unrolled: 1-line block ×5, first 2 shown]
	v_add_f32_e32 v11, v11, v23
	v_add_f32_e32 v23, v28, v25
	;; [unrolled: 1-line block ×3, first 2 shown]
	v_sub_f32_e32 v24, v23, v28
	v_add_f32_e32 v11, v29, v11
	v_sub_f32_e32 v24, v25, v24
	v_mul_f32_e32 v11, v13, v11
	v_add_f32_e32 v11, v24, v11
	v_add_f32_e32 v13, v23, v11
	v_mul_f32_e32 v24, v13, v13
	v_fmaak_f32 v25, s9, v24, 0x3ecc95a3
	v_mul_f32_e32 v26, v13, v24
	v_cmp_neq_f32_e64 s9, 0x7f800000, v12
	v_fmaak_f32 v24, v24, v25, 0x3f2aaada
	v_ldexp_f32 v25, v13, 1
	v_sub_f32_e32 v13, v13, v23
	v_mul_f32_e32 v24, v26, v24
	v_mul_f32_e32 v26, 0x3f317218, v10
	v_sub_f32_e32 v11, v11, v13
	v_add_f32_e32 v23, v25, v24
	v_ldexp_f32 v11, v11, 1
	v_sub_f32_e32 v13, v23, v25
	v_fma_f32 v25, 0x3f317218, v10, -v26
	v_sub_f32_e32 v13, v24, v13
	v_fmamk_f32 v10, v10, 0xb102e308, v25
	v_add_f32_e32 v11, v11, v13
	v_add_f32_e32 v13, v26, v10
	;; [unrolled: 1-line block ×3, first 2 shown]
	v_sub_f32_e32 v26, v13, v26
	v_add_f32_e32 v25, v13, v24
	v_sub_f32_e32 v23, v24, v23
	v_sub_f32_e32 v10, v10, v26
	;; [unrolled: 1-line block ×6, first 2 shown]
	v_add_f32_e32 v24, v10, v11
	v_sub_f32_e32 v13, v13, v28
	v_add_f32_e32 v13, v23, v13
	v_sub_f32_e32 v23, v24, v10
	;; [unrolled: 2-line block ×3, first 2 shown]
	v_sub_f32_e32 v11, v11, v23
	v_add_f32_e32 v26, v25, v13
	v_sub_f32_e32 v10, v10, v24
	v_sub_f32_e32 v23, v26, v25
	v_add_f32_e32 v10, v11, v10
	v_sub_f32_e32 v11, v13, v23
	v_add_f32_e32 v10, v10, v11
	v_add_f32_e32 v10, v26, v10
	v_cndmask_b32_e64 v10, 0x7f800000, v10, s9
	v_cmp_gt_f32_e64 s9, 0x33800000, |v12|
	v_cndmask_b32_e64 v10, v10, v12, s9
	v_add_f32_e32 v11, v7, v10
.LBB161_49:
	s_or_b32 exec_lo, exec_lo, s31
	v_mov_b32_e32 v10, v11
.LBB161_50:
	s_or_b32 exec_lo, exec_lo, s27
	v_add_nc_u32_e32 v7, -1, v4
	v_cmp_gt_i32_e64 s9, 0, v7
	v_cndmask_b32_e64 v4, v7, v4, s9
	v_lshlrev_b32_e32 v4, 2, v4
	ds_bpermute_b32 v4, v4, v10
	s_waitcnt lgkmcnt(0)
	v_max_f32_e32 v7, v4, v4
	v_cmp_u_f32_e64 s9, v4, v4
	v_min_f32_e32 v10, v7, v6
	v_max_f32_e32 v6, v7, v6
	v_cndmask_b32_e64 v7, v10, v4, s9
	v_cndmask_b32_e64 v10, v6, v4, s9
	v_cndmask_b32_e64 v6, v7, v3, s8
	v_cndmask_b32_e64 v3, v10, v3, s8
	v_cmp_class_f32_e64 s9, v6, 0x1f8
	v_cmp_neq_f32_e64 s8, v6, v3
	s_or_b32 s8, s8, s9
	s_and_saveexec_b32 s9, s8
	s_cbranch_execz .LBB161_52
; %bb.51:
	v_sub_f32_e32 v4, v6, v3
	v_mul_f32_e32 v6, 0x3fb8aa3b, v4
	v_cmp_ngt_f32_e64 s8, 0xc2ce8ed0, v4
	v_fma_f32 v7, 0x3fb8aa3b, v4, -v6
	v_rndne_f32_e32 v10, v6
	v_fmamk_f32 v7, v4, 0x32a5705f, v7
	v_sub_f32_e32 v6, v6, v10
	v_add_f32_e32 v6, v6, v7
	v_cvt_i32_f32_e32 v7, v10
	v_exp_f32_e32 v6, v6
	v_ldexp_f32 v6, v6, v7
	v_cndmask_b32_e64 v6, 0, v6, s8
	v_cmp_nlt_f32_e64 s8, 0x42b17218, v4
	v_cndmask_b32_e64 v4, 0x7f800000, v6, s8
	v_add_f32_e32 v10, 1.0, v4
	v_cvt_f64_f32_e32 v[6:7], v10
	v_frexp_exp_i32_f64_e32 v6, v[6:7]
	v_frexp_mant_f32_e32 v7, v10
	v_cmp_gt_f32_e64 s8, 0x3f2aaaab, v7
	v_add_f32_e32 v7, -1.0, v10
	v_sub_f32_e32 v12, v7, v10
	v_sub_f32_e32 v7, v4, v7
	v_add_f32_e32 v12, 1.0, v12
	v_add_f32_e32 v7, v7, v12
	v_subrev_co_ci_u32_e64 v6, null, 0, v6, s8
	s_mov_b32 s8, 0x3e9b6dac
	v_sub_nc_u32_e32 v11, 0, v6
	v_cvt_f32_i32_e32 v6, v6
	v_ldexp_f32 v10, v10, v11
	v_ldexp_f32 v7, v7, v11
	v_add_f32_e32 v13, 1.0, v10
	v_add_f32_e32 v11, -1.0, v10
	v_add_f32_e32 v12, -1.0, v13
	v_add_f32_e32 v23, 1.0, v11
	v_sub_f32_e32 v12, v10, v12
	v_sub_f32_e32 v10, v10, v23
	v_add_f32_e32 v12, v7, v12
	v_add_f32_e32 v7, v7, v10
	;; [unrolled: 1-line block ×4, first 2 shown]
	v_rcp_f32_e32 v10, v23
	v_sub_f32_e32 v13, v13, v23
	v_sub_f32_e32 v11, v11, v24
	v_add_f32_e32 v12, v12, v13
	v_add_f32_e32 v7, v7, v11
	v_mul_f32_e32 v25, v24, v10
	v_mul_f32_e32 v26, v23, v25
	v_fma_f32 v13, v25, v23, -v26
	v_fmac_f32_e32 v13, v25, v12
	v_add_f32_e32 v27, v26, v13
	v_sub_f32_e32 v28, v24, v27
	v_sub_f32_e32 v11, v27, v26
	;; [unrolled: 1-line block ×5, first 2 shown]
	v_add_f32_e32 v7, v7, v24
	v_add_f32_e32 v7, v11, v7
	;; [unrolled: 1-line block ×3, first 2 shown]
	v_mul_f32_e32 v13, v10, v11
	v_sub_f32_e32 v27, v28, v11
	v_mul_f32_e32 v24, v23, v13
	v_add_f32_e32 v7, v7, v27
	v_fma_f32 v23, v13, v23, -v24
	v_fmac_f32_e32 v23, v13, v12
	v_add_f32_e32 v12, v24, v23
	v_sub_f32_e32 v26, v11, v12
	v_sub_f32_e32 v24, v12, v24
	v_sub_f32_e32 v11, v11, v26
	v_sub_f32_e32 v11, v11, v12
	v_sub_f32_e32 v12, v24, v23
	v_add_f32_e32 v7, v7, v11
	v_add_f32_e32 v11, v25, v13
	;; [unrolled: 1-line block ×3, first 2 shown]
	v_sub_f32_e32 v12, v11, v25
	v_add_f32_e32 v7, v26, v7
	v_sub_f32_e32 v12, v13, v12
	v_mul_f32_e32 v7, v10, v7
	v_add_f32_e32 v7, v12, v7
	v_add_f32_e32 v10, v11, v7
	v_mul_f32_e32 v12, v10, v10
	v_fmaak_f32 v13, s8, v12, 0x3ecc95a3
	v_mul_f32_e32 v23, v10, v12
	v_cmp_neq_f32_e64 s8, 0x7f800000, v4
	v_fmaak_f32 v12, v12, v13, 0x3f2aaada
	v_ldexp_f32 v13, v10, 1
	v_sub_f32_e32 v10, v10, v11
	v_mul_f32_e32 v12, v23, v12
	v_mul_f32_e32 v23, 0x3f317218, v6
	v_sub_f32_e32 v7, v7, v10
	v_add_f32_e32 v11, v13, v12
	v_ldexp_f32 v7, v7, 1
	v_sub_f32_e32 v10, v11, v13
	v_fma_f32 v13, 0x3f317218, v6, -v23
	v_sub_f32_e32 v10, v12, v10
	v_fmamk_f32 v6, v6, 0xb102e308, v13
	v_add_f32_e32 v7, v7, v10
	v_add_f32_e32 v10, v23, v6
	;; [unrolled: 1-line block ×3, first 2 shown]
	v_sub_f32_e32 v23, v10, v23
	v_add_f32_e32 v13, v10, v12
	v_sub_f32_e32 v11, v12, v11
	v_sub_f32_e32 v6, v6, v23
	;; [unrolled: 1-line block ×6, first 2 shown]
	v_add_f32_e32 v12, v6, v7
	v_sub_f32_e32 v10, v10, v25
	v_add_f32_e32 v10, v11, v10
	v_sub_f32_e32 v11, v12, v6
	v_add_f32_e32 v10, v12, v10
	v_sub_f32_e32 v12, v12, v11
	v_sub_f32_e32 v7, v7, v11
	v_add_f32_e32 v23, v13, v10
	v_sub_f32_e32 v6, v6, v12
	v_sub_f32_e32 v11, v23, v13
	v_add_f32_e32 v6, v7, v6
	v_sub_f32_e32 v7, v10, v11
	v_add_f32_e32 v6, v6, v7
	v_add_f32_e32 v6, v23, v6
	v_cndmask_b32_e64 v6, 0x7f800000, v6, s8
	v_cmp_gt_f32_e64 s8, 0x33800000, |v4|
	v_cndmask_b32_e64 v4, v6, v4, s8
	v_add_f32_e32 v4, v3, v4
.LBB161_52:
	s_or_b32 exec_lo, exec_lo, s9
	v_cndmask_b32_e64 v4, v4, v22, s2
	; wave barrier
	ds_write_b32 v5, v4
	; wave barrier
	ds_read_b32 v3, v5 offset:4
	v_max_f32_e32 v6, v4, v4
	v_cmp_u_f32_e64 s8, v4, v4
	s_waitcnt lgkmcnt(0)
	v_max_f32_e32 v7, v3, v3
	v_min_f32_e32 v10, v6, v7
	v_max_f32_e32 v6, v6, v7
	v_cndmask_b32_e64 v7, v10, v4, s8
	v_cndmask_b32_e64 v10, v6, v4, s8
	v_cmp_u_f32_e64 s8, v3, v3
	v_cndmask_b32_e64 v6, v7, v3, s8
	v_cndmask_b32_e64 v3, v10, v3, s8
	v_cmp_class_f32_e64 s9, v6, 0x1f8
	v_cmp_neq_f32_e64 s8, v6, v3
	s_or_b32 s8, s8, s9
	s_and_saveexec_b32 s9, s8
	s_cbranch_execz .LBB161_54
; %bb.53:
	v_sub_f32_e32 v4, v6, v3
	v_mul_f32_e32 v6, 0x3fb8aa3b, v4
	v_cmp_ngt_f32_e64 s8, 0xc2ce8ed0, v4
	v_fma_f32 v7, 0x3fb8aa3b, v4, -v6
	v_rndne_f32_e32 v10, v6
	v_fmamk_f32 v7, v4, 0x32a5705f, v7
	v_sub_f32_e32 v6, v6, v10
	v_add_f32_e32 v6, v6, v7
	v_cvt_i32_f32_e32 v7, v10
	v_exp_f32_e32 v6, v6
	v_ldexp_f32 v6, v6, v7
	v_cndmask_b32_e64 v6, 0, v6, s8
	v_cmp_nlt_f32_e64 s8, 0x42b17218, v4
	v_cndmask_b32_e64 v4, 0x7f800000, v6, s8
	v_add_f32_e32 v10, 1.0, v4
	v_cvt_f64_f32_e32 v[6:7], v10
	v_frexp_exp_i32_f64_e32 v6, v[6:7]
	v_frexp_mant_f32_e32 v7, v10
	v_cmp_gt_f32_e64 s8, 0x3f2aaaab, v7
	v_add_f32_e32 v7, -1.0, v10
	v_sub_f32_e32 v12, v7, v10
	v_sub_f32_e32 v7, v4, v7
	v_add_f32_e32 v12, 1.0, v12
	v_add_f32_e32 v7, v7, v12
	v_subrev_co_ci_u32_e64 v6, null, 0, v6, s8
	s_mov_b32 s8, 0x3e9b6dac
	v_sub_nc_u32_e32 v11, 0, v6
	v_cvt_f32_i32_e32 v6, v6
	v_ldexp_f32 v10, v10, v11
	v_ldexp_f32 v7, v7, v11
	v_add_f32_e32 v13, 1.0, v10
	v_add_f32_e32 v11, -1.0, v10
	v_add_f32_e32 v12, -1.0, v13
	v_add_f32_e32 v23, 1.0, v11
	v_sub_f32_e32 v12, v10, v12
	v_sub_f32_e32 v10, v10, v23
	v_add_f32_e32 v12, v7, v12
	v_add_f32_e32 v7, v7, v10
	;; [unrolled: 1-line block ×4, first 2 shown]
	v_rcp_f32_e32 v10, v23
	v_sub_f32_e32 v13, v13, v23
	v_sub_f32_e32 v11, v11, v24
	v_add_f32_e32 v12, v12, v13
	v_add_f32_e32 v7, v7, v11
	v_mul_f32_e32 v25, v24, v10
	v_mul_f32_e32 v26, v23, v25
	v_fma_f32 v13, v25, v23, -v26
	v_fmac_f32_e32 v13, v25, v12
	v_add_f32_e32 v27, v26, v13
	v_sub_f32_e32 v28, v24, v27
	v_sub_f32_e32 v11, v27, v26
	;; [unrolled: 1-line block ×5, first 2 shown]
	v_add_f32_e32 v7, v7, v24
	v_add_f32_e32 v7, v11, v7
	;; [unrolled: 1-line block ×3, first 2 shown]
	v_mul_f32_e32 v13, v10, v11
	v_sub_f32_e32 v27, v28, v11
	v_mul_f32_e32 v24, v23, v13
	v_add_f32_e32 v7, v7, v27
	v_fma_f32 v23, v13, v23, -v24
	v_fmac_f32_e32 v23, v13, v12
	v_add_f32_e32 v12, v24, v23
	v_sub_f32_e32 v26, v11, v12
	v_sub_f32_e32 v24, v12, v24
	;; [unrolled: 1-line block ×5, first 2 shown]
	v_add_f32_e32 v7, v7, v11
	v_add_f32_e32 v11, v25, v13
	;; [unrolled: 1-line block ×3, first 2 shown]
	v_sub_f32_e32 v12, v11, v25
	v_add_f32_e32 v7, v26, v7
	v_sub_f32_e32 v12, v13, v12
	v_mul_f32_e32 v7, v10, v7
	v_add_f32_e32 v7, v12, v7
	v_add_f32_e32 v10, v11, v7
	v_mul_f32_e32 v12, v10, v10
	v_fmaak_f32 v13, s8, v12, 0x3ecc95a3
	v_mul_f32_e32 v23, v10, v12
	v_cmp_neq_f32_e64 s8, 0x7f800000, v4
	v_fmaak_f32 v12, v12, v13, 0x3f2aaada
	v_ldexp_f32 v13, v10, 1
	v_sub_f32_e32 v10, v10, v11
	v_mul_f32_e32 v12, v23, v12
	v_mul_f32_e32 v23, 0x3f317218, v6
	v_sub_f32_e32 v7, v7, v10
	v_add_f32_e32 v11, v13, v12
	v_ldexp_f32 v7, v7, 1
	v_sub_f32_e32 v10, v11, v13
	v_fma_f32 v13, 0x3f317218, v6, -v23
	v_sub_f32_e32 v10, v12, v10
	v_fmamk_f32 v6, v6, 0xb102e308, v13
	v_add_f32_e32 v7, v7, v10
	v_add_f32_e32 v10, v23, v6
	;; [unrolled: 1-line block ×3, first 2 shown]
	v_sub_f32_e32 v23, v10, v23
	v_add_f32_e32 v13, v10, v12
	v_sub_f32_e32 v11, v12, v11
	v_sub_f32_e32 v6, v6, v23
	;; [unrolled: 1-line block ×6, first 2 shown]
	v_add_f32_e32 v12, v6, v7
	v_sub_f32_e32 v10, v10, v25
	v_add_f32_e32 v10, v11, v10
	v_sub_f32_e32 v11, v12, v6
	v_add_f32_e32 v10, v12, v10
	v_sub_f32_e32 v12, v12, v11
	v_sub_f32_e32 v7, v7, v11
	v_add_f32_e32 v23, v13, v10
	v_sub_f32_e32 v6, v6, v12
	v_sub_f32_e32 v11, v23, v13
	v_add_f32_e32 v6, v7, v6
	v_sub_f32_e32 v7, v10, v11
	v_add_f32_e32 v6, v6, v7
	v_add_f32_e32 v6, v23, v6
	v_cndmask_b32_e64 v6, 0x7f800000, v6, s8
	v_cmp_gt_f32_e64 s8, 0x33800000, |v4|
	v_cndmask_b32_e64 v4, v6, v4, s8
	v_add_f32_e32 v4, v3, v4
.LBB161_54:
	s_or_b32 exec_lo, exec_lo, s9
	ds_write_b32 v5, v4 offset:4
.LBB161_55:
	s_or_b32 exec_lo, exec_lo, s26
	s_waitcnt lgkmcnt(0)
	s_barrier
	buffer_gl0_inv
	s_and_saveexec_b32 s8, s1
	s_cbranch_execz .LBB161_57
; %bb.56:
	v_add_nc_u32_e32 v3, -1, v0
	v_lshrrev_b32_e32 v4, 3, v3
	v_and_b32_e32 v4, 0x1ffffffc, v4
	v_lshl_add_u32 v3, v3, 2, v4
	ds_read_b32 v22, v3
.LBB161_57:
	s_or_b32 exec_lo, exec_lo, s8
	s_and_saveexec_b32 s9, vcc_lo
	s_cbranch_execz .LBB161_121
; %bb.58:
	v_mov_b32_e32 v11, 0
	v_mbcnt_lo_u32_b32 v23, -1, 0
	s_mov_b32 s27, 0
	ds_read_b32 v3, v11 offset:256
	v_cmp_eq_u32_e64 s8, 0, v23
	s_and_saveexec_b32 s31, s8
	s_cbranch_execz .LBB161_60
; %bb.59:
	s_add_i32 s26, s30, 32
	v_mov_b32_e32 v4, 1
	s_lshl_b64 s[26:27], s[26:27], 3
	s_add_u32 s26, s10, s26
	s_addc_u32 s27, s11, s27
	s_waitcnt lgkmcnt(0)
	global_store_dwordx2 v11, v[3:4], s[26:27]
.LBB161_60:
	s_or_b32 exec_lo, exec_lo, s31
	v_xad_u32 v4, v23, -1, s30
	v_add_nc_u32_e32 v10, 32, v4
	v_lshlrev_b64 v[5:6], 3, v[10:11]
	v_add_co_u32 v12, vcc_lo, s10, v5
	v_add_co_ci_u32_e64 v13, null, s11, v6, vcc_lo
	global_load_dwordx2 v[6:7], v[12:13], off glc dlc
	s_waitcnt vmcnt(0)
	v_cmp_eq_u16_sdwa s27, v7, v11 src0_sel:BYTE_0 src1_sel:DWORD
	s_and_saveexec_b32 s26, s27
	s_cbranch_execz .LBB161_64
; %bb.61:
	v_mov_b32_e32 v5, 0
	s_mov_b32 s27, 0
.LBB161_62:                             ; =>This Inner Loop Header: Depth=1
	global_load_dwordx2 v[6:7], v[12:13], off glc dlc
	s_waitcnt vmcnt(0)
	v_cmp_ne_u16_sdwa s31, v7, v5 src0_sel:BYTE_0 src1_sel:DWORD
	s_or_b32 s27, s31, s27
	s_andn2_b32 exec_lo, exec_lo, s27
	s_cbranch_execnz .LBB161_62
; %bb.63:
	s_or_b32 exec_lo, exec_lo, s27
.LBB161_64:
	s_or_b32 exec_lo, exec_lo, s26
	v_cmp_ne_u32_e32 vcc_lo, 31, v23
	v_mov_b32_e32 v10, 2
	v_lshlrev_b32_e64 v13, v23, -1
	v_mov_b32_e32 v11, v6
	v_add_co_ci_u32_e64 v5, null, 0, v23, vcc_lo
	v_cmp_eq_u16_sdwa s26, v7, v10 src0_sel:BYTE_0 src1_sel:DWORD
	v_lshlrev_b32_e32 v12, 2, v5
	v_and_or_b32 v5, s26, v13, 0x80000000
	s_mov_b32 s26, exec_lo
	ds_bpermute_b32 v10, v12, v6
	v_ffbl_b32_e32 v5, v5
	v_cmpx_lt_u32_e64 v23, v5
	s_cbranch_execz .LBB161_68
; %bb.65:
	v_max_f32_e32 v11, v6, v6
	s_waitcnt lgkmcnt(0)
	v_max_f32_e32 v24, v10, v10
	v_cmp_u_f32_e32 vcc_lo, v10, v10
	v_min_f32_e32 v25, v24, v11
	v_max_f32_e32 v11, v24, v11
	v_cndmask_b32_e32 v24, v25, v10, vcc_lo
	v_cndmask_b32_e32 v25, v11, v10, vcc_lo
	v_cmp_u_f32_e32 vcc_lo, v6, v6
	v_cndmask_b32_e32 v11, v24, v6, vcc_lo
	v_cndmask_b32_e32 v6, v25, v6, vcc_lo
	v_cmp_class_f32_e64 s27, v11, 0x1f8
	v_cmp_neq_f32_e32 vcc_lo, v11, v6
	s_or_b32 s31, vcc_lo, s27
	s_and_saveexec_b32 s27, s31
	s_cbranch_execz .LBB161_67
; %bb.66:
	v_sub_f32_e32 v10, v11, v6
	s_mov_b32 s31, 0x3e9b6dac
	v_mul_f32_e32 v11, 0x3fb8aa3b, v10
	v_cmp_ngt_f32_e32 vcc_lo, 0xc2ce8ed0, v10
	v_fma_f32 v24, 0x3fb8aa3b, v10, -v11
	v_rndne_f32_e32 v25, v11
	v_fmamk_f32 v24, v10, 0x32a5705f, v24
	v_sub_f32_e32 v11, v11, v25
	v_add_f32_e32 v11, v11, v24
	v_cvt_i32_f32_e32 v24, v25
	v_exp_f32_e32 v11, v11
	v_ldexp_f32 v11, v11, v24
	v_cndmask_b32_e32 v11, 0, v11, vcc_lo
	v_cmp_nlt_f32_e32 vcc_lo, 0x42b17218, v10
	v_cndmask_b32_e32 v24, 0x7f800000, v11, vcc_lo
	v_add_f32_e32 v25, 1.0, v24
	v_cvt_f64_f32_e32 v[10:11], v25
	v_frexp_exp_i32_f64_e32 v10, v[10:11]
	v_frexp_mant_f32_e32 v11, v25
	v_cmp_gt_f32_e32 vcc_lo, 0x3f2aaaab, v11
	v_add_f32_e32 v11, -1.0, v25
	v_sub_f32_e32 v27, v11, v25
	v_sub_f32_e32 v11, v24, v11
	v_add_f32_e32 v27, 1.0, v27
	v_add_f32_e32 v11, v11, v27
	v_subrev_co_ci_u32_e64 v10, null, 0, v10, vcc_lo
	v_cmp_neq_f32_e32 vcc_lo, 0x7f800000, v24
	v_sub_nc_u32_e32 v26, 0, v10
	v_cvt_f32_i32_e32 v10, v10
	v_ldexp_f32 v25, v25, v26
	v_ldexp_f32 v11, v11, v26
	v_add_f32_e32 v28, 1.0, v25
	v_add_f32_e32 v26, -1.0, v25
	v_add_f32_e32 v27, -1.0, v28
	v_add_f32_e32 v29, 1.0, v26
	v_sub_f32_e32 v27, v25, v27
	v_sub_f32_e32 v25, v25, v29
	v_add_f32_e32 v27, v11, v27
	v_add_f32_e32 v11, v11, v25
	;; [unrolled: 1-line block ×4, first 2 shown]
	v_rcp_f32_e32 v25, v29
	v_sub_f32_e32 v28, v28, v29
	v_sub_f32_e32 v26, v26, v30
	v_add_f32_e32 v27, v27, v28
	v_add_f32_e32 v11, v11, v26
	v_mul_f32_e32 v31, v30, v25
	v_mul_f32_e32 v32, v29, v31
	v_fma_f32 v28, v31, v29, -v32
	v_fmac_f32_e32 v28, v31, v27
	v_add_f32_e32 v33, v32, v28
	v_sub_f32_e32 v34, v30, v33
	v_sub_f32_e32 v26, v33, v32
	;; [unrolled: 1-line block ×5, first 2 shown]
	v_add_f32_e32 v11, v11, v30
	v_add_f32_e32 v11, v26, v11
	v_add_f32_e32 v26, v34, v11
	v_mul_f32_e32 v28, v25, v26
	v_sub_f32_e32 v33, v34, v26
	v_mul_f32_e32 v30, v29, v28
	v_add_f32_e32 v11, v11, v33
	v_fma_f32 v29, v28, v29, -v30
	v_fmac_f32_e32 v29, v28, v27
	v_add_f32_e32 v27, v30, v29
	v_sub_f32_e32 v32, v26, v27
	v_sub_f32_e32 v30, v27, v30
	;; [unrolled: 1-line block ×5, first 2 shown]
	v_add_f32_e32 v11, v11, v26
	v_add_f32_e32 v26, v31, v28
	;; [unrolled: 1-line block ×3, first 2 shown]
	v_sub_f32_e32 v27, v26, v31
	v_add_f32_e32 v11, v32, v11
	v_sub_f32_e32 v27, v28, v27
	v_mul_f32_e32 v11, v25, v11
	v_add_f32_e32 v11, v27, v11
	v_add_f32_e32 v25, v26, v11
	v_mul_f32_e32 v27, v25, v25
	v_fmaak_f32 v28, s31, v27, 0x3ecc95a3
	v_mul_f32_e32 v29, v25, v27
	v_fmaak_f32 v27, v27, v28, 0x3f2aaada
	v_ldexp_f32 v28, v25, 1
	v_sub_f32_e32 v25, v25, v26
	v_mul_f32_e32 v27, v29, v27
	v_mul_f32_e32 v29, 0x3f317218, v10
	v_sub_f32_e32 v11, v11, v25
	v_add_f32_e32 v26, v28, v27
	v_ldexp_f32 v11, v11, 1
	v_sub_f32_e32 v25, v26, v28
	v_fma_f32 v28, 0x3f317218, v10, -v29
	v_sub_f32_e32 v25, v27, v25
	v_fmamk_f32 v10, v10, 0xb102e308, v28
	v_add_f32_e32 v11, v11, v25
	v_add_f32_e32 v25, v29, v10
	;; [unrolled: 1-line block ×3, first 2 shown]
	v_sub_f32_e32 v29, v25, v29
	v_add_f32_e32 v28, v25, v27
	v_sub_f32_e32 v26, v27, v26
	v_sub_f32_e32 v10, v10, v29
	;; [unrolled: 1-line block ×6, first 2 shown]
	v_add_f32_e32 v27, v10, v11
	v_sub_f32_e32 v25, v25, v31
	v_add_f32_e32 v25, v26, v25
	v_sub_f32_e32 v26, v27, v10
	;; [unrolled: 2-line block ×3, first 2 shown]
	v_sub_f32_e32 v11, v11, v26
	v_add_f32_e32 v29, v28, v25
	v_sub_f32_e32 v10, v10, v27
	v_sub_f32_e32 v26, v29, v28
	v_add_f32_e32 v10, v11, v10
	v_sub_f32_e32 v11, v25, v26
	v_add_f32_e32 v10, v10, v11
	v_add_f32_e32 v10, v29, v10
	v_cndmask_b32_e32 v10, 0x7f800000, v10, vcc_lo
	v_cmp_gt_f32_e64 vcc_lo, 0x33800000, |v24|
	v_cndmask_b32_e32 v10, v10, v24, vcc_lo
	v_add_f32_e32 v10, v6, v10
.LBB161_67:
	s_or_b32 exec_lo, exec_lo, s27
	v_mov_b32_e32 v6, v10
	v_mov_b32_e32 v11, v10
.LBB161_68:
	s_or_b32 exec_lo, exec_lo, s26
	v_cmp_gt_u32_e32 vcc_lo, 30, v23
	v_add_nc_u32_e32 v25, 2, v23
	s_mov_b32 s26, exec_lo
	s_waitcnt lgkmcnt(0)
	v_cndmask_b32_e64 v10, 0, 2, vcc_lo
	v_add_lshl_u32 v24, v10, v23, 2
	ds_bpermute_b32 v10, v24, v6
	v_cmpx_le_u32_e64 v25, v5
	s_cbranch_execz .LBB161_72
; %bb.69:
	v_max_f32_e32 v6, v11, v11
	s_waitcnt lgkmcnt(0)
	v_max_f32_e32 v26, v10, v10
	v_cmp_u_f32_e32 vcc_lo, v10, v10
	v_min_f32_e32 v27, v26, v6
	v_max_f32_e32 v6, v26, v6
	v_cndmask_b32_e32 v26, v27, v10, vcc_lo
	v_cndmask_b32_e32 v6, v6, v10, vcc_lo
	v_cmp_u_f32_e32 vcc_lo, v11, v11
	v_cndmask_b32_e32 v26, v26, v11, vcc_lo
	v_cndmask_b32_e32 v6, v6, v11, vcc_lo
	v_cmp_class_f32_e64 s27, v26, 0x1f8
	v_cmp_neq_f32_e32 vcc_lo, v26, v6
	s_or_b32 s31, vcc_lo, s27
	s_and_saveexec_b32 s27, s31
	s_cbranch_execz .LBB161_71
; %bb.70:
	v_sub_f32_e32 v10, v26, v6
	s_mov_b32 s31, 0x3e9b6dac
	v_mul_f32_e32 v11, 0x3fb8aa3b, v10
	v_cmp_ngt_f32_e32 vcc_lo, 0xc2ce8ed0, v10
	v_fma_f32 v26, 0x3fb8aa3b, v10, -v11
	v_rndne_f32_e32 v27, v11
	v_fmamk_f32 v26, v10, 0x32a5705f, v26
	v_sub_f32_e32 v11, v11, v27
	v_add_f32_e32 v11, v11, v26
	v_cvt_i32_f32_e32 v26, v27
	v_exp_f32_e32 v11, v11
	v_ldexp_f32 v11, v11, v26
	v_cndmask_b32_e32 v11, 0, v11, vcc_lo
	v_cmp_nlt_f32_e32 vcc_lo, 0x42b17218, v10
	v_cndmask_b32_e32 v26, 0x7f800000, v11, vcc_lo
	v_add_f32_e32 v27, 1.0, v26
	v_cvt_f64_f32_e32 v[10:11], v27
	v_frexp_exp_i32_f64_e32 v10, v[10:11]
	v_frexp_mant_f32_e32 v11, v27
	v_cmp_gt_f32_e32 vcc_lo, 0x3f2aaaab, v11
	v_add_f32_e32 v11, -1.0, v27
	v_sub_f32_e32 v29, v11, v27
	v_sub_f32_e32 v11, v26, v11
	v_add_f32_e32 v29, 1.0, v29
	v_add_f32_e32 v11, v11, v29
	v_subrev_co_ci_u32_e64 v10, null, 0, v10, vcc_lo
	v_cmp_neq_f32_e32 vcc_lo, 0x7f800000, v26
	v_sub_nc_u32_e32 v28, 0, v10
	v_cvt_f32_i32_e32 v10, v10
	v_ldexp_f32 v27, v27, v28
	v_ldexp_f32 v11, v11, v28
	v_add_f32_e32 v30, 1.0, v27
	v_add_f32_e32 v28, -1.0, v27
	v_add_f32_e32 v29, -1.0, v30
	v_add_f32_e32 v31, 1.0, v28
	v_sub_f32_e32 v29, v27, v29
	v_sub_f32_e32 v27, v27, v31
	v_add_f32_e32 v29, v11, v29
	v_add_f32_e32 v11, v11, v27
	;; [unrolled: 1-line block ×4, first 2 shown]
	v_rcp_f32_e32 v27, v31
	v_sub_f32_e32 v30, v30, v31
	v_sub_f32_e32 v28, v28, v32
	v_add_f32_e32 v29, v29, v30
	v_add_f32_e32 v11, v11, v28
	v_mul_f32_e32 v33, v32, v27
	v_mul_f32_e32 v34, v31, v33
	v_fma_f32 v30, v33, v31, -v34
	v_fmac_f32_e32 v30, v33, v29
	v_add_f32_e32 v35, v34, v30
	v_sub_f32_e32 v36, v32, v35
	v_sub_f32_e32 v28, v35, v34
	;; [unrolled: 1-line block ×5, first 2 shown]
	v_add_f32_e32 v11, v11, v32
	v_add_f32_e32 v11, v28, v11
	;; [unrolled: 1-line block ×3, first 2 shown]
	v_mul_f32_e32 v30, v27, v28
	v_sub_f32_e32 v35, v36, v28
	v_mul_f32_e32 v32, v31, v30
	v_add_f32_e32 v11, v11, v35
	v_fma_f32 v31, v30, v31, -v32
	v_fmac_f32_e32 v31, v30, v29
	v_add_f32_e32 v29, v32, v31
	v_sub_f32_e32 v34, v28, v29
	v_sub_f32_e32 v32, v29, v32
	;; [unrolled: 1-line block ×5, first 2 shown]
	v_add_f32_e32 v11, v11, v28
	v_add_f32_e32 v28, v33, v30
	;; [unrolled: 1-line block ×3, first 2 shown]
	v_sub_f32_e32 v29, v28, v33
	v_add_f32_e32 v11, v34, v11
	v_sub_f32_e32 v29, v30, v29
	v_mul_f32_e32 v11, v27, v11
	v_add_f32_e32 v11, v29, v11
	v_add_f32_e32 v27, v28, v11
	v_mul_f32_e32 v29, v27, v27
	v_fmaak_f32 v30, s31, v29, 0x3ecc95a3
	v_mul_f32_e32 v31, v27, v29
	v_fmaak_f32 v29, v29, v30, 0x3f2aaada
	v_ldexp_f32 v30, v27, 1
	v_sub_f32_e32 v27, v27, v28
	v_mul_f32_e32 v29, v31, v29
	v_mul_f32_e32 v31, 0x3f317218, v10
	v_sub_f32_e32 v11, v11, v27
	v_add_f32_e32 v28, v30, v29
	v_ldexp_f32 v11, v11, 1
	v_sub_f32_e32 v27, v28, v30
	v_fma_f32 v30, 0x3f317218, v10, -v31
	v_sub_f32_e32 v27, v29, v27
	v_fmamk_f32 v10, v10, 0xb102e308, v30
	v_add_f32_e32 v11, v11, v27
	v_add_f32_e32 v27, v31, v10
	;; [unrolled: 1-line block ×3, first 2 shown]
	v_sub_f32_e32 v31, v27, v31
	v_add_f32_e32 v30, v27, v29
	v_sub_f32_e32 v28, v29, v28
	v_sub_f32_e32 v10, v10, v31
	;; [unrolled: 1-line block ×6, first 2 shown]
	v_add_f32_e32 v29, v10, v11
	v_sub_f32_e32 v27, v27, v33
	v_add_f32_e32 v27, v28, v27
	v_sub_f32_e32 v28, v29, v10
	v_add_f32_e32 v27, v29, v27
	v_sub_f32_e32 v29, v29, v28
	v_sub_f32_e32 v11, v11, v28
	v_add_f32_e32 v31, v30, v27
	v_sub_f32_e32 v10, v10, v29
	v_sub_f32_e32 v28, v31, v30
	v_add_f32_e32 v10, v11, v10
	v_sub_f32_e32 v11, v27, v28
	v_add_f32_e32 v10, v10, v11
	v_add_f32_e32 v10, v31, v10
	v_cndmask_b32_e32 v10, 0x7f800000, v10, vcc_lo
	v_cmp_gt_f32_e64 vcc_lo, 0x33800000, |v26|
	v_cndmask_b32_e32 v10, v10, v26, vcc_lo
	v_add_f32_e32 v10, v6, v10
.LBB161_71:
	s_or_b32 exec_lo, exec_lo, s27
	v_mov_b32_e32 v6, v10
	v_mov_b32_e32 v11, v10
.LBB161_72:
	s_or_b32 exec_lo, exec_lo, s26
	v_cmp_gt_u32_e32 vcc_lo, 28, v23
	v_add_nc_u32_e32 v27, 4, v23
	s_mov_b32 s26, exec_lo
	s_waitcnt lgkmcnt(0)
	v_cndmask_b32_e64 v10, 0, 4, vcc_lo
	v_add_lshl_u32 v26, v10, v23, 2
	ds_bpermute_b32 v10, v26, v6
	v_cmpx_le_u32_e64 v27, v5
	s_cbranch_execz .LBB161_76
; %bb.73:
	v_max_f32_e32 v6, v11, v11
	s_waitcnt lgkmcnt(0)
	v_max_f32_e32 v28, v10, v10
	v_cmp_u_f32_e32 vcc_lo, v10, v10
	v_min_f32_e32 v29, v28, v6
	v_max_f32_e32 v6, v28, v6
	v_cndmask_b32_e32 v28, v29, v10, vcc_lo
	v_cndmask_b32_e32 v6, v6, v10, vcc_lo
	v_cmp_u_f32_e32 vcc_lo, v11, v11
	v_cndmask_b32_e32 v28, v28, v11, vcc_lo
	v_cndmask_b32_e32 v6, v6, v11, vcc_lo
	v_cmp_class_f32_e64 s27, v28, 0x1f8
	v_cmp_neq_f32_e32 vcc_lo, v28, v6
	s_or_b32 s31, vcc_lo, s27
	s_and_saveexec_b32 s27, s31
	s_cbranch_execz .LBB161_75
; %bb.74:
	v_sub_f32_e32 v10, v28, v6
	s_mov_b32 s31, 0x3e9b6dac
	v_mul_f32_e32 v11, 0x3fb8aa3b, v10
	v_cmp_ngt_f32_e32 vcc_lo, 0xc2ce8ed0, v10
	v_fma_f32 v28, 0x3fb8aa3b, v10, -v11
	v_rndne_f32_e32 v29, v11
	v_fmamk_f32 v28, v10, 0x32a5705f, v28
	v_sub_f32_e32 v11, v11, v29
	v_add_f32_e32 v11, v11, v28
	v_cvt_i32_f32_e32 v28, v29
	v_exp_f32_e32 v11, v11
	v_ldexp_f32 v11, v11, v28
	v_cndmask_b32_e32 v11, 0, v11, vcc_lo
	v_cmp_nlt_f32_e32 vcc_lo, 0x42b17218, v10
	v_cndmask_b32_e32 v28, 0x7f800000, v11, vcc_lo
	v_add_f32_e32 v29, 1.0, v28
	v_cvt_f64_f32_e32 v[10:11], v29
	v_frexp_exp_i32_f64_e32 v10, v[10:11]
	v_frexp_mant_f32_e32 v11, v29
	v_cmp_gt_f32_e32 vcc_lo, 0x3f2aaaab, v11
	v_add_f32_e32 v11, -1.0, v29
	v_sub_f32_e32 v31, v11, v29
	v_sub_f32_e32 v11, v28, v11
	v_add_f32_e32 v31, 1.0, v31
	v_add_f32_e32 v11, v11, v31
	v_subrev_co_ci_u32_e64 v10, null, 0, v10, vcc_lo
	v_cmp_neq_f32_e32 vcc_lo, 0x7f800000, v28
	v_sub_nc_u32_e32 v30, 0, v10
	v_cvt_f32_i32_e32 v10, v10
	v_ldexp_f32 v29, v29, v30
	v_ldexp_f32 v11, v11, v30
	v_add_f32_e32 v32, 1.0, v29
	v_add_f32_e32 v30, -1.0, v29
	v_add_f32_e32 v31, -1.0, v32
	v_add_f32_e32 v33, 1.0, v30
	v_sub_f32_e32 v31, v29, v31
	v_sub_f32_e32 v29, v29, v33
	v_add_f32_e32 v31, v11, v31
	v_add_f32_e32 v11, v11, v29
	;; [unrolled: 1-line block ×4, first 2 shown]
	v_rcp_f32_e32 v29, v33
	v_sub_f32_e32 v32, v32, v33
	v_sub_f32_e32 v30, v30, v34
	v_add_f32_e32 v31, v31, v32
	v_add_f32_e32 v11, v11, v30
	v_mul_f32_e32 v35, v34, v29
	v_mul_f32_e32 v36, v33, v35
	v_fma_f32 v32, v35, v33, -v36
	v_fmac_f32_e32 v32, v35, v31
	v_add_f32_e32 v37, v36, v32
	v_sub_f32_e32 v38, v34, v37
	v_sub_f32_e32 v30, v37, v36
	;; [unrolled: 1-line block ×5, first 2 shown]
	v_add_f32_e32 v11, v11, v34
	v_add_f32_e32 v11, v30, v11
	;; [unrolled: 1-line block ×3, first 2 shown]
	v_mul_f32_e32 v32, v29, v30
	v_sub_f32_e32 v37, v38, v30
	v_mul_f32_e32 v34, v33, v32
	v_add_f32_e32 v11, v11, v37
	v_fma_f32 v33, v32, v33, -v34
	v_fmac_f32_e32 v33, v32, v31
	v_add_f32_e32 v31, v34, v33
	v_sub_f32_e32 v36, v30, v31
	v_sub_f32_e32 v34, v31, v34
	;; [unrolled: 1-line block ×5, first 2 shown]
	v_add_f32_e32 v11, v11, v30
	v_add_f32_e32 v30, v35, v32
	;; [unrolled: 1-line block ×3, first 2 shown]
	v_sub_f32_e32 v31, v30, v35
	v_add_f32_e32 v11, v36, v11
	v_sub_f32_e32 v31, v32, v31
	v_mul_f32_e32 v11, v29, v11
	v_add_f32_e32 v11, v31, v11
	v_add_f32_e32 v29, v30, v11
	v_mul_f32_e32 v31, v29, v29
	v_fmaak_f32 v32, s31, v31, 0x3ecc95a3
	v_mul_f32_e32 v33, v29, v31
	v_fmaak_f32 v31, v31, v32, 0x3f2aaada
	v_ldexp_f32 v32, v29, 1
	v_sub_f32_e32 v29, v29, v30
	v_mul_f32_e32 v31, v33, v31
	v_mul_f32_e32 v33, 0x3f317218, v10
	v_sub_f32_e32 v11, v11, v29
	v_add_f32_e32 v30, v32, v31
	v_ldexp_f32 v11, v11, 1
	v_sub_f32_e32 v29, v30, v32
	v_fma_f32 v32, 0x3f317218, v10, -v33
	v_sub_f32_e32 v29, v31, v29
	v_fmamk_f32 v10, v10, 0xb102e308, v32
	v_add_f32_e32 v11, v11, v29
	v_add_f32_e32 v29, v33, v10
	;; [unrolled: 1-line block ×3, first 2 shown]
	v_sub_f32_e32 v33, v29, v33
	v_add_f32_e32 v32, v29, v31
	v_sub_f32_e32 v30, v31, v30
	v_sub_f32_e32 v10, v10, v33
	;; [unrolled: 1-line block ×6, first 2 shown]
	v_add_f32_e32 v31, v10, v11
	v_sub_f32_e32 v29, v29, v35
	v_add_f32_e32 v29, v30, v29
	v_sub_f32_e32 v30, v31, v10
	;; [unrolled: 2-line block ×3, first 2 shown]
	v_sub_f32_e32 v11, v11, v30
	v_add_f32_e32 v33, v32, v29
	v_sub_f32_e32 v10, v10, v31
	v_sub_f32_e32 v30, v33, v32
	v_add_f32_e32 v10, v11, v10
	v_sub_f32_e32 v11, v29, v30
	v_add_f32_e32 v10, v10, v11
	v_add_f32_e32 v10, v33, v10
	v_cndmask_b32_e32 v10, 0x7f800000, v10, vcc_lo
	v_cmp_gt_f32_e64 vcc_lo, 0x33800000, |v28|
	v_cndmask_b32_e32 v10, v10, v28, vcc_lo
	v_add_f32_e32 v10, v6, v10
.LBB161_75:
	s_or_b32 exec_lo, exec_lo, s27
	v_mov_b32_e32 v6, v10
	v_mov_b32_e32 v11, v10
.LBB161_76:
	s_or_b32 exec_lo, exec_lo, s26
	v_cmp_gt_u32_e32 vcc_lo, 24, v23
	v_add_nc_u32_e32 v29, 8, v23
	s_mov_b32 s26, exec_lo
	s_waitcnt lgkmcnt(0)
	v_cndmask_b32_e64 v10, 0, 8, vcc_lo
	v_add_lshl_u32 v28, v10, v23, 2
	ds_bpermute_b32 v10, v28, v6
	v_cmpx_le_u32_e64 v29, v5
	s_cbranch_execz .LBB161_80
; %bb.77:
	v_max_f32_e32 v6, v11, v11
	s_waitcnt lgkmcnt(0)
	v_max_f32_e32 v30, v10, v10
	v_cmp_u_f32_e32 vcc_lo, v10, v10
	v_min_f32_e32 v31, v30, v6
	v_max_f32_e32 v6, v30, v6
	v_cndmask_b32_e32 v30, v31, v10, vcc_lo
	v_cndmask_b32_e32 v6, v6, v10, vcc_lo
	v_cmp_u_f32_e32 vcc_lo, v11, v11
	v_cndmask_b32_e32 v30, v30, v11, vcc_lo
	v_cndmask_b32_e32 v6, v6, v11, vcc_lo
	v_cmp_class_f32_e64 s27, v30, 0x1f8
	v_cmp_neq_f32_e32 vcc_lo, v30, v6
	s_or_b32 s31, vcc_lo, s27
	s_and_saveexec_b32 s27, s31
	s_cbranch_execz .LBB161_79
; %bb.78:
	v_sub_f32_e32 v10, v30, v6
	s_mov_b32 s31, 0x3e9b6dac
	v_mul_f32_e32 v11, 0x3fb8aa3b, v10
	v_cmp_ngt_f32_e32 vcc_lo, 0xc2ce8ed0, v10
	v_fma_f32 v30, 0x3fb8aa3b, v10, -v11
	v_rndne_f32_e32 v31, v11
	v_fmamk_f32 v30, v10, 0x32a5705f, v30
	v_sub_f32_e32 v11, v11, v31
	v_add_f32_e32 v11, v11, v30
	v_cvt_i32_f32_e32 v30, v31
	v_exp_f32_e32 v11, v11
	v_ldexp_f32 v11, v11, v30
	v_cndmask_b32_e32 v11, 0, v11, vcc_lo
	v_cmp_nlt_f32_e32 vcc_lo, 0x42b17218, v10
	v_cndmask_b32_e32 v30, 0x7f800000, v11, vcc_lo
	v_add_f32_e32 v31, 1.0, v30
	v_cvt_f64_f32_e32 v[10:11], v31
	v_frexp_exp_i32_f64_e32 v10, v[10:11]
	v_frexp_mant_f32_e32 v11, v31
	v_cmp_gt_f32_e32 vcc_lo, 0x3f2aaaab, v11
	v_add_f32_e32 v11, -1.0, v31
	v_sub_f32_e32 v33, v11, v31
	v_sub_f32_e32 v11, v30, v11
	v_add_f32_e32 v33, 1.0, v33
	v_add_f32_e32 v11, v11, v33
	v_subrev_co_ci_u32_e64 v10, null, 0, v10, vcc_lo
	v_cmp_neq_f32_e32 vcc_lo, 0x7f800000, v30
	v_sub_nc_u32_e32 v32, 0, v10
	v_cvt_f32_i32_e32 v10, v10
	v_ldexp_f32 v31, v31, v32
	v_ldexp_f32 v11, v11, v32
	v_add_f32_e32 v34, 1.0, v31
	v_add_f32_e32 v32, -1.0, v31
	v_add_f32_e32 v33, -1.0, v34
	v_add_f32_e32 v35, 1.0, v32
	v_sub_f32_e32 v33, v31, v33
	v_sub_f32_e32 v31, v31, v35
	v_add_f32_e32 v33, v11, v33
	v_add_f32_e32 v11, v11, v31
	;; [unrolled: 1-line block ×4, first 2 shown]
	v_rcp_f32_e32 v31, v35
	v_sub_f32_e32 v34, v34, v35
	v_sub_f32_e32 v32, v32, v36
	v_add_f32_e32 v33, v33, v34
	v_add_f32_e32 v11, v11, v32
	v_mul_f32_e32 v37, v36, v31
	v_mul_f32_e32 v38, v35, v37
	v_fma_f32 v34, v37, v35, -v38
	v_fmac_f32_e32 v34, v37, v33
	v_add_f32_e32 v39, v38, v34
	v_sub_f32_e32 v40, v36, v39
	v_sub_f32_e32 v32, v39, v38
	;; [unrolled: 1-line block ×5, first 2 shown]
	v_add_f32_e32 v11, v11, v36
	v_add_f32_e32 v11, v32, v11
	;; [unrolled: 1-line block ×3, first 2 shown]
	v_mul_f32_e32 v34, v31, v32
	v_sub_f32_e32 v39, v40, v32
	v_mul_f32_e32 v36, v35, v34
	v_add_f32_e32 v11, v11, v39
	v_fma_f32 v35, v34, v35, -v36
	v_fmac_f32_e32 v35, v34, v33
	v_add_f32_e32 v33, v36, v35
	v_sub_f32_e32 v38, v32, v33
	v_sub_f32_e32 v36, v33, v36
	;; [unrolled: 1-line block ×5, first 2 shown]
	v_add_f32_e32 v11, v11, v32
	v_add_f32_e32 v32, v37, v34
	;; [unrolled: 1-line block ×3, first 2 shown]
	v_sub_f32_e32 v33, v32, v37
	v_add_f32_e32 v11, v38, v11
	v_sub_f32_e32 v33, v34, v33
	v_mul_f32_e32 v11, v31, v11
	v_add_f32_e32 v11, v33, v11
	v_add_f32_e32 v31, v32, v11
	v_mul_f32_e32 v33, v31, v31
	v_fmaak_f32 v34, s31, v33, 0x3ecc95a3
	v_mul_f32_e32 v35, v31, v33
	v_fmaak_f32 v33, v33, v34, 0x3f2aaada
	v_ldexp_f32 v34, v31, 1
	v_sub_f32_e32 v31, v31, v32
	v_mul_f32_e32 v33, v35, v33
	v_mul_f32_e32 v35, 0x3f317218, v10
	v_sub_f32_e32 v11, v11, v31
	v_add_f32_e32 v32, v34, v33
	v_ldexp_f32 v11, v11, 1
	v_sub_f32_e32 v31, v32, v34
	v_fma_f32 v34, 0x3f317218, v10, -v35
	v_sub_f32_e32 v31, v33, v31
	v_fmamk_f32 v10, v10, 0xb102e308, v34
	v_add_f32_e32 v11, v11, v31
	v_add_f32_e32 v31, v35, v10
	;; [unrolled: 1-line block ×3, first 2 shown]
	v_sub_f32_e32 v35, v31, v35
	v_add_f32_e32 v34, v31, v33
	v_sub_f32_e32 v32, v33, v32
	v_sub_f32_e32 v10, v10, v35
	;; [unrolled: 1-line block ×6, first 2 shown]
	v_add_f32_e32 v33, v10, v11
	v_sub_f32_e32 v31, v31, v37
	v_add_f32_e32 v31, v32, v31
	v_sub_f32_e32 v32, v33, v10
	;; [unrolled: 2-line block ×3, first 2 shown]
	v_sub_f32_e32 v11, v11, v32
	v_add_f32_e32 v35, v34, v31
	v_sub_f32_e32 v10, v10, v33
	v_sub_f32_e32 v32, v35, v34
	v_add_f32_e32 v10, v11, v10
	v_sub_f32_e32 v11, v31, v32
	v_add_f32_e32 v10, v10, v11
	v_add_f32_e32 v10, v35, v10
	v_cndmask_b32_e32 v10, 0x7f800000, v10, vcc_lo
	v_cmp_gt_f32_e64 vcc_lo, 0x33800000, |v30|
	v_cndmask_b32_e32 v10, v10, v30, vcc_lo
	v_add_f32_e32 v10, v6, v10
.LBB161_79:
	s_or_b32 exec_lo, exec_lo, s27
	v_mov_b32_e32 v6, v10
	v_mov_b32_e32 v11, v10
.LBB161_80:
	s_or_b32 exec_lo, exec_lo, s26
	v_lshl_or_b32 v31, v23, 2, 64
	v_add_nc_u32_e32 v32, 16, v23
	s_mov_b32 s26, exec_lo
	ds_bpermute_b32 v6, v31, v6
	v_cmpx_le_u32_e64 v32, v5
	s_cbranch_execz .LBB161_84
; %bb.81:
	v_max_f32_e32 v5, v11, v11
	s_waitcnt lgkmcnt(0)
	v_max_f32_e32 v10, v6, v6
	v_cmp_u_f32_e32 vcc_lo, v6, v6
	v_min_f32_e32 v30, v10, v5
	v_max_f32_e32 v5, v10, v5
	v_cndmask_b32_e32 v10, v30, v6, vcc_lo
	v_cndmask_b32_e32 v5, v5, v6, vcc_lo
	v_cmp_u_f32_e32 vcc_lo, v11, v11
	v_cndmask_b32_e32 v10, v10, v11, vcc_lo
	v_cndmask_b32_e32 v5, v5, v11, vcc_lo
	v_cmp_class_f32_e64 s27, v10, 0x1f8
	v_cmp_neq_f32_e32 vcc_lo, v10, v5
	s_or_b32 s31, vcc_lo, s27
	s_and_saveexec_b32 s27, s31
	s_cbranch_execz .LBB161_83
; %bb.82:
	v_sub_f32_e32 v6, v10, v5
	s_mov_b32 s31, 0x3e9b6dac
	v_mul_f32_e32 v10, 0x3fb8aa3b, v6
	v_cmp_ngt_f32_e32 vcc_lo, 0xc2ce8ed0, v6
	v_fma_f32 v11, 0x3fb8aa3b, v6, -v10
	v_rndne_f32_e32 v30, v10
	v_fmamk_f32 v11, v6, 0x32a5705f, v11
	v_sub_f32_e32 v10, v10, v30
	v_add_f32_e32 v10, v10, v11
	v_cvt_i32_f32_e32 v11, v30
	v_exp_f32_e32 v10, v10
	v_ldexp_f32 v10, v10, v11
	v_cndmask_b32_e32 v10, 0, v10, vcc_lo
	v_cmp_nlt_f32_e32 vcc_lo, 0x42b17218, v6
	v_cndmask_b32_e32 v6, 0x7f800000, v10, vcc_lo
	v_add_f32_e32 v30, 1.0, v6
	v_cvt_f64_f32_e32 v[10:11], v30
	v_frexp_exp_i32_f64_e32 v10, v[10:11]
	v_frexp_mant_f32_e32 v11, v30
	v_cmp_gt_f32_e32 vcc_lo, 0x3f2aaaab, v11
	v_add_f32_e32 v11, -1.0, v30
	v_sub_f32_e32 v34, v11, v30
	v_sub_f32_e32 v11, v6, v11
	v_add_f32_e32 v34, 1.0, v34
	v_add_f32_e32 v11, v11, v34
	v_subrev_co_ci_u32_e64 v10, null, 0, v10, vcc_lo
	v_cmp_neq_f32_e32 vcc_lo, 0x7f800000, v6
	v_sub_nc_u32_e32 v33, 0, v10
	v_cvt_f32_i32_e32 v10, v10
	v_ldexp_f32 v30, v30, v33
	v_ldexp_f32 v11, v11, v33
	v_add_f32_e32 v35, 1.0, v30
	v_add_f32_e32 v33, -1.0, v30
	v_add_f32_e32 v34, -1.0, v35
	v_add_f32_e32 v36, 1.0, v33
	v_sub_f32_e32 v34, v30, v34
	v_sub_f32_e32 v30, v30, v36
	v_add_f32_e32 v34, v11, v34
	v_add_f32_e32 v11, v11, v30
	;; [unrolled: 1-line block ×4, first 2 shown]
	v_rcp_f32_e32 v30, v36
	v_sub_f32_e32 v35, v35, v36
	v_sub_f32_e32 v33, v33, v37
	v_add_f32_e32 v34, v34, v35
	v_add_f32_e32 v11, v11, v33
	v_mul_f32_e32 v38, v37, v30
	v_mul_f32_e32 v39, v36, v38
	v_fma_f32 v35, v38, v36, -v39
	v_fmac_f32_e32 v35, v38, v34
	v_add_f32_e32 v40, v39, v35
	v_sub_f32_e32 v41, v37, v40
	v_sub_f32_e32 v33, v40, v39
	;; [unrolled: 1-line block ×5, first 2 shown]
	v_add_f32_e32 v11, v11, v37
	v_add_f32_e32 v11, v33, v11
	;; [unrolled: 1-line block ×3, first 2 shown]
	v_mul_f32_e32 v35, v30, v33
	v_sub_f32_e32 v40, v41, v33
	v_mul_f32_e32 v37, v36, v35
	v_add_f32_e32 v11, v11, v40
	v_fma_f32 v36, v35, v36, -v37
	v_fmac_f32_e32 v36, v35, v34
	v_add_f32_e32 v34, v37, v36
	v_sub_f32_e32 v39, v33, v34
	v_sub_f32_e32 v37, v34, v37
	;; [unrolled: 1-line block ×5, first 2 shown]
	v_add_f32_e32 v11, v11, v33
	v_add_f32_e32 v33, v38, v35
	;; [unrolled: 1-line block ×3, first 2 shown]
	v_sub_f32_e32 v34, v33, v38
	v_add_f32_e32 v11, v39, v11
	v_sub_f32_e32 v34, v35, v34
	v_mul_f32_e32 v11, v30, v11
	v_add_f32_e32 v11, v34, v11
	v_add_f32_e32 v30, v33, v11
	v_mul_f32_e32 v34, v30, v30
	v_fmaak_f32 v35, s31, v34, 0x3ecc95a3
	v_mul_f32_e32 v36, v30, v34
	v_fmaak_f32 v34, v34, v35, 0x3f2aaada
	v_ldexp_f32 v35, v30, 1
	v_sub_f32_e32 v30, v30, v33
	v_mul_f32_e32 v34, v36, v34
	v_mul_f32_e32 v36, 0x3f317218, v10
	v_sub_f32_e32 v11, v11, v30
	v_add_f32_e32 v33, v35, v34
	v_ldexp_f32 v11, v11, 1
	v_sub_f32_e32 v30, v33, v35
	v_fma_f32 v35, 0x3f317218, v10, -v36
	v_sub_f32_e32 v30, v34, v30
	v_fmamk_f32 v10, v10, 0xb102e308, v35
	v_add_f32_e32 v11, v11, v30
	v_add_f32_e32 v30, v36, v10
	;; [unrolled: 1-line block ×3, first 2 shown]
	v_sub_f32_e32 v36, v30, v36
	v_add_f32_e32 v35, v30, v34
	v_sub_f32_e32 v33, v34, v33
	v_sub_f32_e32 v10, v10, v36
	v_sub_f32_e32 v37, v35, v30
	v_sub_f32_e32 v11, v11, v33
	v_sub_f32_e32 v38, v35, v37
	v_sub_f32_e32 v33, v34, v37
	v_add_f32_e32 v34, v10, v11
	v_sub_f32_e32 v30, v30, v38
	v_add_f32_e32 v30, v33, v30
	v_sub_f32_e32 v33, v34, v10
	;; [unrolled: 2-line block ×3, first 2 shown]
	v_sub_f32_e32 v11, v11, v33
	v_add_f32_e32 v36, v35, v30
	v_sub_f32_e32 v10, v10, v34
	v_sub_f32_e32 v33, v36, v35
	v_add_f32_e32 v10, v11, v10
	v_sub_f32_e32 v11, v30, v33
	v_add_f32_e32 v10, v10, v11
	v_add_f32_e32 v10, v36, v10
	v_cndmask_b32_e32 v10, 0x7f800000, v10, vcc_lo
	v_cmp_gt_f32_e64 vcc_lo, 0x33800000, |v6|
	v_cndmask_b32_e32 v6, v10, v6, vcc_lo
	v_add_f32_e32 v6, v5, v6
.LBB161_83:
	s_or_b32 exec_lo, exec_lo, s27
	v_mov_b32_e32 v11, v6
.LBB161_84:
	s_or_b32 exec_lo, exec_lo, s26
	v_mov_b32_e32 v5, 0
	v_mov_b32_e32 v33, 2
	s_mov_b32 s26, 0x3e9b6dac
	s_branch .LBB161_87
.LBB161_85:                             ;   in Loop: Header=BB161_87 Depth=1
	s_or_b32 exec_lo, exec_lo, s27
	v_subrev_nc_u32_e32 v4, 32, v4
	s_mov_b32 s27, 0
.LBB161_86:                             ;   in Loop: Header=BB161_87 Depth=1
	s_and_b32 vcc_lo, exec_lo, s27
	s_cbranch_vccnz .LBB161_115
.LBB161_87:                             ; =>This Loop Header: Depth=1
                                        ;     Child Loop BB161_90 Depth 2
	v_cmp_ne_u16_sdwa s27, v7, v33 src0_sel:BYTE_0 src1_sel:DWORD
	v_mov_b32_e32 v30, v11
                                        ; implicit-def: $vgpr11
                                        ; implicit-def: $vgpr7
	s_cmp_lg_u32 s27, exec_lo
	s_mov_b32 s27, -1
	s_cbranch_scc1 .LBB161_86
; %bb.88:                               ;   in Loop: Header=BB161_87 Depth=1
	s_waitcnt lgkmcnt(0)
	v_lshlrev_b64 v[6:7], 3, v[4:5]
	v_add_co_u32 v10, vcc_lo, s10, v6
	v_add_co_ci_u32_e64 v11, null, s11, v7, vcc_lo
	global_load_dwordx2 v[6:7], v[10:11], off glc dlc
	s_waitcnt vmcnt(0)
	v_cmp_eq_u16_sdwa s31, v7, v5 src0_sel:BYTE_0 src1_sel:DWORD
	s_and_saveexec_b32 s27, s31
	s_cbranch_execz .LBB161_92
; %bb.89:                               ;   in Loop: Header=BB161_87 Depth=1
	s_mov_b32 s31, 0
.LBB161_90:                             ;   Parent Loop BB161_87 Depth=1
                                        ; =>  This Inner Loop Header: Depth=2
	global_load_dwordx2 v[6:7], v[10:11], off glc dlc
	s_waitcnt vmcnt(0)
	v_cmp_ne_u16_sdwa s33, v7, v5 src0_sel:BYTE_0 src1_sel:DWORD
	s_or_b32 s31, s33, s31
	s_andn2_b32 exec_lo, exec_lo, s31
	s_cbranch_execnz .LBB161_90
; %bb.91:                               ;   in Loop: Header=BB161_87 Depth=1
	s_or_b32 exec_lo, exec_lo, s31
.LBB161_92:                             ;   in Loop: Header=BB161_87 Depth=1
	s_or_b32 exec_lo, exec_lo, s27
	ds_bpermute_b32 v34, v12, v6
	v_cmp_eq_u16_sdwa s27, v7, v33 src0_sel:BYTE_0 src1_sel:DWORD
	v_mov_b32_e32 v11, v6
	v_and_or_b32 v10, s27, v13, 0x80000000
	s_mov_b32 s27, exec_lo
	v_ffbl_b32_e32 v10, v10
	v_cmpx_lt_u32_e64 v23, v10
	s_cbranch_execz .LBB161_96
; %bb.93:                               ;   in Loop: Header=BB161_87 Depth=1
	v_max_f32_e32 v11, v6, v6
	s_waitcnt lgkmcnt(0)
	v_max_f32_e32 v35, v34, v34
	v_cmp_u_f32_e32 vcc_lo, v34, v34
	v_min_f32_e32 v36, v35, v11
	v_max_f32_e32 v11, v35, v11
	v_cndmask_b32_e32 v35, v36, v34, vcc_lo
	v_cndmask_b32_e32 v36, v11, v34, vcc_lo
	v_cmp_u_f32_e32 vcc_lo, v6, v6
	v_cndmask_b32_e32 v11, v35, v6, vcc_lo
	v_cndmask_b32_e32 v6, v36, v6, vcc_lo
	v_cmp_class_f32_e64 s31, v11, 0x1f8
	v_cmp_neq_f32_e32 vcc_lo, v11, v6
	s_or_b32 s33, vcc_lo, s31
	s_and_saveexec_b32 s31, s33
	s_cbranch_execz .LBB161_95
; %bb.94:                               ;   in Loop: Header=BB161_87 Depth=1
	v_sub_f32_e32 v11, v11, v6
	v_mul_f32_e32 v34, 0x3fb8aa3b, v11
	v_cmp_ngt_f32_e32 vcc_lo, 0xc2ce8ed0, v11
	v_fma_f32 v35, 0x3fb8aa3b, v11, -v34
	v_rndne_f32_e32 v36, v34
	v_fmac_f32_e32 v35, 0x32a5705f, v11
	v_sub_f32_e32 v34, v34, v36
	v_add_f32_e32 v34, v34, v35
	v_cvt_i32_f32_e32 v35, v36
	v_exp_f32_e32 v34, v34
	v_ldexp_f32 v34, v34, v35
	v_cndmask_b32_e32 v34, 0, v34, vcc_lo
	v_cmp_nlt_f32_e32 vcc_lo, 0x42b17218, v11
	v_cndmask_b32_e32 v11, 0x7f800000, v34, vcc_lo
	v_add_f32_e32 v36, 1.0, v11
	v_cvt_f64_f32_e32 v[34:35], v36
	v_frexp_exp_i32_f64_e32 v34, v[34:35]
	v_frexp_mant_f32_e32 v35, v36
	v_cmp_gt_f32_e32 vcc_lo, 0x3f2aaaab, v35
	v_add_f32_e32 v35, -1.0, v36
	v_sub_f32_e32 v38, v35, v36
	v_sub_f32_e32 v35, v11, v35
	v_add_f32_e32 v38, 1.0, v38
	v_add_f32_e32 v35, v35, v38
	v_subrev_co_ci_u32_e64 v34, null, 0, v34, vcc_lo
	v_cmp_neq_f32_e32 vcc_lo, 0x7f800000, v11
	v_sub_nc_u32_e32 v37, 0, v34
	v_cvt_f32_i32_e32 v34, v34
	v_ldexp_f32 v36, v36, v37
	v_ldexp_f32 v35, v35, v37
	v_add_f32_e32 v39, 1.0, v36
	v_add_f32_e32 v37, -1.0, v36
	v_add_f32_e32 v38, -1.0, v39
	v_add_f32_e32 v40, 1.0, v37
	v_sub_f32_e32 v38, v36, v38
	v_sub_f32_e32 v36, v36, v40
	v_add_f32_e32 v38, v35, v38
	v_add_f32_e32 v35, v35, v36
	;; [unrolled: 1-line block ×4, first 2 shown]
	v_rcp_f32_e32 v36, v40
	v_sub_f32_e32 v39, v39, v40
	v_sub_f32_e32 v37, v37, v41
	v_add_f32_e32 v38, v38, v39
	v_add_f32_e32 v35, v35, v37
	v_mul_f32_e32 v42, v41, v36
	v_mul_f32_e32 v43, v40, v42
	v_fma_f32 v39, v42, v40, -v43
	v_fmac_f32_e32 v39, v42, v38
	v_add_f32_e32 v44, v43, v39
	v_sub_f32_e32 v45, v41, v44
	v_sub_f32_e32 v37, v44, v43
	;; [unrolled: 1-line block ×5, first 2 shown]
	v_add_f32_e32 v35, v35, v41
	v_add_f32_e32 v35, v37, v35
	;; [unrolled: 1-line block ×3, first 2 shown]
	v_mul_f32_e32 v39, v36, v37
	v_sub_f32_e32 v44, v45, v37
	v_mul_f32_e32 v41, v40, v39
	v_add_f32_e32 v35, v35, v44
	v_fma_f32 v40, v39, v40, -v41
	v_fmac_f32_e32 v40, v39, v38
	v_add_f32_e32 v38, v41, v40
	v_sub_f32_e32 v43, v37, v38
	v_sub_f32_e32 v41, v38, v41
	;; [unrolled: 1-line block ×5, first 2 shown]
	v_add_f32_e32 v35, v35, v37
	v_add_f32_e32 v37, v42, v39
	;; [unrolled: 1-line block ×3, first 2 shown]
	v_sub_f32_e32 v38, v37, v42
	v_add_f32_e32 v35, v43, v35
	v_sub_f32_e32 v38, v39, v38
	v_mul_f32_e32 v35, v36, v35
	v_add_f32_e32 v35, v38, v35
	v_add_f32_e32 v36, v37, v35
	v_mul_f32_e32 v38, v36, v36
	v_fmaak_f32 v39, s26, v38, 0x3ecc95a3
	v_mul_f32_e32 v40, v36, v38
	v_fmaak_f32 v38, v38, v39, 0x3f2aaada
	v_ldexp_f32 v39, v36, 1
	v_sub_f32_e32 v36, v36, v37
	v_mul_f32_e32 v38, v40, v38
	v_mul_f32_e32 v40, 0x3f317218, v34
	v_sub_f32_e32 v35, v35, v36
	v_add_f32_e32 v37, v39, v38
	v_ldexp_f32 v35, v35, 1
	v_sub_f32_e32 v36, v37, v39
	v_fma_f32 v39, 0x3f317218, v34, -v40
	v_sub_f32_e32 v36, v38, v36
	v_fmac_f32_e32 v39, 0xb102e308, v34
	v_add_f32_e32 v34, v35, v36
	v_add_f32_e32 v35, v40, v39
	;; [unrolled: 1-line block ×3, first 2 shown]
	v_sub_f32_e32 v40, v35, v40
	v_add_f32_e32 v38, v35, v36
	v_sub_f32_e32 v37, v36, v37
	v_sub_f32_e32 v39, v39, v40
	;; [unrolled: 1-line block ×6, first 2 shown]
	v_add_f32_e32 v37, v39, v34
	v_sub_f32_e32 v35, v35, v42
	v_add_f32_e32 v35, v36, v35
	v_sub_f32_e32 v36, v37, v39
	;; [unrolled: 2-line block ×3, first 2 shown]
	v_sub_f32_e32 v34, v34, v36
	v_add_f32_e32 v40, v38, v35
	v_sub_f32_e32 v37, v39, v37
	v_sub_f32_e32 v36, v40, v38
	v_add_f32_e32 v34, v34, v37
	v_sub_f32_e32 v35, v35, v36
	v_add_f32_e32 v34, v34, v35
	v_add_f32_e32 v34, v40, v34
	v_cndmask_b32_e32 v34, 0x7f800000, v34, vcc_lo
	v_cmp_gt_f32_e64 vcc_lo, 0x33800000, |v11|
	v_cndmask_b32_e32 v11, v34, v11, vcc_lo
	v_add_f32_e32 v34, v6, v11
.LBB161_95:                             ;   in Loop: Header=BB161_87 Depth=1
	s_or_b32 exec_lo, exec_lo, s31
	v_mov_b32_e32 v6, v34
	v_mov_b32_e32 v11, v34
.LBB161_96:                             ;   in Loop: Header=BB161_87 Depth=1
	s_or_b32 exec_lo, exec_lo, s27
	s_waitcnt lgkmcnt(0)
	ds_bpermute_b32 v34, v24, v6
	s_mov_b32 s27, exec_lo
	v_cmpx_le_u32_e64 v25, v10
	s_cbranch_execz .LBB161_100
; %bb.97:                               ;   in Loop: Header=BB161_87 Depth=1
	v_max_f32_e32 v6, v11, v11
	s_waitcnt lgkmcnt(0)
	v_max_f32_e32 v35, v34, v34
	v_cmp_u_f32_e32 vcc_lo, v34, v34
	v_min_f32_e32 v36, v35, v6
	v_max_f32_e32 v6, v35, v6
	v_cndmask_b32_e32 v35, v36, v34, vcc_lo
	v_cndmask_b32_e32 v6, v6, v34, vcc_lo
	v_cmp_u_f32_e32 vcc_lo, v11, v11
	v_cndmask_b32_e32 v35, v35, v11, vcc_lo
	v_cndmask_b32_e32 v6, v6, v11, vcc_lo
	v_cmp_class_f32_e64 s31, v35, 0x1f8
	v_cmp_neq_f32_e32 vcc_lo, v35, v6
	s_or_b32 s33, vcc_lo, s31
	s_and_saveexec_b32 s31, s33
	s_cbranch_execz .LBB161_99
; %bb.98:                               ;   in Loop: Header=BB161_87 Depth=1
	v_sub_f32_e32 v11, v35, v6
	v_mul_f32_e32 v34, 0x3fb8aa3b, v11
	v_cmp_ngt_f32_e32 vcc_lo, 0xc2ce8ed0, v11
	v_fma_f32 v35, 0x3fb8aa3b, v11, -v34
	v_rndne_f32_e32 v36, v34
	v_fmac_f32_e32 v35, 0x32a5705f, v11
	v_sub_f32_e32 v34, v34, v36
	v_add_f32_e32 v34, v34, v35
	v_cvt_i32_f32_e32 v35, v36
	v_exp_f32_e32 v34, v34
	v_ldexp_f32 v34, v34, v35
	v_cndmask_b32_e32 v34, 0, v34, vcc_lo
	v_cmp_nlt_f32_e32 vcc_lo, 0x42b17218, v11
	v_cndmask_b32_e32 v11, 0x7f800000, v34, vcc_lo
	v_add_f32_e32 v36, 1.0, v11
	v_cvt_f64_f32_e32 v[34:35], v36
	v_frexp_exp_i32_f64_e32 v34, v[34:35]
	v_frexp_mant_f32_e32 v35, v36
	v_cmp_gt_f32_e32 vcc_lo, 0x3f2aaaab, v35
	v_add_f32_e32 v35, -1.0, v36
	v_sub_f32_e32 v38, v35, v36
	v_sub_f32_e32 v35, v11, v35
	v_add_f32_e32 v38, 1.0, v38
	v_add_f32_e32 v35, v35, v38
	v_subrev_co_ci_u32_e64 v34, null, 0, v34, vcc_lo
	v_cmp_neq_f32_e32 vcc_lo, 0x7f800000, v11
	v_sub_nc_u32_e32 v37, 0, v34
	v_cvt_f32_i32_e32 v34, v34
	v_ldexp_f32 v36, v36, v37
	v_ldexp_f32 v35, v35, v37
	v_add_f32_e32 v39, 1.0, v36
	v_add_f32_e32 v37, -1.0, v36
	v_add_f32_e32 v38, -1.0, v39
	v_add_f32_e32 v40, 1.0, v37
	v_sub_f32_e32 v38, v36, v38
	v_sub_f32_e32 v36, v36, v40
	v_add_f32_e32 v38, v35, v38
	v_add_f32_e32 v35, v35, v36
	v_add_f32_e32 v40, v39, v38
	v_add_f32_e32 v41, v37, v35
	v_rcp_f32_e32 v36, v40
	v_sub_f32_e32 v39, v39, v40
	v_sub_f32_e32 v37, v37, v41
	v_add_f32_e32 v38, v38, v39
	v_add_f32_e32 v35, v35, v37
	v_mul_f32_e32 v42, v41, v36
	v_mul_f32_e32 v43, v40, v42
	v_fma_f32 v39, v42, v40, -v43
	v_fmac_f32_e32 v39, v42, v38
	v_add_f32_e32 v44, v43, v39
	v_sub_f32_e32 v45, v41, v44
	v_sub_f32_e32 v37, v44, v43
	;; [unrolled: 1-line block ×5, first 2 shown]
	v_add_f32_e32 v35, v35, v41
	v_add_f32_e32 v35, v37, v35
	;; [unrolled: 1-line block ×3, first 2 shown]
	v_mul_f32_e32 v39, v36, v37
	v_sub_f32_e32 v44, v45, v37
	v_mul_f32_e32 v41, v40, v39
	v_add_f32_e32 v35, v35, v44
	v_fma_f32 v40, v39, v40, -v41
	v_fmac_f32_e32 v40, v39, v38
	v_add_f32_e32 v38, v41, v40
	v_sub_f32_e32 v43, v37, v38
	v_sub_f32_e32 v41, v38, v41
	;; [unrolled: 1-line block ×5, first 2 shown]
	v_add_f32_e32 v35, v35, v37
	v_add_f32_e32 v37, v42, v39
	;; [unrolled: 1-line block ×3, first 2 shown]
	v_sub_f32_e32 v38, v37, v42
	v_add_f32_e32 v35, v43, v35
	v_sub_f32_e32 v38, v39, v38
	v_mul_f32_e32 v35, v36, v35
	v_add_f32_e32 v35, v38, v35
	v_add_f32_e32 v36, v37, v35
	v_mul_f32_e32 v38, v36, v36
	v_fmaak_f32 v39, s26, v38, 0x3ecc95a3
	v_mul_f32_e32 v40, v36, v38
	v_fmaak_f32 v38, v38, v39, 0x3f2aaada
	v_ldexp_f32 v39, v36, 1
	v_sub_f32_e32 v36, v36, v37
	v_mul_f32_e32 v38, v40, v38
	v_mul_f32_e32 v40, 0x3f317218, v34
	v_sub_f32_e32 v35, v35, v36
	v_add_f32_e32 v37, v39, v38
	v_ldexp_f32 v35, v35, 1
	v_sub_f32_e32 v36, v37, v39
	v_fma_f32 v39, 0x3f317218, v34, -v40
	v_sub_f32_e32 v36, v38, v36
	v_fmac_f32_e32 v39, 0xb102e308, v34
	v_add_f32_e32 v34, v35, v36
	v_add_f32_e32 v35, v40, v39
	;; [unrolled: 1-line block ×3, first 2 shown]
	v_sub_f32_e32 v40, v35, v40
	v_add_f32_e32 v38, v35, v36
	v_sub_f32_e32 v37, v36, v37
	v_sub_f32_e32 v39, v39, v40
	;; [unrolled: 1-line block ×6, first 2 shown]
	v_add_f32_e32 v37, v39, v34
	v_sub_f32_e32 v35, v35, v42
	v_add_f32_e32 v35, v36, v35
	v_sub_f32_e32 v36, v37, v39
	;; [unrolled: 2-line block ×3, first 2 shown]
	v_sub_f32_e32 v34, v34, v36
	v_add_f32_e32 v40, v38, v35
	v_sub_f32_e32 v37, v39, v37
	v_sub_f32_e32 v36, v40, v38
	v_add_f32_e32 v34, v34, v37
	v_sub_f32_e32 v35, v35, v36
	v_add_f32_e32 v34, v34, v35
	v_add_f32_e32 v34, v40, v34
	v_cndmask_b32_e32 v34, 0x7f800000, v34, vcc_lo
	v_cmp_gt_f32_e64 vcc_lo, 0x33800000, |v11|
	v_cndmask_b32_e32 v11, v34, v11, vcc_lo
	v_add_f32_e32 v34, v6, v11
.LBB161_99:                             ;   in Loop: Header=BB161_87 Depth=1
	s_or_b32 exec_lo, exec_lo, s31
	v_mov_b32_e32 v6, v34
	v_mov_b32_e32 v11, v34
.LBB161_100:                            ;   in Loop: Header=BB161_87 Depth=1
	s_or_b32 exec_lo, exec_lo, s27
	s_waitcnt lgkmcnt(0)
	ds_bpermute_b32 v34, v26, v6
	s_mov_b32 s27, exec_lo
	v_cmpx_le_u32_e64 v27, v10
	s_cbranch_execz .LBB161_104
; %bb.101:                              ;   in Loop: Header=BB161_87 Depth=1
	v_max_f32_e32 v6, v11, v11
	s_waitcnt lgkmcnt(0)
	v_max_f32_e32 v35, v34, v34
	v_cmp_u_f32_e32 vcc_lo, v34, v34
	v_min_f32_e32 v36, v35, v6
	v_max_f32_e32 v6, v35, v6
	v_cndmask_b32_e32 v35, v36, v34, vcc_lo
	v_cndmask_b32_e32 v6, v6, v34, vcc_lo
	v_cmp_u_f32_e32 vcc_lo, v11, v11
	v_cndmask_b32_e32 v35, v35, v11, vcc_lo
	v_cndmask_b32_e32 v6, v6, v11, vcc_lo
	v_cmp_class_f32_e64 s31, v35, 0x1f8
	v_cmp_neq_f32_e32 vcc_lo, v35, v6
	s_or_b32 s33, vcc_lo, s31
	s_and_saveexec_b32 s31, s33
	s_cbranch_execz .LBB161_103
; %bb.102:                              ;   in Loop: Header=BB161_87 Depth=1
	v_sub_f32_e32 v11, v35, v6
	v_mul_f32_e32 v34, 0x3fb8aa3b, v11
	v_cmp_ngt_f32_e32 vcc_lo, 0xc2ce8ed0, v11
	v_fma_f32 v35, 0x3fb8aa3b, v11, -v34
	v_rndne_f32_e32 v36, v34
	v_fmac_f32_e32 v35, 0x32a5705f, v11
	v_sub_f32_e32 v34, v34, v36
	v_add_f32_e32 v34, v34, v35
	v_cvt_i32_f32_e32 v35, v36
	v_exp_f32_e32 v34, v34
	v_ldexp_f32 v34, v34, v35
	v_cndmask_b32_e32 v34, 0, v34, vcc_lo
	v_cmp_nlt_f32_e32 vcc_lo, 0x42b17218, v11
	v_cndmask_b32_e32 v11, 0x7f800000, v34, vcc_lo
	v_add_f32_e32 v36, 1.0, v11
	v_cvt_f64_f32_e32 v[34:35], v36
	v_frexp_exp_i32_f64_e32 v34, v[34:35]
	v_frexp_mant_f32_e32 v35, v36
	v_cmp_gt_f32_e32 vcc_lo, 0x3f2aaaab, v35
	v_add_f32_e32 v35, -1.0, v36
	v_sub_f32_e32 v38, v35, v36
	v_sub_f32_e32 v35, v11, v35
	v_add_f32_e32 v38, 1.0, v38
	v_add_f32_e32 v35, v35, v38
	v_subrev_co_ci_u32_e64 v34, null, 0, v34, vcc_lo
	v_cmp_neq_f32_e32 vcc_lo, 0x7f800000, v11
	v_sub_nc_u32_e32 v37, 0, v34
	v_cvt_f32_i32_e32 v34, v34
	v_ldexp_f32 v36, v36, v37
	v_ldexp_f32 v35, v35, v37
	v_add_f32_e32 v39, 1.0, v36
	v_add_f32_e32 v37, -1.0, v36
	v_add_f32_e32 v38, -1.0, v39
	v_add_f32_e32 v40, 1.0, v37
	v_sub_f32_e32 v38, v36, v38
	v_sub_f32_e32 v36, v36, v40
	v_add_f32_e32 v38, v35, v38
	v_add_f32_e32 v35, v35, v36
	;; [unrolled: 1-line block ×4, first 2 shown]
	v_rcp_f32_e32 v36, v40
	v_sub_f32_e32 v39, v39, v40
	v_sub_f32_e32 v37, v37, v41
	v_add_f32_e32 v38, v38, v39
	v_add_f32_e32 v35, v35, v37
	v_mul_f32_e32 v42, v41, v36
	v_mul_f32_e32 v43, v40, v42
	v_fma_f32 v39, v42, v40, -v43
	v_fmac_f32_e32 v39, v42, v38
	v_add_f32_e32 v44, v43, v39
	v_sub_f32_e32 v45, v41, v44
	v_sub_f32_e32 v37, v44, v43
	;; [unrolled: 1-line block ×5, first 2 shown]
	v_add_f32_e32 v35, v35, v41
	v_add_f32_e32 v35, v37, v35
	;; [unrolled: 1-line block ×3, first 2 shown]
	v_mul_f32_e32 v39, v36, v37
	v_sub_f32_e32 v44, v45, v37
	v_mul_f32_e32 v41, v40, v39
	v_add_f32_e32 v35, v35, v44
	v_fma_f32 v40, v39, v40, -v41
	v_fmac_f32_e32 v40, v39, v38
	v_add_f32_e32 v38, v41, v40
	v_sub_f32_e32 v43, v37, v38
	v_sub_f32_e32 v41, v38, v41
	;; [unrolled: 1-line block ×5, first 2 shown]
	v_add_f32_e32 v35, v35, v37
	v_add_f32_e32 v37, v42, v39
	;; [unrolled: 1-line block ×3, first 2 shown]
	v_sub_f32_e32 v38, v37, v42
	v_add_f32_e32 v35, v43, v35
	v_sub_f32_e32 v38, v39, v38
	v_mul_f32_e32 v35, v36, v35
	v_add_f32_e32 v35, v38, v35
	v_add_f32_e32 v36, v37, v35
	v_mul_f32_e32 v38, v36, v36
	v_fmaak_f32 v39, s26, v38, 0x3ecc95a3
	v_mul_f32_e32 v40, v36, v38
	v_fmaak_f32 v38, v38, v39, 0x3f2aaada
	v_ldexp_f32 v39, v36, 1
	v_sub_f32_e32 v36, v36, v37
	v_mul_f32_e32 v38, v40, v38
	v_mul_f32_e32 v40, 0x3f317218, v34
	v_sub_f32_e32 v35, v35, v36
	v_add_f32_e32 v37, v39, v38
	v_ldexp_f32 v35, v35, 1
	v_sub_f32_e32 v36, v37, v39
	v_fma_f32 v39, 0x3f317218, v34, -v40
	v_sub_f32_e32 v36, v38, v36
	v_fmac_f32_e32 v39, 0xb102e308, v34
	v_add_f32_e32 v34, v35, v36
	v_add_f32_e32 v35, v40, v39
	;; [unrolled: 1-line block ×3, first 2 shown]
	v_sub_f32_e32 v40, v35, v40
	v_add_f32_e32 v38, v35, v36
	v_sub_f32_e32 v37, v36, v37
	v_sub_f32_e32 v39, v39, v40
	;; [unrolled: 1-line block ×6, first 2 shown]
	v_add_f32_e32 v37, v39, v34
	v_sub_f32_e32 v35, v35, v42
	v_add_f32_e32 v35, v36, v35
	v_sub_f32_e32 v36, v37, v39
	;; [unrolled: 2-line block ×3, first 2 shown]
	v_sub_f32_e32 v34, v34, v36
	v_add_f32_e32 v40, v38, v35
	v_sub_f32_e32 v37, v39, v37
	v_sub_f32_e32 v36, v40, v38
	v_add_f32_e32 v34, v34, v37
	v_sub_f32_e32 v35, v35, v36
	v_add_f32_e32 v34, v34, v35
	v_add_f32_e32 v34, v40, v34
	v_cndmask_b32_e32 v34, 0x7f800000, v34, vcc_lo
	v_cmp_gt_f32_e64 vcc_lo, 0x33800000, |v11|
	v_cndmask_b32_e32 v11, v34, v11, vcc_lo
	v_add_f32_e32 v34, v6, v11
.LBB161_103:                            ;   in Loop: Header=BB161_87 Depth=1
	s_or_b32 exec_lo, exec_lo, s31
	v_mov_b32_e32 v6, v34
	v_mov_b32_e32 v11, v34
.LBB161_104:                            ;   in Loop: Header=BB161_87 Depth=1
	s_or_b32 exec_lo, exec_lo, s27
	s_waitcnt lgkmcnt(0)
	ds_bpermute_b32 v34, v28, v6
	s_mov_b32 s27, exec_lo
	v_cmpx_le_u32_e64 v29, v10
	s_cbranch_execz .LBB161_108
; %bb.105:                              ;   in Loop: Header=BB161_87 Depth=1
	v_max_f32_e32 v6, v11, v11
	s_waitcnt lgkmcnt(0)
	v_max_f32_e32 v35, v34, v34
	v_cmp_u_f32_e32 vcc_lo, v34, v34
	v_min_f32_e32 v36, v35, v6
	v_max_f32_e32 v6, v35, v6
	v_cndmask_b32_e32 v35, v36, v34, vcc_lo
	v_cndmask_b32_e32 v6, v6, v34, vcc_lo
	v_cmp_u_f32_e32 vcc_lo, v11, v11
	v_cndmask_b32_e32 v35, v35, v11, vcc_lo
	v_cndmask_b32_e32 v6, v6, v11, vcc_lo
	v_cmp_class_f32_e64 s31, v35, 0x1f8
	v_cmp_neq_f32_e32 vcc_lo, v35, v6
	s_or_b32 s33, vcc_lo, s31
	s_and_saveexec_b32 s31, s33
	s_cbranch_execz .LBB161_107
; %bb.106:                              ;   in Loop: Header=BB161_87 Depth=1
	v_sub_f32_e32 v11, v35, v6
	v_mul_f32_e32 v34, 0x3fb8aa3b, v11
	v_cmp_ngt_f32_e32 vcc_lo, 0xc2ce8ed0, v11
	v_fma_f32 v35, 0x3fb8aa3b, v11, -v34
	v_rndne_f32_e32 v36, v34
	v_fmac_f32_e32 v35, 0x32a5705f, v11
	v_sub_f32_e32 v34, v34, v36
	v_add_f32_e32 v34, v34, v35
	v_cvt_i32_f32_e32 v35, v36
	v_exp_f32_e32 v34, v34
	v_ldexp_f32 v34, v34, v35
	v_cndmask_b32_e32 v34, 0, v34, vcc_lo
	v_cmp_nlt_f32_e32 vcc_lo, 0x42b17218, v11
	v_cndmask_b32_e32 v11, 0x7f800000, v34, vcc_lo
	v_add_f32_e32 v36, 1.0, v11
	v_cvt_f64_f32_e32 v[34:35], v36
	v_frexp_exp_i32_f64_e32 v34, v[34:35]
	v_frexp_mant_f32_e32 v35, v36
	v_cmp_gt_f32_e32 vcc_lo, 0x3f2aaaab, v35
	v_add_f32_e32 v35, -1.0, v36
	v_sub_f32_e32 v38, v35, v36
	v_sub_f32_e32 v35, v11, v35
	v_add_f32_e32 v38, 1.0, v38
	v_add_f32_e32 v35, v35, v38
	v_subrev_co_ci_u32_e64 v34, null, 0, v34, vcc_lo
	v_cmp_neq_f32_e32 vcc_lo, 0x7f800000, v11
	v_sub_nc_u32_e32 v37, 0, v34
	v_cvt_f32_i32_e32 v34, v34
	v_ldexp_f32 v36, v36, v37
	v_ldexp_f32 v35, v35, v37
	v_add_f32_e32 v39, 1.0, v36
	v_add_f32_e32 v37, -1.0, v36
	v_add_f32_e32 v38, -1.0, v39
	v_add_f32_e32 v40, 1.0, v37
	v_sub_f32_e32 v38, v36, v38
	v_sub_f32_e32 v36, v36, v40
	v_add_f32_e32 v38, v35, v38
	v_add_f32_e32 v35, v35, v36
	;; [unrolled: 1-line block ×4, first 2 shown]
	v_rcp_f32_e32 v36, v40
	v_sub_f32_e32 v39, v39, v40
	v_sub_f32_e32 v37, v37, v41
	v_add_f32_e32 v38, v38, v39
	v_add_f32_e32 v35, v35, v37
	v_mul_f32_e32 v42, v41, v36
	v_mul_f32_e32 v43, v40, v42
	v_fma_f32 v39, v42, v40, -v43
	v_fmac_f32_e32 v39, v42, v38
	v_add_f32_e32 v44, v43, v39
	v_sub_f32_e32 v45, v41, v44
	v_sub_f32_e32 v37, v44, v43
	;; [unrolled: 1-line block ×5, first 2 shown]
	v_add_f32_e32 v35, v35, v41
	v_add_f32_e32 v35, v37, v35
	;; [unrolled: 1-line block ×3, first 2 shown]
	v_mul_f32_e32 v39, v36, v37
	v_sub_f32_e32 v44, v45, v37
	v_mul_f32_e32 v41, v40, v39
	v_add_f32_e32 v35, v35, v44
	v_fma_f32 v40, v39, v40, -v41
	v_fmac_f32_e32 v40, v39, v38
	v_add_f32_e32 v38, v41, v40
	v_sub_f32_e32 v43, v37, v38
	v_sub_f32_e32 v41, v38, v41
	;; [unrolled: 1-line block ×5, first 2 shown]
	v_add_f32_e32 v35, v35, v37
	v_add_f32_e32 v37, v42, v39
	;; [unrolled: 1-line block ×3, first 2 shown]
	v_sub_f32_e32 v38, v37, v42
	v_add_f32_e32 v35, v43, v35
	v_sub_f32_e32 v38, v39, v38
	v_mul_f32_e32 v35, v36, v35
	v_add_f32_e32 v35, v38, v35
	v_add_f32_e32 v36, v37, v35
	v_mul_f32_e32 v38, v36, v36
	v_fmaak_f32 v39, s26, v38, 0x3ecc95a3
	v_mul_f32_e32 v40, v36, v38
	v_fmaak_f32 v38, v38, v39, 0x3f2aaada
	v_ldexp_f32 v39, v36, 1
	v_sub_f32_e32 v36, v36, v37
	v_mul_f32_e32 v38, v40, v38
	v_mul_f32_e32 v40, 0x3f317218, v34
	v_sub_f32_e32 v35, v35, v36
	v_add_f32_e32 v37, v39, v38
	v_ldexp_f32 v35, v35, 1
	v_sub_f32_e32 v36, v37, v39
	v_fma_f32 v39, 0x3f317218, v34, -v40
	v_sub_f32_e32 v36, v38, v36
	v_fmac_f32_e32 v39, 0xb102e308, v34
	v_add_f32_e32 v34, v35, v36
	v_add_f32_e32 v35, v40, v39
	;; [unrolled: 1-line block ×3, first 2 shown]
	v_sub_f32_e32 v40, v35, v40
	v_add_f32_e32 v38, v35, v36
	v_sub_f32_e32 v37, v36, v37
	v_sub_f32_e32 v39, v39, v40
	;; [unrolled: 1-line block ×6, first 2 shown]
	v_add_f32_e32 v37, v39, v34
	v_sub_f32_e32 v35, v35, v42
	v_add_f32_e32 v35, v36, v35
	v_sub_f32_e32 v36, v37, v39
	;; [unrolled: 2-line block ×3, first 2 shown]
	v_sub_f32_e32 v34, v34, v36
	v_add_f32_e32 v40, v38, v35
	v_sub_f32_e32 v37, v39, v37
	v_sub_f32_e32 v36, v40, v38
	v_add_f32_e32 v34, v34, v37
	v_sub_f32_e32 v35, v35, v36
	v_add_f32_e32 v34, v34, v35
	v_add_f32_e32 v34, v40, v34
	v_cndmask_b32_e32 v34, 0x7f800000, v34, vcc_lo
	v_cmp_gt_f32_e64 vcc_lo, 0x33800000, |v11|
	v_cndmask_b32_e32 v11, v34, v11, vcc_lo
	v_add_f32_e32 v34, v6, v11
.LBB161_107:                            ;   in Loop: Header=BB161_87 Depth=1
	s_or_b32 exec_lo, exec_lo, s31
	v_mov_b32_e32 v6, v34
	v_mov_b32_e32 v11, v34
.LBB161_108:                            ;   in Loop: Header=BB161_87 Depth=1
	s_or_b32 exec_lo, exec_lo, s27
	s_waitcnt lgkmcnt(0)
	ds_bpermute_b32 v34, v31, v6
	s_mov_b32 s27, exec_lo
	v_cmpx_le_u32_e64 v32, v10
	s_cbranch_execz .LBB161_112
; %bb.109:                              ;   in Loop: Header=BB161_87 Depth=1
	v_max_f32_e32 v6, v11, v11
	s_waitcnt lgkmcnt(0)
	v_max_f32_e32 v10, v34, v34
	v_cmp_u_f32_e32 vcc_lo, v34, v34
	v_min_f32_e32 v35, v10, v6
	v_max_f32_e32 v6, v10, v6
	v_cndmask_b32_e32 v10, v35, v34, vcc_lo
	v_cndmask_b32_e32 v6, v6, v34, vcc_lo
	v_cmp_u_f32_e32 vcc_lo, v11, v11
	v_cndmask_b32_e32 v10, v10, v11, vcc_lo
	v_cndmask_b32_e32 v6, v6, v11, vcc_lo
	v_cmp_class_f32_e64 s31, v10, 0x1f8
	v_cmp_neq_f32_e32 vcc_lo, v10, v6
	s_or_b32 s33, vcc_lo, s31
	s_and_saveexec_b32 s31, s33
	s_cbranch_execz .LBB161_111
; %bb.110:                              ;   in Loop: Header=BB161_87 Depth=1
	v_sub_f32_e32 v10, v10, v6
	v_mul_f32_e32 v11, 0x3fb8aa3b, v10
	v_cmp_ngt_f32_e32 vcc_lo, 0xc2ce8ed0, v10
	v_fma_f32 v34, 0x3fb8aa3b, v10, -v11
	v_rndne_f32_e32 v35, v11
	v_fmac_f32_e32 v34, 0x32a5705f, v10
	v_sub_f32_e32 v11, v11, v35
	v_add_f32_e32 v11, v11, v34
	v_cvt_i32_f32_e32 v34, v35
	v_exp_f32_e32 v11, v11
	v_ldexp_f32 v11, v11, v34
	v_cndmask_b32_e32 v11, 0, v11, vcc_lo
	v_cmp_nlt_f32_e32 vcc_lo, 0x42b17218, v10
	v_cndmask_b32_e32 v34, 0x7f800000, v11, vcc_lo
	v_add_f32_e32 v35, 1.0, v34
	v_cvt_f64_f32_e32 v[10:11], v35
	v_frexp_exp_i32_f64_e32 v10, v[10:11]
	v_frexp_mant_f32_e32 v11, v35
	v_cmp_gt_f32_e32 vcc_lo, 0x3f2aaaab, v11
	v_add_f32_e32 v11, -1.0, v35
	v_sub_f32_e32 v37, v11, v35
	v_sub_f32_e32 v11, v34, v11
	v_add_f32_e32 v37, 1.0, v37
	v_add_f32_e32 v11, v11, v37
	v_subrev_co_ci_u32_e64 v10, null, 0, v10, vcc_lo
	v_cmp_neq_f32_e32 vcc_lo, 0x7f800000, v34
	v_sub_nc_u32_e32 v36, 0, v10
	v_cvt_f32_i32_e32 v10, v10
	v_ldexp_f32 v35, v35, v36
	v_ldexp_f32 v11, v11, v36
	v_add_f32_e32 v38, 1.0, v35
	v_add_f32_e32 v36, -1.0, v35
	v_add_f32_e32 v37, -1.0, v38
	v_add_f32_e32 v39, 1.0, v36
	v_sub_f32_e32 v37, v35, v37
	v_sub_f32_e32 v35, v35, v39
	v_add_f32_e32 v37, v11, v37
	v_add_f32_e32 v11, v11, v35
	;; [unrolled: 1-line block ×4, first 2 shown]
	v_rcp_f32_e32 v35, v39
	v_sub_f32_e32 v38, v38, v39
	v_sub_f32_e32 v36, v36, v40
	v_add_f32_e32 v37, v37, v38
	v_add_f32_e32 v11, v11, v36
	v_mul_f32_e32 v41, v40, v35
	v_mul_f32_e32 v42, v39, v41
	v_fma_f32 v38, v41, v39, -v42
	v_fmac_f32_e32 v38, v41, v37
	v_add_f32_e32 v43, v42, v38
	v_sub_f32_e32 v44, v40, v43
	v_sub_f32_e32 v36, v43, v42
	;; [unrolled: 1-line block ×5, first 2 shown]
	v_add_f32_e32 v11, v11, v40
	v_add_f32_e32 v11, v36, v11
	;; [unrolled: 1-line block ×3, first 2 shown]
	v_mul_f32_e32 v38, v35, v36
	v_sub_f32_e32 v43, v44, v36
	v_mul_f32_e32 v40, v39, v38
	v_add_f32_e32 v11, v11, v43
	v_fma_f32 v39, v38, v39, -v40
	v_fmac_f32_e32 v39, v38, v37
	v_add_f32_e32 v37, v40, v39
	v_sub_f32_e32 v42, v36, v37
	v_sub_f32_e32 v40, v37, v40
	;; [unrolled: 1-line block ×5, first 2 shown]
	v_add_f32_e32 v11, v11, v36
	v_add_f32_e32 v36, v41, v38
	;; [unrolled: 1-line block ×3, first 2 shown]
	v_sub_f32_e32 v37, v36, v41
	v_add_f32_e32 v11, v42, v11
	v_sub_f32_e32 v37, v38, v37
	v_mul_f32_e32 v11, v35, v11
	v_add_f32_e32 v11, v37, v11
	v_add_f32_e32 v35, v36, v11
	v_mul_f32_e32 v37, v35, v35
	v_fmaak_f32 v38, s26, v37, 0x3ecc95a3
	v_mul_f32_e32 v39, v35, v37
	v_fmaak_f32 v37, v37, v38, 0x3f2aaada
	v_ldexp_f32 v38, v35, 1
	v_sub_f32_e32 v35, v35, v36
	v_mul_f32_e32 v37, v39, v37
	v_mul_f32_e32 v39, 0x3f317218, v10
	v_sub_f32_e32 v11, v11, v35
	v_add_f32_e32 v36, v38, v37
	v_ldexp_f32 v11, v11, 1
	v_sub_f32_e32 v35, v36, v38
	v_fma_f32 v38, 0x3f317218, v10, -v39
	v_sub_f32_e32 v35, v37, v35
	v_fmac_f32_e32 v38, 0xb102e308, v10
	v_add_f32_e32 v10, v11, v35
	v_add_f32_e32 v11, v39, v38
	;; [unrolled: 1-line block ×3, first 2 shown]
	v_sub_f32_e32 v39, v11, v39
	v_add_f32_e32 v37, v11, v35
	v_sub_f32_e32 v36, v35, v36
	v_sub_f32_e32 v38, v38, v39
	;; [unrolled: 1-line block ×6, first 2 shown]
	v_add_f32_e32 v36, v38, v10
	v_sub_f32_e32 v11, v11, v41
	v_add_f32_e32 v11, v35, v11
	v_sub_f32_e32 v35, v36, v38
	;; [unrolled: 2-line block ×3, first 2 shown]
	v_sub_f32_e32 v10, v10, v35
	v_add_f32_e32 v39, v37, v11
	v_sub_f32_e32 v36, v38, v36
	v_sub_f32_e32 v35, v39, v37
	v_add_f32_e32 v10, v10, v36
	v_sub_f32_e32 v11, v11, v35
	v_add_f32_e32 v10, v10, v11
	v_add_f32_e32 v10, v39, v10
	v_cndmask_b32_e32 v10, 0x7f800000, v10, vcc_lo
	v_cmp_gt_f32_e64 vcc_lo, 0x33800000, |v34|
	v_cndmask_b32_e32 v10, v10, v34, vcc_lo
	v_add_f32_e32 v34, v6, v10
.LBB161_111:                            ;   in Loop: Header=BB161_87 Depth=1
	s_or_b32 exec_lo, exec_lo, s31
	v_mov_b32_e32 v11, v34
.LBB161_112:                            ;   in Loop: Header=BB161_87 Depth=1
	s_or_b32 exec_lo, exec_lo, s27
	v_max_f32_e32 v6, v30, v30
	v_max_f32_e32 v10, v11, v11
	v_cmp_u_f32_e32 vcc_lo, v11, v11
	s_waitcnt lgkmcnt(0)
	v_min_f32_e32 v34, v10, v6
	v_max_f32_e32 v6, v10, v6
	v_cndmask_b32_e32 v10, v34, v11, vcc_lo
	v_cndmask_b32_e32 v6, v6, v11, vcc_lo
	v_cmp_u_f32_e32 vcc_lo, v30, v30
	v_cndmask_b32_e32 v10, v10, v30, vcc_lo
	v_cndmask_b32_e32 v6, v6, v30, vcc_lo
	v_cmp_class_f32_e64 s27, v10, 0x1f8
	v_cmp_neq_f32_e32 vcc_lo, v10, v6
	s_or_b32 s27, vcc_lo, s27
	s_and_saveexec_b32 s31, s27
	s_xor_b32 s27, exec_lo, s31
	s_cbranch_execz .LBB161_85
; %bb.113:                              ;   in Loop: Header=BB161_87 Depth=1
	v_sub_f32_e32 v10, v10, v6
	v_mul_f32_e32 v11, 0x3fb8aa3b, v10
	v_cmp_ngt_f32_e32 vcc_lo, 0xc2ce8ed0, v10
	v_fma_f32 v34, 0x3fb8aa3b, v10, -v11
	v_rndne_f32_e32 v35, v11
	v_fmac_f32_e32 v34, 0x32a5705f, v10
	v_sub_f32_e32 v11, v11, v35
	v_add_f32_e32 v11, v11, v34
	v_cvt_i32_f32_e32 v34, v35
	v_exp_f32_e32 v11, v11
	v_ldexp_f32 v11, v11, v34
	v_cndmask_b32_e32 v11, 0, v11, vcc_lo
	v_cmp_nlt_f32_e32 vcc_lo, 0x42b17218, v10
	v_cndmask_b32_e32 v34, 0x7f800000, v11, vcc_lo
	v_add_f32_e32 v35, 1.0, v34
	v_cvt_f64_f32_e32 v[10:11], v35
	v_frexp_exp_i32_f64_e32 v10, v[10:11]
	v_frexp_mant_f32_e32 v11, v35
	v_cmp_gt_f32_e32 vcc_lo, 0x3f2aaaab, v11
	v_add_f32_e32 v11, -1.0, v35
	v_sub_f32_e32 v37, v11, v35
	v_sub_f32_e32 v11, v34, v11
	v_add_f32_e32 v37, 1.0, v37
	v_add_f32_e32 v11, v11, v37
	v_subrev_co_ci_u32_e64 v10, null, 0, v10, vcc_lo
	v_cmp_neq_f32_e32 vcc_lo, 0x7f800000, v34
	v_sub_nc_u32_e32 v36, 0, v10
	v_cvt_f32_i32_e32 v10, v10
	v_ldexp_f32 v35, v35, v36
	v_ldexp_f32 v11, v11, v36
	v_add_f32_e32 v38, 1.0, v35
	v_add_f32_e32 v36, -1.0, v35
	v_add_f32_e32 v37, -1.0, v38
	v_add_f32_e32 v39, 1.0, v36
	v_sub_f32_e32 v37, v35, v37
	v_sub_f32_e32 v35, v35, v39
	v_add_f32_e32 v37, v11, v37
	v_add_f32_e32 v11, v11, v35
	;; [unrolled: 1-line block ×4, first 2 shown]
	v_rcp_f32_e32 v35, v39
	v_sub_f32_e32 v38, v38, v39
	v_sub_f32_e32 v36, v36, v40
	v_add_f32_e32 v37, v37, v38
	v_add_f32_e32 v11, v11, v36
	v_mul_f32_e32 v41, v40, v35
	v_mul_f32_e32 v42, v39, v41
	v_fma_f32 v38, v41, v39, -v42
	v_fmac_f32_e32 v38, v41, v37
	v_add_f32_e32 v43, v42, v38
	v_sub_f32_e32 v44, v40, v43
	v_sub_f32_e32 v36, v43, v42
	;; [unrolled: 1-line block ×5, first 2 shown]
	v_add_f32_e32 v11, v11, v40
	v_add_f32_e32 v11, v36, v11
	;; [unrolled: 1-line block ×3, first 2 shown]
	v_mul_f32_e32 v38, v35, v36
	v_sub_f32_e32 v43, v44, v36
	v_mul_f32_e32 v40, v39, v38
	v_add_f32_e32 v11, v11, v43
	v_fma_f32 v39, v38, v39, -v40
	v_fmac_f32_e32 v39, v38, v37
	v_add_f32_e32 v37, v40, v39
	v_sub_f32_e32 v42, v36, v37
	v_sub_f32_e32 v40, v37, v40
	v_sub_f32_e32 v36, v36, v42
	v_sub_f32_e32 v36, v36, v37
	v_sub_f32_e32 v37, v40, v39
	v_add_f32_e32 v11, v11, v36
	v_add_f32_e32 v36, v41, v38
	;; [unrolled: 1-line block ×3, first 2 shown]
	v_sub_f32_e32 v37, v36, v41
	v_add_f32_e32 v11, v42, v11
	v_sub_f32_e32 v37, v38, v37
	v_mul_f32_e32 v11, v35, v11
	v_add_f32_e32 v11, v37, v11
	v_add_f32_e32 v35, v36, v11
	v_mul_f32_e32 v37, v35, v35
	v_fmaak_f32 v38, s26, v37, 0x3ecc95a3
	v_mul_f32_e32 v39, v35, v37
	v_fmaak_f32 v37, v37, v38, 0x3f2aaada
	v_ldexp_f32 v38, v35, 1
	v_sub_f32_e32 v35, v35, v36
	v_mul_f32_e32 v37, v39, v37
	v_mul_f32_e32 v39, 0x3f317218, v10
	v_sub_f32_e32 v11, v11, v35
	v_add_f32_e32 v36, v38, v37
	v_ldexp_f32 v11, v11, 1
	v_sub_f32_e32 v35, v36, v38
	v_fma_f32 v38, 0x3f317218, v10, -v39
	v_sub_f32_e32 v35, v37, v35
	v_fmac_f32_e32 v38, 0xb102e308, v10
	v_add_f32_e32 v10, v11, v35
	v_add_f32_e32 v11, v39, v38
	;; [unrolled: 1-line block ×3, first 2 shown]
	v_sub_f32_e32 v39, v11, v39
	v_add_f32_e32 v37, v11, v35
	v_sub_f32_e32 v36, v35, v36
	v_sub_f32_e32 v38, v38, v39
	;; [unrolled: 1-line block ×6, first 2 shown]
	v_add_f32_e32 v36, v38, v10
	v_sub_f32_e32 v11, v11, v41
	v_add_f32_e32 v11, v35, v11
	v_sub_f32_e32 v35, v36, v38
	;; [unrolled: 2-line block ×3, first 2 shown]
	v_sub_f32_e32 v10, v10, v35
	v_add_f32_e32 v39, v37, v11
	v_sub_f32_e32 v36, v38, v36
	v_sub_f32_e32 v35, v39, v37
	v_add_f32_e32 v10, v10, v36
	v_sub_f32_e32 v11, v11, v35
	v_add_f32_e32 v10, v10, v11
	v_add_f32_e32 v10, v39, v10
	v_cndmask_b32_e32 v10, 0x7f800000, v10, vcc_lo
	v_cmp_gt_f32_e64 vcc_lo, 0x33800000, |v34|
	v_cndmask_b32_e32 v10, v10, v34, vcc_lo
	v_add_f32_e32 v11, v6, v10
	s_branch .LBB161_85
.LBB161_114:
                                        ; implicit-def: $vgpr3_vgpr4_vgpr5_vgpr6_vgpr7
	s_cbranch_execnz .LBB161_136
	s_branch .LBB161_191
.LBB161_115:
	s_and_saveexec_b32 s26, s8
	s_cbranch_execz .LBB161_119
; %bb.116:
	v_max_f32_e32 v4, v3, v3
	v_max_f32_e32 v5, v30, v30
	v_cmp_u_f32_e32 vcc_lo, v30, v30
	s_waitcnt lgkmcnt(0)
	v_min_f32_e32 v6, v5, v4
	v_max_f32_e32 v4, v5, v4
	v_cndmask_b32_e32 v5, v6, v30, vcc_lo
	v_cndmask_b32_e32 v4, v4, v30, vcc_lo
	v_cmp_u_f32_e32 vcc_lo, v3, v3
	v_cndmask_b32_e32 v5, v5, v3, vcc_lo
	v_cndmask_b32_e32 v4, v4, v3, vcc_lo
	v_mov_b32_e32 v3, v30
	v_cmp_class_f32_e64 s8, v5, 0x1f8
	v_cmp_neq_f32_e32 vcc_lo, v5, v4
	s_or_b32 s27, vcc_lo, s8
	s_and_saveexec_b32 s8, s27
	s_cbranch_execz .LBB161_118
; %bb.117:
	v_sub_f32_e32 v3, v5, v4
	s_mov_b32 s27, 0x3e9b6dac
	v_mul_f32_e32 v5, 0x3fb8aa3b, v3
	v_cmp_ngt_f32_e32 vcc_lo, 0xc2ce8ed0, v3
	v_fma_f32 v6, 0x3fb8aa3b, v3, -v5
	v_rndne_f32_e32 v7, v5
	v_fmamk_f32 v6, v3, 0x32a5705f, v6
	v_sub_f32_e32 v5, v5, v7
	v_add_f32_e32 v5, v5, v6
	v_cvt_i32_f32_e32 v6, v7
	v_exp_f32_e32 v5, v5
	v_ldexp_f32 v5, v5, v6
	v_cndmask_b32_e32 v5, 0, v5, vcc_lo
	v_cmp_nlt_f32_e32 vcc_lo, 0x42b17218, v3
	v_cndmask_b32_e32 v3, 0x7f800000, v5, vcc_lo
	v_add_f32_e32 v7, 1.0, v3
	v_cvt_f64_f32_e32 v[5:6], v7
	v_frexp_exp_i32_f64_e32 v5, v[5:6]
	v_frexp_mant_f32_e32 v6, v7
	v_cmp_gt_f32_e32 vcc_lo, 0x3f2aaaab, v6
	v_add_f32_e32 v6, -1.0, v7
	v_sub_f32_e32 v11, v6, v7
	v_sub_f32_e32 v6, v3, v6
	v_add_f32_e32 v11, 1.0, v11
	v_add_f32_e32 v6, v6, v11
	v_subrev_co_ci_u32_e64 v5, null, 0, v5, vcc_lo
	v_cmp_neq_f32_e32 vcc_lo, 0x7f800000, v3
	v_sub_nc_u32_e32 v10, 0, v5
	v_cvt_f32_i32_e32 v5, v5
	v_ldexp_f32 v7, v7, v10
	v_ldexp_f32 v6, v6, v10
	v_add_f32_e32 v12, 1.0, v7
	v_add_f32_e32 v10, -1.0, v7
	v_add_f32_e32 v11, -1.0, v12
	v_add_f32_e32 v13, 1.0, v10
	v_sub_f32_e32 v11, v7, v11
	v_sub_f32_e32 v7, v7, v13
	v_add_f32_e32 v11, v6, v11
	v_add_f32_e32 v6, v6, v7
	;; [unrolled: 1-line block ×4, first 2 shown]
	v_rcp_f32_e32 v7, v13
	v_sub_f32_e32 v12, v12, v13
	v_sub_f32_e32 v10, v10, v23
	v_add_f32_e32 v11, v11, v12
	v_add_f32_e32 v6, v6, v10
	v_mul_f32_e32 v24, v23, v7
	v_mul_f32_e32 v25, v13, v24
	v_fma_f32 v12, v24, v13, -v25
	v_fmac_f32_e32 v12, v24, v11
	v_add_f32_e32 v26, v25, v12
	v_sub_f32_e32 v27, v23, v26
	v_sub_f32_e32 v10, v26, v25
	;; [unrolled: 1-line block ×5, first 2 shown]
	v_add_f32_e32 v6, v6, v23
	v_add_f32_e32 v6, v10, v6
	;; [unrolled: 1-line block ×3, first 2 shown]
	v_mul_f32_e32 v12, v7, v10
	v_sub_f32_e32 v26, v27, v10
	v_mul_f32_e32 v23, v13, v12
	v_add_f32_e32 v6, v6, v26
	v_fma_f32 v13, v12, v13, -v23
	v_fmac_f32_e32 v13, v12, v11
	v_add_f32_e32 v11, v23, v13
	v_sub_f32_e32 v25, v10, v11
	v_sub_f32_e32 v23, v11, v23
	;; [unrolled: 1-line block ×5, first 2 shown]
	v_add_f32_e32 v6, v6, v10
	v_add_f32_e32 v10, v24, v12
	;; [unrolled: 1-line block ×3, first 2 shown]
	v_sub_f32_e32 v11, v10, v24
	v_add_f32_e32 v6, v25, v6
	v_sub_f32_e32 v11, v12, v11
	v_mul_f32_e32 v6, v7, v6
	v_add_f32_e32 v6, v11, v6
	v_add_f32_e32 v7, v10, v6
	v_mul_f32_e32 v11, v7, v7
	v_fmaak_f32 v12, s27, v11, 0x3ecc95a3
	v_mul_f32_e32 v13, v7, v11
	v_fmaak_f32 v11, v11, v12, 0x3f2aaada
	v_ldexp_f32 v12, v7, 1
	v_sub_f32_e32 v7, v7, v10
	v_mul_f32_e32 v11, v13, v11
	v_mul_f32_e32 v13, 0x3f317218, v5
	v_sub_f32_e32 v6, v6, v7
	v_add_f32_e32 v10, v12, v11
	v_ldexp_f32 v6, v6, 1
	v_sub_f32_e32 v7, v10, v12
	v_fma_f32 v12, 0x3f317218, v5, -v13
	v_sub_f32_e32 v7, v11, v7
	v_fmamk_f32 v5, v5, 0xb102e308, v12
	v_add_f32_e32 v6, v6, v7
	v_add_f32_e32 v7, v13, v5
	;; [unrolled: 1-line block ×3, first 2 shown]
	v_sub_f32_e32 v13, v7, v13
	v_add_f32_e32 v12, v7, v11
	v_sub_f32_e32 v10, v11, v10
	v_sub_f32_e32 v5, v5, v13
	;; [unrolled: 1-line block ×6, first 2 shown]
	v_add_f32_e32 v11, v5, v6
	v_sub_f32_e32 v7, v7, v24
	v_add_f32_e32 v7, v10, v7
	v_sub_f32_e32 v10, v11, v5
	;; [unrolled: 2-line block ×3, first 2 shown]
	v_sub_f32_e32 v6, v6, v10
	v_add_f32_e32 v13, v12, v7
	v_sub_f32_e32 v5, v5, v11
	v_sub_f32_e32 v10, v13, v12
	v_add_f32_e32 v5, v6, v5
	v_sub_f32_e32 v6, v7, v10
	v_add_f32_e32 v5, v5, v6
	v_add_f32_e32 v5, v13, v5
	v_cndmask_b32_e32 v5, 0x7f800000, v5, vcc_lo
	v_cmp_gt_f32_e64 vcc_lo, 0x33800000, |v3|
	v_cndmask_b32_e32 v3, v5, v3, vcc_lo
	v_add_f32_e32 v3, v4, v3
.LBB161_118:
	s_or_b32 exec_lo, exec_lo, s8
	s_add_i32 s30, s30, 32
	s_mov_b32 s31, 0
	v_mov_b32_e32 v5, 0
	s_lshl_b64 s[30:31], s[30:31], 3
	v_mov_b32_e32 v4, 2
	s_add_u32 s30, s10, s30
	s_addc_u32 s31, s11, s31
	global_store_dwordx2 v5, v[3:4], s[30:31]
.LBB161_119:
	s_or_b32 exec_lo, exec_lo, s26
	s_and_b32 exec_lo, exec_lo, s2
; %bb.120:
	v_mov_b32_e32 v3, 0
	ds_write_b32 v3, v30
.LBB161_121:
	s_or_b32 exec_lo, exec_lo, s9
	v_mov_b32_e32 v3, 0
	s_waitcnt lgkmcnt(0)
	s_waitcnt_vscnt null, 0x0
	s_barrier
	buffer_gl0_inv
	v_mov_b32_e32 v4, v1
	ds_read_b32 v3, v3
	s_and_saveexec_b32 s8, s1
	s_cbranch_execz .LBB161_125
; %bb.122:
	v_max_f32_e32 v4, v22, v22
	v_cmp_u_f32_e32 vcc_lo, v22, v22
	v_min_f32_e32 v5, v4, v21
	v_max_f32_e32 v4, v4, v21
	v_cndmask_b32_e32 v5, v5, v22, vcc_lo
	v_cndmask_b32_e32 v4, v4, v22, vcc_lo
	v_cndmask_b32_e64 v5, v5, v1, s7
	v_cndmask_b32_e64 v4, v4, v1, s7
	v_cmp_class_f32_e64 s7, v5, 0x1f8
	v_cmp_neq_f32_e32 vcc_lo, v5, v4
	s_or_b32 s9, vcc_lo, s7
	s_and_saveexec_b32 s7, s9
	s_cbranch_execz .LBB161_124
; %bb.123:
	v_sub_f32_e32 v5, v5, v4
	s_mov_b32 s9, 0x3e9b6dac
	v_mul_f32_e32 v6, 0x3fb8aa3b, v5
	v_cmp_ngt_f32_e32 vcc_lo, 0xc2ce8ed0, v5
	v_fma_f32 v7, 0x3fb8aa3b, v5, -v6
	v_rndne_f32_e32 v10, v6
	v_fmamk_f32 v7, v5, 0x32a5705f, v7
	v_sub_f32_e32 v6, v6, v10
	v_add_f32_e32 v6, v6, v7
	v_cvt_i32_f32_e32 v7, v10
	v_exp_f32_e32 v6, v6
	v_ldexp_f32 v6, v6, v7
	v_cndmask_b32_e32 v6, 0, v6, vcc_lo
	v_cmp_nlt_f32_e32 vcc_lo, 0x42b17218, v5
	v_cndmask_b32_e32 v7, 0x7f800000, v6, vcc_lo
	v_add_f32_e32 v10, 1.0, v7
	v_cvt_f64_f32_e32 v[5:6], v10
	v_frexp_exp_i32_f64_e32 v5, v[5:6]
	v_frexp_mant_f32_e32 v6, v10
	v_cmp_gt_f32_e32 vcc_lo, 0x3f2aaaab, v6
	v_add_f32_e32 v6, -1.0, v10
	v_sub_f32_e32 v12, v6, v10
	v_sub_f32_e32 v6, v7, v6
	v_add_f32_e32 v12, 1.0, v12
	v_add_f32_e32 v6, v6, v12
	v_subrev_co_ci_u32_e64 v5, null, 0, v5, vcc_lo
	v_cmp_neq_f32_e32 vcc_lo, 0x7f800000, v7
	v_sub_nc_u32_e32 v11, 0, v5
	v_cvt_f32_i32_e32 v5, v5
	v_ldexp_f32 v10, v10, v11
	v_ldexp_f32 v6, v6, v11
	v_add_f32_e32 v13, 1.0, v10
	v_add_f32_e32 v11, -1.0, v10
	v_add_f32_e32 v12, -1.0, v13
	v_add_f32_e32 v21, 1.0, v11
	v_sub_f32_e32 v12, v10, v12
	v_sub_f32_e32 v10, v10, v21
	v_add_f32_e32 v12, v6, v12
	v_add_f32_e32 v6, v6, v10
	;; [unrolled: 1-line block ×4, first 2 shown]
	v_rcp_f32_e32 v10, v21
	v_sub_f32_e32 v13, v13, v21
	v_sub_f32_e32 v11, v11, v22
	v_add_f32_e32 v12, v12, v13
	v_add_f32_e32 v6, v6, v11
	v_mul_f32_e32 v23, v22, v10
	v_mul_f32_e32 v24, v21, v23
	v_fma_f32 v13, v23, v21, -v24
	v_fmac_f32_e32 v13, v23, v12
	v_add_f32_e32 v25, v24, v13
	v_sub_f32_e32 v26, v22, v25
	v_sub_f32_e32 v11, v25, v24
	;; [unrolled: 1-line block ×5, first 2 shown]
	v_add_f32_e32 v6, v6, v22
	v_add_f32_e32 v6, v11, v6
	v_add_f32_e32 v11, v26, v6
	v_mul_f32_e32 v13, v10, v11
	v_sub_f32_e32 v25, v26, v11
	v_mul_f32_e32 v22, v21, v13
	v_add_f32_e32 v6, v6, v25
	v_fma_f32 v21, v13, v21, -v22
	v_fmac_f32_e32 v21, v13, v12
	v_add_f32_e32 v12, v22, v21
	v_sub_f32_e32 v24, v11, v12
	v_sub_f32_e32 v22, v12, v22
	;; [unrolled: 1-line block ×5, first 2 shown]
	v_add_f32_e32 v6, v6, v11
	v_add_f32_e32 v11, v23, v13
	;; [unrolled: 1-line block ×3, first 2 shown]
	v_sub_f32_e32 v12, v11, v23
	v_add_f32_e32 v6, v24, v6
	v_sub_f32_e32 v12, v13, v12
	v_mul_f32_e32 v6, v10, v6
	v_add_f32_e32 v6, v12, v6
	v_add_f32_e32 v10, v11, v6
	v_mul_f32_e32 v12, v10, v10
	v_fmaak_f32 v13, s9, v12, 0x3ecc95a3
	v_mul_f32_e32 v21, v10, v12
	v_fmaak_f32 v12, v12, v13, 0x3f2aaada
	v_ldexp_f32 v13, v10, 1
	v_sub_f32_e32 v10, v10, v11
	v_mul_f32_e32 v12, v21, v12
	v_mul_f32_e32 v21, 0x3f317218, v5
	v_sub_f32_e32 v6, v6, v10
	v_add_f32_e32 v11, v13, v12
	v_ldexp_f32 v6, v6, 1
	v_sub_f32_e32 v10, v11, v13
	v_fma_f32 v13, 0x3f317218, v5, -v21
	v_sub_f32_e32 v10, v12, v10
	v_fmamk_f32 v5, v5, 0xb102e308, v13
	v_add_f32_e32 v6, v6, v10
	v_add_f32_e32 v10, v21, v5
	;; [unrolled: 1-line block ×3, first 2 shown]
	v_sub_f32_e32 v21, v10, v21
	v_add_f32_e32 v13, v10, v12
	v_sub_f32_e32 v11, v12, v11
	v_sub_f32_e32 v5, v5, v21
	;; [unrolled: 1-line block ×6, first 2 shown]
	v_add_f32_e32 v12, v5, v6
	v_sub_f32_e32 v10, v10, v23
	v_add_f32_e32 v10, v11, v10
	v_sub_f32_e32 v11, v12, v5
	;; [unrolled: 2-line block ×3, first 2 shown]
	v_sub_f32_e32 v6, v6, v11
	v_add_f32_e32 v21, v13, v10
	v_sub_f32_e32 v5, v5, v12
	v_sub_f32_e32 v11, v21, v13
	v_add_f32_e32 v5, v6, v5
	v_sub_f32_e32 v6, v10, v11
	v_add_f32_e32 v5, v5, v6
	v_add_f32_e32 v5, v21, v5
	v_cndmask_b32_e32 v5, 0x7f800000, v5, vcc_lo
	v_cmp_gt_f32_e64 vcc_lo, 0x33800000, |v7|
	v_cndmask_b32_e32 v5, v5, v7, vcc_lo
	v_add_f32_e32 v22, v4, v5
.LBB161_124:
	s_or_b32 exec_lo, exec_lo, s7
	v_mov_b32_e32 v4, v22
.LBB161_125:
	s_or_b32 exec_lo, exec_lo, s8
	v_max_f32_e32 v5, v4, v4
	s_waitcnt lgkmcnt(0)
	v_max_f32_e32 v6, v3, v3
	v_cmp_u_f32_e32 vcc_lo, v3, v3
	v_min_f32_e32 v7, v6, v5
	v_max_f32_e32 v5, v6, v5
	v_cndmask_b32_e32 v6, v7, v3, vcc_lo
	v_cndmask_b32_e32 v7, v5, v3, vcc_lo
	v_cmp_u_f32_e32 vcc_lo, v4, v4
	v_cndmask_b32_e32 v5, v6, v4, vcc_lo
	v_cndmask_b32_e32 v4, v7, v4, vcc_lo
	v_cmp_class_f32_e64 s7, v5, 0x1f8
	v_cmp_neq_f32_e32 vcc_lo, v5, v4
	s_or_b32 s8, vcc_lo, s7
	s_and_saveexec_b32 s7, s8
	s_cbranch_execz .LBB161_127
; %bb.126:
	v_sub_f32_e32 v3, v5, v4
	s_mov_b32 s8, 0x3e9b6dac
	v_mul_f32_e32 v5, 0x3fb8aa3b, v3
	v_cmp_ngt_f32_e32 vcc_lo, 0xc2ce8ed0, v3
	v_fma_f32 v6, 0x3fb8aa3b, v3, -v5
	v_rndne_f32_e32 v7, v5
	v_fmamk_f32 v6, v3, 0x32a5705f, v6
	v_sub_f32_e32 v5, v5, v7
	v_add_f32_e32 v5, v5, v6
	v_cvt_i32_f32_e32 v6, v7
	v_exp_f32_e32 v5, v5
	v_ldexp_f32 v5, v5, v6
	v_cndmask_b32_e32 v5, 0, v5, vcc_lo
	v_cmp_nlt_f32_e32 vcc_lo, 0x42b17218, v3
	v_cndmask_b32_e32 v3, 0x7f800000, v5, vcc_lo
	v_add_f32_e32 v7, 1.0, v3
	v_cvt_f64_f32_e32 v[5:6], v7
	v_frexp_exp_i32_f64_e32 v5, v[5:6]
	v_frexp_mant_f32_e32 v6, v7
	v_cmp_gt_f32_e32 vcc_lo, 0x3f2aaaab, v6
	v_add_f32_e32 v6, -1.0, v7
	v_sub_f32_e32 v11, v6, v7
	v_sub_f32_e32 v6, v3, v6
	v_add_f32_e32 v11, 1.0, v11
	v_add_f32_e32 v6, v6, v11
	v_subrev_co_ci_u32_e64 v5, null, 0, v5, vcc_lo
	v_cmp_neq_f32_e32 vcc_lo, 0x7f800000, v3
	v_sub_nc_u32_e32 v10, 0, v5
	v_cvt_f32_i32_e32 v5, v5
	v_ldexp_f32 v7, v7, v10
	v_ldexp_f32 v6, v6, v10
	v_add_f32_e32 v12, 1.0, v7
	v_add_f32_e32 v10, -1.0, v7
	v_add_f32_e32 v11, -1.0, v12
	v_add_f32_e32 v13, 1.0, v10
	v_sub_f32_e32 v11, v7, v11
	v_sub_f32_e32 v7, v7, v13
	v_add_f32_e32 v11, v6, v11
	v_add_f32_e32 v6, v6, v7
	;; [unrolled: 1-line block ×4, first 2 shown]
	v_rcp_f32_e32 v7, v13
	v_sub_f32_e32 v12, v12, v13
	v_sub_f32_e32 v10, v10, v21
	v_add_f32_e32 v11, v11, v12
	v_add_f32_e32 v6, v6, v10
	v_mul_f32_e32 v22, v21, v7
	v_mul_f32_e32 v23, v13, v22
	v_fma_f32 v12, v22, v13, -v23
	v_fmac_f32_e32 v12, v22, v11
	v_add_f32_e32 v24, v23, v12
	v_sub_f32_e32 v25, v21, v24
	v_sub_f32_e32 v10, v24, v23
	;; [unrolled: 1-line block ×5, first 2 shown]
	v_add_f32_e32 v6, v6, v21
	v_add_f32_e32 v6, v10, v6
	;; [unrolled: 1-line block ×3, first 2 shown]
	v_mul_f32_e32 v12, v7, v10
	v_sub_f32_e32 v24, v25, v10
	v_mul_f32_e32 v21, v13, v12
	v_add_f32_e32 v6, v6, v24
	v_fma_f32 v13, v12, v13, -v21
	v_fmac_f32_e32 v13, v12, v11
	v_add_f32_e32 v11, v21, v13
	v_sub_f32_e32 v23, v10, v11
	v_sub_f32_e32 v21, v11, v21
	;; [unrolled: 1-line block ×5, first 2 shown]
	v_add_f32_e32 v6, v6, v10
	v_add_f32_e32 v10, v22, v12
	;; [unrolled: 1-line block ×3, first 2 shown]
	v_sub_f32_e32 v11, v10, v22
	v_add_f32_e32 v6, v23, v6
	v_sub_f32_e32 v11, v12, v11
	v_mul_f32_e32 v6, v7, v6
	v_add_f32_e32 v6, v11, v6
	v_add_f32_e32 v7, v10, v6
	v_mul_f32_e32 v11, v7, v7
	v_fmaak_f32 v12, s8, v11, 0x3ecc95a3
	v_mul_f32_e32 v13, v7, v11
	v_fmaak_f32 v11, v11, v12, 0x3f2aaada
	v_ldexp_f32 v12, v7, 1
	v_sub_f32_e32 v7, v7, v10
	v_mul_f32_e32 v11, v13, v11
	v_mul_f32_e32 v13, 0x3f317218, v5
	v_sub_f32_e32 v6, v6, v7
	v_add_f32_e32 v10, v12, v11
	v_ldexp_f32 v6, v6, 1
	v_sub_f32_e32 v7, v10, v12
	v_fma_f32 v12, 0x3f317218, v5, -v13
	v_sub_f32_e32 v7, v11, v7
	v_fmamk_f32 v5, v5, 0xb102e308, v12
	v_add_f32_e32 v6, v6, v7
	v_add_f32_e32 v7, v13, v5
	;; [unrolled: 1-line block ×3, first 2 shown]
	v_sub_f32_e32 v13, v7, v13
	v_add_f32_e32 v12, v7, v11
	v_sub_f32_e32 v10, v11, v10
	v_sub_f32_e32 v5, v5, v13
	v_sub_f32_e32 v21, v12, v7
	v_sub_f32_e32 v6, v6, v10
	v_sub_f32_e32 v22, v12, v21
	v_sub_f32_e32 v10, v11, v21
	v_add_f32_e32 v11, v5, v6
	v_sub_f32_e32 v7, v7, v22
	v_add_f32_e32 v7, v10, v7
	v_sub_f32_e32 v10, v11, v5
	v_add_f32_e32 v7, v11, v7
	v_sub_f32_e32 v11, v11, v10
	v_sub_f32_e32 v6, v6, v10
	v_add_f32_e32 v13, v12, v7
	v_sub_f32_e32 v5, v5, v11
	v_sub_f32_e32 v10, v13, v12
	v_add_f32_e32 v5, v6, v5
	v_sub_f32_e32 v6, v7, v10
	v_add_f32_e32 v5, v5, v6
	v_add_f32_e32 v5, v13, v5
	v_cndmask_b32_e32 v5, 0x7f800000, v5, vcc_lo
	v_cmp_gt_f32_e64 vcc_lo, 0x33800000, |v3|
	v_cndmask_b32_e32 v3, v5, v3, vcc_lo
	v_add_f32_e32 v3, v4, v3
.LBB161_127:
	s_or_b32 exec_lo, exec_lo, s7
	v_max_f32_e32 v4, v3, v3
	v_cmp_u_f32_e32 vcc_lo, v3, v3
	v_min_f32_e32 v5, v4, v17
	v_max_f32_e32 v4, v4, v17
	v_cndmask_b32_e32 v5, v5, v3, vcc_lo
	v_cndmask_b32_e32 v4, v4, v3, vcc_lo
	v_cndmask_b32_e64 v6, v5, v2, s3
	v_cndmask_b32_e64 v5, v4, v2, s3
	v_mov_b32_e32 v4, v3
	v_cmp_class_f32_e64 s3, v6, 0x1f8
	v_cmp_neq_f32_e32 vcc_lo, v6, v5
	s_or_b32 s7, vcc_lo, s3
	s_and_saveexec_b32 s3, s7
	s_cbranch_execz .LBB161_129
; %bb.128:
	v_sub_f32_e32 v4, v6, v5
	s_mov_b32 s7, 0x3e9b6dac
	v_mul_f32_e32 v6, 0x3fb8aa3b, v4
	v_cmp_ngt_f32_e32 vcc_lo, 0xc2ce8ed0, v4
	v_fma_f32 v7, 0x3fb8aa3b, v4, -v6
	v_rndne_f32_e32 v10, v6
	v_fmamk_f32 v7, v4, 0x32a5705f, v7
	v_sub_f32_e32 v6, v6, v10
	v_add_f32_e32 v6, v6, v7
	v_cvt_i32_f32_e32 v7, v10
	v_exp_f32_e32 v6, v6
	v_ldexp_f32 v6, v6, v7
	v_cndmask_b32_e32 v6, 0, v6, vcc_lo
	v_cmp_nlt_f32_e32 vcc_lo, 0x42b17218, v4
	v_cndmask_b32_e32 v4, 0x7f800000, v6, vcc_lo
	v_add_f32_e32 v10, 1.0, v4
	v_cvt_f64_f32_e32 v[6:7], v10
	v_frexp_exp_i32_f64_e32 v6, v[6:7]
	v_frexp_mant_f32_e32 v7, v10
	v_cmp_gt_f32_e32 vcc_lo, 0x3f2aaaab, v7
	v_add_f32_e32 v7, -1.0, v10
	v_sub_f32_e32 v12, v7, v10
	v_sub_f32_e32 v7, v4, v7
	v_add_f32_e32 v12, 1.0, v12
	v_add_f32_e32 v7, v7, v12
	v_subrev_co_ci_u32_e64 v6, null, 0, v6, vcc_lo
	v_cmp_neq_f32_e32 vcc_lo, 0x7f800000, v4
	v_sub_nc_u32_e32 v11, 0, v6
	v_cvt_f32_i32_e32 v6, v6
	v_ldexp_f32 v10, v10, v11
	v_ldexp_f32 v7, v7, v11
	v_add_f32_e32 v13, 1.0, v10
	v_add_f32_e32 v11, -1.0, v10
	v_add_f32_e32 v12, -1.0, v13
	v_add_f32_e32 v21, 1.0, v11
	v_sub_f32_e32 v12, v10, v12
	v_sub_f32_e32 v10, v10, v21
	v_add_f32_e32 v12, v7, v12
	v_add_f32_e32 v7, v7, v10
	;; [unrolled: 1-line block ×4, first 2 shown]
	v_rcp_f32_e32 v10, v21
	v_sub_f32_e32 v13, v13, v21
	v_sub_f32_e32 v11, v11, v22
	v_add_f32_e32 v12, v12, v13
	v_add_f32_e32 v7, v7, v11
	v_mul_f32_e32 v23, v22, v10
	v_mul_f32_e32 v24, v21, v23
	v_fma_f32 v13, v23, v21, -v24
	v_fmac_f32_e32 v13, v23, v12
	v_add_f32_e32 v25, v24, v13
	v_sub_f32_e32 v26, v22, v25
	v_sub_f32_e32 v11, v25, v24
	;; [unrolled: 1-line block ×5, first 2 shown]
	v_add_f32_e32 v7, v7, v22
	v_add_f32_e32 v7, v11, v7
	;; [unrolled: 1-line block ×3, first 2 shown]
	v_mul_f32_e32 v13, v10, v11
	v_sub_f32_e32 v25, v26, v11
	v_mul_f32_e32 v22, v21, v13
	v_add_f32_e32 v7, v7, v25
	v_fma_f32 v21, v13, v21, -v22
	v_fmac_f32_e32 v21, v13, v12
	v_add_f32_e32 v12, v22, v21
	v_sub_f32_e32 v24, v11, v12
	v_sub_f32_e32 v22, v12, v22
	v_sub_f32_e32 v11, v11, v24
	v_sub_f32_e32 v11, v11, v12
	v_sub_f32_e32 v12, v22, v21
	v_add_f32_e32 v7, v7, v11
	v_add_f32_e32 v11, v23, v13
	;; [unrolled: 1-line block ×3, first 2 shown]
	v_sub_f32_e32 v12, v11, v23
	v_add_f32_e32 v7, v24, v7
	v_sub_f32_e32 v12, v13, v12
	v_mul_f32_e32 v7, v10, v7
	v_add_f32_e32 v7, v12, v7
	v_add_f32_e32 v10, v11, v7
	v_mul_f32_e32 v12, v10, v10
	v_fmaak_f32 v13, s7, v12, 0x3ecc95a3
	v_mul_f32_e32 v21, v10, v12
	v_fmaak_f32 v12, v12, v13, 0x3f2aaada
	v_ldexp_f32 v13, v10, 1
	v_sub_f32_e32 v10, v10, v11
	v_mul_f32_e32 v12, v21, v12
	v_mul_f32_e32 v21, 0x3f317218, v6
	v_sub_f32_e32 v7, v7, v10
	v_add_f32_e32 v11, v13, v12
	v_ldexp_f32 v7, v7, 1
	v_sub_f32_e32 v10, v11, v13
	v_fma_f32 v13, 0x3f317218, v6, -v21
	v_sub_f32_e32 v10, v12, v10
	v_fmamk_f32 v6, v6, 0xb102e308, v13
	v_add_f32_e32 v7, v7, v10
	v_add_f32_e32 v10, v21, v6
	v_add_f32_e32 v12, v11, v7
	v_sub_f32_e32 v21, v10, v21
	v_add_f32_e32 v13, v10, v12
	v_sub_f32_e32 v11, v12, v11
	v_sub_f32_e32 v6, v6, v21
	;; [unrolled: 1-line block ×6, first 2 shown]
	v_add_f32_e32 v12, v6, v7
	v_sub_f32_e32 v10, v10, v23
	v_add_f32_e32 v10, v11, v10
	v_sub_f32_e32 v11, v12, v6
	;; [unrolled: 2-line block ×3, first 2 shown]
	v_sub_f32_e32 v7, v7, v11
	v_add_f32_e32 v21, v13, v10
	v_sub_f32_e32 v6, v6, v12
	v_sub_f32_e32 v11, v21, v13
	v_add_f32_e32 v6, v7, v6
	v_sub_f32_e32 v7, v10, v11
	v_add_f32_e32 v6, v6, v7
	v_add_f32_e32 v6, v21, v6
	v_cndmask_b32_e32 v6, 0x7f800000, v6, vcc_lo
	v_cmp_gt_f32_e64 vcc_lo, 0x33800000, |v4|
	v_cndmask_b32_e32 v4, v6, v4, vcc_lo
	v_add_f32_e32 v4, v5, v4
.LBB161_129:
	s_or_b32 exec_lo, exec_lo, s3
	v_max_f32_e32 v5, v4, v4
	v_cmp_u_f32_e32 vcc_lo, v4, v4
	v_min_f32_e32 v6, v5, v18
	v_max_f32_e32 v5, v5, v18
	v_cndmask_b32_e32 v6, v6, v4, vcc_lo
	v_cndmask_b32_e32 v5, v5, v4, vcc_lo
	v_cndmask_b32_e64 v7, v6, v8, s4
	v_cndmask_b32_e64 v6, v5, v8, s4
	v_mov_b32_e32 v5, v4
	v_cmp_class_f32_e64 s3, v7, 0x1f8
	v_cmp_neq_f32_e32 vcc_lo, v7, v6
	s_or_b32 s4, vcc_lo, s3
	s_and_saveexec_b32 s3, s4
	s_cbranch_execz .LBB161_131
; %bb.130:
	v_sub_f32_e32 v5, v7, v6
	s_mov_b32 s4, 0x3e9b6dac
	v_mul_f32_e32 v7, 0x3fb8aa3b, v5
	v_cmp_ngt_f32_e32 vcc_lo, 0xc2ce8ed0, v5
	v_fma_f32 v10, 0x3fb8aa3b, v5, -v7
	v_rndne_f32_e32 v11, v7
	v_fmamk_f32 v10, v5, 0x32a5705f, v10
	v_sub_f32_e32 v7, v7, v11
	v_add_f32_e32 v7, v7, v10
	v_cvt_i32_f32_e32 v10, v11
	v_exp_f32_e32 v7, v7
	v_ldexp_f32 v7, v7, v10
	v_cndmask_b32_e32 v7, 0, v7, vcc_lo
	v_cmp_nlt_f32_e32 vcc_lo, 0x42b17218, v5
	v_cndmask_b32_e32 v5, 0x7f800000, v7, vcc_lo
	v_add_f32_e32 v7, 1.0, v5
	v_cvt_f64_f32_e32 v[10:11], v7
	v_frexp_exp_i32_f64_e32 v10, v[10:11]
	v_frexp_mant_f32_e32 v11, v7
	v_cmp_gt_f32_e32 vcc_lo, 0x3f2aaaab, v11
	v_add_f32_e32 v11, -1.0, v7
	v_sub_f32_e32 v13, v11, v7
	v_sub_f32_e32 v11, v5, v11
	v_add_f32_e32 v13, 1.0, v13
	v_add_f32_e32 v11, v11, v13
	v_subrev_co_ci_u32_e64 v10, null, 0, v10, vcc_lo
	v_cmp_neq_f32_e32 vcc_lo, 0x7f800000, v5
	v_sub_nc_u32_e32 v12, 0, v10
	v_cvt_f32_i32_e32 v10, v10
	v_ldexp_f32 v7, v7, v12
	v_ldexp_f32 v11, v11, v12
	v_add_f32_e32 v18, 1.0, v7
	v_add_f32_e32 v12, -1.0, v7
	v_add_f32_e32 v13, -1.0, v18
	v_add_f32_e32 v21, 1.0, v12
	v_sub_f32_e32 v13, v7, v13
	v_sub_f32_e32 v7, v7, v21
	v_add_f32_e32 v13, v11, v13
	v_add_f32_e32 v7, v11, v7
	;; [unrolled: 1-line block ×4, first 2 shown]
	v_rcp_f32_e32 v11, v21
	v_sub_f32_e32 v18, v18, v21
	v_sub_f32_e32 v12, v12, v22
	v_add_f32_e32 v13, v13, v18
	v_add_f32_e32 v7, v7, v12
	v_mul_f32_e32 v23, v22, v11
	v_mul_f32_e32 v24, v21, v23
	v_fma_f32 v18, v23, v21, -v24
	v_fmac_f32_e32 v18, v23, v13
	v_add_f32_e32 v25, v24, v18
	v_sub_f32_e32 v26, v22, v25
	v_sub_f32_e32 v12, v25, v24
	;; [unrolled: 1-line block ×5, first 2 shown]
	v_add_f32_e32 v7, v7, v22
	v_add_f32_e32 v7, v12, v7
	;; [unrolled: 1-line block ×3, first 2 shown]
	v_mul_f32_e32 v18, v11, v12
	v_sub_f32_e32 v25, v26, v12
	v_mul_f32_e32 v22, v21, v18
	v_add_f32_e32 v7, v7, v25
	v_fma_f32 v21, v18, v21, -v22
	v_fmac_f32_e32 v21, v18, v13
	v_add_f32_e32 v13, v22, v21
	v_sub_f32_e32 v24, v12, v13
	v_sub_f32_e32 v22, v13, v22
	;; [unrolled: 1-line block ×5, first 2 shown]
	v_add_f32_e32 v7, v7, v12
	v_add_f32_e32 v12, v23, v18
	;; [unrolled: 1-line block ×3, first 2 shown]
	v_sub_f32_e32 v13, v12, v23
	v_add_f32_e32 v7, v24, v7
	v_sub_f32_e32 v13, v18, v13
	v_mul_f32_e32 v7, v11, v7
	v_add_f32_e32 v7, v13, v7
	v_add_f32_e32 v11, v12, v7
	v_mul_f32_e32 v13, v11, v11
	v_fmaak_f32 v18, s4, v13, 0x3ecc95a3
	v_mul_f32_e32 v21, v11, v13
	v_fmaak_f32 v13, v13, v18, 0x3f2aaada
	v_ldexp_f32 v18, v11, 1
	v_sub_f32_e32 v11, v11, v12
	v_mul_f32_e32 v13, v21, v13
	v_mul_f32_e32 v21, 0x3f317218, v10
	v_sub_f32_e32 v7, v7, v11
	v_add_f32_e32 v12, v18, v13
	v_ldexp_f32 v7, v7, 1
	v_sub_f32_e32 v11, v12, v18
	v_fma_f32 v18, 0x3f317218, v10, -v21
	v_sub_f32_e32 v11, v13, v11
	v_fmamk_f32 v10, v10, 0xb102e308, v18
	v_add_f32_e32 v7, v7, v11
	v_add_f32_e32 v11, v21, v10
	v_add_f32_e32 v13, v12, v7
	v_sub_f32_e32 v21, v11, v21
	v_add_f32_e32 v18, v11, v13
	v_sub_f32_e32 v12, v13, v12
	v_sub_f32_e32 v10, v10, v21
	;; [unrolled: 1-line block ×6, first 2 shown]
	v_add_f32_e32 v13, v10, v7
	v_sub_f32_e32 v11, v11, v23
	v_add_f32_e32 v11, v12, v11
	v_sub_f32_e32 v12, v13, v10
	;; [unrolled: 2-line block ×3, first 2 shown]
	v_sub_f32_e32 v7, v7, v12
	v_add_f32_e32 v21, v18, v11
	v_sub_f32_e32 v10, v10, v13
	v_sub_f32_e32 v12, v21, v18
	v_add_f32_e32 v7, v7, v10
	v_sub_f32_e32 v10, v11, v12
	v_add_f32_e32 v7, v7, v10
	v_add_f32_e32 v7, v21, v7
	v_cndmask_b32_e32 v7, 0x7f800000, v7, vcc_lo
	v_cmp_gt_f32_e64 vcc_lo, 0x33800000, |v5|
	v_cndmask_b32_e32 v5, v7, v5, vcc_lo
	v_add_f32_e32 v5, v6, v5
.LBB161_131:
	s_or_b32 exec_lo, exec_lo, s3
	v_max_f32_e32 v6, v5, v5
	v_cmp_u_f32_e32 vcc_lo, v5, v5
	v_min_f32_e32 v7, v6, v19
	v_max_f32_e32 v6, v6, v19
	v_cndmask_b32_e32 v7, v7, v5, vcc_lo
	v_cndmask_b32_e32 v6, v6, v5, vcc_lo
	v_cndmask_b32_e64 v10, v7, v9, s5
	v_cndmask_b32_e64 v7, v6, v9, s5
	v_mov_b32_e32 v6, v5
	v_cmp_class_f32_e64 s3, v10, 0x1f8
	v_cmp_neq_f32_e32 vcc_lo, v10, v7
	s_or_b32 s4, vcc_lo, s3
	s_and_saveexec_b32 s3, s4
	s_cbranch_execz .LBB161_133
; %bb.132:
	v_sub_f32_e32 v6, v10, v7
	s_mov_b32 s4, 0x3e9b6dac
	v_mul_f32_e32 v10, 0x3fb8aa3b, v6
	v_cmp_ngt_f32_e32 vcc_lo, 0xc2ce8ed0, v6
	v_fma_f32 v11, 0x3fb8aa3b, v6, -v10
	v_rndne_f32_e32 v12, v10
	v_fmamk_f32 v11, v6, 0x32a5705f, v11
	v_sub_f32_e32 v10, v10, v12
	v_add_f32_e32 v10, v10, v11
	v_cvt_i32_f32_e32 v11, v12
	v_exp_f32_e32 v10, v10
	v_ldexp_f32 v10, v10, v11
	v_cndmask_b32_e32 v10, 0, v10, vcc_lo
	v_cmp_nlt_f32_e32 vcc_lo, 0x42b17218, v6
	v_cndmask_b32_e32 v6, 0x7f800000, v10, vcc_lo
	v_add_f32_e32 v12, 1.0, v6
	v_cvt_f64_f32_e32 v[10:11], v12
	v_frexp_exp_i32_f64_e32 v10, v[10:11]
	v_frexp_mant_f32_e32 v11, v12
	v_cmp_gt_f32_e32 vcc_lo, 0x3f2aaaab, v11
	v_add_f32_e32 v11, -1.0, v12
	v_sub_f32_e32 v18, v11, v12
	v_sub_f32_e32 v11, v6, v11
	v_add_f32_e32 v18, 1.0, v18
	v_add_f32_e32 v11, v11, v18
	v_subrev_co_ci_u32_e64 v10, null, 0, v10, vcc_lo
	v_cmp_neq_f32_e32 vcc_lo, 0x7f800000, v6
	v_sub_nc_u32_e32 v13, 0, v10
	v_cvt_f32_i32_e32 v10, v10
	v_ldexp_f32 v12, v12, v13
	v_ldexp_f32 v11, v11, v13
	v_add_f32_e32 v19, 1.0, v12
	v_add_f32_e32 v13, -1.0, v12
	v_add_f32_e32 v18, -1.0, v19
	v_add_f32_e32 v21, 1.0, v13
	v_sub_f32_e32 v18, v12, v18
	v_sub_f32_e32 v12, v12, v21
	v_add_f32_e32 v18, v11, v18
	v_add_f32_e32 v11, v11, v12
	;; [unrolled: 1-line block ×4, first 2 shown]
	v_rcp_f32_e32 v12, v21
	v_sub_f32_e32 v19, v19, v21
	v_sub_f32_e32 v13, v13, v22
	v_add_f32_e32 v18, v18, v19
	v_add_f32_e32 v11, v11, v13
	v_mul_f32_e32 v23, v22, v12
	v_mul_f32_e32 v24, v21, v23
	v_fma_f32 v19, v23, v21, -v24
	v_fmac_f32_e32 v19, v23, v18
	v_add_f32_e32 v25, v24, v19
	v_sub_f32_e32 v26, v22, v25
	v_sub_f32_e32 v13, v25, v24
	;; [unrolled: 1-line block ×5, first 2 shown]
	v_add_f32_e32 v11, v11, v22
	v_add_f32_e32 v11, v13, v11
	;; [unrolled: 1-line block ×3, first 2 shown]
	v_mul_f32_e32 v19, v12, v13
	v_sub_f32_e32 v25, v26, v13
	v_mul_f32_e32 v22, v21, v19
	v_add_f32_e32 v11, v11, v25
	v_fma_f32 v21, v19, v21, -v22
	v_fmac_f32_e32 v21, v19, v18
	v_add_f32_e32 v18, v22, v21
	v_sub_f32_e32 v24, v13, v18
	v_sub_f32_e32 v22, v18, v22
	;; [unrolled: 1-line block ×5, first 2 shown]
	v_add_f32_e32 v11, v11, v13
	v_add_f32_e32 v13, v23, v19
	;; [unrolled: 1-line block ×3, first 2 shown]
	v_sub_f32_e32 v18, v13, v23
	v_add_f32_e32 v11, v24, v11
	v_sub_f32_e32 v18, v19, v18
	v_mul_f32_e32 v11, v12, v11
	v_add_f32_e32 v11, v18, v11
	v_add_f32_e32 v12, v13, v11
	v_mul_f32_e32 v18, v12, v12
	v_fmaak_f32 v19, s4, v18, 0x3ecc95a3
	v_mul_f32_e32 v21, v12, v18
	v_fmaak_f32 v18, v18, v19, 0x3f2aaada
	v_ldexp_f32 v19, v12, 1
	v_sub_f32_e32 v12, v12, v13
	v_mul_f32_e32 v18, v21, v18
	v_mul_f32_e32 v21, 0x3f317218, v10
	v_sub_f32_e32 v11, v11, v12
	v_add_f32_e32 v13, v19, v18
	v_ldexp_f32 v11, v11, 1
	v_sub_f32_e32 v12, v13, v19
	v_fma_f32 v19, 0x3f317218, v10, -v21
	v_sub_f32_e32 v12, v18, v12
	v_fmamk_f32 v10, v10, 0xb102e308, v19
	v_add_f32_e32 v11, v11, v12
	v_add_f32_e32 v12, v21, v10
	;; [unrolled: 1-line block ×3, first 2 shown]
	v_sub_f32_e32 v21, v12, v21
	v_add_f32_e32 v19, v12, v18
	v_sub_f32_e32 v13, v18, v13
	v_sub_f32_e32 v10, v10, v21
	;; [unrolled: 1-line block ×6, first 2 shown]
	v_add_f32_e32 v18, v10, v11
	v_sub_f32_e32 v12, v12, v23
	v_add_f32_e32 v12, v13, v12
	v_sub_f32_e32 v13, v18, v10
	;; [unrolled: 2-line block ×3, first 2 shown]
	v_sub_f32_e32 v11, v11, v13
	v_add_f32_e32 v21, v19, v12
	v_sub_f32_e32 v10, v10, v18
	v_sub_f32_e32 v13, v21, v19
	v_add_f32_e32 v10, v11, v10
	v_sub_f32_e32 v11, v12, v13
	v_add_f32_e32 v10, v10, v11
	v_add_f32_e32 v10, v21, v10
	v_cndmask_b32_e32 v10, 0x7f800000, v10, vcc_lo
	v_cmp_gt_f32_e64 vcc_lo, 0x33800000, |v6|
	v_cndmask_b32_e32 v6, v10, v6, vcc_lo
	v_add_f32_e32 v6, v7, v6
.LBB161_133:
	s_or_b32 exec_lo, exec_lo, s3
	v_max_f32_e32 v7, v6, v6
	v_cmp_u_f32_e32 vcc_lo, v6, v6
	v_min_f32_e32 v10, v7, v20
	v_max_f32_e32 v7, v7, v20
	v_cndmask_b32_e32 v10, v10, v6, vcc_lo
	v_cndmask_b32_e32 v7, v7, v6, vcc_lo
	v_cndmask_b32_e64 v11, v10, v16, s6
	v_cndmask_b32_e64 v10, v7, v16, s6
	v_mov_b32_e32 v7, v6
	v_cmp_class_f32_e64 s3, v11, 0x1f8
	v_cmp_neq_f32_e32 vcc_lo, v11, v10
	s_or_b32 s4, vcc_lo, s3
	s_and_saveexec_b32 s3, s4
	s_cbranch_execz .LBB161_135
; %bb.134:
	v_sub_f32_e32 v7, v11, v10
	s_mov_b32 s4, 0x3e9b6dac
	v_mul_f32_e32 v11, 0x3fb8aa3b, v7
	v_cmp_ngt_f32_e32 vcc_lo, 0xc2ce8ed0, v7
	v_fma_f32 v12, 0x3fb8aa3b, v7, -v11
	v_rndne_f32_e32 v13, v11
	v_fmamk_f32 v12, v7, 0x32a5705f, v12
	v_sub_f32_e32 v11, v11, v13
	v_add_f32_e32 v11, v11, v12
	v_cvt_i32_f32_e32 v12, v13
	v_exp_f32_e32 v11, v11
	v_ldexp_f32 v11, v11, v12
	v_cndmask_b32_e32 v11, 0, v11, vcc_lo
	v_cmp_nlt_f32_e32 vcc_lo, 0x42b17218, v7
	v_cndmask_b32_e32 v7, 0x7f800000, v11, vcc_lo
	v_add_f32_e32 v13, 1.0, v7
	v_cvt_f64_f32_e32 v[11:12], v13
	v_frexp_exp_i32_f64_e32 v11, v[11:12]
	v_frexp_mant_f32_e32 v12, v13
	v_cmp_gt_f32_e32 vcc_lo, 0x3f2aaaab, v12
	v_add_f32_e32 v12, -1.0, v13
	v_sub_f32_e32 v19, v12, v13
	v_sub_f32_e32 v12, v7, v12
	v_add_f32_e32 v19, 1.0, v19
	v_add_f32_e32 v12, v12, v19
	v_subrev_co_ci_u32_e64 v11, null, 0, v11, vcc_lo
	v_cmp_neq_f32_e32 vcc_lo, 0x7f800000, v7
	v_sub_nc_u32_e32 v18, 0, v11
	v_cvt_f32_i32_e32 v11, v11
	v_ldexp_f32 v13, v13, v18
	v_ldexp_f32 v12, v12, v18
	v_add_f32_e32 v20, 1.0, v13
	v_add_f32_e32 v18, -1.0, v13
	v_add_f32_e32 v19, -1.0, v20
	v_add_f32_e32 v21, 1.0, v18
	v_sub_f32_e32 v19, v13, v19
	v_sub_f32_e32 v13, v13, v21
	v_add_f32_e32 v19, v12, v19
	v_add_f32_e32 v12, v12, v13
	;; [unrolled: 1-line block ×4, first 2 shown]
	v_rcp_f32_e32 v13, v21
	v_sub_f32_e32 v20, v20, v21
	v_sub_f32_e32 v18, v18, v22
	v_add_f32_e32 v19, v19, v20
	v_add_f32_e32 v12, v12, v18
	v_mul_f32_e32 v23, v22, v13
	v_mul_f32_e32 v24, v21, v23
	v_fma_f32 v20, v23, v21, -v24
	v_fmac_f32_e32 v20, v23, v19
	v_add_f32_e32 v25, v24, v20
	v_sub_f32_e32 v26, v22, v25
	v_sub_f32_e32 v18, v25, v24
	;; [unrolled: 1-line block ×5, first 2 shown]
	v_add_f32_e32 v12, v12, v22
	v_add_f32_e32 v12, v18, v12
	;; [unrolled: 1-line block ×3, first 2 shown]
	v_mul_f32_e32 v20, v13, v18
	v_sub_f32_e32 v25, v26, v18
	v_mul_f32_e32 v22, v21, v20
	v_add_f32_e32 v12, v12, v25
	v_fma_f32 v21, v20, v21, -v22
	v_fmac_f32_e32 v21, v20, v19
	v_add_f32_e32 v19, v22, v21
	v_sub_f32_e32 v24, v18, v19
	v_sub_f32_e32 v22, v19, v22
	;; [unrolled: 1-line block ×5, first 2 shown]
	v_add_f32_e32 v12, v12, v18
	v_add_f32_e32 v18, v23, v20
	;; [unrolled: 1-line block ×3, first 2 shown]
	v_sub_f32_e32 v19, v18, v23
	v_add_f32_e32 v12, v24, v12
	v_sub_f32_e32 v19, v20, v19
	v_mul_f32_e32 v12, v13, v12
	v_add_f32_e32 v12, v19, v12
	v_add_f32_e32 v13, v18, v12
	v_mul_f32_e32 v19, v13, v13
	v_fmaak_f32 v20, s4, v19, 0x3ecc95a3
	v_mul_f32_e32 v21, v13, v19
	v_fmaak_f32 v19, v19, v20, 0x3f2aaada
	v_ldexp_f32 v20, v13, 1
	v_sub_f32_e32 v13, v13, v18
	v_mul_f32_e32 v19, v21, v19
	v_mul_f32_e32 v21, 0x3f317218, v11
	v_sub_f32_e32 v12, v12, v13
	v_add_f32_e32 v18, v20, v19
	v_ldexp_f32 v12, v12, 1
	v_sub_f32_e32 v13, v18, v20
	v_fma_f32 v20, 0x3f317218, v11, -v21
	v_sub_f32_e32 v13, v19, v13
	v_fmamk_f32 v11, v11, 0xb102e308, v20
	v_add_f32_e32 v12, v12, v13
	v_add_f32_e32 v13, v21, v11
	;; [unrolled: 1-line block ×3, first 2 shown]
	v_sub_f32_e32 v21, v13, v21
	v_add_f32_e32 v20, v13, v19
	v_sub_f32_e32 v18, v19, v18
	v_sub_f32_e32 v11, v11, v21
	;; [unrolled: 1-line block ×6, first 2 shown]
	v_add_f32_e32 v19, v11, v12
	v_sub_f32_e32 v13, v13, v23
	v_add_f32_e32 v13, v18, v13
	v_sub_f32_e32 v18, v19, v11
	;; [unrolled: 2-line block ×3, first 2 shown]
	v_sub_f32_e32 v12, v12, v18
	v_add_f32_e32 v21, v20, v13
	v_sub_f32_e32 v11, v11, v19
	v_sub_f32_e32 v18, v21, v20
	v_add_f32_e32 v11, v12, v11
	v_sub_f32_e32 v12, v13, v18
	v_add_f32_e32 v11, v11, v12
	v_add_f32_e32 v11, v21, v11
	v_cndmask_b32_e32 v11, 0x7f800000, v11, vcc_lo
	v_cmp_gt_f32_e64 vcc_lo, 0x33800000, |v7|
	v_cndmask_b32_e32 v7, v11, v7, vcc_lo
	v_add_f32_e32 v7, v10, v7
.LBB161_135:
	s_or_b32 exec_lo, exec_lo, s3
	s_branch .LBB161_191
.LBB161_136:
	s_cmp_lg_u64 s[16:17], 0
	v_mov_b32_e32 v7, v5
	v_mov_b32_e32 v6, v4
	;; [unrolled: 1-line block ×5, first 2 shown]
	s_cselect_b32 s3, -1, 0
	s_and_b32 s4, s2, s3
	s_and_saveexec_b32 s3, s4
	s_cbranch_execz .LBB161_140
; %bb.137:
	v_mov_b32_e32 v3, 0
	v_max_f32_e32 v4, v1, v1
	global_load_dword v3, v3, s[12:13]
	s_waitcnt vmcnt(0)
	v_max_f32_e32 v5, v3, v3
	v_cmp_u_f32_e32 vcc_lo, v3, v3
	v_min_f32_e32 v6, v5, v4
	v_max_f32_e32 v4, v5, v4
	v_cndmask_b32_e32 v5, v6, v3, vcc_lo
	v_cndmask_b32_e32 v6, v4, v3, vcc_lo
	v_cmp_u_f32_e32 vcc_lo, v1, v1
	v_cndmask_b32_e32 v4, v5, v1, vcc_lo
	v_cndmask_b32_e32 v1, v6, v1, vcc_lo
	v_cmp_class_f32_e64 s4, v4, 0x1f8
	v_cmp_neq_f32_e32 vcc_lo, v4, v1
	s_or_b32 s5, vcc_lo, s4
	s_and_saveexec_b32 s4, s5
	s_cbranch_execz .LBB161_139
; %bb.138:
	v_sub_f32_e32 v3, v4, v1
	s_mov_b32 s5, 0x3e9b6dac
	v_mul_f32_e32 v4, 0x3fb8aa3b, v3
	v_cmp_ngt_f32_e32 vcc_lo, 0xc2ce8ed0, v3
	v_fma_f32 v5, 0x3fb8aa3b, v3, -v4
	v_rndne_f32_e32 v6, v4
	v_fmamk_f32 v5, v3, 0x32a5705f, v5
	v_sub_f32_e32 v4, v4, v6
	v_add_f32_e32 v4, v4, v5
	v_cvt_i32_f32_e32 v5, v6
	v_exp_f32_e32 v4, v4
	v_ldexp_f32 v4, v4, v5
	v_cndmask_b32_e32 v4, 0, v4, vcc_lo
	v_cmp_nlt_f32_e32 vcc_lo, 0x42b17218, v3
	v_cndmask_b32_e32 v5, 0x7f800000, v4, vcc_lo
	v_add_f32_e32 v6, 1.0, v5
	v_cvt_f64_f32_e32 v[3:4], v6
	v_frexp_exp_i32_f64_e32 v3, v[3:4]
	v_frexp_mant_f32_e32 v4, v6
	v_cmp_gt_f32_e32 vcc_lo, 0x3f2aaaab, v4
	v_add_f32_e32 v4, -1.0, v6
	v_sub_f32_e32 v10, v4, v6
	v_sub_f32_e32 v4, v5, v4
	v_add_f32_e32 v10, 1.0, v10
	v_add_f32_e32 v4, v4, v10
	v_subrev_co_ci_u32_e64 v3, null, 0, v3, vcc_lo
	v_cmp_neq_f32_e32 vcc_lo, 0x7f800000, v5
	v_sub_nc_u32_e32 v7, 0, v3
	v_cvt_f32_i32_e32 v3, v3
	v_ldexp_f32 v6, v6, v7
	v_ldexp_f32 v4, v4, v7
	v_add_f32_e32 v11, 1.0, v6
	v_add_f32_e32 v7, -1.0, v6
	v_add_f32_e32 v10, -1.0, v11
	v_add_f32_e32 v12, 1.0, v7
	v_sub_f32_e32 v10, v6, v10
	v_sub_f32_e32 v6, v6, v12
	v_add_f32_e32 v10, v4, v10
	v_add_f32_e32 v4, v4, v6
	v_add_f32_e32 v12, v11, v10
	v_add_f32_e32 v13, v7, v4
	v_rcp_f32_e32 v6, v12
	v_sub_f32_e32 v11, v11, v12
	v_sub_f32_e32 v7, v7, v13
	v_add_f32_e32 v10, v10, v11
	v_add_f32_e32 v4, v4, v7
	v_mul_f32_e32 v18, v13, v6
	v_mul_f32_e32 v19, v12, v18
	v_fma_f32 v11, v18, v12, -v19
	v_fmac_f32_e32 v11, v18, v10
	v_add_f32_e32 v20, v19, v11
	v_sub_f32_e32 v21, v13, v20
	v_sub_f32_e32 v7, v20, v19
	v_sub_f32_e32 v13, v13, v21
	v_sub_f32_e32 v7, v7, v11
	v_sub_f32_e32 v13, v13, v20
	v_add_f32_e32 v4, v4, v13
	v_add_f32_e32 v4, v7, v4
	v_add_f32_e32 v7, v21, v4
	v_mul_f32_e32 v11, v6, v7
	v_sub_f32_e32 v20, v21, v7
	v_mul_f32_e32 v13, v12, v11
	v_add_f32_e32 v4, v4, v20
	v_fma_f32 v12, v11, v12, -v13
	v_fmac_f32_e32 v12, v11, v10
	v_add_f32_e32 v10, v13, v12
	v_sub_f32_e32 v19, v7, v10
	v_sub_f32_e32 v13, v10, v13
	;; [unrolled: 1-line block ×5, first 2 shown]
	v_add_f32_e32 v4, v4, v7
	v_add_f32_e32 v7, v18, v11
	;; [unrolled: 1-line block ×3, first 2 shown]
	v_sub_f32_e32 v10, v7, v18
	v_add_f32_e32 v4, v19, v4
	v_sub_f32_e32 v10, v11, v10
	v_mul_f32_e32 v4, v6, v4
	v_add_f32_e32 v4, v10, v4
	v_add_f32_e32 v6, v7, v4
	v_mul_f32_e32 v10, v6, v6
	v_fmaak_f32 v11, s5, v10, 0x3ecc95a3
	v_mul_f32_e32 v12, v6, v10
	v_fmaak_f32 v10, v10, v11, 0x3f2aaada
	v_ldexp_f32 v11, v6, 1
	v_sub_f32_e32 v6, v6, v7
	v_mul_f32_e32 v10, v12, v10
	v_mul_f32_e32 v12, 0x3f317218, v3
	v_sub_f32_e32 v4, v4, v6
	v_add_f32_e32 v7, v11, v10
	v_ldexp_f32 v4, v4, 1
	v_sub_f32_e32 v6, v7, v11
	v_fma_f32 v11, 0x3f317218, v3, -v12
	v_sub_f32_e32 v6, v10, v6
	v_fmamk_f32 v3, v3, 0xb102e308, v11
	v_add_f32_e32 v4, v4, v6
	v_add_f32_e32 v6, v12, v3
	v_add_f32_e32 v10, v7, v4
	v_sub_f32_e32 v12, v6, v12
	v_add_f32_e32 v11, v6, v10
	v_sub_f32_e32 v7, v10, v7
	v_sub_f32_e32 v3, v3, v12
	;; [unrolled: 1-line block ×6, first 2 shown]
	v_add_f32_e32 v10, v3, v4
	v_sub_f32_e32 v6, v6, v18
	v_add_f32_e32 v6, v7, v6
	v_sub_f32_e32 v7, v10, v3
	;; [unrolled: 2-line block ×3, first 2 shown]
	v_sub_f32_e32 v4, v4, v7
	v_add_f32_e32 v12, v11, v6
	v_sub_f32_e32 v3, v3, v10
	v_sub_f32_e32 v7, v12, v11
	v_add_f32_e32 v3, v4, v3
	v_sub_f32_e32 v4, v6, v7
	v_add_f32_e32 v3, v3, v4
	v_add_f32_e32 v3, v12, v3
	v_cndmask_b32_e32 v3, 0x7f800000, v3, vcc_lo
	v_cmp_gt_f32_e64 vcc_lo, 0x33800000, |v5|
	v_cndmask_b32_e32 v3, v3, v5, vcc_lo
	v_add_f32_e32 v3, v1, v3
.LBB161_139:
	s_or_b32 exec_lo, exec_lo, s4
	v_mov_b32_e32 v1, v3
.LBB161_140:
	s_or_b32 exec_lo, exec_lo, s3
	v_max_f32_e32 v13, v1, v1
	v_cmp_u_f32_e64 s6, v1, v1
	v_cmp_u_f32_e32 vcc_lo, v2, v2
	v_mov_b32_e32 v19, v1
	v_min_f32_e32 v11, v13, v17
	v_max_f32_e32 v12, v13, v17
	v_cndmask_b32_e64 v4, v11, v1, s6
	v_cndmask_b32_e64 v6, v12, v1, s6
	v_cndmask_b32_e32 v5, v4, v2, vcc_lo
	v_cndmask_b32_e32 v4, v6, v2, vcc_lo
	v_cmp_class_f32_e64 s4, v5, 0x1f8
	v_cmp_neq_f32_e64 s3, v5, v4
	s_or_b32 s3, s3, s4
	s_and_saveexec_b32 s4, s3
	s_cbranch_execz .LBB161_142
; %bb.141:
	v_sub_f32_e32 v5, v5, v4
	v_mul_f32_e32 v6, 0x3fb8aa3b, v5
	v_cmp_ngt_f32_e64 s3, 0xc2ce8ed0, v5
	v_fma_f32 v7, 0x3fb8aa3b, v5, -v6
	v_rndne_f32_e32 v10, v6
	v_fmamk_f32 v7, v5, 0x32a5705f, v7
	v_sub_f32_e32 v6, v6, v10
	v_add_f32_e32 v6, v6, v7
	v_cvt_i32_f32_e32 v7, v10
	v_exp_f32_e32 v6, v6
	v_ldexp_f32 v6, v6, v7
	v_cndmask_b32_e64 v6, 0, v6, s3
	v_cmp_nlt_f32_e64 s3, 0x42b17218, v5
	v_cndmask_b32_e64 v7, 0x7f800000, v6, s3
	v_add_f32_e32 v10, 1.0, v7
	v_cvt_f64_f32_e32 v[5:6], v10
	v_frexp_exp_i32_f64_e32 v5, v[5:6]
	v_frexp_mant_f32_e32 v6, v10
	v_cmp_gt_f32_e64 s3, 0x3f2aaaab, v6
	v_add_f32_e32 v6, -1.0, v10
	v_sub_f32_e32 v19, v6, v10
	v_sub_f32_e32 v6, v7, v6
	v_add_f32_e32 v19, 1.0, v19
	v_add_f32_e32 v6, v6, v19
	v_subrev_co_ci_u32_e64 v5, null, 0, v5, s3
	s_mov_b32 s3, 0x3e9b6dac
	v_sub_nc_u32_e32 v18, 0, v5
	v_cvt_f32_i32_e32 v5, v5
	v_ldexp_f32 v10, v10, v18
	v_ldexp_f32 v6, v6, v18
	v_add_f32_e32 v20, 1.0, v10
	v_add_f32_e32 v18, -1.0, v10
	v_add_f32_e32 v19, -1.0, v20
	v_add_f32_e32 v21, 1.0, v18
	v_sub_f32_e32 v19, v10, v19
	v_sub_f32_e32 v10, v10, v21
	v_add_f32_e32 v19, v6, v19
	v_add_f32_e32 v6, v6, v10
	v_add_f32_e32 v21, v20, v19
	v_add_f32_e32 v22, v18, v6
	v_rcp_f32_e32 v10, v21
	v_sub_f32_e32 v20, v20, v21
	v_sub_f32_e32 v18, v18, v22
	v_add_f32_e32 v19, v19, v20
	v_add_f32_e32 v6, v6, v18
	v_mul_f32_e32 v23, v22, v10
	v_mul_f32_e32 v24, v21, v23
	v_fma_f32 v20, v23, v21, -v24
	v_fmac_f32_e32 v20, v23, v19
	v_add_f32_e32 v25, v24, v20
	v_sub_f32_e32 v26, v22, v25
	v_sub_f32_e32 v18, v25, v24
	;; [unrolled: 1-line block ×5, first 2 shown]
	v_add_f32_e32 v6, v6, v22
	v_add_f32_e32 v6, v18, v6
	;; [unrolled: 1-line block ×3, first 2 shown]
	v_mul_f32_e32 v20, v10, v18
	v_sub_f32_e32 v25, v26, v18
	v_mul_f32_e32 v22, v21, v20
	v_add_f32_e32 v6, v6, v25
	v_fma_f32 v21, v20, v21, -v22
	v_fmac_f32_e32 v21, v20, v19
	v_add_f32_e32 v19, v22, v21
	v_sub_f32_e32 v24, v18, v19
	v_sub_f32_e32 v22, v19, v22
	v_sub_f32_e32 v18, v18, v24
	v_sub_f32_e32 v18, v18, v19
	v_sub_f32_e32 v19, v22, v21
	v_add_f32_e32 v6, v6, v18
	v_add_f32_e32 v18, v23, v20
	;; [unrolled: 1-line block ×3, first 2 shown]
	v_sub_f32_e32 v19, v18, v23
	v_add_f32_e32 v6, v24, v6
	v_sub_f32_e32 v19, v20, v19
	v_mul_f32_e32 v6, v10, v6
	v_add_f32_e32 v6, v19, v6
	v_add_f32_e32 v10, v18, v6
	v_mul_f32_e32 v19, v10, v10
	v_fmaak_f32 v20, s3, v19, 0x3ecc95a3
	v_mul_f32_e32 v21, v10, v19
	v_cmp_neq_f32_e64 s3, 0x7f800000, v7
	v_fmaak_f32 v19, v19, v20, 0x3f2aaada
	v_ldexp_f32 v20, v10, 1
	v_sub_f32_e32 v10, v10, v18
	v_mul_f32_e32 v19, v21, v19
	v_mul_f32_e32 v21, 0x3f317218, v5
	v_sub_f32_e32 v6, v6, v10
	v_add_f32_e32 v18, v20, v19
	v_ldexp_f32 v6, v6, 1
	v_sub_f32_e32 v10, v18, v20
	v_fma_f32 v20, 0x3f317218, v5, -v21
	v_sub_f32_e32 v10, v19, v10
	v_fmamk_f32 v5, v5, 0xb102e308, v20
	v_add_f32_e32 v6, v6, v10
	v_add_f32_e32 v10, v21, v5
	;; [unrolled: 1-line block ×3, first 2 shown]
	v_sub_f32_e32 v21, v10, v21
	v_add_f32_e32 v20, v10, v19
	v_sub_f32_e32 v18, v19, v18
	v_sub_f32_e32 v5, v5, v21
	;; [unrolled: 1-line block ×6, first 2 shown]
	v_add_f32_e32 v19, v5, v6
	v_sub_f32_e32 v10, v10, v23
	v_add_f32_e32 v10, v18, v10
	v_sub_f32_e32 v18, v19, v5
	;; [unrolled: 2-line block ×3, first 2 shown]
	v_sub_f32_e32 v6, v6, v18
	v_add_f32_e32 v21, v20, v10
	v_sub_f32_e32 v5, v5, v19
	v_sub_f32_e32 v18, v21, v20
	v_add_f32_e32 v5, v6, v5
	v_sub_f32_e32 v6, v10, v18
	v_add_f32_e32 v5, v5, v6
	v_add_f32_e32 v5, v21, v5
	v_cndmask_b32_e64 v5, 0x7f800000, v5, s3
	v_cmp_gt_f32_e64 s3, 0x33800000, |v7|
	v_cndmask_b32_e64 v5, v5, v7, s3
	v_add_f32_e32 v19, v4, v5
.LBB161_142:
	s_or_b32 exec_lo, exec_lo, s4
	v_max_f32_e32 v6, v8, v8
	v_max_f32_e32 v4, v19, v19
	v_cmp_u_f32_e64 s3, v19, v19
	v_min_f32_e32 v5, v4, v6
	v_max_f32_e32 v4, v4, v6
	v_cndmask_b32_e64 v5, v5, v19, s3
	v_cndmask_b32_e64 v4, v4, v19, s3
	v_cmp_u_f32_e64 s3, v8, v8
	v_cndmask_b32_e64 v5, v5, v8, s3
	v_cndmask_b32_e64 v4, v4, v8, s3
	v_cmp_class_f32_e64 s5, v5, 0x1f8
	v_cmp_neq_f32_e64 s4, v5, v4
	s_or_b32 s4, s4, s5
	s_and_saveexec_b32 s5, s4
	s_cbranch_execz .LBB161_144
; %bb.143:
	v_sub_f32_e32 v5, v5, v4
	v_mul_f32_e32 v7, 0x3fb8aa3b, v5
	v_cmp_ngt_f32_e64 s4, 0xc2ce8ed0, v5
	v_fma_f32 v10, 0x3fb8aa3b, v5, -v7
	v_rndne_f32_e32 v18, v7
	v_fmamk_f32 v10, v5, 0x32a5705f, v10
	v_sub_f32_e32 v7, v7, v18
	v_add_f32_e32 v7, v7, v10
	v_cvt_i32_f32_e32 v10, v18
	v_exp_f32_e32 v7, v7
	v_ldexp_f32 v7, v7, v10
	v_cndmask_b32_e64 v7, 0, v7, s4
	v_cmp_nlt_f32_e64 s4, 0x42b17218, v5
	v_cndmask_b32_e64 v5, 0x7f800000, v7, s4
	v_add_f32_e32 v7, 1.0, v5
	v_cvt_f64_f32_e32 v[18:19], v7
	v_frexp_exp_i32_f64_e32 v10, v[18:19]
	v_frexp_mant_f32_e32 v18, v7
	v_cmp_gt_f32_e64 s4, 0x3f2aaaab, v18
	v_add_f32_e32 v18, -1.0, v7
	v_sub_f32_e32 v20, v18, v7
	v_sub_f32_e32 v18, v5, v18
	v_add_f32_e32 v20, 1.0, v20
	v_add_f32_e32 v18, v18, v20
	v_subrev_co_ci_u32_e64 v10, null, 0, v10, s4
	s_mov_b32 s4, 0x3e9b6dac
	v_sub_nc_u32_e32 v19, 0, v10
	v_cvt_f32_i32_e32 v10, v10
	v_ldexp_f32 v7, v7, v19
	v_ldexp_f32 v18, v18, v19
	v_add_f32_e32 v21, 1.0, v7
	v_add_f32_e32 v19, -1.0, v7
	v_add_f32_e32 v20, -1.0, v21
	v_add_f32_e32 v22, 1.0, v19
	v_sub_f32_e32 v20, v7, v20
	v_sub_f32_e32 v7, v7, v22
	v_add_f32_e32 v20, v18, v20
	v_add_f32_e32 v7, v18, v7
	;; [unrolled: 1-line block ×4, first 2 shown]
	v_rcp_f32_e32 v18, v22
	v_sub_f32_e32 v21, v21, v22
	v_sub_f32_e32 v19, v19, v23
	v_add_f32_e32 v20, v20, v21
	v_add_f32_e32 v7, v7, v19
	v_mul_f32_e32 v24, v23, v18
	v_mul_f32_e32 v25, v22, v24
	v_fma_f32 v21, v24, v22, -v25
	v_fmac_f32_e32 v21, v24, v20
	v_add_f32_e32 v26, v25, v21
	v_sub_f32_e32 v27, v23, v26
	v_sub_f32_e32 v19, v26, v25
	;; [unrolled: 1-line block ×5, first 2 shown]
	v_add_f32_e32 v7, v7, v23
	v_add_f32_e32 v7, v19, v7
	;; [unrolled: 1-line block ×3, first 2 shown]
	v_mul_f32_e32 v21, v18, v19
	v_sub_f32_e32 v26, v27, v19
	v_mul_f32_e32 v23, v22, v21
	v_add_f32_e32 v7, v7, v26
	v_fma_f32 v22, v21, v22, -v23
	v_fmac_f32_e32 v22, v21, v20
	v_add_f32_e32 v20, v23, v22
	v_sub_f32_e32 v25, v19, v20
	v_sub_f32_e32 v23, v20, v23
	;; [unrolled: 1-line block ×5, first 2 shown]
	v_add_f32_e32 v7, v7, v19
	v_add_f32_e32 v19, v24, v21
	;; [unrolled: 1-line block ×3, first 2 shown]
	v_sub_f32_e32 v20, v19, v24
	v_add_f32_e32 v7, v25, v7
	v_sub_f32_e32 v20, v21, v20
	v_mul_f32_e32 v7, v18, v7
	v_add_f32_e32 v7, v20, v7
	v_add_f32_e32 v18, v19, v7
	v_mul_f32_e32 v20, v18, v18
	v_fmaak_f32 v21, s4, v20, 0x3ecc95a3
	v_mul_f32_e32 v22, v18, v20
	v_cmp_neq_f32_e64 s4, 0x7f800000, v5
	v_fmaak_f32 v20, v20, v21, 0x3f2aaada
	v_ldexp_f32 v21, v18, 1
	v_sub_f32_e32 v18, v18, v19
	v_mul_f32_e32 v20, v22, v20
	v_mul_f32_e32 v22, 0x3f317218, v10
	v_sub_f32_e32 v7, v7, v18
	v_add_f32_e32 v19, v21, v20
	v_ldexp_f32 v7, v7, 1
	v_sub_f32_e32 v18, v19, v21
	v_fma_f32 v21, 0x3f317218, v10, -v22
	v_sub_f32_e32 v18, v20, v18
	v_fmamk_f32 v10, v10, 0xb102e308, v21
	v_add_f32_e32 v7, v7, v18
	v_add_f32_e32 v18, v22, v10
	;; [unrolled: 1-line block ×3, first 2 shown]
	v_sub_f32_e32 v22, v18, v22
	v_add_f32_e32 v21, v18, v20
	v_sub_f32_e32 v19, v20, v19
	v_sub_f32_e32 v10, v10, v22
	;; [unrolled: 1-line block ×6, first 2 shown]
	v_add_f32_e32 v20, v10, v7
	v_sub_f32_e32 v18, v18, v24
	v_add_f32_e32 v18, v19, v18
	v_sub_f32_e32 v19, v20, v10
	;; [unrolled: 2-line block ×3, first 2 shown]
	v_sub_f32_e32 v7, v7, v19
	v_add_f32_e32 v22, v21, v18
	v_sub_f32_e32 v10, v10, v20
	v_sub_f32_e32 v19, v22, v21
	v_add_f32_e32 v7, v7, v10
	v_sub_f32_e32 v10, v18, v19
	v_add_f32_e32 v7, v7, v10
	v_add_f32_e32 v7, v22, v7
	v_cndmask_b32_e64 v7, 0x7f800000, v7, s4
	v_cmp_gt_f32_e64 s4, 0x33800000, |v5|
	v_cndmask_b32_e64 v5, v7, v5, s4
	v_add_f32_e32 v19, v4, v5
.LBB161_144:
	s_or_b32 exec_lo, exec_lo, s5
	v_max_f32_e32 v7, v9, v9
	v_max_f32_e32 v4, v19, v19
	v_cmp_u_f32_e64 s4, v19, v19
	v_min_f32_e32 v5, v4, v7
	v_max_f32_e32 v4, v4, v7
	v_cndmask_b32_e64 v5, v5, v19, s4
	v_cndmask_b32_e64 v4, v4, v19, s4
	v_cmp_u_f32_e64 s4, v9, v9
	v_cndmask_b32_e64 v5, v5, v9, s4
	v_cndmask_b32_e64 v4, v4, v9, s4
	v_cmp_class_f32_e64 s7, v5, 0x1f8
	v_cmp_neq_f32_e64 s5, v5, v4
	s_or_b32 s5, s5, s7
	s_and_saveexec_b32 s7, s5
	s_cbranch_execz .LBB161_146
; %bb.145:
	v_sub_f32_e32 v5, v5, v4
	v_mul_f32_e32 v10, 0x3fb8aa3b, v5
	v_cmp_ngt_f32_e64 s5, 0xc2ce8ed0, v5
	v_fma_f32 v18, 0x3fb8aa3b, v5, -v10
	v_rndne_f32_e32 v19, v10
	v_fmamk_f32 v18, v5, 0x32a5705f, v18
	v_sub_f32_e32 v10, v10, v19
	v_add_f32_e32 v10, v10, v18
	v_cvt_i32_f32_e32 v18, v19
	v_exp_f32_e32 v10, v10
	v_ldexp_f32 v10, v10, v18
	v_cndmask_b32_e64 v10, 0, v10, s5
	v_cmp_nlt_f32_e64 s5, 0x42b17218, v5
	v_cndmask_b32_e64 v5, 0x7f800000, v10, s5
	v_add_f32_e32 v10, 1.0, v5
	v_cvt_f64_f32_e32 v[18:19], v10
	v_frexp_exp_i32_f64_e32 v18, v[18:19]
	v_frexp_mant_f32_e32 v19, v10
	v_cmp_gt_f32_e64 s5, 0x3f2aaaab, v19
	v_add_f32_e32 v19, -1.0, v10
	v_sub_f32_e32 v21, v19, v10
	v_sub_f32_e32 v19, v5, v19
	v_add_f32_e32 v21, 1.0, v21
	v_add_f32_e32 v19, v19, v21
	v_subrev_co_ci_u32_e64 v18, null, 0, v18, s5
	s_mov_b32 s5, 0x3e9b6dac
	v_sub_nc_u32_e32 v20, 0, v18
	v_cvt_f32_i32_e32 v18, v18
	v_ldexp_f32 v10, v10, v20
	v_ldexp_f32 v19, v19, v20
	v_add_f32_e32 v22, 1.0, v10
	v_add_f32_e32 v20, -1.0, v10
	v_add_f32_e32 v21, -1.0, v22
	v_add_f32_e32 v23, 1.0, v20
	v_sub_f32_e32 v21, v10, v21
	v_sub_f32_e32 v10, v10, v23
	v_add_f32_e32 v21, v19, v21
	v_add_f32_e32 v10, v19, v10
	;; [unrolled: 1-line block ×4, first 2 shown]
	v_rcp_f32_e32 v19, v23
	v_sub_f32_e32 v22, v22, v23
	v_sub_f32_e32 v20, v20, v24
	v_add_f32_e32 v21, v21, v22
	v_add_f32_e32 v10, v10, v20
	v_mul_f32_e32 v25, v24, v19
	v_mul_f32_e32 v26, v23, v25
	v_fma_f32 v22, v25, v23, -v26
	v_fmac_f32_e32 v22, v25, v21
	v_add_f32_e32 v27, v26, v22
	v_sub_f32_e32 v28, v24, v27
	v_sub_f32_e32 v20, v27, v26
	;; [unrolled: 1-line block ×5, first 2 shown]
	v_add_f32_e32 v10, v10, v24
	v_add_f32_e32 v10, v20, v10
	;; [unrolled: 1-line block ×3, first 2 shown]
	v_mul_f32_e32 v22, v19, v20
	v_sub_f32_e32 v27, v28, v20
	v_mul_f32_e32 v24, v23, v22
	v_add_f32_e32 v10, v10, v27
	v_fma_f32 v23, v22, v23, -v24
	v_fmac_f32_e32 v23, v22, v21
	v_add_f32_e32 v21, v24, v23
	v_sub_f32_e32 v26, v20, v21
	v_sub_f32_e32 v24, v21, v24
	;; [unrolled: 1-line block ×5, first 2 shown]
	v_add_f32_e32 v10, v10, v20
	v_add_f32_e32 v20, v25, v22
	v_add_f32_e32 v10, v21, v10
	v_sub_f32_e32 v21, v20, v25
	v_add_f32_e32 v10, v26, v10
	v_sub_f32_e32 v21, v22, v21
	v_mul_f32_e32 v10, v19, v10
	v_add_f32_e32 v10, v21, v10
	v_add_f32_e32 v19, v20, v10
	v_mul_f32_e32 v21, v19, v19
	v_fmaak_f32 v22, s5, v21, 0x3ecc95a3
	v_mul_f32_e32 v23, v19, v21
	v_cmp_neq_f32_e64 s5, 0x7f800000, v5
	v_fmaak_f32 v21, v21, v22, 0x3f2aaada
	v_ldexp_f32 v22, v19, 1
	v_sub_f32_e32 v19, v19, v20
	v_mul_f32_e32 v21, v23, v21
	v_mul_f32_e32 v23, 0x3f317218, v18
	v_sub_f32_e32 v10, v10, v19
	v_add_f32_e32 v20, v22, v21
	v_ldexp_f32 v10, v10, 1
	v_sub_f32_e32 v19, v20, v22
	v_fma_f32 v22, 0x3f317218, v18, -v23
	v_sub_f32_e32 v19, v21, v19
	v_fmamk_f32 v18, v18, 0xb102e308, v22
	v_add_f32_e32 v10, v10, v19
	v_add_f32_e32 v19, v23, v18
	;; [unrolled: 1-line block ×3, first 2 shown]
	v_sub_f32_e32 v23, v19, v23
	v_add_f32_e32 v22, v19, v21
	v_sub_f32_e32 v20, v21, v20
	v_sub_f32_e32 v18, v18, v23
	;; [unrolled: 1-line block ×6, first 2 shown]
	v_add_f32_e32 v21, v18, v10
	v_sub_f32_e32 v19, v19, v25
	v_add_f32_e32 v19, v20, v19
	v_sub_f32_e32 v20, v21, v18
	v_add_f32_e32 v19, v21, v19
	v_sub_f32_e32 v21, v21, v20
	v_sub_f32_e32 v10, v10, v20
	v_add_f32_e32 v23, v22, v19
	v_sub_f32_e32 v18, v18, v21
	v_sub_f32_e32 v20, v23, v22
	v_add_f32_e32 v10, v10, v18
	v_sub_f32_e32 v18, v19, v20
	v_add_f32_e32 v10, v10, v18
	v_add_f32_e32 v10, v23, v10
	v_cndmask_b32_e64 v10, 0x7f800000, v10, s5
	v_cmp_gt_f32_e64 s5, 0x33800000, |v5|
	v_cndmask_b32_e64 v5, v10, v5, s5
	v_add_f32_e32 v19, v4, v5
.LBB161_146:
	s_or_b32 exec_lo, exec_lo, s7
	v_max_f32_e32 v10, v16, v16
	v_max_f32_e32 v4, v19, v19
	v_cmp_u_f32_e64 s5, v19, v19
	v_min_f32_e32 v5, v4, v10
	v_max_f32_e32 v4, v4, v10
	v_cndmask_b32_e64 v5, v5, v19, s5
	v_cndmask_b32_e64 v4, v4, v19, s5
	v_cmp_u_f32_e64 s5, v16, v16
	v_cndmask_b32_e64 v5, v5, v16, s5
	v_cndmask_b32_e64 v4, v4, v16, s5
	v_cmp_class_f32_e64 s8, v5, 0x1f8
	v_cmp_neq_f32_e64 s7, v5, v4
	s_or_b32 s7, s7, s8
	s_and_saveexec_b32 s8, s7
	s_cbranch_execz .LBB161_148
; %bb.147:
	v_sub_f32_e32 v5, v5, v4
	v_mul_f32_e32 v18, 0x3fb8aa3b, v5
	v_cmp_ngt_f32_e64 s7, 0xc2ce8ed0, v5
	v_fma_f32 v19, 0x3fb8aa3b, v5, -v18
	v_rndne_f32_e32 v20, v18
	v_fmamk_f32 v19, v5, 0x32a5705f, v19
	v_sub_f32_e32 v18, v18, v20
	v_add_f32_e32 v18, v18, v19
	v_cvt_i32_f32_e32 v19, v20
	v_exp_f32_e32 v18, v18
	v_ldexp_f32 v18, v18, v19
	v_cndmask_b32_e64 v18, 0, v18, s7
	v_cmp_nlt_f32_e64 s7, 0x42b17218, v5
	v_cndmask_b32_e64 v5, 0x7f800000, v18, s7
	v_add_f32_e32 v20, 1.0, v5
	v_cvt_f64_f32_e32 v[18:19], v20
	v_frexp_exp_i32_f64_e32 v18, v[18:19]
	v_frexp_mant_f32_e32 v19, v20
	v_cmp_gt_f32_e64 s7, 0x3f2aaaab, v19
	v_add_f32_e32 v19, -1.0, v20
	v_sub_f32_e32 v22, v19, v20
	v_sub_f32_e32 v19, v5, v19
	v_add_f32_e32 v22, 1.0, v22
	v_add_f32_e32 v19, v19, v22
	v_subrev_co_ci_u32_e64 v18, null, 0, v18, s7
	s_mov_b32 s7, 0x3e9b6dac
	v_sub_nc_u32_e32 v21, 0, v18
	v_cvt_f32_i32_e32 v18, v18
	v_ldexp_f32 v20, v20, v21
	v_ldexp_f32 v19, v19, v21
	v_add_f32_e32 v23, 1.0, v20
	v_add_f32_e32 v21, -1.0, v20
	v_add_f32_e32 v22, -1.0, v23
	v_add_f32_e32 v24, 1.0, v21
	v_sub_f32_e32 v22, v20, v22
	v_sub_f32_e32 v20, v20, v24
	v_add_f32_e32 v22, v19, v22
	v_add_f32_e32 v19, v19, v20
	;; [unrolled: 1-line block ×4, first 2 shown]
	v_rcp_f32_e32 v20, v24
	v_sub_f32_e32 v23, v23, v24
	v_sub_f32_e32 v21, v21, v25
	v_add_f32_e32 v22, v22, v23
	v_add_f32_e32 v19, v19, v21
	v_mul_f32_e32 v26, v25, v20
	v_mul_f32_e32 v27, v24, v26
	v_fma_f32 v23, v26, v24, -v27
	v_fmac_f32_e32 v23, v26, v22
	v_add_f32_e32 v28, v27, v23
	v_sub_f32_e32 v29, v25, v28
	v_sub_f32_e32 v21, v28, v27
	v_sub_f32_e32 v25, v25, v29
	v_sub_f32_e32 v21, v21, v23
	v_sub_f32_e32 v25, v25, v28
	v_add_f32_e32 v19, v19, v25
	v_add_f32_e32 v19, v21, v19
	;; [unrolled: 1-line block ×3, first 2 shown]
	v_mul_f32_e32 v23, v20, v21
	v_sub_f32_e32 v28, v29, v21
	v_mul_f32_e32 v25, v24, v23
	v_add_f32_e32 v19, v19, v28
	v_fma_f32 v24, v23, v24, -v25
	v_fmac_f32_e32 v24, v23, v22
	v_add_f32_e32 v22, v25, v24
	v_sub_f32_e32 v27, v21, v22
	v_sub_f32_e32 v25, v22, v25
	v_sub_f32_e32 v21, v21, v27
	v_sub_f32_e32 v21, v21, v22
	v_sub_f32_e32 v22, v25, v24
	v_add_f32_e32 v19, v19, v21
	v_add_f32_e32 v21, v26, v23
	;; [unrolled: 1-line block ×3, first 2 shown]
	v_sub_f32_e32 v22, v21, v26
	v_add_f32_e32 v19, v27, v19
	v_sub_f32_e32 v22, v23, v22
	v_mul_f32_e32 v19, v20, v19
	v_add_f32_e32 v19, v22, v19
	v_add_f32_e32 v20, v21, v19
	v_mul_f32_e32 v22, v20, v20
	v_fmaak_f32 v23, s7, v22, 0x3ecc95a3
	v_mul_f32_e32 v24, v20, v22
	v_cmp_neq_f32_e64 s7, 0x7f800000, v5
	v_fmaak_f32 v22, v22, v23, 0x3f2aaada
	v_ldexp_f32 v23, v20, 1
	v_sub_f32_e32 v20, v20, v21
	v_mul_f32_e32 v22, v24, v22
	v_mul_f32_e32 v24, 0x3f317218, v18
	v_sub_f32_e32 v19, v19, v20
	v_add_f32_e32 v21, v23, v22
	v_ldexp_f32 v19, v19, 1
	v_sub_f32_e32 v20, v21, v23
	v_fma_f32 v23, 0x3f317218, v18, -v24
	v_sub_f32_e32 v20, v22, v20
	v_fmamk_f32 v18, v18, 0xb102e308, v23
	v_add_f32_e32 v19, v19, v20
	v_add_f32_e32 v20, v24, v18
	;; [unrolled: 1-line block ×3, first 2 shown]
	v_sub_f32_e32 v24, v20, v24
	v_add_f32_e32 v23, v20, v22
	v_sub_f32_e32 v21, v22, v21
	v_sub_f32_e32 v18, v18, v24
	;; [unrolled: 1-line block ×6, first 2 shown]
	v_add_f32_e32 v22, v18, v19
	v_sub_f32_e32 v20, v20, v26
	v_add_f32_e32 v20, v21, v20
	v_sub_f32_e32 v21, v22, v18
	;; [unrolled: 2-line block ×3, first 2 shown]
	v_sub_f32_e32 v19, v19, v21
	v_add_f32_e32 v24, v23, v20
	v_sub_f32_e32 v18, v18, v22
	v_sub_f32_e32 v21, v24, v23
	v_add_f32_e32 v18, v19, v18
	v_sub_f32_e32 v19, v20, v21
	v_add_f32_e32 v18, v18, v19
	v_add_f32_e32 v18, v24, v18
	v_cndmask_b32_e64 v18, 0x7f800000, v18, s7
	v_cmp_gt_f32_e64 s7, 0x33800000, |v5|
	v_cndmask_b32_e64 v5, v18, v5, s7
	v_add_f32_e32 v19, v4, v5
.LBB161_148:
	s_or_b32 exec_lo, exec_lo, s8
	v_lshrrev_b32_e32 v4, 3, v0
	s_mov_b32 s9, exec_lo
	v_and_b32_e32 v4, 4, v4
	v_lshl_add_u32 v4, v0, 2, v4
	ds_write_b32 v4, v19
	s_waitcnt lgkmcnt(0)
	s_barrier
	buffer_gl0_inv
	v_cmpx_gt_u32_e32 32, v0
	s_cbranch_execz .LBB161_176
; %bb.149:
	v_lshrrev_b32_e32 v4, 2, v0
	v_lshlrev_b32_e32 v5, 3, v0
	v_and_b32_e32 v4, 12, v4
	v_add_nc_u32_e32 v18, v4, v5
	ds_read2_b32 v[4:5], v18 offset1:1
	s_waitcnt lgkmcnt(0)
	v_max_f32_e32 v21, v5, v5
	v_max_f32_e32 v20, v4, v4
	v_cmp_u_f32_e64 s7, v4, v4
	v_cmp_u_f32_e64 s8, v5, v5
	v_min_f32_e32 v22, v20, v21
	v_max_f32_e32 v21, v20, v21
	v_cndmask_b32_e64 v22, v22, v4, s7
	v_cndmask_b32_e64 v23, v21, v4, s7
	;; [unrolled: 1-line block ×4, first 2 shown]
	v_mov_b32_e32 v22, v4
	v_cmp_class_f32_e64 s12, v21, 0x1f8
	v_cmp_neq_f32_e64 s8, v21, v5
	s_or_b32 s8, s8, s12
	s_and_saveexec_b32 s12, s8
	s_cbranch_execz .LBB161_151
; %bb.150:
	v_sub_f32_e32 v21, v21, v5
	v_mul_f32_e32 v22, 0x3fb8aa3b, v21
	v_cmp_ngt_f32_e64 s8, 0xc2ce8ed0, v21
	v_fma_f32 v23, 0x3fb8aa3b, v21, -v22
	v_rndne_f32_e32 v24, v22
	v_fmamk_f32 v23, v21, 0x32a5705f, v23
	v_sub_f32_e32 v22, v22, v24
	v_add_f32_e32 v22, v22, v23
	v_cvt_i32_f32_e32 v23, v24
	v_exp_f32_e32 v22, v22
	v_ldexp_f32 v22, v22, v23
	v_cndmask_b32_e64 v22, 0, v22, s8
	v_cmp_nlt_f32_e64 s8, 0x42b17218, v21
	v_cndmask_b32_e64 v23, 0x7f800000, v22, s8
	v_add_f32_e32 v24, 1.0, v23
	v_cvt_f64_f32_e32 v[21:22], v24
	v_frexp_exp_i32_f64_e32 v21, v[21:22]
	v_frexp_mant_f32_e32 v22, v24
	v_cmp_gt_f32_e64 s8, 0x3f2aaaab, v22
	v_add_f32_e32 v22, -1.0, v24
	v_sub_f32_e32 v26, v22, v24
	v_sub_f32_e32 v22, v23, v22
	v_add_f32_e32 v26, 1.0, v26
	v_add_f32_e32 v22, v22, v26
	v_subrev_co_ci_u32_e64 v21, null, 0, v21, s8
	s_mov_b32 s8, 0x3e9b6dac
	v_sub_nc_u32_e32 v25, 0, v21
	v_cvt_f32_i32_e32 v21, v21
	v_ldexp_f32 v24, v24, v25
	v_ldexp_f32 v22, v22, v25
	v_add_f32_e32 v27, 1.0, v24
	v_add_f32_e32 v25, -1.0, v24
	v_add_f32_e32 v26, -1.0, v27
	v_add_f32_e32 v28, 1.0, v25
	v_sub_f32_e32 v26, v24, v26
	v_sub_f32_e32 v24, v24, v28
	v_add_f32_e32 v26, v22, v26
	v_add_f32_e32 v22, v22, v24
	;; [unrolled: 1-line block ×4, first 2 shown]
	v_rcp_f32_e32 v24, v28
	v_sub_f32_e32 v27, v27, v28
	v_sub_f32_e32 v25, v25, v29
	v_add_f32_e32 v26, v26, v27
	v_add_f32_e32 v22, v22, v25
	v_mul_f32_e32 v30, v29, v24
	v_mul_f32_e32 v31, v28, v30
	v_fma_f32 v27, v30, v28, -v31
	v_fmac_f32_e32 v27, v30, v26
	v_add_f32_e32 v32, v31, v27
	v_sub_f32_e32 v33, v29, v32
	v_sub_f32_e32 v25, v32, v31
	;; [unrolled: 1-line block ×5, first 2 shown]
	v_add_f32_e32 v22, v22, v29
	v_add_f32_e32 v22, v25, v22
	;; [unrolled: 1-line block ×3, first 2 shown]
	v_mul_f32_e32 v27, v24, v25
	v_sub_f32_e32 v32, v33, v25
	v_mul_f32_e32 v29, v28, v27
	v_add_f32_e32 v22, v22, v32
	v_fma_f32 v28, v27, v28, -v29
	v_fmac_f32_e32 v28, v27, v26
	v_add_f32_e32 v26, v29, v28
	v_sub_f32_e32 v31, v25, v26
	v_sub_f32_e32 v29, v26, v29
	;; [unrolled: 1-line block ×5, first 2 shown]
	v_add_f32_e32 v22, v22, v25
	v_add_f32_e32 v25, v30, v27
	;; [unrolled: 1-line block ×3, first 2 shown]
	v_sub_f32_e32 v26, v25, v30
	v_add_f32_e32 v22, v31, v22
	v_sub_f32_e32 v26, v27, v26
	v_mul_f32_e32 v22, v24, v22
	v_add_f32_e32 v22, v26, v22
	v_add_f32_e32 v24, v25, v22
	v_mul_f32_e32 v26, v24, v24
	v_fmaak_f32 v27, s8, v26, 0x3ecc95a3
	v_mul_f32_e32 v28, v24, v26
	v_cmp_neq_f32_e64 s8, 0x7f800000, v23
	v_fmaak_f32 v26, v26, v27, 0x3f2aaada
	v_ldexp_f32 v27, v24, 1
	v_sub_f32_e32 v24, v24, v25
	v_mul_f32_e32 v26, v28, v26
	v_mul_f32_e32 v28, 0x3f317218, v21
	v_sub_f32_e32 v22, v22, v24
	v_add_f32_e32 v25, v27, v26
	v_ldexp_f32 v22, v22, 1
	v_sub_f32_e32 v24, v25, v27
	v_fma_f32 v27, 0x3f317218, v21, -v28
	v_sub_f32_e32 v24, v26, v24
	v_fmamk_f32 v21, v21, 0xb102e308, v27
	v_add_f32_e32 v22, v22, v24
	v_add_f32_e32 v24, v28, v21
	;; [unrolled: 1-line block ×3, first 2 shown]
	v_sub_f32_e32 v28, v24, v28
	v_add_f32_e32 v27, v24, v26
	v_sub_f32_e32 v25, v26, v25
	v_sub_f32_e32 v21, v21, v28
	;; [unrolled: 1-line block ×6, first 2 shown]
	v_add_f32_e32 v26, v21, v22
	v_sub_f32_e32 v24, v24, v30
	v_add_f32_e32 v24, v25, v24
	v_sub_f32_e32 v25, v26, v21
	;; [unrolled: 2-line block ×3, first 2 shown]
	v_sub_f32_e32 v22, v22, v25
	v_add_f32_e32 v28, v27, v24
	v_sub_f32_e32 v21, v21, v26
	v_sub_f32_e32 v25, v28, v27
	v_add_f32_e32 v21, v22, v21
	v_sub_f32_e32 v22, v24, v25
	v_add_f32_e32 v21, v21, v22
	v_add_f32_e32 v21, v28, v21
	v_cndmask_b32_e64 v21, 0x7f800000, v21, s8
	v_cmp_gt_f32_e64 s8, 0x33800000, |v23|
	v_cndmask_b32_e64 v21, v21, v23, s8
	v_add_f32_e32 v22, v5, v21
.LBB161_151:
	s_or_b32 exec_lo, exec_lo, s12
	v_mbcnt_lo_u32_b32 v5, -1, 0
	v_mov_b32_dpp v23, v22 row_shr:1 row_mask:0xf bank_mask:0xf
	s_mov_b32 s12, exec_lo
	v_and_b32_e32 v21, 15, v5
	v_cmpx_ne_u32_e32 0, v21
	s_xor_b32 s12, exec_lo, s12
	s_cbranch_execz .LBB161_155
; %bb.152:
	v_max_f32_e32 v24, v22, v22
	v_max_f32_e32 v25, v23, v23
	v_cmp_u_f32_e64 s8, v23, v23
	v_min_f32_e32 v26, v25, v24
	v_max_f32_e32 v24, v25, v24
	v_cndmask_b32_e64 v25, v26, v23, s8
	v_cndmask_b32_e64 v26, v24, v23, s8
	v_cmp_u_f32_e64 s8, v22, v22
	v_cndmask_b32_e64 v24, v25, v22, s8
	v_cndmask_b32_e64 v22, v26, v22, s8
	v_cmp_class_f32_e64 s13, v24, 0x1f8
	v_cmp_neq_f32_e64 s8, v24, v22
	s_or_b32 s8, s8, s13
	s_and_saveexec_b32 s13, s8
	s_cbranch_execz .LBB161_154
; %bb.153:
	v_sub_f32_e32 v23, v24, v22
	v_mul_f32_e32 v24, 0x3fb8aa3b, v23
	v_cmp_ngt_f32_e64 s8, 0xc2ce8ed0, v23
	v_fma_f32 v25, 0x3fb8aa3b, v23, -v24
	v_rndne_f32_e32 v26, v24
	v_fmamk_f32 v25, v23, 0x32a5705f, v25
	v_sub_f32_e32 v24, v24, v26
	v_add_f32_e32 v24, v24, v25
	v_cvt_i32_f32_e32 v25, v26
	v_exp_f32_e32 v24, v24
	v_ldexp_f32 v24, v24, v25
	v_cndmask_b32_e64 v24, 0, v24, s8
	v_cmp_nlt_f32_e64 s8, 0x42b17218, v23
	v_cndmask_b32_e64 v25, 0x7f800000, v24, s8
	v_add_f32_e32 v26, 1.0, v25
	v_cvt_f64_f32_e32 v[23:24], v26
	v_frexp_exp_i32_f64_e32 v23, v[23:24]
	v_frexp_mant_f32_e32 v24, v26
	v_cmp_gt_f32_e64 s8, 0x3f2aaaab, v24
	v_add_f32_e32 v24, -1.0, v26
	v_sub_f32_e32 v28, v24, v26
	v_sub_f32_e32 v24, v25, v24
	v_add_f32_e32 v28, 1.0, v28
	v_add_f32_e32 v24, v24, v28
	v_subrev_co_ci_u32_e64 v23, null, 0, v23, s8
	s_mov_b32 s8, 0x3e9b6dac
	v_sub_nc_u32_e32 v27, 0, v23
	v_cvt_f32_i32_e32 v23, v23
	v_ldexp_f32 v26, v26, v27
	v_ldexp_f32 v24, v24, v27
	v_add_f32_e32 v29, 1.0, v26
	v_add_f32_e32 v27, -1.0, v26
	v_add_f32_e32 v28, -1.0, v29
	v_add_f32_e32 v30, 1.0, v27
	v_sub_f32_e32 v28, v26, v28
	v_sub_f32_e32 v26, v26, v30
	v_add_f32_e32 v28, v24, v28
	v_add_f32_e32 v24, v24, v26
	;; [unrolled: 1-line block ×4, first 2 shown]
	v_rcp_f32_e32 v26, v30
	v_sub_f32_e32 v29, v29, v30
	v_sub_f32_e32 v27, v27, v31
	v_add_f32_e32 v28, v28, v29
	v_add_f32_e32 v24, v24, v27
	v_mul_f32_e32 v32, v31, v26
	v_mul_f32_e32 v33, v30, v32
	v_fma_f32 v29, v32, v30, -v33
	v_fmac_f32_e32 v29, v32, v28
	v_add_f32_e32 v34, v33, v29
	v_sub_f32_e32 v35, v31, v34
	v_sub_f32_e32 v27, v34, v33
	;; [unrolled: 1-line block ×5, first 2 shown]
	v_add_f32_e32 v24, v24, v31
	v_add_f32_e32 v24, v27, v24
	;; [unrolled: 1-line block ×3, first 2 shown]
	v_mul_f32_e32 v29, v26, v27
	v_sub_f32_e32 v34, v35, v27
	v_mul_f32_e32 v31, v30, v29
	v_add_f32_e32 v24, v24, v34
	v_fma_f32 v30, v29, v30, -v31
	v_fmac_f32_e32 v30, v29, v28
	v_add_f32_e32 v28, v31, v30
	v_sub_f32_e32 v33, v27, v28
	v_sub_f32_e32 v31, v28, v31
	;; [unrolled: 1-line block ×5, first 2 shown]
	v_add_f32_e32 v24, v24, v27
	v_add_f32_e32 v27, v32, v29
	;; [unrolled: 1-line block ×3, first 2 shown]
	v_sub_f32_e32 v28, v27, v32
	v_add_f32_e32 v24, v33, v24
	v_sub_f32_e32 v28, v29, v28
	v_mul_f32_e32 v24, v26, v24
	v_add_f32_e32 v24, v28, v24
	v_add_f32_e32 v26, v27, v24
	v_mul_f32_e32 v28, v26, v26
	v_fmaak_f32 v29, s8, v28, 0x3ecc95a3
	v_mul_f32_e32 v30, v26, v28
	v_cmp_neq_f32_e64 s8, 0x7f800000, v25
	v_fmaak_f32 v28, v28, v29, 0x3f2aaada
	v_ldexp_f32 v29, v26, 1
	v_sub_f32_e32 v26, v26, v27
	v_mul_f32_e32 v28, v30, v28
	v_mul_f32_e32 v30, 0x3f317218, v23
	v_sub_f32_e32 v24, v24, v26
	v_add_f32_e32 v27, v29, v28
	v_ldexp_f32 v24, v24, 1
	v_sub_f32_e32 v26, v27, v29
	v_fma_f32 v29, 0x3f317218, v23, -v30
	v_sub_f32_e32 v26, v28, v26
	v_fmamk_f32 v23, v23, 0xb102e308, v29
	v_add_f32_e32 v24, v24, v26
	v_add_f32_e32 v26, v30, v23
	;; [unrolled: 1-line block ×3, first 2 shown]
	v_sub_f32_e32 v30, v26, v30
	v_add_f32_e32 v29, v26, v28
	v_sub_f32_e32 v27, v28, v27
	v_sub_f32_e32 v23, v23, v30
	;; [unrolled: 1-line block ×6, first 2 shown]
	v_add_f32_e32 v28, v23, v24
	v_sub_f32_e32 v26, v26, v32
	v_add_f32_e32 v26, v27, v26
	v_sub_f32_e32 v27, v28, v23
	;; [unrolled: 2-line block ×3, first 2 shown]
	v_sub_f32_e32 v24, v24, v27
	v_add_f32_e32 v30, v29, v26
	v_sub_f32_e32 v23, v23, v28
	v_sub_f32_e32 v27, v30, v29
	v_add_f32_e32 v23, v24, v23
	v_sub_f32_e32 v24, v26, v27
	v_add_f32_e32 v23, v23, v24
	v_add_f32_e32 v23, v30, v23
	v_cndmask_b32_e64 v23, 0x7f800000, v23, s8
	v_cmp_gt_f32_e64 s8, 0x33800000, |v25|
	v_cndmask_b32_e64 v23, v23, v25, s8
	v_add_f32_e32 v23, v22, v23
.LBB161_154:
	s_or_b32 exec_lo, exec_lo, s13
	v_mov_b32_e32 v22, v23
.LBB161_155:
	s_or_b32 exec_lo, exec_lo, s12
	v_mov_b32_dpp v23, v22 row_shr:2 row_mask:0xf bank_mask:0xf
	s_mov_b32 s12, exec_lo
	v_cmpx_lt_u32_e32 1, v21
	s_cbranch_execz .LBB161_159
; %bb.156:
	v_max_f32_e32 v24, v22, v22
	v_max_f32_e32 v25, v23, v23
	v_cmp_u_f32_e64 s8, v23, v23
	v_min_f32_e32 v26, v25, v24
	v_max_f32_e32 v24, v25, v24
	v_cndmask_b32_e64 v25, v26, v23, s8
	v_cndmask_b32_e64 v26, v24, v23, s8
	v_cmp_u_f32_e64 s8, v22, v22
	v_cndmask_b32_e64 v24, v25, v22, s8
	v_cndmask_b32_e64 v22, v26, v22, s8
	v_cmp_class_f32_e64 s13, v24, 0x1f8
	v_cmp_neq_f32_e64 s8, v24, v22
	s_or_b32 s8, s8, s13
	s_and_saveexec_b32 s13, s8
	s_cbranch_execz .LBB161_158
; %bb.157:
	v_sub_f32_e32 v23, v24, v22
	v_mul_f32_e32 v24, 0x3fb8aa3b, v23
	v_cmp_ngt_f32_e64 s8, 0xc2ce8ed0, v23
	v_fma_f32 v25, 0x3fb8aa3b, v23, -v24
	v_rndne_f32_e32 v26, v24
	v_fmamk_f32 v25, v23, 0x32a5705f, v25
	v_sub_f32_e32 v24, v24, v26
	v_add_f32_e32 v24, v24, v25
	v_cvt_i32_f32_e32 v25, v26
	v_exp_f32_e32 v24, v24
	v_ldexp_f32 v24, v24, v25
	v_cndmask_b32_e64 v24, 0, v24, s8
	v_cmp_nlt_f32_e64 s8, 0x42b17218, v23
	v_cndmask_b32_e64 v25, 0x7f800000, v24, s8
	v_add_f32_e32 v26, 1.0, v25
	v_cvt_f64_f32_e32 v[23:24], v26
	v_frexp_exp_i32_f64_e32 v23, v[23:24]
	v_frexp_mant_f32_e32 v24, v26
	v_cmp_gt_f32_e64 s8, 0x3f2aaaab, v24
	v_add_f32_e32 v24, -1.0, v26
	v_sub_f32_e32 v28, v24, v26
	v_sub_f32_e32 v24, v25, v24
	v_add_f32_e32 v28, 1.0, v28
	v_add_f32_e32 v24, v24, v28
	v_subrev_co_ci_u32_e64 v23, null, 0, v23, s8
	s_mov_b32 s8, 0x3e9b6dac
	v_sub_nc_u32_e32 v27, 0, v23
	v_cvt_f32_i32_e32 v23, v23
	v_ldexp_f32 v26, v26, v27
	v_ldexp_f32 v24, v24, v27
	v_add_f32_e32 v29, 1.0, v26
	v_add_f32_e32 v27, -1.0, v26
	v_add_f32_e32 v28, -1.0, v29
	v_add_f32_e32 v30, 1.0, v27
	v_sub_f32_e32 v28, v26, v28
	v_sub_f32_e32 v26, v26, v30
	v_add_f32_e32 v28, v24, v28
	v_add_f32_e32 v24, v24, v26
	;; [unrolled: 1-line block ×4, first 2 shown]
	v_rcp_f32_e32 v26, v30
	v_sub_f32_e32 v29, v29, v30
	v_sub_f32_e32 v27, v27, v31
	v_add_f32_e32 v28, v28, v29
	v_add_f32_e32 v24, v24, v27
	v_mul_f32_e32 v32, v31, v26
	v_mul_f32_e32 v33, v30, v32
	v_fma_f32 v29, v32, v30, -v33
	v_fmac_f32_e32 v29, v32, v28
	v_add_f32_e32 v34, v33, v29
	v_sub_f32_e32 v35, v31, v34
	v_sub_f32_e32 v27, v34, v33
	v_sub_f32_e32 v31, v31, v35
	v_sub_f32_e32 v27, v27, v29
	v_sub_f32_e32 v31, v31, v34
	v_add_f32_e32 v24, v24, v31
	v_add_f32_e32 v24, v27, v24
	;; [unrolled: 1-line block ×3, first 2 shown]
	v_mul_f32_e32 v29, v26, v27
	v_sub_f32_e32 v34, v35, v27
	v_mul_f32_e32 v31, v30, v29
	v_add_f32_e32 v24, v24, v34
	v_fma_f32 v30, v29, v30, -v31
	v_fmac_f32_e32 v30, v29, v28
	v_add_f32_e32 v28, v31, v30
	v_sub_f32_e32 v33, v27, v28
	v_sub_f32_e32 v31, v28, v31
	;; [unrolled: 1-line block ×5, first 2 shown]
	v_add_f32_e32 v24, v24, v27
	v_add_f32_e32 v27, v32, v29
	;; [unrolled: 1-line block ×3, first 2 shown]
	v_sub_f32_e32 v28, v27, v32
	v_add_f32_e32 v24, v33, v24
	v_sub_f32_e32 v28, v29, v28
	v_mul_f32_e32 v24, v26, v24
	v_add_f32_e32 v24, v28, v24
	v_add_f32_e32 v26, v27, v24
	v_mul_f32_e32 v28, v26, v26
	v_fmaak_f32 v29, s8, v28, 0x3ecc95a3
	v_mul_f32_e32 v30, v26, v28
	v_cmp_neq_f32_e64 s8, 0x7f800000, v25
	v_fmaak_f32 v28, v28, v29, 0x3f2aaada
	v_ldexp_f32 v29, v26, 1
	v_sub_f32_e32 v26, v26, v27
	v_mul_f32_e32 v28, v30, v28
	v_mul_f32_e32 v30, 0x3f317218, v23
	v_sub_f32_e32 v24, v24, v26
	v_add_f32_e32 v27, v29, v28
	v_ldexp_f32 v24, v24, 1
	v_sub_f32_e32 v26, v27, v29
	v_fma_f32 v29, 0x3f317218, v23, -v30
	v_sub_f32_e32 v26, v28, v26
	v_fmamk_f32 v23, v23, 0xb102e308, v29
	v_add_f32_e32 v24, v24, v26
	v_add_f32_e32 v26, v30, v23
	;; [unrolled: 1-line block ×3, first 2 shown]
	v_sub_f32_e32 v30, v26, v30
	v_add_f32_e32 v29, v26, v28
	v_sub_f32_e32 v27, v28, v27
	v_sub_f32_e32 v23, v23, v30
	;; [unrolled: 1-line block ×6, first 2 shown]
	v_add_f32_e32 v28, v23, v24
	v_sub_f32_e32 v26, v26, v32
	v_add_f32_e32 v26, v27, v26
	v_sub_f32_e32 v27, v28, v23
	;; [unrolled: 2-line block ×3, first 2 shown]
	v_sub_f32_e32 v24, v24, v27
	v_add_f32_e32 v30, v29, v26
	v_sub_f32_e32 v23, v23, v28
	v_sub_f32_e32 v27, v30, v29
	v_add_f32_e32 v23, v24, v23
	v_sub_f32_e32 v24, v26, v27
	v_add_f32_e32 v23, v23, v24
	v_add_f32_e32 v23, v30, v23
	v_cndmask_b32_e64 v23, 0x7f800000, v23, s8
	v_cmp_gt_f32_e64 s8, 0x33800000, |v25|
	v_cndmask_b32_e64 v23, v23, v25, s8
	v_add_f32_e32 v23, v22, v23
.LBB161_158:
	s_or_b32 exec_lo, exec_lo, s13
	v_mov_b32_e32 v22, v23
.LBB161_159:
	s_or_b32 exec_lo, exec_lo, s12
	v_mov_b32_dpp v23, v22 row_shr:4 row_mask:0xf bank_mask:0xf
	s_mov_b32 s12, exec_lo
	v_cmpx_lt_u32_e32 3, v21
	s_cbranch_execz .LBB161_163
; %bb.160:
	v_max_f32_e32 v24, v22, v22
	v_max_f32_e32 v25, v23, v23
	v_cmp_u_f32_e64 s8, v23, v23
	v_min_f32_e32 v26, v25, v24
	v_max_f32_e32 v24, v25, v24
	v_cndmask_b32_e64 v25, v26, v23, s8
	v_cndmask_b32_e64 v26, v24, v23, s8
	v_cmp_u_f32_e64 s8, v22, v22
	v_cndmask_b32_e64 v24, v25, v22, s8
	v_cndmask_b32_e64 v22, v26, v22, s8
	v_cmp_class_f32_e64 s13, v24, 0x1f8
	v_cmp_neq_f32_e64 s8, v24, v22
	s_or_b32 s8, s8, s13
	s_and_saveexec_b32 s13, s8
	s_cbranch_execz .LBB161_162
; %bb.161:
	v_sub_f32_e32 v23, v24, v22
	v_mul_f32_e32 v24, 0x3fb8aa3b, v23
	v_cmp_ngt_f32_e64 s8, 0xc2ce8ed0, v23
	v_fma_f32 v25, 0x3fb8aa3b, v23, -v24
	v_rndne_f32_e32 v26, v24
	v_fmamk_f32 v25, v23, 0x32a5705f, v25
	v_sub_f32_e32 v24, v24, v26
	v_add_f32_e32 v24, v24, v25
	v_cvt_i32_f32_e32 v25, v26
	v_exp_f32_e32 v24, v24
	v_ldexp_f32 v24, v24, v25
	v_cndmask_b32_e64 v24, 0, v24, s8
	v_cmp_nlt_f32_e64 s8, 0x42b17218, v23
	v_cndmask_b32_e64 v25, 0x7f800000, v24, s8
	v_add_f32_e32 v26, 1.0, v25
	v_cvt_f64_f32_e32 v[23:24], v26
	v_frexp_exp_i32_f64_e32 v23, v[23:24]
	v_frexp_mant_f32_e32 v24, v26
	v_cmp_gt_f32_e64 s8, 0x3f2aaaab, v24
	v_add_f32_e32 v24, -1.0, v26
	v_sub_f32_e32 v28, v24, v26
	v_sub_f32_e32 v24, v25, v24
	v_add_f32_e32 v28, 1.0, v28
	v_add_f32_e32 v24, v24, v28
	v_subrev_co_ci_u32_e64 v23, null, 0, v23, s8
	s_mov_b32 s8, 0x3e9b6dac
	v_sub_nc_u32_e32 v27, 0, v23
	v_cvt_f32_i32_e32 v23, v23
	v_ldexp_f32 v26, v26, v27
	v_ldexp_f32 v24, v24, v27
	v_add_f32_e32 v29, 1.0, v26
	v_add_f32_e32 v27, -1.0, v26
	v_add_f32_e32 v28, -1.0, v29
	v_add_f32_e32 v30, 1.0, v27
	v_sub_f32_e32 v28, v26, v28
	v_sub_f32_e32 v26, v26, v30
	v_add_f32_e32 v28, v24, v28
	v_add_f32_e32 v24, v24, v26
	;; [unrolled: 1-line block ×4, first 2 shown]
	v_rcp_f32_e32 v26, v30
	v_sub_f32_e32 v29, v29, v30
	v_sub_f32_e32 v27, v27, v31
	v_add_f32_e32 v28, v28, v29
	v_add_f32_e32 v24, v24, v27
	v_mul_f32_e32 v32, v31, v26
	v_mul_f32_e32 v33, v30, v32
	v_fma_f32 v29, v32, v30, -v33
	v_fmac_f32_e32 v29, v32, v28
	v_add_f32_e32 v34, v33, v29
	v_sub_f32_e32 v35, v31, v34
	v_sub_f32_e32 v27, v34, v33
	;; [unrolled: 1-line block ×5, first 2 shown]
	v_add_f32_e32 v24, v24, v31
	v_add_f32_e32 v24, v27, v24
	;; [unrolled: 1-line block ×3, first 2 shown]
	v_mul_f32_e32 v29, v26, v27
	v_sub_f32_e32 v34, v35, v27
	v_mul_f32_e32 v31, v30, v29
	v_add_f32_e32 v24, v24, v34
	v_fma_f32 v30, v29, v30, -v31
	v_fmac_f32_e32 v30, v29, v28
	v_add_f32_e32 v28, v31, v30
	v_sub_f32_e32 v33, v27, v28
	v_sub_f32_e32 v31, v28, v31
	;; [unrolled: 1-line block ×5, first 2 shown]
	v_add_f32_e32 v24, v24, v27
	v_add_f32_e32 v27, v32, v29
	;; [unrolled: 1-line block ×3, first 2 shown]
	v_sub_f32_e32 v28, v27, v32
	v_add_f32_e32 v24, v33, v24
	v_sub_f32_e32 v28, v29, v28
	v_mul_f32_e32 v24, v26, v24
	v_add_f32_e32 v24, v28, v24
	v_add_f32_e32 v26, v27, v24
	v_mul_f32_e32 v28, v26, v26
	v_fmaak_f32 v29, s8, v28, 0x3ecc95a3
	v_mul_f32_e32 v30, v26, v28
	v_cmp_neq_f32_e64 s8, 0x7f800000, v25
	v_fmaak_f32 v28, v28, v29, 0x3f2aaada
	v_ldexp_f32 v29, v26, 1
	v_sub_f32_e32 v26, v26, v27
	v_mul_f32_e32 v28, v30, v28
	v_mul_f32_e32 v30, 0x3f317218, v23
	v_sub_f32_e32 v24, v24, v26
	v_add_f32_e32 v27, v29, v28
	v_ldexp_f32 v24, v24, 1
	v_sub_f32_e32 v26, v27, v29
	v_fma_f32 v29, 0x3f317218, v23, -v30
	v_sub_f32_e32 v26, v28, v26
	v_fmamk_f32 v23, v23, 0xb102e308, v29
	v_add_f32_e32 v24, v24, v26
	v_add_f32_e32 v26, v30, v23
	;; [unrolled: 1-line block ×3, first 2 shown]
	v_sub_f32_e32 v30, v26, v30
	v_add_f32_e32 v29, v26, v28
	v_sub_f32_e32 v27, v28, v27
	v_sub_f32_e32 v23, v23, v30
	;; [unrolled: 1-line block ×6, first 2 shown]
	v_add_f32_e32 v28, v23, v24
	v_sub_f32_e32 v26, v26, v32
	v_add_f32_e32 v26, v27, v26
	v_sub_f32_e32 v27, v28, v23
	v_add_f32_e32 v26, v28, v26
	v_sub_f32_e32 v28, v28, v27
	v_sub_f32_e32 v24, v24, v27
	v_add_f32_e32 v30, v29, v26
	v_sub_f32_e32 v23, v23, v28
	v_sub_f32_e32 v27, v30, v29
	v_add_f32_e32 v23, v24, v23
	v_sub_f32_e32 v24, v26, v27
	v_add_f32_e32 v23, v23, v24
	v_add_f32_e32 v23, v30, v23
	v_cndmask_b32_e64 v23, 0x7f800000, v23, s8
	v_cmp_gt_f32_e64 s8, 0x33800000, |v25|
	v_cndmask_b32_e64 v23, v23, v25, s8
	v_add_f32_e32 v23, v22, v23
.LBB161_162:
	s_or_b32 exec_lo, exec_lo, s13
	v_mov_b32_e32 v22, v23
.LBB161_163:
	s_or_b32 exec_lo, exec_lo, s12
	v_mov_b32_dpp v23, v22 row_shr:8 row_mask:0xf bank_mask:0xf
	s_mov_b32 s12, exec_lo
	v_cmpx_lt_u32_e32 7, v21
	s_cbranch_execz .LBB161_167
; %bb.164:
	v_max_f32_e32 v21, v22, v22
	v_max_f32_e32 v24, v23, v23
	v_cmp_u_f32_e64 s8, v23, v23
	v_min_f32_e32 v25, v24, v21
	v_max_f32_e32 v21, v24, v21
	v_cndmask_b32_e64 v24, v25, v23, s8
	v_cndmask_b32_e64 v21, v21, v23, s8
	v_cmp_u_f32_e64 s8, v22, v22
	v_cndmask_b32_e64 v24, v24, v22, s8
	v_cndmask_b32_e64 v21, v21, v22, s8
	v_cmp_class_f32_e64 s13, v24, 0x1f8
	v_cmp_neq_f32_e64 s8, v24, v21
	s_or_b32 s8, s8, s13
	s_and_saveexec_b32 s13, s8
	s_cbranch_execz .LBB161_166
; %bb.165:
	v_sub_f32_e32 v22, v24, v21
	v_mul_f32_e32 v23, 0x3fb8aa3b, v22
	v_cmp_ngt_f32_e64 s8, 0xc2ce8ed0, v22
	v_fma_f32 v24, 0x3fb8aa3b, v22, -v23
	v_rndne_f32_e32 v25, v23
	v_fmamk_f32 v24, v22, 0x32a5705f, v24
	v_sub_f32_e32 v23, v23, v25
	v_add_f32_e32 v23, v23, v24
	v_cvt_i32_f32_e32 v24, v25
	v_exp_f32_e32 v23, v23
	v_ldexp_f32 v23, v23, v24
	v_cndmask_b32_e64 v23, 0, v23, s8
	v_cmp_nlt_f32_e64 s8, 0x42b17218, v22
	v_cndmask_b32_e64 v24, 0x7f800000, v23, s8
	v_add_f32_e32 v25, 1.0, v24
	v_cvt_f64_f32_e32 v[22:23], v25
	v_frexp_exp_i32_f64_e32 v22, v[22:23]
	v_frexp_mant_f32_e32 v23, v25
	v_cmp_gt_f32_e64 s8, 0x3f2aaaab, v23
	v_add_f32_e32 v23, -1.0, v25
	v_sub_f32_e32 v27, v23, v25
	v_sub_f32_e32 v23, v24, v23
	v_add_f32_e32 v27, 1.0, v27
	v_add_f32_e32 v23, v23, v27
	v_subrev_co_ci_u32_e64 v22, null, 0, v22, s8
	s_mov_b32 s8, 0x3e9b6dac
	v_sub_nc_u32_e32 v26, 0, v22
	v_cvt_f32_i32_e32 v22, v22
	v_ldexp_f32 v25, v25, v26
	v_ldexp_f32 v23, v23, v26
	v_add_f32_e32 v28, 1.0, v25
	v_add_f32_e32 v26, -1.0, v25
	v_add_f32_e32 v27, -1.0, v28
	v_add_f32_e32 v29, 1.0, v26
	v_sub_f32_e32 v27, v25, v27
	v_sub_f32_e32 v25, v25, v29
	v_add_f32_e32 v27, v23, v27
	v_add_f32_e32 v23, v23, v25
	;; [unrolled: 1-line block ×4, first 2 shown]
	v_rcp_f32_e32 v25, v29
	v_sub_f32_e32 v28, v28, v29
	v_sub_f32_e32 v26, v26, v30
	v_add_f32_e32 v27, v27, v28
	v_add_f32_e32 v23, v23, v26
	v_mul_f32_e32 v31, v30, v25
	v_mul_f32_e32 v32, v29, v31
	v_fma_f32 v28, v31, v29, -v32
	v_fmac_f32_e32 v28, v31, v27
	v_add_f32_e32 v33, v32, v28
	v_sub_f32_e32 v34, v30, v33
	v_sub_f32_e32 v26, v33, v32
	;; [unrolled: 1-line block ×5, first 2 shown]
	v_add_f32_e32 v23, v23, v30
	v_add_f32_e32 v23, v26, v23
	;; [unrolled: 1-line block ×3, first 2 shown]
	v_mul_f32_e32 v28, v25, v26
	v_sub_f32_e32 v33, v34, v26
	v_mul_f32_e32 v30, v29, v28
	v_add_f32_e32 v23, v23, v33
	v_fma_f32 v29, v28, v29, -v30
	v_fmac_f32_e32 v29, v28, v27
	v_add_f32_e32 v27, v30, v29
	v_sub_f32_e32 v32, v26, v27
	v_sub_f32_e32 v30, v27, v30
	;; [unrolled: 1-line block ×5, first 2 shown]
	v_add_f32_e32 v23, v23, v26
	v_add_f32_e32 v26, v31, v28
	;; [unrolled: 1-line block ×3, first 2 shown]
	v_sub_f32_e32 v27, v26, v31
	v_add_f32_e32 v23, v32, v23
	v_sub_f32_e32 v27, v28, v27
	v_mul_f32_e32 v23, v25, v23
	v_add_f32_e32 v23, v27, v23
	v_add_f32_e32 v25, v26, v23
	v_mul_f32_e32 v27, v25, v25
	v_fmaak_f32 v28, s8, v27, 0x3ecc95a3
	v_mul_f32_e32 v29, v25, v27
	v_cmp_neq_f32_e64 s8, 0x7f800000, v24
	v_fmaak_f32 v27, v27, v28, 0x3f2aaada
	v_ldexp_f32 v28, v25, 1
	v_sub_f32_e32 v25, v25, v26
	v_mul_f32_e32 v27, v29, v27
	v_mul_f32_e32 v29, 0x3f317218, v22
	v_sub_f32_e32 v23, v23, v25
	v_add_f32_e32 v26, v28, v27
	v_ldexp_f32 v23, v23, 1
	v_sub_f32_e32 v25, v26, v28
	v_fma_f32 v28, 0x3f317218, v22, -v29
	v_sub_f32_e32 v25, v27, v25
	v_fmamk_f32 v22, v22, 0xb102e308, v28
	v_add_f32_e32 v23, v23, v25
	v_add_f32_e32 v25, v29, v22
	;; [unrolled: 1-line block ×3, first 2 shown]
	v_sub_f32_e32 v29, v25, v29
	v_add_f32_e32 v28, v25, v27
	v_sub_f32_e32 v26, v27, v26
	v_sub_f32_e32 v22, v22, v29
	;; [unrolled: 1-line block ×6, first 2 shown]
	v_add_f32_e32 v27, v22, v23
	v_sub_f32_e32 v25, v25, v31
	v_add_f32_e32 v25, v26, v25
	v_sub_f32_e32 v26, v27, v22
	;; [unrolled: 2-line block ×3, first 2 shown]
	v_sub_f32_e32 v23, v23, v26
	v_add_f32_e32 v29, v28, v25
	v_sub_f32_e32 v22, v22, v27
	v_sub_f32_e32 v26, v29, v28
	v_add_f32_e32 v22, v23, v22
	v_sub_f32_e32 v23, v25, v26
	v_add_f32_e32 v22, v22, v23
	v_add_f32_e32 v22, v29, v22
	v_cndmask_b32_e64 v22, 0x7f800000, v22, s8
	v_cmp_gt_f32_e64 s8, 0x33800000, |v24|
	v_cndmask_b32_e64 v22, v22, v24, s8
	v_add_f32_e32 v23, v21, v22
.LBB161_166:
	s_or_b32 exec_lo, exec_lo, s13
	v_mov_b32_e32 v22, v23
.LBB161_167:
	s_or_b32 exec_lo, exec_lo, s12
	ds_swizzle_b32 v23, v22 offset:swizzle(BROADCAST,32,15)
	v_and_b32_e32 v21, 16, v5
	s_mov_b32 s12, exec_lo
	v_cmpx_ne_u32_e32 0, v21
	s_cbranch_execz .LBB161_171
; %bb.168:
	v_max_f32_e32 v21, v22, v22
	s_waitcnt lgkmcnt(0)
	v_max_f32_e32 v24, v23, v23
	v_cmp_u_f32_e64 s8, v23, v23
	v_min_f32_e32 v25, v24, v21
	v_max_f32_e32 v21, v24, v21
	v_cndmask_b32_e64 v24, v25, v23, s8
	v_cndmask_b32_e64 v21, v21, v23, s8
	v_cmp_u_f32_e64 s8, v22, v22
	v_cndmask_b32_e64 v24, v24, v22, s8
	v_cndmask_b32_e64 v21, v21, v22, s8
	v_cmp_class_f32_e64 s13, v24, 0x1f8
	v_cmp_neq_f32_e64 s8, v24, v21
	s_or_b32 s8, s8, s13
	s_and_saveexec_b32 s13, s8
	s_cbranch_execz .LBB161_170
; %bb.169:
	v_sub_f32_e32 v22, v24, v21
	v_mul_f32_e32 v23, 0x3fb8aa3b, v22
	v_cmp_ngt_f32_e64 s8, 0xc2ce8ed0, v22
	v_fma_f32 v24, 0x3fb8aa3b, v22, -v23
	v_rndne_f32_e32 v25, v23
	v_fmamk_f32 v24, v22, 0x32a5705f, v24
	v_sub_f32_e32 v23, v23, v25
	v_add_f32_e32 v23, v23, v24
	v_cvt_i32_f32_e32 v24, v25
	v_exp_f32_e32 v23, v23
	v_ldexp_f32 v23, v23, v24
	v_cndmask_b32_e64 v23, 0, v23, s8
	v_cmp_nlt_f32_e64 s8, 0x42b17218, v22
	v_cndmask_b32_e64 v24, 0x7f800000, v23, s8
	v_add_f32_e32 v25, 1.0, v24
	v_cvt_f64_f32_e32 v[22:23], v25
	v_frexp_exp_i32_f64_e32 v22, v[22:23]
	v_frexp_mant_f32_e32 v23, v25
	v_cmp_gt_f32_e64 s8, 0x3f2aaaab, v23
	v_add_f32_e32 v23, -1.0, v25
	v_sub_f32_e32 v27, v23, v25
	v_sub_f32_e32 v23, v24, v23
	v_add_f32_e32 v27, 1.0, v27
	v_add_f32_e32 v23, v23, v27
	v_subrev_co_ci_u32_e64 v22, null, 0, v22, s8
	s_mov_b32 s8, 0x3e9b6dac
	v_sub_nc_u32_e32 v26, 0, v22
	v_cvt_f32_i32_e32 v22, v22
	v_ldexp_f32 v25, v25, v26
	v_ldexp_f32 v23, v23, v26
	v_add_f32_e32 v28, 1.0, v25
	v_add_f32_e32 v26, -1.0, v25
	v_add_f32_e32 v27, -1.0, v28
	v_add_f32_e32 v29, 1.0, v26
	v_sub_f32_e32 v27, v25, v27
	v_sub_f32_e32 v25, v25, v29
	v_add_f32_e32 v27, v23, v27
	v_add_f32_e32 v23, v23, v25
	;; [unrolled: 1-line block ×4, first 2 shown]
	v_rcp_f32_e32 v25, v29
	v_sub_f32_e32 v28, v28, v29
	v_sub_f32_e32 v26, v26, v30
	v_add_f32_e32 v27, v27, v28
	v_add_f32_e32 v23, v23, v26
	v_mul_f32_e32 v31, v30, v25
	v_mul_f32_e32 v32, v29, v31
	v_fma_f32 v28, v31, v29, -v32
	v_fmac_f32_e32 v28, v31, v27
	v_add_f32_e32 v33, v32, v28
	v_sub_f32_e32 v34, v30, v33
	v_sub_f32_e32 v26, v33, v32
	;; [unrolled: 1-line block ×5, first 2 shown]
	v_add_f32_e32 v23, v23, v30
	v_add_f32_e32 v23, v26, v23
	;; [unrolled: 1-line block ×3, first 2 shown]
	v_mul_f32_e32 v28, v25, v26
	v_sub_f32_e32 v33, v34, v26
	v_mul_f32_e32 v30, v29, v28
	v_add_f32_e32 v23, v23, v33
	v_fma_f32 v29, v28, v29, -v30
	v_fmac_f32_e32 v29, v28, v27
	v_add_f32_e32 v27, v30, v29
	v_sub_f32_e32 v32, v26, v27
	v_sub_f32_e32 v30, v27, v30
	;; [unrolled: 1-line block ×5, first 2 shown]
	v_add_f32_e32 v23, v23, v26
	v_add_f32_e32 v26, v31, v28
	;; [unrolled: 1-line block ×3, first 2 shown]
	v_sub_f32_e32 v27, v26, v31
	v_add_f32_e32 v23, v32, v23
	v_sub_f32_e32 v27, v28, v27
	v_mul_f32_e32 v23, v25, v23
	v_add_f32_e32 v23, v27, v23
	v_add_f32_e32 v25, v26, v23
	v_mul_f32_e32 v27, v25, v25
	v_fmaak_f32 v28, s8, v27, 0x3ecc95a3
	v_mul_f32_e32 v29, v25, v27
	v_cmp_neq_f32_e64 s8, 0x7f800000, v24
	v_fmaak_f32 v27, v27, v28, 0x3f2aaada
	v_ldexp_f32 v28, v25, 1
	v_sub_f32_e32 v25, v25, v26
	v_mul_f32_e32 v27, v29, v27
	v_mul_f32_e32 v29, 0x3f317218, v22
	v_sub_f32_e32 v23, v23, v25
	v_add_f32_e32 v26, v28, v27
	v_ldexp_f32 v23, v23, 1
	v_sub_f32_e32 v25, v26, v28
	v_fma_f32 v28, 0x3f317218, v22, -v29
	v_sub_f32_e32 v25, v27, v25
	v_fmamk_f32 v22, v22, 0xb102e308, v28
	v_add_f32_e32 v23, v23, v25
	v_add_f32_e32 v25, v29, v22
	;; [unrolled: 1-line block ×3, first 2 shown]
	v_sub_f32_e32 v29, v25, v29
	v_add_f32_e32 v28, v25, v27
	v_sub_f32_e32 v26, v27, v26
	v_sub_f32_e32 v22, v22, v29
	;; [unrolled: 1-line block ×6, first 2 shown]
	v_add_f32_e32 v27, v22, v23
	v_sub_f32_e32 v25, v25, v31
	v_add_f32_e32 v25, v26, v25
	v_sub_f32_e32 v26, v27, v22
	;; [unrolled: 2-line block ×3, first 2 shown]
	v_sub_f32_e32 v23, v23, v26
	v_add_f32_e32 v29, v28, v25
	v_sub_f32_e32 v22, v22, v27
	v_sub_f32_e32 v26, v29, v28
	v_add_f32_e32 v22, v23, v22
	v_sub_f32_e32 v23, v25, v26
	v_add_f32_e32 v22, v22, v23
	v_add_f32_e32 v22, v29, v22
	v_cndmask_b32_e64 v22, 0x7f800000, v22, s8
	v_cmp_gt_f32_e64 s8, 0x33800000, |v24|
	v_cndmask_b32_e64 v22, v22, v24, s8
	v_add_f32_e32 v23, v21, v22
.LBB161_170:
	s_or_b32 exec_lo, exec_lo, s13
	v_mov_b32_e32 v22, v23
.LBB161_171:
	s_or_b32 exec_lo, exec_lo, s12
	v_add_nc_u32_e32 v21, -1, v5
	v_cmp_gt_i32_e64 s8, 0, v21
	v_cndmask_b32_e64 v5, v21, v5, s8
	v_lshlrev_b32_e32 v5, 2, v5
	ds_bpermute_b32 v5, v5, v22
	s_waitcnt lgkmcnt(0)
	v_max_f32_e32 v21, v5, v5
	v_cmp_u_f32_e64 s8, v5, v5
	v_min_f32_e32 v22, v21, v20
	v_max_f32_e32 v20, v21, v20
	v_cndmask_b32_e64 v21, v22, v5, s8
	v_cndmask_b32_e64 v22, v20, v5, s8
	;; [unrolled: 1-line block ×4, first 2 shown]
	v_cmp_class_f32_e64 s8, v20, 0x1f8
	v_cmp_neq_f32_e64 s7, v20, v4
	s_or_b32 s7, s7, s8
	s_and_saveexec_b32 s8, s7
	s_cbranch_execz .LBB161_173
; %bb.172:
	v_sub_f32_e32 v5, v20, v4
	v_mul_f32_e32 v20, 0x3fb8aa3b, v5
	v_cmp_ngt_f32_e64 s7, 0xc2ce8ed0, v5
	v_fma_f32 v21, 0x3fb8aa3b, v5, -v20
	v_rndne_f32_e32 v22, v20
	v_fmamk_f32 v21, v5, 0x32a5705f, v21
	v_sub_f32_e32 v20, v20, v22
	v_add_f32_e32 v20, v20, v21
	v_cvt_i32_f32_e32 v21, v22
	v_exp_f32_e32 v20, v20
	v_ldexp_f32 v20, v20, v21
	v_cndmask_b32_e64 v20, 0, v20, s7
	v_cmp_nlt_f32_e64 s7, 0x42b17218, v5
	v_cndmask_b32_e64 v5, 0x7f800000, v20, s7
	v_add_f32_e32 v22, 1.0, v5
	v_cvt_f64_f32_e32 v[20:21], v22
	v_frexp_exp_i32_f64_e32 v20, v[20:21]
	v_frexp_mant_f32_e32 v21, v22
	v_cmp_gt_f32_e64 s7, 0x3f2aaaab, v21
	v_add_f32_e32 v21, -1.0, v22
	v_sub_f32_e32 v24, v21, v22
	v_sub_f32_e32 v21, v5, v21
	v_add_f32_e32 v24, 1.0, v24
	v_add_f32_e32 v21, v21, v24
	v_subrev_co_ci_u32_e64 v20, null, 0, v20, s7
	s_mov_b32 s7, 0x3e9b6dac
	v_sub_nc_u32_e32 v23, 0, v20
	v_cvt_f32_i32_e32 v20, v20
	v_ldexp_f32 v22, v22, v23
	v_ldexp_f32 v21, v21, v23
	v_add_f32_e32 v25, 1.0, v22
	v_add_f32_e32 v23, -1.0, v22
	v_add_f32_e32 v24, -1.0, v25
	v_add_f32_e32 v26, 1.0, v23
	v_sub_f32_e32 v24, v22, v24
	v_sub_f32_e32 v22, v22, v26
	v_add_f32_e32 v24, v21, v24
	v_add_f32_e32 v21, v21, v22
	;; [unrolled: 1-line block ×4, first 2 shown]
	v_rcp_f32_e32 v22, v26
	v_sub_f32_e32 v25, v25, v26
	v_sub_f32_e32 v23, v23, v27
	v_add_f32_e32 v24, v24, v25
	v_add_f32_e32 v21, v21, v23
	v_mul_f32_e32 v28, v27, v22
	v_mul_f32_e32 v29, v26, v28
	v_fma_f32 v25, v28, v26, -v29
	v_fmac_f32_e32 v25, v28, v24
	v_add_f32_e32 v30, v29, v25
	v_sub_f32_e32 v31, v27, v30
	v_sub_f32_e32 v23, v30, v29
	;; [unrolled: 1-line block ×5, first 2 shown]
	v_add_f32_e32 v21, v21, v27
	v_add_f32_e32 v21, v23, v21
	;; [unrolled: 1-line block ×3, first 2 shown]
	v_mul_f32_e32 v25, v22, v23
	v_sub_f32_e32 v30, v31, v23
	v_mul_f32_e32 v27, v26, v25
	v_add_f32_e32 v21, v21, v30
	v_fma_f32 v26, v25, v26, -v27
	v_fmac_f32_e32 v26, v25, v24
	v_add_f32_e32 v24, v27, v26
	v_sub_f32_e32 v29, v23, v24
	v_sub_f32_e32 v27, v24, v27
	;; [unrolled: 1-line block ×5, first 2 shown]
	v_add_f32_e32 v21, v21, v23
	v_add_f32_e32 v23, v28, v25
	v_add_f32_e32 v21, v24, v21
	v_sub_f32_e32 v24, v23, v28
	v_add_f32_e32 v21, v29, v21
	v_sub_f32_e32 v24, v25, v24
	v_mul_f32_e32 v21, v22, v21
	v_add_f32_e32 v21, v24, v21
	v_add_f32_e32 v22, v23, v21
	v_mul_f32_e32 v24, v22, v22
	v_fmaak_f32 v25, s7, v24, 0x3ecc95a3
	v_mul_f32_e32 v26, v22, v24
	v_cmp_neq_f32_e64 s7, 0x7f800000, v5
	v_fmaak_f32 v24, v24, v25, 0x3f2aaada
	v_ldexp_f32 v25, v22, 1
	v_sub_f32_e32 v22, v22, v23
	v_mul_f32_e32 v24, v26, v24
	v_mul_f32_e32 v26, 0x3f317218, v20
	v_sub_f32_e32 v21, v21, v22
	v_add_f32_e32 v23, v25, v24
	v_ldexp_f32 v21, v21, 1
	v_sub_f32_e32 v22, v23, v25
	v_fma_f32 v25, 0x3f317218, v20, -v26
	v_sub_f32_e32 v22, v24, v22
	v_fmamk_f32 v20, v20, 0xb102e308, v25
	v_add_f32_e32 v21, v21, v22
	v_add_f32_e32 v22, v26, v20
	;; [unrolled: 1-line block ×3, first 2 shown]
	v_sub_f32_e32 v26, v22, v26
	v_add_f32_e32 v25, v22, v24
	v_sub_f32_e32 v23, v24, v23
	v_sub_f32_e32 v20, v20, v26
	;; [unrolled: 1-line block ×6, first 2 shown]
	v_add_f32_e32 v24, v20, v21
	v_sub_f32_e32 v22, v22, v28
	v_add_f32_e32 v22, v23, v22
	v_sub_f32_e32 v23, v24, v20
	;; [unrolled: 2-line block ×3, first 2 shown]
	v_sub_f32_e32 v21, v21, v23
	v_add_f32_e32 v26, v25, v22
	v_sub_f32_e32 v20, v20, v24
	v_sub_f32_e32 v23, v26, v25
	v_add_f32_e32 v20, v21, v20
	v_sub_f32_e32 v21, v22, v23
	v_add_f32_e32 v20, v20, v21
	v_add_f32_e32 v20, v26, v20
	v_cndmask_b32_e64 v20, 0x7f800000, v20, s7
	v_cmp_gt_f32_e64 s7, 0x33800000, |v5|
	v_cndmask_b32_e64 v5, v20, v5, s7
	v_add_f32_e32 v5, v4, v5
.LBB161_173:
	s_or_b32 exec_lo, exec_lo, s8
	v_cndmask_b32_e64 v5, v5, v19, s2
	; wave barrier
	ds_write_b32 v18, v5
	; wave barrier
	ds_read_b32 v4, v18 offset:4
	v_max_f32_e32 v19, v5, v5
	v_cmp_u_f32_e64 s2, v5, v5
	s_waitcnt lgkmcnt(0)
	v_max_f32_e32 v20, v4, v4
	v_min_f32_e32 v21, v19, v20
	v_max_f32_e32 v19, v19, v20
	v_cndmask_b32_e64 v20, v21, v5, s2
	v_cndmask_b32_e64 v21, v19, v5, s2
	v_cmp_u_f32_e64 s2, v4, v4
	v_cndmask_b32_e64 v19, v20, v4, s2
	v_cndmask_b32_e64 v4, v21, v4, s2
	v_cmp_class_f32_e64 s7, v19, 0x1f8
	v_cmp_neq_f32_e64 s2, v19, v4
	s_or_b32 s2, s2, s7
	s_and_saveexec_b32 s7, s2
	s_cbranch_execz .LBB161_175
; %bb.174:
	v_sub_f32_e32 v5, v19, v4
	v_mul_f32_e32 v19, 0x3fb8aa3b, v5
	v_cmp_ngt_f32_e64 s2, 0xc2ce8ed0, v5
	v_fma_f32 v20, 0x3fb8aa3b, v5, -v19
	v_rndne_f32_e32 v21, v19
	v_fmamk_f32 v20, v5, 0x32a5705f, v20
	v_sub_f32_e32 v19, v19, v21
	v_add_f32_e32 v19, v19, v20
	v_cvt_i32_f32_e32 v20, v21
	v_exp_f32_e32 v19, v19
	v_ldexp_f32 v19, v19, v20
	v_cndmask_b32_e64 v19, 0, v19, s2
	v_cmp_nlt_f32_e64 s2, 0x42b17218, v5
	v_cndmask_b32_e64 v5, 0x7f800000, v19, s2
	v_add_f32_e32 v21, 1.0, v5
	v_cvt_f64_f32_e32 v[19:20], v21
	v_frexp_exp_i32_f64_e32 v19, v[19:20]
	v_frexp_mant_f32_e32 v20, v21
	v_cmp_gt_f32_e64 s2, 0x3f2aaaab, v20
	v_add_f32_e32 v20, -1.0, v21
	v_sub_f32_e32 v23, v20, v21
	v_sub_f32_e32 v20, v5, v20
	v_add_f32_e32 v23, 1.0, v23
	v_add_f32_e32 v20, v20, v23
	v_subrev_co_ci_u32_e64 v19, null, 0, v19, s2
	s_mov_b32 s2, 0x3e9b6dac
	v_sub_nc_u32_e32 v22, 0, v19
	v_cvt_f32_i32_e32 v19, v19
	v_ldexp_f32 v21, v21, v22
	v_ldexp_f32 v20, v20, v22
	v_add_f32_e32 v24, 1.0, v21
	v_add_f32_e32 v22, -1.0, v21
	v_add_f32_e32 v23, -1.0, v24
	v_add_f32_e32 v25, 1.0, v22
	v_sub_f32_e32 v23, v21, v23
	v_sub_f32_e32 v21, v21, v25
	v_add_f32_e32 v23, v20, v23
	v_add_f32_e32 v20, v20, v21
	;; [unrolled: 1-line block ×4, first 2 shown]
	v_rcp_f32_e32 v21, v25
	v_sub_f32_e32 v24, v24, v25
	v_sub_f32_e32 v22, v22, v26
	v_add_f32_e32 v23, v23, v24
	v_add_f32_e32 v20, v20, v22
	v_mul_f32_e32 v27, v26, v21
	v_mul_f32_e32 v28, v25, v27
	v_fma_f32 v24, v27, v25, -v28
	v_fmac_f32_e32 v24, v27, v23
	v_add_f32_e32 v29, v28, v24
	v_sub_f32_e32 v30, v26, v29
	v_sub_f32_e32 v22, v29, v28
	;; [unrolled: 1-line block ×5, first 2 shown]
	v_add_f32_e32 v20, v20, v26
	v_add_f32_e32 v20, v22, v20
	;; [unrolled: 1-line block ×3, first 2 shown]
	v_mul_f32_e32 v24, v21, v22
	v_sub_f32_e32 v29, v30, v22
	v_mul_f32_e32 v26, v25, v24
	v_add_f32_e32 v20, v20, v29
	v_fma_f32 v25, v24, v25, -v26
	v_fmac_f32_e32 v25, v24, v23
	v_add_f32_e32 v23, v26, v25
	v_sub_f32_e32 v28, v22, v23
	v_sub_f32_e32 v26, v23, v26
	;; [unrolled: 1-line block ×5, first 2 shown]
	v_add_f32_e32 v20, v20, v22
	v_add_f32_e32 v22, v27, v24
	;; [unrolled: 1-line block ×3, first 2 shown]
	v_sub_f32_e32 v23, v22, v27
	v_add_f32_e32 v20, v28, v20
	v_sub_f32_e32 v23, v24, v23
	v_mul_f32_e32 v20, v21, v20
	v_add_f32_e32 v20, v23, v20
	v_add_f32_e32 v21, v22, v20
	v_mul_f32_e32 v23, v21, v21
	v_fmaak_f32 v24, s2, v23, 0x3ecc95a3
	v_mul_f32_e32 v25, v21, v23
	v_cmp_neq_f32_e64 s2, 0x7f800000, v5
	v_fmaak_f32 v23, v23, v24, 0x3f2aaada
	v_ldexp_f32 v24, v21, 1
	v_sub_f32_e32 v21, v21, v22
	v_mul_f32_e32 v23, v25, v23
	v_mul_f32_e32 v25, 0x3f317218, v19
	v_sub_f32_e32 v20, v20, v21
	v_add_f32_e32 v22, v24, v23
	v_ldexp_f32 v20, v20, 1
	v_sub_f32_e32 v21, v22, v24
	v_fma_f32 v24, 0x3f317218, v19, -v25
	v_sub_f32_e32 v21, v23, v21
	v_fmamk_f32 v19, v19, 0xb102e308, v24
	v_add_f32_e32 v20, v20, v21
	v_add_f32_e32 v21, v25, v19
	;; [unrolled: 1-line block ×3, first 2 shown]
	v_sub_f32_e32 v25, v21, v25
	v_add_f32_e32 v24, v21, v23
	v_sub_f32_e32 v22, v23, v22
	v_sub_f32_e32 v19, v19, v25
	;; [unrolled: 1-line block ×6, first 2 shown]
	v_add_f32_e32 v23, v19, v20
	v_sub_f32_e32 v21, v21, v27
	v_add_f32_e32 v21, v22, v21
	v_sub_f32_e32 v22, v23, v19
	;; [unrolled: 2-line block ×3, first 2 shown]
	v_sub_f32_e32 v20, v20, v22
	v_add_f32_e32 v25, v24, v21
	v_sub_f32_e32 v19, v19, v23
	v_sub_f32_e32 v22, v25, v24
	v_add_f32_e32 v19, v20, v19
	v_sub_f32_e32 v20, v21, v22
	v_add_f32_e32 v19, v19, v20
	v_add_f32_e32 v19, v25, v19
	v_cndmask_b32_e64 v19, 0x7f800000, v19, s2
	v_cmp_gt_f32_e64 s2, 0x33800000, |v5|
	v_cndmask_b32_e64 v5, v19, v5, s2
	v_add_f32_e32 v5, v4, v5
.LBB161_175:
	s_or_b32 exec_lo, exec_lo, s7
	ds_write_b32 v18, v5 offset:4
.LBB161_176:
	s_or_b32 exec_lo, exec_lo, s9
	s_waitcnt lgkmcnt(0)
	s_barrier
	buffer_gl0_inv
	s_and_saveexec_b32 s2, s1
	s_cbranch_execz .LBB161_180
; %bb.177:
	v_add_nc_u32_e32 v3, -1, v0
	v_lshrrev_b32_e32 v4, 3, v3
	v_and_b32_e32 v4, 0x1ffffffc, v4
	v_lshl_add_u32 v3, v3, 2, v4
	ds_read_b32 v3, v3
	s_waitcnt lgkmcnt(0)
	v_max_f32_e32 v4, v3, v3
	v_cmp_u_f32_e64 s1, v3, v3
	v_min_f32_e32 v5, v4, v13
	v_max_f32_e32 v4, v4, v13
	v_cndmask_b32_e64 v5, v5, v3, s1
	v_cndmask_b32_e64 v11, v4, v3, s1
	;; [unrolled: 1-line block ×4, first 2 shown]
	v_cmp_class_f32_e64 s6, v4, 0x1f8
	v_cmp_neq_f32_e64 s1, v4, v1
	s_or_b32 s1, s1, s6
	s_and_saveexec_b32 s6, s1
	s_cbranch_execz .LBB161_179
; %bb.178:
	v_sub_f32_e32 v3, v4, v1
	v_mul_f32_e32 v4, 0x3fb8aa3b, v3
	v_cmp_ngt_f32_e64 s1, 0xc2ce8ed0, v3
	v_fma_f32 v5, 0x3fb8aa3b, v3, -v4
	v_rndne_f32_e32 v11, v4
	v_fmamk_f32 v5, v3, 0x32a5705f, v5
	v_sub_f32_e32 v4, v4, v11
	v_add_f32_e32 v4, v4, v5
	v_cvt_i32_f32_e32 v5, v11
	v_exp_f32_e32 v4, v4
	v_ldexp_f32 v4, v4, v5
	v_cndmask_b32_e64 v4, 0, v4, s1
	v_cmp_nlt_f32_e64 s1, 0x42b17218, v3
	v_cndmask_b32_e64 v5, 0x7f800000, v4, s1
	v_add_f32_e32 v11, 1.0, v5
	v_cvt_f64_f32_e32 v[3:4], v11
	v_frexp_exp_i32_f64_e32 v3, v[3:4]
	v_frexp_mant_f32_e32 v4, v11
	v_cmp_gt_f32_e64 s1, 0x3f2aaaab, v4
	v_add_f32_e32 v4, -1.0, v11
	v_sub_f32_e32 v13, v4, v11
	v_sub_f32_e32 v4, v5, v4
	v_add_f32_e32 v13, 1.0, v13
	v_add_f32_e32 v4, v4, v13
	v_subrev_co_ci_u32_e64 v3, null, 0, v3, s1
	s_mov_b32 s1, 0x3e9b6dac
	v_sub_nc_u32_e32 v12, 0, v3
	v_cvt_f32_i32_e32 v3, v3
	v_ldexp_f32 v11, v11, v12
	v_ldexp_f32 v4, v4, v12
	v_add_f32_e32 v18, 1.0, v11
	v_add_f32_e32 v12, -1.0, v11
	v_add_f32_e32 v13, -1.0, v18
	v_add_f32_e32 v19, 1.0, v12
	v_sub_f32_e32 v13, v11, v13
	v_sub_f32_e32 v11, v11, v19
	v_add_f32_e32 v13, v4, v13
	v_add_f32_e32 v4, v4, v11
	;; [unrolled: 1-line block ×4, first 2 shown]
	v_rcp_f32_e32 v11, v19
	v_sub_f32_e32 v18, v18, v19
	v_sub_f32_e32 v12, v12, v20
	v_add_f32_e32 v13, v13, v18
	v_add_f32_e32 v4, v4, v12
	v_mul_f32_e32 v21, v20, v11
	v_mul_f32_e32 v22, v19, v21
	v_fma_f32 v18, v21, v19, -v22
	v_fmac_f32_e32 v18, v21, v13
	v_add_f32_e32 v23, v22, v18
	v_sub_f32_e32 v24, v20, v23
	v_sub_f32_e32 v12, v23, v22
	;; [unrolled: 1-line block ×5, first 2 shown]
	v_add_f32_e32 v4, v4, v20
	v_add_f32_e32 v4, v12, v4
	;; [unrolled: 1-line block ×3, first 2 shown]
	v_mul_f32_e32 v18, v11, v12
	v_sub_f32_e32 v23, v24, v12
	v_mul_f32_e32 v20, v19, v18
	v_add_f32_e32 v4, v4, v23
	v_fma_f32 v19, v18, v19, -v20
	v_fmac_f32_e32 v19, v18, v13
	v_add_f32_e32 v13, v20, v19
	v_sub_f32_e32 v22, v12, v13
	v_sub_f32_e32 v20, v13, v20
	;; [unrolled: 1-line block ×5, first 2 shown]
	v_add_f32_e32 v4, v4, v12
	v_add_f32_e32 v12, v21, v18
	;; [unrolled: 1-line block ×3, first 2 shown]
	v_sub_f32_e32 v13, v12, v21
	v_add_f32_e32 v4, v22, v4
	v_sub_f32_e32 v13, v18, v13
	v_mul_f32_e32 v4, v11, v4
	v_add_f32_e32 v4, v13, v4
	v_add_f32_e32 v11, v12, v4
	v_mul_f32_e32 v13, v11, v11
	v_fmaak_f32 v18, s1, v13, 0x3ecc95a3
	v_mul_f32_e32 v19, v11, v13
	v_cmp_neq_f32_e64 s1, 0x7f800000, v5
	v_fmaak_f32 v13, v13, v18, 0x3f2aaada
	v_ldexp_f32 v18, v11, 1
	v_sub_f32_e32 v11, v11, v12
	v_mul_f32_e32 v13, v19, v13
	v_mul_f32_e32 v19, 0x3f317218, v3
	v_sub_f32_e32 v4, v4, v11
	v_add_f32_e32 v12, v18, v13
	v_ldexp_f32 v4, v4, 1
	v_sub_f32_e32 v11, v12, v18
	v_fma_f32 v18, 0x3f317218, v3, -v19
	v_sub_f32_e32 v11, v13, v11
	v_fmamk_f32 v3, v3, 0xb102e308, v18
	v_add_f32_e32 v4, v4, v11
	v_add_f32_e32 v11, v19, v3
	;; [unrolled: 1-line block ×3, first 2 shown]
	v_sub_f32_e32 v19, v11, v19
	v_add_f32_e32 v18, v11, v13
	v_sub_f32_e32 v12, v13, v12
	v_sub_f32_e32 v3, v3, v19
	;; [unrolled: 1-line block ×6, first 2 shown]
	v_add_f32_e32 v13, v3, v4
	v_sub_f32_e32 v11, v11, v21
	v_add_f32_e32 v11, v12, v11
	v_sub_f32_e32 v12, v13, v3
	;; [unrolled: 2-line block ×3, first 2 shown]
	v_sub_f32_e32 v4, v4, v12
	v_add_f32_e32 v19, v18, v11
	v_sub_f32_e32 v3, v3, v13
	v_sub_f32_e32 v12, v19, v18
	v_add_f32_e32 v3, v4, v3
	v_sub_f32_e32 v4, v11, v12
	v_add_f32_e32 v3, v3, v4
	v_add_f32_e32 v3, v19, v3
	v_cndmask_b32_e64 v3, 0x7f800000, v3, s1
	v_cmp_gt_f32_e64 s1, 0x33800000, |v5|
	v_cndmask_b32_e64 v3, v3, v5, s1
	v_add_f32_e32 v3, v1, v3
.LBB161_179:
	s_or_b32 exec_lo, exec_lo, s6
	v_max_f32_e32 v1, v3, v3
	;;#ASMSTART
	;;#ASMEND
	v_min_f32_e32 v11, v1, v17
	v_max_f32_e32 v12, v1, v17
	v_mov_b32_e32 v1, v3
.LBB161_180:
	s_or_b32 exec_lo, exec_lo, s2
	v_cmp_u_f32_e64 s1, v1, v1
	v_cndmask_b32_e64 v4, v11, v1, s1
	v_cndmask_b32_e64 v5, v12, v1, s1
	v_cndmask_b32_e32 v4, v4, v2, vcc_lo
	v_cndmask_b32_e32 v2, v5, v2, vcc_lo
	v_cmp_class_f32_e64 s1, v4, 0x1f8
	v_cmp_neq_f32_e32 vcc_lo, v4, v2
	s_or_b32 s2, vcc_lo, s1
	s_and_saveexec_b32 s1, s2
	s_cbranch_execz .LBB161_182
; %bb.181:
	v_sub_f32_e32 v1, v4, v2
	s_mov_b32 s2, 0x3e9b6dac
	v_mul_f32_e32 v4, 0x3fb8aa3b, v1
	v_cmp_ngt_f32_e32 vcc_lo, 0xc2ce8ed0, v1
	v_fma_f32 v5, 0x3fb8aa3b, v1, -v4
	v_rndne_f32_e32 v11, v4
	v_fmamk_f32 v5, v1, 0x32a5705f, v5
	v_sub_f32_e32 v4, v4, v11
	v_add_f32_e32 v4, v4, v5
	v_cvt_i32_f32_e32 v5, v11
	v_exp_f32_e32 v4, v4
	v_ldexp_f32 v4, v4, v5
	v_cndmask_b32_e32 v4, 0, v4, vcc_lo
	v_cmp_nlt_f32_e32 vcc_lo, 0x42b17218, v1
	v_cndmask_b32_e32 v1, 0x7f800000, v4, vcc_lo
	v_add_f32_e32 v11, 1.0, v1
	v_cvt_f64_f32_e32 v[4:5], v11
	v_frexp_exp_i32_f64_e32 v4, v[4:5]
	v_frexp_mant_f32_e32 v5, v11
	v_cmp_gt_f32_e32 vcc_lo, 0x3f2aaaab, v5
	v_add_f32_e32 v5, -1.0, v11
	v_sub_f32_e32 v13, v5, v11
	v_sub_f32_e32 v5, v1, v5
	v_add_f32_e32 v13, 1.0, v13
	v_add_f32_e32 v5, v5, v13
	v_subrev_co_ci_u32_e64 v4, null, 0, v4, vcc_lo
	v_cmp_neq_f32_e32 vcc_lo, 0x7f800000, v1
	v_sub_nc_u32_e32 v12, 0, v4
	v_cvt_f32_i32_e32 v4, v4
	v_ldexp_f32 v11, v11, v12
	v_ldexp_f32 v5, v5, v12
	v_add_f32_e32 v17, 1.0, v11
	v_add_f32_e32 v12, -1.0, v11
	v_add_f32_e32 v13, -1.0, v17
	v_add_f32_e32 v18, 1.0, v12
	v_sub_f32_e32 v13, v11, v13
	v_sub_f32_e32 v11, v11, v18
	v_add_f32_e32 v13, v5, v13
	v_add_f32_e32 v5, v5, v11
	;; [unrolled: 1-line block ×4, first 2 shown]
	v_rcp_f32_e32 v11, v18
	v_sub_f32_e32 v17, v17, v18
	v_sub_f32_e32 v12, v12, v19
	v_add_f32_e32 v13, v13, v17
	v_add_f32_e32 v5, v5, v12
	v_mul_f32_e32 v20, v19, v11
	v_mul_f32_e32 v21, v18, v20
	v_fma_f32 v17, v20, v18, -v21
	v_fmac_f32_e32 v17, v20, v13
	v_add_f32_e32 v22, v21, v17
	v_sub_f32_e32 v23, v19, v22
	v_sub_f32_e32 v12, v22, v21
	;; [unrolled: 1-line block ×5, first 2 shown]
	v_add_f32_e32 v5, v5, v19
	v_add_f32_e32 v5, v12, v5
	;; [unrolled: 1-line block ×3, first 2 shown]
	v_mul_f32_e32 v17, v11, v12
	v_sub_f32_e32 v22, v23, v12
	v_mul_f32_e32 v19, v18, v17
	v_add_f32_e32 v5, v5, v22
	v_fma_f32 v18, v17, v18, -v19
	v_fmac_f32_e32 v18, v17, v13
	v_add_f32_e32 v13, v19, v18
	v_sub_f32_e32 v21, v12, v13
	v_sub_f32_e32 v19, v13, v19
	;; [unrolled: 1-line block ×5, first 2 shown]
	v_add_f32_e32 v5, v5, v12
	v_add_f32_e32 v12, v20, v17
	;; [unrolled: 1-line block ×3, first 2 shown]
	v_sub_f32_e32 v13, v12, v20
	v_add_f32_e32 v5, v21, v5
	v_sub_f32_e32 v13, v17, v13
	v_mul_f32_e32 v5, v11, v5
	v_add_f32_e32 v5, v13, v5
	v_add_f32_e32 v11, v12, v5
	v_mul_f32_e32 v13, v11, v11
	v_fmaak_f32 v17, s2, v13, 0x3ecc95a3
	v_mul_f32_e32 v18, v11, v13
	v_fmaak_f32 v13, v13, v17, 0x3f2aaada
	v_ldexp_f32 v17, v11, 1
	v_sub_f32_e32 v11, v11, v12
	v_mul_f32_e32 v13, v18, v13
	v_mul_f32_e32 v18, 0x3f317218, v4
	v_sub_f32_e32 v5, v5, v11
	v_add_f32_e32 v12, v17, v13
	v_ldexp_f32 v5, v5, 1
	v_sub_f32_e32 v11, v12, v17
	v_fma_f32 v17, 0x3f317218, v4, -v18
	v_sub_f32_e32 v11, v13, v11
	v_fmamk_f32 v4, v4, 0xb102e308, v17
	v_add_f32_e32 v5, v5, v11
	v_add_f32_e32 v11, v18, v4
	;; [unrolled: 1-line block ×3, first 2 shown]
	v_sub_f32_e32 v18, v11, v18
	v_add_f32_e32 v17, v11, v13
	v_sub_f32_e32 v12, v13, v12
	v_sub_f32_e32 v4, v4, v18
	;; [unrolled: 1-line block ×6, first 2 shown]
	v_add_f32_e32 v13, v4, v5
	v_sub_f32_e32 v11, v11, v20
	v_add_f32_e32 v11, v12, v11
	v_sub_f32_e32 v12, v13, v4
	;; [unrolled: 2-line block ×3, first 2 shown]
	v_sub_f32_e32 v5, v5, v12
	v_add_f32_e32 v18, v17, v11
	v_sub_f32_e32 v4, v4, v13
	v_sub_f32_e32 v12, v18, v17
	v_add_f32_e32 v4, v5, v4
	v_sub_f32_e32 v5, v11, v12
	v_add_f32_e32 v4, v4, v5
	v_add_f32_e32 v4, v18, v4
	v_cndmask_b32_e32 v4, 0x7f800000, v4, vcc_lo
	v_cmp_gt_f32_e64 vcc_lo, 0x33800000, |v1|
	v_cndmask_b32_e32 v1, v4, v1, vcc_lo
	v_add_f32_e32 v1, v2, v1
.LBB161_182:
	s_or_b32 exec_lo, exec_lo, s1
	v_max_f32_e32 v2, v1, v1
	v_cmp_u_f32_e32 vcc_lo, v1, v1
	v_mov_b32_e32 v5, v1
	v_min_f32_e32 v4, v2, v6
	v_max_f32_e32 v2, v2, v6
	v_cndmask_b32_e32 v4, v4, v1, vcc_lo
	v_cndmask_b32_e32 v2, v2, v1, vcc_lo
	v_cndmask_b32_e64 v4, v4, v8, s3
	v_cndmask_b32_e64 v2, v2, v8, s3
	v_cmp_class_f32_e64 s1, v4, 0x1f8
	v_cmp_neq_f32_e32 vcc_lo, v4, v2
	s_or_b32 s2, vcc_lo, s1
	s_and_saveexec_b32 s1, s2
	s_cbranch_execz .LBB161_184
; %bb.183:
	v_sub_f32_e32 v4, v4, v2
	s_mov_b32 s2, 0x3e9b6dac
	v_mul_f32_e32 v5, 0x3fb8aa3b, v4
	v_cmp_ngt_f32_e32 vcc_lo, 0xc2ce8ed0, v4
	v_fma_f32 v6, 0x3fb8aa3b, v4, -v5
	v_rndne_f32_e32 v8, v5
	v_fmamk_f32 v6, v4, 0x32a5705f, v6
	v_sub_f32_e32 v5, v5, v8
	v_add_f32_e32 v5, v5, v6
	v_cvt_i32_f32_e32 v6, v8
	v_exp_f32_e32 v5, v5
	v_ldexp_f32 v5, v5, v6
	v_cndmask_b32_e32 v5, 0, v5, vcc_lo
	v_cmp_nlt_f32_e32 vcc_lo, 0x42b17218, v4
	v_cndmask_b32_e32 v6, 0x7f800000, v5, vcc_lo
	v_add_f32_e32 v8, 1.0, v6
	v_cvt_f64_f32_e32 v[4:5], v8
	v_frexp_exp_i32_f64_e32 v4, v[4:5]
	v_frexp_mant_f32_e32 v5, v8
	v_cmp_gt_f32_e32 vcc_lo, 0x3f2aaaab, v5
	v_add_f32_e32 v5, -1.0, v8
	v_sub_f32_e32 v12, v5, v8
	v_sub_f32_e32 v5, v6, v5
	v_add_f32_e32 v12, 1.0, v12
	v_add_f32_e32 v5, v5, v12
	v_subrev_co_ci_u32_e64 v4, null, 0, v4, vcc_lo
	v_cmp_neq_f32_e32 vcc_lo, 0x7f800000, v6
	v_sub_nc_u32_e32 v11, 0, v4
	v_cvt_f32_i32_e32 v4, v4
	v_ldexp_f32 v8, v8, v11
	v_ldexp_f32 v5, v5, v11
	v_add_f32_e32 v13, 1.0, v8
	v_add_f32_e32 v11, -1.0, v8
	v_add_f32_e32 v12, -1.0, v13
	v_add_f32_e32 v17, 1.0, v11
	v_sub_f32_e32 v12, v8, v12
	v_sub_f32_e32 v8, v8, v17
	v_add_f32_e32 v12, v5, v12
	v_add_f32_e32 v5, v5, v8
	;; [unrolled: 1-line block ×4, first 2 shown]
	v_rcp_f32_e32 v8, v17
	v_sub_f32_e32 v13, v13, v17
	v_sub_f32_e32 v11, v11, v18
	v_add_f32_e32 v12, v12, v13
	v_add_f32_e32 v5, v5, v11
	v_mul_f32_e32 v19, v18, v8
	v_mul_f32_e32 v20, v17, v19
	v_fma_f32 v13, v19, v17, -v20
	v_fmac_f32_e32 v13, v19, v12
	v_add_f32_e32 v21, v20, v13
	v_sub_f32_e32 v22, v18, v21
	v_sub_f32_e32 v11, v21, v20
	;; [unrolled: 1-line block ×5, first 2 shown]
	v_add_f32_e32 v5, v5, v18
	v_add_f32_e32 v5, v11, v5
	;; [unrolled: 1-line block ×3, first 2 shown]
	v_mul_f32_e32 v13, v8, v11
	v_sub_f32_e32 v21, v22, v11
	v_mul_f32_e32 v18, v17, v13
	v_add_f32_e32 v5, v5, v21
	v_fma_f32 v17, v13, v17, -v18
	v_fmac_f32_e32 v17, v13, v12
	v_add_f32_e32 v12, v18, v17
	v_sub_f32_e32 v20, v11, v12
	v_sub_f32_e32 v18, v12, v18
	;; [unrolled: 1-line block ×5, first 2 shown]
	v_add_f32_e32 v5, v5, v11
	v_add_f32_e32 v11, v19, v13
	;; [unrolled: 1-line block ×3, first 2 shown]
	v_sub_f32_e32 v12, v11, v19
	v_add_f32_e32 v5, v20, v5
	v_sub_f32_e32 v12, v13, v12
	v_mul_f32_e32 v5, v8, v5
	v_add_f32_e32 v5, v12, v5
	v_add_f32_e32 v8, v11, v5
	v_mul_f32_e32 v12, v8, v8
	v_fmaak_f32 v13, s2, v12, 0x3ecc95a3
	v_mul_f32_e32 v17, v8, v12
	v_fmaak_f32 v12, v12, v13, 0x3f2aaada
	v_ldexp_f32 v13, v8, 1
	v_sub_f32_e32 v8, v8, v11
	v_mul_f32_e32 v12, v17, v12
	v_mul_f32_e32 v17, 0x3f317218, v4
	v_sub_f32_e32 v5, v5, v8
	v_add_f32_e32 v11, v13, v12
	v_ldexp_f32 v5, v5, 1
	v_sub_f32_e32 v8, v11, v13
	v_fma_f32 v13, 0x3f317218, v4, -v17
	v_sub_f32_e32 v8, v12, v8
	v_fmamk_f32 v4, v4, 0xb102e308, v13
	v_add_f32_e32 v5, v5, v8
	v_add_f32_e32 v8, v17, v4
	;; [unrolled: 1-line block ×3, first 2 shown]
	v_sub_f32_e32 v17, v8, v17
	v_add_f32_e32 v13, v8, v12
	v_sub_f32_e32 v11, v12, v11
	v_sub_f32_e32 v4, v4, v17
	;; [unrolled: 1-line block ×6, first 2 shown]
	v_add_f32_e32 v12, v4, v5
	v_sub_f32_e32 v8, v8, v19
	v_add_f32_e32 v8, v11, v8
	v_sub_f32_e32 v11, v12, v4
	v_add_f32_e32 v8, v12, v8
	v_sub_f32_e32 v12, v12, v11
	v_sub_f32_e32 v5, v5, v11
	v_add_f32_e32 v17, v13, v8
	v_sub_f32_e32 v4, v4, v12
	v_sub_f32_e32 v11, v17, v13
	v_add_f32_e32 v4, v5, v4
	v_sub_f32_e32 v5, v8, v11
	v_add_f32_e32 v4, v4, v5
	v_add_f32_e32 v4, v17, v4
	v_cndmask_b32_e32 v4, 0x7f800000, v4, vcc_lo
	v_cmp_gt_f32_e64 vcc_lo, 0x33800000, |v6|
	v_cndmask_b32_e32 v4, v4, v6, vcc_lo
	v_add_f32_e32 v5, v2, v4
.LBB161_184:
	s_or_b32 exec_lo, exec_lo, s1
	v_max_f32_e32 v2, v5, v5
	v_cmp_u_f32_e32 vcc_lo, v5, v5
	v_mov_b32_e32 v6, v5
	v_min_f32_e32 v4, v2, v7
	v_max_f32_e32 v2, v2, v7
	v_cndmask_b32_e32 v4, v4, v5, vcc_lo
	v_cndmask_b32_e32 v2, v2, v5, vcc_lo
	v_cndmask_b32_e64 v4, v4, v9, s4
	v_cndmask_b32_e64 v2, v2, v9, s4
	v_cmp_class_f32_e64 s1, v4, 0x1f8
	v_cmp_neq_f32_e32 vcc_lo, v4, v2
	s_or_b32 s2, vcc_lo, s1
	s_and_saveexec_b32 s1, s2
	s_cbranch_execz .LBB161_186
; %bb.185:
	v_sub_f32_e32 v4, v4, v2
	s_mov_b32 s2, 0x3e9b6dac
	v_mul_f32_e32 v6, 0x3fb8aa3b, v4
	v_cmp_ngt_f32_e32 vcc_lo, 0xc2ce8ed0, v4
	v_fma_f32 v7, 0x3fb8aa3b, v4, -v6
	v_rndne_f32_e32 v8, v6
	v_fmamk_f32 v7, v4, 0x32a5705f, v7
	v_sub_f32_e32 v6, v6, v8
	v_add_f32_e32 v6, v6, v7
	v_cvt_i32_f32_e32 v7, v8
	v_exp_f32_e32 v6, v6
	v_ldexp_f32 v6, v6, v7
	v_cndmask_b32_e32 v6, 0, v6, vcc_lo
	v_cmp_nlt_f32_e32 vcc_lo, 0x42b17218, v4
	v_cndmask_b32_e32 v4, 0x7f800000, v6, vcc_lo
	v_add_f32_e32 v8, 1.0, v4
	v_cvt_f64_f32_e32 v[6:7], v8
	v_frexp_exp_i32_f64_e32 v6, v[6:7]
	v_frexp_mant_f32_e32 v7, v8
	v_cmp_gt_f32_e32 vcc_lo, 0x3f2aaaab, v7
	v_add_f32_e32 v7, -1.0, v8
	v_sub_f32_e32 v11, v7, v8
	v_sub_f32_e32 v7, v4, v7
	v_add_f32_e32 v11, 1.0, v11
	v_add_f32_e32 v7, v7, v11
	v_subrev_co_ci_u32_e64 v6, null, 0, v6, vcc_lo
	v_cmp_neq_f32_e32 vcc_lo, 0x7f800000, v4
	v_sub_nc_u32_e32 v9, 0, v6
	v_cvt_f32_i32_e32 v6, v6
	v_ldexp_f32 v8, v8, v9
	v_ldexp_f32 v7, v7, v9
	v_add_f32_e32 v12, 1.0, v8
	v_add_f32_e32 v9, -1.0, v8
	v_add_f32_e32 v11, -1.0, v12
	v_add_f32_e32 v13, 1.0, v9
	v_sub_f32_e32 v11, v8, v11
	v_sub_f32_e32 v8, v8, v13
	v_add_f32_e32 v11, v7, v11
	v_add_f32_e32 v7, v7, v8
	;; [unrolled: 1-line block ×4, first 2 shown]
	v_rcp_f32_e32 v8, v13
	v_sub_f32_e32 v12, v12, v13
	v_sub_f32_e32 v9, v9, v17
	v_add_f32_e32 v11, v11, v12
	v_add_f32_e32 v7, v7, v9
	v_mul_f32_e32 v18, v17, v8
	v_mul_f32_e32 v19, v13, v18
	v_fma_f32 v12, v18, v13, -v19
	v_fmac_f32_e32 v12, v18, v11
	v_add_f32_e32 v20, v19, v12
	v_sub_f32_e32 v21, v17, v20
	v_sub_f32_e32 v9, v20, v19
	;; [unrolled: 1-line block ×5, first 2 shown]
	v_add_f32_e32 v7, v7, v17
	v_add_f32_e32 v7, v9, v7
	;; [unrolled: 1-line block ×3, first 2 shown]
	v_mul_f32_e32 v12, v8, v9
	v_sub_f32_e32 v20, v21, v9
	v_mul_f32_e32 v17, v13, v12
	v_add_f32_e32 v7, v7, v20
	v_fma_f32 v13, v12, v13, -v17
	v_fmac_f32_e32 v13, v12, v11
	v_add_f32_e32 v11, v17, v13
	v_sub_f32_e32 v19, v9, v11
	v_sub_f32_e32 v17, v11, v17
	v_sub_f32_e32 v9, v9, v19
	v_sub_f32_e32 v9, v9, v11
	v_sub_f32_e32 v11, v17, v13
	v_add_f32_e32 v7, v7, v9
	v_add_f32_e32 v9, v18, v12
	;; [unrolled: 1-line block ×3, first 2 shown]
	v_sub_f32_e32 v11, v9, v18
	v_add_f32_e32 v7, v19, v7
	v_sub_f32_e32 v11, v12, v11
	v_mul_f32_e32 v7, v8, v7
	v_add_f32_e32 v7, v11, v7
	v_add_f32_e32 v8, v9, v7
	v_mul_f32_e32 v11, v8, v8
	v_fmaak_f32 v12, s2, v11, 0x3ecc95a3
	v_mul_f32_e32 v13, v8, v11
	v_fmaak_f32 v11, v11, v12, 0x3f2aaada
	v_ldexp_f32 v12, v8, 1
	v_sub_f32_e32 v8, v8, v9
	v_mul_f32_e32 v11, v13, v11
	v_mul_f32_e32 v13, 0x3f317218, v6
	v_sub_f32_e32 v7, v7, v8
	v_add_f32_e32 v9, v12, v11
	v_ldexp_f32 v7, v7, 1
	v_sub_f32_e32 v8, v9, v12
	v_fma_f32 v12, 0x3f317218, v6, -v13
	v_sub_f32_e32 v8, v11, v8
	v_fmamk_f32 v6, v6, 0xb102e308, v12
	v_add_f32_e32 v7, v7, v8
	v_add_f32_e32 v8, v13, v6
	;; [unrolled: 1-line block ×3, first 2 shown]
	v_sub_f32_e32 v13, v8, v13
	v_add_f32_e32 v12, v8, v11
	v_sub_f32_e32 v9, v11, v9
	v_sub_f32_e32 v6, v6, v13
	v_sub_f32_e32 v17, v12, v8
	v_sub_f32_e32 v7, v7, v9
	v_sub_f32_e32 v18, v12, v17
	v_sub_f32_e32 v9, v11, v17
	v_add_f32_e32 v11, v6, v7
	v_sub_f32_e32 v8, v8, v18
	v_add_f32_e32 v8, v9, v8
	v_sub_f32_e32 v9, v11, v6
	;; [unrolled: 2-line block ×3, first 2 shown]
	v_sub_f32_e32 v7, v7, v9
	v_add_f32_e32 v13, v12, v8
	v_sub_f32_e32 v6, v6, v11
	v_sub_f32_e32 v9, v13, v12
	v_add_f32_e32 v6, v7, v6
	v_sub_f32_e32 v7, v8, v9
	v_add_f32_e32 v6, v6, v7
	v_add_f32_e32 v6, v13, v6
	v_cndmask_b32_e32 v6, 0x7f800000, v6, vcc_lo
	v_cmp_gt_f32_e64 vcc_lo, 0x33800000, |v4|
	v_cndmask_b32_e32 v4, v6, v4, vcc_lo
	v_add_f32_e32 v6, v2, v4
.LBB161_186:
	s_or_b32 exec_lo, exec_lo, s1
	v_max_f32_e32 v2, v6, v6
	v_cmp_u_f32_e32 vcc_lo, v6, v6
	v_mov_b32_e32 v7, v6
	v_min_f32_e32 v4, v2, v10
	v_max_f32_e32 v2, v2, v10
	v_cndmask_b32_e32 v4, v4, v6, vcc_lo
	v_cndmask_b32_e32 v2, v2, v6, vcc_lo
	v_cndmask_b32_e64 v4, v4, v16, s5
	v_cndmask_b32_e64 v2, v2, v16, s5
	v_cmp_class_f32_e64 s1, v4, 0x1f8
	v_cmp_neq_f32_e32 vcc_lo, v4, v2
	s_or_b32 s2, vcc_lo, s1
	s_and_saveexec_b32 s1, s2
	s_cbranch_execz .LBB161_188
; %bb.187:
	v_sub_f32_e32 v4, v4, v2
	s_mov_b32 s2, 0x3e9b6dac
	v_mul_f32_e32 v7, 0x3fb8aa3b, v4
	v_cmp_ngt_f32_e32 vcc_lo, 0xc2ce8ed0, v4
	v_fma_f32 v8, 0x3fb8aa3b, v4, -v7
	v_rndne_f32_e32 v9, v7
	v_fmamk_f32 v8, v4, 0x32a5705f, v8
	v_sub_f32_e32 v7, v7, v9
	v_add_f32_e32 v7, v7, v8
	v_cvt_i32_f32_e32 v8, v9
	v_exp_f32_e32 v7, v7
	v_ldexp_f32 v7, v7, v8
	v_cndmask_b32_e32 v7, 0, v7, vcc_lo
	v_cmp_nlt_f32_e32 vcc_lo, 0x42b17218, v4
	v_cndmask_b32_e32 v4, 0x7f800000, v7, vcc_lo
	v_add_f32_e32 v9, 1.0, v4
	v_cvt_f64_f32_e32 v[7:8], v9
	v_frexp_exp_i32_f64_e32 v7, v[7:8]
	v_frexp_mant_f32_e32 v8, v9
	v_cmp_gt_f32_e32 vcc_lo, 0x3f2aaaab, v8
	v_add_f32_e32 v8, -1.0, v9
	v_sub_f32_e32 v11, v8, v9
	v_sub_f32_e32 v8, v4, v8
	v_add_f32_e32 v11, 1.0, v11
	v_add_f32_e32 v8, v8, v11
	v_subrev_co_ci_u32_e64 v7, null, 0, v7, vcc_lo
	v_cmp_neq_f32_e32 vcc_lo, 0x7f800000, v4
	v_sub_nc_u32_e32 v10, 0, v7
	v_cvt_f32_i32_e32 v7, v7
	v_ldexp_f32 v9, v9, v10
	v_ldexp_f32 v8, v8, v10
	v_add_f32_e32 v12, 1.0, v9
	v_add_f32_e32 v10, -1.0, v9
	v_add_f32_e32 v11, -1.0, v12
	v_add_f32_e32 v13, 1.0, v10
	v_sub_f32_e32 v11, v9, v11
	v_sub_f32_e32 v9, v9, v13
	v_add_f32_e32 v11, v8, v11
	v_add_f32_e32 v8, v8, v9
	;; [unrolled: 1-line block ×4, first 2 shown]
	v_rcp_f32_e32 v9, v13
	v_sub_f32_e32 v12, v12, v13
	v_sub_f32_e32 v10, v10, v16
	v_add_f32_e32 v11, v11, v12
	v_add_f32_e32 v8, v8, v10
	v_mul_f32_e32 v17, v16, v9
	v_mul_f32_e32 v18, v13, v17
	v_fma_f32 v12, v17, v13, -v18
	v_fmac_f32_e32 v12, v17, v11
	v_add_f32_e32 v19, v18, v12
	v_sub_f32_e32 v20, v16, v19
	v_sub_f32_e32 v10, v19, v18
	;; [unrolled: 1-line block ×5, first 2 shown]
	v_add_f32_e32 v8, v8, v16
	v_add_f32_e32 v8, v10, v8
	;; [unrolled: 1-line block ×3, first 2 shown]
	v_mul_f32_e32 v12, v9, v10
	v_sub_f32_e32 v19, v20, v10
	v_mul_f32_e32 v16, v13, v12
	v_add_f32_e32 v8, v8, v19
	v_fma_f32 v13, v12, v13, -v16
	v_fmac_f32_e32 v13, v12, v11
	v_add_f32_e32 v11, v16, v13
	v_sub_f32_e32 v18, v10, v11
	v_sub_f32_e32 v16, v11, v16
	;; [unrolled: 1-line block ×5, first 2 shown]
	v_add_f32_e32 v8, v8, v10
	v_add_f32_e32 v10, v17, v12
	v_add_f32_e32 v8, v11, v8
	v_sub_f32_e32 v11, v10, v17
	v_add_f32_e32 v8, v18, v8
	v_sub_f32_e32 v11, v12, v11
	v_mul_f32_e32 v8, v9, v8
	v_add_f32_e32 v8, v11, v8
	v_add_f32_e32 v9, v10, v8
	v_mul_f32_e32 v11, v9, v9
	v_fmaak_f32 v12, s2, v11, 0x3ecc95a3
	v_mul_f32_e32 v13, v9, v11
	v_fmaak_f32 v11, v11, v12, 0x3f2aaada
	v_ldexp_f32 v12, v9, 1
	v_sub_f32_e32 v9, v9, v10
	v_mul_f32_e32 v11, v13, v11
	v_mul_f32_e32 v13, 0x3f317218, v7
	v_sub_f32_e32 v8, v8, v9
	v_add_f32_e32 v10, v12, v11
	v_ldexp_f32 v8, v8, 1
	v_sub_f32_e32 v9, v10, v12
	v_fma_f32 v12, 0x3f317218, v7, -v13
	v_sub_f32_e32 v9, v11, v9
	v_fmamk_f32 v7, v7, 0xb102e308, v12
	v_add_f32_e32 v8, v8, v9
	v_add_f32_e32 v9, v13, v7
	;; [unrolled: 1-line block ×3, first 2 shown]
	v_sub_f32_e32 v13, v9, v13
	v_add_f32_e32 v12, v9, v11
	v_sub_f32_e32 v10, v11, v10
	v_sub_f32_e32 v7, v7, v13
	;; [unrolled: 1-line block ×6, first 2 shown]
	v_add_f32_e32 v11, v7, v8
	v_sub_f32_e32 v9, v9, v17
	v_add_f32_e32 v9, v10, v9
	v_sub_f32_e32 v10, v11, v7
	v_add_f32_e32 v9, v11, v9
	v_sub_f32_e32 v11, v11, v10
	v_sub_f32_e32 v8, v8, v10
	v_add_f32_e32 v13, v12, v9
	v_sub_f32_e32 v7, v7, v11
	v_sub_f32_e32 v10, v13, v12
	v_add_f32_e32 v7, v8, v7
	v_sub_f32_e32 v8, v9, v10
	v_add_f32_e32 v7, v7, v8
	v_add_f32_e32 v7, v13, v7
	v_cndmask_b32_e32 v7, 0x7f800000, v7, vcc_lo
	v_cmp_gt_f32_e64 vcc_lo, 0x33800000, |v4|
	v_cndmask_b32_e32 v4, v7, v4, vcc_lo
	v_add_f32_e32 v7, v2, v4
.LBB161_188:
	s_or_b32 exec_lo, exec_lo, s1
	v_mov_b32_e32 v4, v1
	s_mov_b32 s1, exec_lo
	v_cmpx_eq_u32_e32 63, v0
	s_cbranch_execz .LBB161_190
; %bb.189:
	v_mov_b32_e32 v8, 0
	v_mov_b32_e32 v2, 2
	;; [unrolled: 1-line block ×3, first 2 shown]
	global_store_dwordx2 v8, v[1:2], s[10:11] offset:256
.LBB161_190:
	s_or_b32 exec_lo, exec_lo, s1
.LBB161_191:
	s_add_u32 s1, s24, s22
	s_addc_u32 s3, s25, s23
	s_add_u32 s2, s1, s20
	s_addc_u32 s3, s3, s21
	s_and_b32 vcc_lo, exec_lo, s0
	s_mov_b32 s0, -1
	s_waitcnt_vscnt null, 0x0
	s_barrier
	buffer_gl0_inv
	s_cbranch_vccz .LBB161_193
; %bb.192:
	ds_write2_b32 v15, v3, v4 offset1:1
	ds_write2_b32 v15, v5, v6 offset0:2 offset1:3
	ds_write_b32 v15, v7 offset:16
	s_waitcnt lgkmcnt(0)
	s_barrier
	buffer_gl0_inv
	ds_read2st64_b32 v[1:2], v14 offset1:1
	ds_read2st64_b32 v[8:9], v14 offset0:2 offset1:3
	ds_read_b32 v10, v14 offset:1024
	s_mov_b32 s0, 0
	s_waitcnt lgkmcnt(2)
	global_store_dword v14, v1, s[2:3]
	global_store_dword v14, v2, s[2:3] offset:256
	s_waitcnt lgkmcnt(1)
	global_store_dword v14, v8, s[2:3] offset:512
	global_store_dword v14, v9, s[2:3] offset:768
	s_waitcnt lgkmcnt(0)
	global_store_dword v14, v10, s[2:3] offset:1024
.LBB161_193:
	s_andn2_b32 vcc_lo, exec_lo, s0
	s_cbranch_vccnz .LBB161_220
; %bb.194:
	ds_write2_b32 v15, v3, v4 offset1:1
	ds_write2_b32 v15, v5, v6 offset0:2 offset1:3
	ds_write_b32 v15, v7 offset:16
	s_waitcnt lgkmcnt(0)
	s_waitcnt_vscnt null, 0x0
	s_barrier
	buffer_gl0_inv
	ds_read2st64_b32 v[2:3], v14 offset1:1
	ds_read2st64_b32 v[4:5], v14 offset0:2 offset1:3
	ds_read_b32 v8, v14 offset:1024
	v_add_co_u32 v6, s0, s2, v14
	v_mov_b32_e32 v1, 0
	v_add_co_ci_u32_e64 v7, null, s3, 0, s0
	s_mov_b32 s0, exec_lo
	v_cmpx_gt_u32_e64 s28, v0
	s_cbranch_execz .LBB161_196
; %bb.195:
	s_waitcnt lgkmcnt(2)
	global_store_dword v[6:7], v2, off
.LBB161_196:
	s_or_b32 exec_lo, exec_lo, s0
	v_or_b32_e32 v9, 64, v0
	s_mov_b32 s0, exec_lo
	v_cmpx_gt_u32_e64 s28, v9
	s_cbranch_execz .LBB161_198
; %bb.197:
	s_waitcnt lgkmcnt(2)
	global_store_dword v[6:7], v3, off offset:256
.LBB161_198:
	s_or_b32 exec_lo, exec_lo, s0
	v_or_b32_e32 v9, 0x80, v0
	s_mov_b32 s0, exec_lo
	v_cmpx_gt_u32_e64 s28, v9
	s_cbranch_execz .LBB161_200
; %bb.199:
	s_waitcnt lgkmcnt(1)
	global_store_dword v[6:7], v4, off offset:512
.LBB161_200:
	;; [unrolled: 9-line block ×4, first 2 shown]
	s_or_b32 exec_lo, exec_lo, s0
	v_cmp_lt_u64_e64 s0, s[18:19], 2
	s_and_b32 vcc_lo, exec_lo, s0
	s_cbranch_vccnz .LBB161_220
; %bb.205:
	s_add_u32 s0, s28, -1
	s_addc_u32 s1, s29, -1
	s_mul_hi_u32 s5, s0, 0xcccccccd
	s_mul_i32 s4, s1, 0xcccccccd
	s_mul_hi_u32 s6, s1, 0xcccccccd
	s_mul_i32 s3, s0, 0xcccccccc
	s_add_u32 s4, s4, s5
	s_mul_hi_u32 s2, s0, 0xcccccccc
	s_addc_u32 s5, s6, 0
	s_add_u32 s3, s3, s4
	s_addc_u32 s2, s2, 0
	s_mul_i32 s4, s1, 0xcccccccc
	s_add_u32 s2, s5, s2
	s_addc_u32 s3, 0, 0
	s_mul_hi_u32 s5, s1, 0xcccccccc
	s_add_u32 s2, s4, s2
	s_addc_u32 s3, s5, s3
	s_lshr_b64 s[2:3], s[2:3], 2
	v_cmp_eq_u64_e32 vcc_lo, s[2:3], v[0:1]
	s_and_saveexec_b32 s2, vcc_lo
	s_cbranch_execz .LBB161_220
; %bb.206:
	v_mul_u32_u24_e32 v1, 5, v0
	v_mul_hi_u32_u24_e32 v6, 5, v0
	v_sub_co_u32 v0, vcc_lo, s0, v1
	v_sub_co_ci_u32_e64 v1, null, s1, v6, vcc_lo
	s_mov_b32 s0, exec_lo
	v_cmpx_lt_i64_e32 2, v[0:1]
	s_xor_b32 s0, exec_lo, s0
	s_cbranch_execz .LBB161_212
; %bb.207:
	s_mov_b32 s1, exec_lo
	v_cmpx_lt_i64_e32 3, v[0:1]
	s_xor_b32 s1, exec_lo, s1
	s_cbranch_execz .LBB161_209
; %bb.208:
	v_mov_b32_e32 v0, 0
                                        ; implicit-def: $vgpr4_vgpr5
	s_waitcnt lgkmcnt(0)
	global_store_dword v0, v8, s[14:15]
.LBB161_209:
	s_andn2_saveexec_b32 s1, s1
	s_cbranch_execz .LBB161_211
; %bb.210:
	v_mov_b32_e32 v0, 0
	s_waitcnt lgkmcnt(1)
	global_store_dword v0, v5, s[14:15]
.LBB161_211:
	s_or_b32 exec_lo, exec_lo, s1
                                        ; implicit-def: $vgpr0_vgpr1
                                        ; implicit-def: $vgpr4_vgpr5
                                        ; implicit-def: $vgpr2_vgpr3
.LBB161_212:
	s_andn2_saveexec_b32 s0, s0
	s_cbranch_execz .LBB161_220
; %bb.213:
	s_mov_b32 s0, exec_lo
	v_cmpx_lt_i64_e32 1, v[0:1]
	s_xor_b32 s0, exec_lo, s0
	s_cbranch_execz .LBB161_215
; %bb.214:
	v_mov_b32_e32 v0, 0
                                        ; implicit-def: $vgpr2_vgpr3
	s_waitcnt lgkmcnt(1)
	global_store_dword v0, v4, s[14:15]
                                        ; implicit-def: $vgpr0_vgpr1
.LBB161_215:
	s_andn2_saveexec_b32 s0, s0
	s_cbranch_execz .LBB161_220
; %bb.216:
	s_mov_b32 s0, exec_lo
	v_cmpx_ne_u64_e32 1, v[0:1]
	s_xor_b32 s0, exec_lo, s0
	s_cbranch_execz .LBB161_218
; %bb.217:
	v_mov_b32_e32 v0, 0
	s_waitcnt lgkmcnt(2)
	global_store_dword v0, v2, s[14:15]
                                        ; implicit-def: $vgpr2_vgpr3
.LBB161_218:
	s_andn2_saveexec_b32 s0, s0
	s_cbranch_execz .LBB161_220
; %bb.219:
	v_mov_b32_e32 v0, 0
	s_waitcnt lgkmcnt(2)
	global_store_dword v0, v3, s[14:15]
.LBB161_220:
	s_endpgm
	.section	.rodata,"a",@progbits
	.p2align	6, 0x0
	.amdhsa_kernel _ZN7rocprim17ROCPRIM_400000_NS6detail17trampoline_kernelINS0_14default_configENS1_20scan_config_selectorIfEEZZNS1_9scan_implILNS1_25lookback_scan_determinismE0ELb0ELb0ES3_PKfPffZZZN2at6native31launch_logcumsumexp_cuda_kernelERKNSB_10TensorBaseESF_lENKUlvE_clEvENKUlvE0_clEvEUlffE_fEEDaPvRmT3_T4_T5_mT6_P12ihipStream_tbENKUlT_T0_E_clISt17integral_constantIbLb0EESV_IbLb1EEEEDaSR_SS_EUlSR_E_NS1_11comp_targetILNS1_3genE8ELNS1_11target_archE1030ELNS1_3gpuE2ELNS1_3repE0EEENS1_30default_config_static_selectorELNS0_4arch9wavefront6targetE0EEEvT1_
		.amdhsa_group_segment_fixed_size 1280
		.amdhsa_private_segment_fixed_size 0
		.amdhsa_kernarg_size 96
		.amdhsa_user_sgpr_count 6
		.amdhsa_user_sgpr_private_segment_buffer 1
		.amdhsa_user_sgpr_dispatch_ptr 0
		.amdhsa_user_sgpr_queue_ptr 0
		.amdhsa_user_sgpr_kernarg_segment_ptr 1
		.amdhsa_user_sgpr_dispatch_id 0
		.amdhsa_user_sgpr_flat_scratch_init 0
		.amdhsa_user_sgpr_private_segment_size 0
		.amdhsa_wavefront_size32 1
		.amdhsa_uses_dynamic_stack 0
		.amdhsa_system_sgpr_private_segment_wavefront_offset 0
		.amdhsa_system_sgpr_workgroup_id_x 1
		.amdhsa_system_sgpr_workgroup_id_y 0
		.amdhsa_system_sgpr_workgroup_id_z 0
		.amdhsa_system_sgpr_workgroup_info 0
		.amdhsa_system_vgpr_workitem_id 0
		.amdhsa_next_free_vgpr 46
		.amdhsa_next_free_sgpr 34
		.amdhsa_reserve_vcc 1
		.amdhsa_reserve_flat_scratch 0
		.amdhsa_float_round_mode_32 0
		.amdhsa_float_round_mode_16_64 0
		.amdhsa_float_denorm_mode_32 3
		.amdhsa_float_denorm_mode_16_64 3
		.amdhsa_dx10_clamp 1
		.amdhsa_ieee_mode 1
		.amdhsa_fp16_overflow 0
		.amdhsa_workgroup_processor_mode 1
		.amdhsa_memory_ordered 1
		.amdhsa_forward_progress 1
		.amdhsa_shared_vgpr_count 0
		.amdhsa_exception_fp_ieee_invalid_op 0
		.amdhsa_exception_fp_denorm_src 0
		.amdhsa_exception_fp_ieee_div_zero 0
		.amdhsa_exception_fp_ieee_overflow 0
		.amdhsa_exception_fp_ieee_underflow 0
		.amdhsa_exception_fp_ieee_inexact 0
		.amdhsa_exception_int_div_zero 0
	.end_amdhsa_kernel
	.section	.text._ZN7rocprim17ROCPRIM_400000_NS6detail17trampoline_kernelINS0_14default_configENS1_20scan_config_selectorIfEEZZNS1_9scan_implILNS1_25lookback_scan_determinismE0ELb0ELb0ES3_PKfPffZZZN2at6native31launch_logcumsumexp_cuda_kernelERKNSB_10TensorBaseESF_lENKUlvE_clEvENKUlvE0_clEvEUlffE_fEEDaPvRmT3_T4_T5_mT6_P12ihipStream_tbENKUlT_T0_E_clISt17integral_constantIbLb0EESV_IbLb1EEEEDaSR_SS_EUlSR_E_NS1_11comp_targetILNS1_3genE8ELNS1_11target_archE1030ELNS1_3gpuE2ELNS1_3repE0EEENS1_30default_config_static_selectorELNS0_4arch9wavefront6targetE0EEEvT1_,"axG",@progbits,_ZN7rocprim17ROCPRIM_400000_NS6detail17trampoline_kernelINS0_14default_configENS1_20scan_config_selectorIfEEZZNS1_9scan_implILNS1_25lookback_scan_determinismE0ELb0ELb0ES3_PKfPffZZZN2at6native31launch_logcumsumexp_cuda_kernelERKNSB_10TensorBaseESF_lENKUlvE_clEvENKUlvE0_clEvEUlffE_fEEDaPvRmT3_T4_T5_mT6_P12ihipStream_tbENKUlT_T0_E_clISt17integral_constantIbLb0EESV_IbLb1EEEEDaSR_SS_EUlSR_E_NS1_11comp_targetILNS1_3genE8ELNS1_11target_archE1030ELNS1_3gpuE2ELNS1_3repE0EEENS1_30default_config_static_selectorELNS0_4arch9wavefront6targetE0EEEvT1_,comdat
.Lfunc_end161:
	.size	_ZN7rocprim17ROCPRIM_400000_NS6detail17trampoline_kernelINS0_14default_configENS1_20scan_config_selectorIfEEZZNS1_9scan_implILNS1_25lookback_scan_determinismE0ELb0ELb0ES3_PKfPffZZZN2at6native31launch_logcumsumexp_cuda_kernelERKNSB_10TensorBaseESF_lENKUlvE_clEvENKUlvE0_clEvEUlffE_fEEDaPvRmT3_T4_T5_mT6_P12ihipStream_tbENKUlT_T0_E_clISt17integral_constantIbLb0EESV_IbLb1EEEEDaSR_SS_EUlSR_E_NS1_11comp_targetILNS1_3genE8ELNS1_11target_archE1030ELNS1_3gpuE2ELNS1_3repE0EEENS1_30default_config_static_selectorELNS0_4arch9wavefront6targetE0EEEvT1_, .Lfunc_end161-_ZN7rocprim17ROCPRIM_400000_NS6detail17trampoline_kernelINS0_14default_configENS1_20scan_config_selectorIfEEZZNS1_9scan_implILNS1_25lookback_scan_determinismE0ELb0ELb0ES3_PKfPffZZZN2at6native31launch_logcumsumexp_cuda_kernelERKNSB_10TensorBaseESF_lENKUlvE_clEvENKUlvE0_clEvEUlffE_fEEDaPvRmT3_T4_T5_mT6_P12ihipStream_tbENKUlT_T0_E_clISt17integral_constantIbLb0EESV_IbLb1EEEEDaSR_SS_EUlSR_E_NS1_11comp_targetILNS1_3genE8ELNS1_11target_archE1030ELNS1_3gpuE2ELNS1_3repE0EEENS1_30default_config_static_selectorELNS0_4arch9wavefront6targetE0EEEvT1_
                                        ; -- End function
	.set _ZN7rocprim17ROCPRIM_400000_NS6detail17trampoline_kernelINS0_14default_configENS1_20scan_config_selectorIfEEZZNS1_9scan_implILNS1_25lookback_scan_determinismE0ELb0ELb0ES3_PKfPffZZZN2at6native31launch_logcumsumexp_cuda_kernelERKNSB_10TensorBaseESF_lENKUlvE_clEvENKUlvE0_clEvEUlffE_fEEDaPvRmT3_T4_T5_mT6_P12ihipStream_tbENKUlT_T0_E_clISt17integral_constantIbLb0EESV_IbLb1EEEEDaSR_SS_EUlSR_E_NS1_11comp_targetILNS1_3genE8ELNS1_11target_archE1030ELNS1_3gpuE2ELNS1_3repE0EEENS1_30default_config_static_selectorELNS0_4arch9wavefront6targetE0EEEvT1_.num_vgpr, 46
	.set _ZN7rocprim17ROCPRIM_400000_NS6detail17trampoline_kernelINS0_14default_configENS1_20scan_config_selectorIfEEZZNS1_9scan_implILNS1_25lookback_scan_determinismE0ELb0ELb0ES3_PKfPffZZZN2at6native31launch_logcumsumexp_cuda_kernelERKNSB_10TensorBaseESF_lENKUlvE_clEvENKUlvE0_clEvEUlffE_fEEDaPvRmT3_T4_T5_mT6_P12ihipStream_tbENKUlT_T0_E_clISt17integral_constantIbLb0EESV_IbLb1EEEEDaSR_SS_EUlSR_E_NS1_11comp_targetILNS1_3genE8ELNS1_11target_archE1030ELNS1_3gpuE2ELNS1_3repE0EEENS1_30default_config_static_selectorELNS0_4arch9wavefront6targetE0EEEvT1_.num_agpr, 0
	.set _ZN7rocprim17ROCPRIM_400000_NS6detail17trampoline_kernelINS0_14default_configENS1_20scan_config_selectorIfEEZZNS1_9scan_implILNS1_25lookback_scan_determinismE0ELb0ELb0ES3_PKfPffZZZN2at6native31launch_logcumsumexp_cuda_kernelERKNSB_10TensorBaseESF_lENKUlvE_clEvENKUlvE0_clEvEUlffE_fEEDaPvRmT3_T4_T5_mT6_P12ihipStream_tbENKUlT_T0_E_clISt17integral_constantIbLb0EESV_IbLb1EEEEDaSR_SS_EUlSR_E_NS1_11comp_targetILNS1_3genE8ELNS1_11target_archE1030ELNS1_3gpuE2ELNS1_3repE0EEENS1_30default_config_static_selectorELNS0_4arch9wavefront6targetE0EEEvT1_.numbered_sgpr, 34
	.set _ZN7rocprim17ROCPRIM_400000_NS6detail17trampoline_kernelINS0_14default_configENS1_20scan_config_selectorIfEEZZNS1_9scan_implILNS1_25lookback_scan_determinismE0ELb0ELb0ES3_PKfPffZZZN2at6native31launch_logcumsumexp_cuda_kernelERKNSB_10TensorBaseESF_lENKUlvE_clEvENKUlvE0_clEvEUlffE_fEEDaPvRmT3_T4_T5_mT6_P12ihipStream_tbENKUlT_T0_E_clISt17integral_constantIbLb0EESV_IbLb1EEEEDaSR_SS_EUlSR_E_NS1_11comp_targetILNS1_3genE8ELNS1_11target_archE1030ELNS1_3gpuE2ELNS1_3repE0EEENS1_30default_config_static_selectorELNS0_4arch9wavefront6targetE0EEEvT1_.num_named_barrier, 0
	.set _ZN7rocprim17ROCPRIM_400000_NS6detail17trampoline_kernelINS0_14default_configENS1_20scan_config_selectorIfEEZZNS1_9scan_implILNS1_25lookback_scan_determinismE0ELb0ELb0ES3_PKfPffZZZN2at6native31launch_logcumsumexp_cuda_kernelERKNSB_10TensorBaseESF_lENKUlvE_clEvENKUlvE0_clEvEUlffE_fEEDaPvRmT3_T4_T5_mT6_P12ihipStream_tbENKUlT_T0_E_clISt17integral_constantIbLb0EESV_IbLb1EEEEDaSR_SS_EUlSR_E_NS1_11comp_targetILNS1_3genE8ELNS1_11target_archE1030ELNS1_3gpuE2ELNS1_3repE0EEENS1_30default_config_static_selectorELNS0_4arch9wavefront6targetE0EEEvT1_.private_seg_size, 0
	.set _ZN7rocprim17ROCPRIM_400000_NS6detail17trampoline_kernelINS0_14default_configENS1_20scan_config_selectorIfEEZZNS1_9scan_implILNS1_25lookback_scan_determinismE0ELb0ELb0ES3_PKfPffZZZN2at6native31launch_logcumsumexp_cuda_kernelERKNSB_10TensorBaseESF_lENKUlvE_clEvENKUlvE0_clEvEUlffE_fEEDaPvRmT3_T4_T5_mT6_P12ihipStream_tbENKUlT_T0_E_clISt17integral_constantIbLb0EESV_IbLb1EEEEDaSR_SS_EUlSR_E_NS1_11comp_targetILNS1_3genE8ELNS1_11target_archE1030ELNS1_3gpuE2ELNS1_3repE0EEENS1_30default_config_static_selectorELNS0_4arch9wavefront6targetE0EEEvT1_.uses_vcc, 1
	.set _ZN7rocprim17ROCPRIM_400000_NS6detail17trampoline_kernelINS0_14default_configENS1_20scan_config_selectorIfEEZZNS1_9scan_implILNS1_25lookback_scan_determinismE0ELb0ELb0ES3_PKfPffZZZN2at6native31launch_logcumsumexp_cuda_kernelERKNSB_10TensorBaseESF_lENKUlvE_clEvENKUlvE0_clEvEUlffE_fEEDaPvRmT3_T4_T5_mT6_P12ihipStream_tbENKUlT_T0_E_clISt17integral_constantIbLb0EESV_IbLb1EEEEDaSR_SS_EUlSR_E_NS1_11comp_targetILNS1_3genE8ELNS1_11target_archE1030ELNS1_3gpuE2ELNS1_3repE0EEENS1_30default_config_static_selectorELNS0_4arch9wavefront6targetE0EEEvT1_.uses_flat_scratch, 0
	.set _ZN7rocprim17ROCPRIM_400000_NS6detail17trampoline_kernelINS0_14default_configENS1_20scan_config_selectorIfEEZZNS1_9scan_implILNS1_25lookback_scan_determinismE0ELb0ELb0ES3_PKfPffZZZN2at6native31launch_logcumsumexp_cuda_kernelERKNSB_10TensorBaseESF_lENKUlvE_clEvENKUlvE0_clEvEUlffE_fEEDaPvRmT3_T4_T5_mT6_P12ihipStream_tbENKUlT_T0_E_clISt17integral_constantIbLb0EESV_IbLb1EEEEDaSR_SS_EUlSR_E_NS1_11comp_targetILNS1_3genE8ELNS1_11target_archE1030ELNS1_3gpuE2ELNS1_3repE0EEENS1_30default_config_static_selectorELNS0_4arch9wavefront6targetE0EEEvT1_.has_dyn_sized_stack, 0
	.set _ZN7rocprim17ROCPRIM_400000_NS6detail17trampoline_kernelINS0_14default_configENS1_20scan_config_selectorIfEEZZNS1_9scan_implILNS1_25lookback_scan_determinismE0ELb0ELb0ES3_PKfPffZZZN2at6native31launch_logcumsumexp_cuda_kernelERKNSB_10TensorBaseESF_lENKUlvE_clEvENKUlvE0_clEvEUlffE_fEEDaPvRmT3_T4_T5_mT6_P12ihipStream_tbENKUlT_T0_E_clISt17integral_constantIbLb0EESV_IbLb1EEEEDaSR_SS_EUlSR_E_NS1_11comp_targetILNS1_3genE8ELNS1_11target_archE1030ELNS1_3gpuE2ELNS1_3repE0EEENS1_30default_config_static_selectorELNS0_4arch9wavefront6targetE0EEEvT1_.has_recursion, 0
	.set _ZN7rocprim17ROCPRIM_400000_NS6detail17trampoline_kernelINS0_14default_configENS1_20scan_config_selectorIfEEZZNS1_9scan_implILNS1_25lookback_scan_determinismE0ELb0ELb0ES3_PKfPffZZZN2at6native31launch_logcumsumexp_cuda_kernelERKNSB_10TensorBaseESF_lENKUlvE_clEvENKUlvE0_clEvEUlffE_fEEDaPvRmT3_T4_T5_mT6_P12ihipStream_tbENKUlT_T0_E_clISt17integral_constantIbLb0EESV_IbLb1EEEEDaSR_SS_EUlSR_E_NS1_11comp_targetILNS1_3genE8ELNS1_11target_archE1030ELNS1_3gpuE2ELNS1_3repE0EEENS1_30default_config_static_selectorELNS0_4arch9wavefront6targetE0EEEvT1_.has_indirect_call, 0
	.section	.AMDGPU.csdata,"",@progbits
; Kernel info:
; codeLenInByte = 37144
; TotalNumSgprs: 36
; NumVgprs: 46
; ScratchSize: 0
; MemoryBound: 0
; FloatMode: 240
; IeeeMode: 1
; LDSByteSize: 1280 bytes/workgroup (compile time only)
; SGPRBlocks: 0
; VGPRBlocks: 5
; NumSGPRsForWavesPerEU: 36
; NumVGPRsForWavesPerEU: 46
; Occupancy: 16
; WaveLimiterHint : 1
; COMPUTE_PGM_RSRC2:SCRATCH_EN: 0
; COMPUTE_PGM_RSRC2:USER_SGPR: 6
; COMPUTE_PGM_RSRC2:TRAP_HANDLER: 0
; COMPUTE_PGM_RSRC2:TGID_X_EN: 1
; COMPUTE_PGM_RSRC2:TGID_Y_EN: 0
; COMPUTE_PGM_RSRC2:TGID_Z_EN: 0
; COMPUTE_PGM_RSRC2:TIDIG_COMP_CNT: 0
	.section	.text._ZN7rocprim17ROCPRIM_400000_NS6detail17trampoline_kernelINS0_14default_configENS1_20scan_config_selectorIfEEZZNS1_9scan_implILNS1_25lookback_scan_determinismE0ELb0ELb0ES3_PKfPffZZZN2at6native31launch_logcumsumexp_cuda_kernelERKNSB_10TensorBaseESF_lENKUlvE_clEvENKUlvE0_clEvEUlffE_fEEDaPvRmT3_T4_T5_mT6_P12ihipStream_tbENKUlT_T0_E_clISt17integral_constantIbLb0EESV_IbLb1EEEEDaSR_SS_EUlSR_E0_NS1_11comp_targetILNS1_3genE0ELNS1_11target_archE4294967295ELNS1_3gpuE0ELNS1_3repE0EEENS1_30default_config_static_selectorELNS0_4arch9wavefront6targetE0EEEvT1_,"axG",@progbits,_ZN7rocprim17ROCPRIM_400000_NS6detail17trampoline_kernelINS0_14default_configENS1_20scan_config_selectorIfEEZZNS1_9scan_implILNS1_25lookback_scan_determinismE0ELb0ELb0ES3_PKfPffZZZN2at6native31launch_logcumsumexp_cuda_kernelERKNSB_10TensorBaseESF_lENKUlvE_clEvENKUlvE0_clEvEUlffE_fEEDaPvRmT3_T4_T5_mT6_P12ihipStream_tbENKUlT_T0_E_clISt17integral_constantIbLb0EESV_IbLb1EEEEDaSR_SS_EUlSR_E0_NS1_11comp_targetILNS1_3genE0ELNS1_11target_archE4294967295ELNS1_3gpuE0ELNS1_3repE0EEENS1_30default_config_static_selectorELNS0_4arch9wavefront6targetE0EEEvT1_,comdat
	.globl	_ZN7rocprim17ROCPRIM_400000_NS6detail17trampoline_kernelINS0_14default_configENS1_20scan_config_selectorIfEEZZNS1_9scan_implILNS1_25lookback_scan_determinismE0ELb0ELb0ES3_PKfPffZZZN2at6native31launch_logcumsumexp_cuda_kernelERKNSB_10TensorBaseESF_lENKUlvE_clEvENKUlvE0_clEvEUlffE_fEEDaPvRmT3_T4_T5_mT6_P12ihipStream_tbENKUlT_T0_E_clISt17integral_constantIbLb0EESV_IbLb1EEEEDaSR_SS_EUlSR_E0_NS1_11comp_targetILNS1_3genE0ELNS1_11target_archE4294967295ELNS1_3gpuE0ELNS1_3repE0EEENS1_30default_config_static_selectorELNS0_4arch9wavefront6targetE0EEEvT1_ ; -- Begin function _ZN7rocprim17ROCPRIM_400000_NS6detail17trampoline_kernelINS0_14default_configENS1_20scan_config_selectorIfEEZZNS1_9scan_implILNS1_25lookback_scan_determinismE0ELb0ELb0ES3_PKfPffZZZN2at6native31launch_logcumsumexp_cuda_kernelERKNSB_10TensorBaseESF_lENKUlvE_clEvENKUlvE0_clEvEUlffE_fEEDaPvRmT3_T4_T5_mT6_P12ihipStream_tbENKUlT_T0_E_clISt17integral_constantIbLb0EESV_IbLb1EEEEDaSR_SS_EUlSR_E0_NS1_11comp_targetILNS1_3genE0ELNS1_11target_archE4294967295ELNS1_3gpuE0ELNS1_3repE0EEENS1_30default_config_static_selectorELNS0_4arch9wavefront6targetE0EEEvT1_
	.p2align	8
	.type	_ZN7rocprim17ROCPRIM_400000_NS6detail17trampoline_kernelINS0_14default_configENS1_20scan_config_selectorIfEEZZNS1_9scan_implILNS1_25lookback_scan_determinismE0ELb0ELb0ES3_PKfPffZZZN2at6native31launch_logcumsumexp_cuda_kernelERKNSB_10TensorBaseESF_lENKUlvE_clEvENKUlvE0_clEvEUlffE_fEEDaPvRmT3_T4_T5_mT6_P12ihipStream_tbENKUlT_T0_E_clISt17integral_constantIbLb0EESV_IbLb1EEEEDaSR_SS_EUlSR_E0_NS1_11comp_targetILNS1_3genE0ELNS1_11target_archE4294967295ELNS1_3gpuE0ELNS1_3repE0EEENS1_30default_config_static_selectorELNS0_4arch9wavefront6targetE0EEEvT1_,@function
_ZN7rocprim17ROCPRIM_400000_NS6detail17trampoline_kernelINS0_14default_configENS1_20scan_config_selectorIfEEZZNS1_9scan_implILNS1_25lookback_scan_determinismE0ELb0ELb0ES3_PKfPffZZZN2at6native31launch_logcumsumexp_cuda_kernelERKNSB_10TensorBaseESF_lENKUlvE_clEvENKUlvE0_clEvEUlffE_fEEDaPvRmT3_T4_T5_mT6_P12ihipStream_tbENKUlT_T0_E_clISt17integral_constantIbLb0EESV_IbLb1EEEEDaSR_SS_EUlSR_E0_NS1_11comp_targetILNS1_3genE0ELNS1_11target_archE4294967295ELNS1_3gpuE0ELNS1_3repE0EEENS1_30default_config_static_selectorELNS0_4arch9wavefront6targetE0EEEvT1_: ; @_ZN7rocprim17ROCPRIM_400000_NS6detail17trampoline_kernelINS0_14default_configENS1_20scan_config_selectorIfEEZZNS1_9scan_implILNS1_25lookback_scan_determinismE0ELb0ELb0ES3_PKfPffZZZN2at6native31launch_logcumsumexp_cuda_kernelERKNSB_10TensorBaseESF_lENKUlvE_clEvENKUlvE0_clEvEUlffE_fEEDaPvRmT3_T4_T5_mT6_P12ihipStream_tbENKUlT_T0_E_clISt17integral_constantIbLb0EESV_IbLb1EEEEDaSR_SS_EUlSR_E0_NS1_11comp_targetILNS1_3genE0ELNS1_11target_archE4294967295ELNS1_3gpuE0ELNS1_3repE0EEENS1_30default_config_static_selectorELNS0_4arch9wavefront6targetE0EEEvT1_
; %bb.0:
	.section	.rodata,"a",@progbits
	.p2align	6, 0x0
	.amdhsa_kernel _ZN7rocprim17ROCPRIM_400000_NS6detail17trampoline_kernelINS0_14default_configENS1_20scan_config_selectorIfEEZZNS1_9scan_implILNS1_25lookback_scan_determinismE0ELb0ELb0ES3_PKfPffZZZN2at6native31launch_logcumsumexp_cuda_kernelERKNSB_10TensorBaseESF_lENKUlvE_clEvENKUlvE0_clEvEUlffE_fEEDaPvRmT3_T4_T5_mT6_P12ihipStream_tbENKUlT_T0_E_clISt17integral_constantIbLb0EESV_IbLb1EEEEDaSR_SS_EUlSR_E0_NS1_11comp_targetILNS1_3genE0ELNS1_11target_archE4294967295ELNS1_3gpuE0ELNS1_3repE0EEENS1_30default_config_static_selectorELNS0_4arch9wavefront6targetE0EEEvT1_
		.amdhsa_group_segment_fixed_size 0
		.amdhsa_private_segment_fixed_size 0
		.amdhsa_kernarg_size 32
		.amdhsa_user_sgpr_count 6
		.amdhsa_user_sgpr_private_segment_buffer 1
		.amdhsa_user_sgpr_dispatch_ptr 0
		.amdhsa_user_sgpr_queue_ptr 0
		.amdhsa_user_sgpr_kernarg_segment_ptr 1
		.amdhsa_user_sgpr_dispatch_id 0
		.amdhsa_user_sgpr_flat_scratch_init 0
		.amdhsa_user_sgpr_private_segment_size 0
		.amdhsa_wavefront_size32 1
		.amdhsa_uses_dynamic_stack 0
		.amdhsa_system_sgpr_private_segment_wavefront_offset 0
		.amdhsa_system_sgpr_workgroup_id_x 1
		.amdhsa_system_sgpr_workgroup_id_y 0
		.amdhsa_system_sgpr_workgroup_id_z 0
		.amdhsa_system_sgpr_workgroup_info 0
		.amdhsa_system_vgpr_workitem_id 0
		.amdhsa_next_free_vgpr 1
		.amdhsa_next_free_sgpr 1
		.amdhsa_reserve_vcc 0
		.amdhsa_reserve_flat_scratch 0
		.amdhsa_float_round_mode_32 0
		.amdhsa_float_round_mode_16_64 0
		.amdhsa_float_denorm_mode_32 3
		.amdhsa_float_denorm_mode_16_64 3
		.amdhsa_dx10_clamp 1
		.amdhsa_ieee_mode 1
		.amdhsa_fp16_overflow 0
		.amdhsa_workgroup_processor_mode 1
		.amdhsa_memory_ordered 1
		.amdhsa_forward_progress 1
		.amdhsa_shared_vgpr_count 0
		.amdhsa_exception_fp_ieee_invalid_op 0
		.amdhsa_exception_fp_denorm_src 0
		.amdhsa_exception_fp_ieee_div_zero 0
		.amdhsa_exception_fp_ieee_overflow 0
		.amdhsa_exception_fp_ieee_underflow 0
		.amdhsa_exception_fp_ieee_inexact 0
		.amdhsa_exception_int_div_zero 0
	.end_amdhsa_kernel
	.section	.text._ZN7rocprim17ROCPRIM_400000_NS6detail17trampoline_kernelINS0_14default_configENS1_20scan_config_selectorIfEEZZNS1_9scan_implILNS1_25lookback_scan_determinismE0ELb0ELb0ES3_PKfPffZZZN2at6native31launch_logcumsumexp_cuda_kernelERKNSB_10TensorBaseESF_lENKUlvE_clEvENKUlvE0_clEvEUlffE_fEEDaPvRmT3_T4_T5_mT6_P12ihipStream_tbENKUlT_T0_E_clISt17integral_constantIbLb0EESV_IbLb1EEEEDaSR_SS_EUlSR_E0_NS1_11comp_targetILNS1_3genE0ELNS1_11target_archE4294967295ELNS1_3gpuE0ELNS1_3repE0EEENS1_30default_config_static_selectorELNS0_4arch9wavefront6targetE0EEEvT1_,"axG",@progbits,_ZN7rocprim17ROCPRIM_400000_NS6detail17trampoline_kernelINS0_14default_configENS1_20scan_config_selectorIfEEZZNS1_9scan_implILNS1_25lookback_scan_determinismE0ELb0ELb0ES3_PKfPffZZZN2at6native31launch_logcumsumexp_cuda_kernelERKNSB_10TensorBaseESF_lENKUlvE_clEvENKUlvE0_clEvEUlffE_fEEDaPvRmT3_T4_T5_mT6_P12ihipStream_tbENKUlT_T0_E_clISt17integral_constantIbLb0EESV_IbLb1EEEEDaSR_SS_EUlSR_E0_NS1_11comp_targetILNS1_3genE0ELNS1_11target_archE4294967295ELNS1_3gpuE0ELNS1_3repE0EEENS1_30default_config_static_selectorELNS0_4arch9wavefront6targetE0EEEvT1_,comdat
.Lfunc_end162:
	.size	_ZN7rocprim17ROCPRIM_400000_NS6detail17trampoline_kernelINS0_14default_configENS1_20scan_config_selectorIfEEZZNS1_9scan_implILNS1_25lookback_scan_determinismE0ELb0ELb0ES3_PKfPffZZZN2at6native31launch_logcumsumexp_cuda_kernelERKNSB_10TensorBaseESF_lENKUlvE_clEvENKUlvE0_clEvEUlffE_fEEDaPvRmT3_T4_T5_mT6_P12ihipStream_tbENKUlT_T0_E_clISt17integral_constantIbLb0EESV_IbLb1EEEEDaSR_SS_EUlSR_E0_NS1_11comp_targetILNS1_3genE0ELNS1_11target_archE4294967295ELNS1_3gpuE0ELNS1_3repE0EEENS1_30default_config_static_selectorELNS0_4arch9wavefront6targetE0EEEvT1_, .Lfunc_end162-_ZN7rocprim17ROCPRIM_400000_NS6detail17trampoline_kernelINS0_14default_configENS1_20scan_config_selectorIfEEZZNS1_9scan_implILNS1_25lookback_scan_determinismE0ELb0ELb0ES3_PKfPffZZZN2at6native31launch_logcumsumexp_cuda_kernelERKNSB_10TensorBaseESF_lENKUlvE_clEvENKUlvE0_clEvEUlffE_fEEDaPvRmT3_T4_T5_mT6_P12ihipStream_tbENKUlT_T0_E_clISt17integral_constantIbLb0EESV_IbLb1EEEEDaSR_SS_EUlSR_E0_NS1_11comp_targetILNS1_3genE0ELNS1_11target_archE4294967295ELNS1_3gpuE0ELNS1_3repE0EEENS1_30default_config_static_selectorELNS0_4arch9wavefront6targetE0EEEvT1_
                                        ; -- End function
	.set _ZN7rocprim17ROCPRIM_400000_NS6detail17trampoline_kernelINS0_14default_configENS1_20scan_config_selectorIfEEZZNS1_9scan_implILNS1_25lookback_scan_determinismE0ELb0ELb0ES3_PKfPffZZZN2at6native31launch_logcumsumexp_cuda_kernelERKNSB_10TensorBaseESF_lENKUlvE_clEvENKUlvE0_clEvEUlffE_fEEDaPvRmT3_T4_T5_mT6_P12ihipStream_tbENKUlT_T0_E_clISt17integral_constantIbLb0EESV_IbLb1EEEEDaSR_SS_EUlSR_E0_NS1_11comp_targetILNS1_3genE0ELNS1_11target_archE4294967295ELNS1_3gpuE0ELNS1_3repE0EEENS1_30default_config_static_selectorELNS0_4arch9wavefront6targetE0EEEvT1_.num_vgpr, 0
	.set _ZN7rocprim17ROCPRIM_400000_NS6detail17trampoline_kernelINS0_14default_configENS1_20scan_config_selectorIfEEZZNS1_9scan_implILNS1_25lookback_scan_determinismE0ELb0ELb0ES3_PKfPffZZZN2at6native31launch_logcumsumexp_cuda_kernelERKNSB_10TensorBaseESF_lENKUlvE_clEvENKUlvE0_clEvEUlffE_fEEDaPvRmT3_T4_T5_mT6_P12ihipStream_tbENKUlT_T0_E_clISt17integral_constantIbLb0EESV_IbLb1EEEEDaSR_SS_EUlSR_E0_NS1_11comp_targetILNS1_3genE0ELNS1_11target_archE4294967295ELNS1_3gpuE0ELNS1_3repE0EEENS1_30default_config_static_selectorELNS0_4arch9wavefront6targetE0EEEvT1_.num_agpr, 0
	.set _ZN7rocprim17ROCPRIM_400000_NS6detail17trampoline_kernelINS0_14default_configENS1_20scan_config_selectorIfEEZZNS1_9scan_implILNS1_25lookback_scan_determinismE0ELb0ELb0ES3_PKfPffZZZN2at6native31launch_logcumsumexp_cuda_kernelERKNSB_10TensorBaseESF_lENKUlvE_clEvENKUlvE0_clEvEUlffE_fEEDaPvRmT3_T4_T5_mT6_P12ihipStream_tbENKUlT_T0_E_clISt17integral_constantIbLb0EESV_IbLb1EEEEDaSR_SS_EUlSR_E0_NS1_11comp_targetILNS1_3genE0ELNS1_11target_archE4294967295ELNS1_3gpuE0ELNS1_3repE0EEENS1_30default_config_static_selectorELNS0_4arch9wavefront6targetE0EEEvT1_.numbered_sgpr, 0
	.set _ZN7rocprim17ROCPRIM_400000_NS6detail17trampoline_kernelINS0_14default_configENS1_20scan_config_selectorIfEEZZNS1_9scan_implILNS1_25lookback_scan_determinismE0ELb0ELb0ES3_PKfPffZZZN2at6native31launch_logcumsumexp_cuda_kernelERKNSB_10TensorBaseESF_lENKUlvE_clEvENKUlvE0_clEvEUlffE_fEEDaPvRmT3_T4_T5_mT6_P12ihipStream_tbENKUlT_T0_E_clISt17integral_constantIbLb0EESV_IbLb1EEEEDaSR_SS_EUlSR_E0_NS1_11comp_targetILNS1_3genE0ELNS1_11target_archE4294967295ELNS1_3gpuE0ELNS1_3repE0EEENS1_30default_config_static_selectorELNS0_4arch9wavefront6targetE0EEEvT1_.num_named_barrier, 0
	.set _ZN7rocprim17ROCPRIM_400000_NS6detail17trampoline_kernelINS0_14default_configENS1_20scan_config_selectorIfEEZZNS1_9scan_implILNS1_25lookback_scan_determinismE0ELb0ELb0ES3_PKfPffZZZN2at6native31launch_logcumsumexp_cuda_kernelERKNSB_10TensorBaseESF_lENKUlvE_clEvENKUlvE0_clEvEUlffE_fEEDaPvRmT3_T4_T5_mT6_P12ihipStream_tbENKUlT_T0_E_clISt17integral_constantIbLb0EESV_IbLb1EEEEDaSR_SS_EUlSR_E0_NS1_11comp_targetILNS1_3genE0ELNS1_11target_archE4294967295ELNS1_3gpuE0ELNS1_3repE0EEENS1_30default_config_static_selectorELNS0_4arch9wavefront6targetE0EEEvT1_.private_seg_size, 0
	.set _ZN7rocprim17ROCPRIM_400000_NS6detail17trampoline_kernelINS0_14default_configENS1_20scan_config_selectorIfEEZZNS1_9scan_implILNS1_25lookback_scan_determinismE0ELb0ELb0ES3_PKfPffZZZN2at6native31launch_logcumsumexp_cuda_kernelERKNSB_10TensorBaseESF_lENKUlvE_clEvENKUlvE0_clEvEUlffE_fEEDaPvRmT3_T4_T5_mT6_P12ihipStream_tbENKUlT_T0_E_clISt17integral_constantIbLb0EESV_IbLb1EEEEDaSR_SS_EUlSR_E0_NS1_11comp_targetILNS1_3genE0ELNS1_11target_archE4294967295ELNS1_3gpuE0ELNS1_3repE0EEENS1_30default_config_static_selectorELNS0_4arch9wavefront6targetE0EEEvT1_.uses_vcc, 0
	.set _ZN7rocprim17ROCPRIM_400000_NS6detail17trampoline_kernelINS0_14default_configENS1_20scan_config_selectorIfEEZZNS1_9scan_implILNS1_25lookback_scan_determinismE0ELb0ELb0ES3_PKfPffZZZN2at6native31launch_logcumsumexp_cuda_kernelERKNSB_10TensorBaseESF_lENKUlvE_clEvENKUlvE0_clEvEUlffE_fEEDaPvRmT3_T4_T5_mT6_P12ihipStream_tbENKUlT_T0_E_clISt17integral_constantIbLb0EESV_IbLb1EEEEDaSR_SS_EUlSR_E0_NS1_11comp_targetILNS1_3genE0ELNS1_11target_archE4294967295ELNS1_3gpuE0ELNS1_3repE0EEENS1_30default_config_static_selectorELNS0_4arch9wavefront6targetE0EEEvT1_.uses_flat_scratch, 0
	.set _ZN7rocprim17ROCPRIM_400000_NS6detail17trampoline_kernelINS0_14default_configENS1_20scan_config_selectorIfEEZZNS1_9scan_implILNS1_25lookback_scan_determinismE0ELb0ELb0ES3_PKfPffZZZN2at6native31launch_logcumsumexp_cuda_kernelERKNSB_10TensorBaseESF_lENKUlvE_clEvENKUlvE0_clEvEUlffE_fEEDaPvRmT3_T4_T5_mT6_P12ihipStream_tbENKUlT_T0_E_clISt17integral_constantIbLb0EESV_IbLb1EEEEDaSR_SS_EUlSR_E0_NS1_11comp_targetILNS1_3genE0ELNS1_11target_archE4294967295ELNS1_3gpuE0ELNS1_3repE0EEENS1_30default_config_static_selectorELNS0_4arch9wavefront6targetE0EEEvT1_.has_dyn_sized_stack, 0
	.set _ZN7rocprim17ROCPRIM_400000_NS6detail17trampoline_kernelINS0_14default_configENS1_20scan_config_selectorIfEEZZNS1_9scan_implILNS1_25lookback_scan_determinismE0ELb0ELb0ES3_PKfPffZZZN2at6native31launch_logcumsumexp_cuda_kernelERKNSB_10TensorBaseESF_lENKUlvE_clEvENKUlvE0_clEvEUlffE_fEEDaPvRmT3_T4_T5_mT6_P12ihipStream_tbENKUlT_T0_E_clISt17integral_constantIbLb0EESV_IbLb1EEEEDaSR_SS_EUlSR_E0_NS1_11comp_targetILNS1_3genE0ELNS1_11target_archE4294967295ELNS1_3gpuE0ELNS1_3repE0EEENS1_30default_config_static_selectorELNS0_4arch9wavefront6targetE0EEEvT1_.has_recursion, 0
	.set _ZN7rocprim17ROCPRIM_400000_NS6detail17trampoline_kernelINS0_14default_configENS1_20scan_config_selectorIfEEZZNS1_9scan_implILNS1_25lookback_scan_determinismE0ELb0ELb0ES3_PKfPffZZZN2at6native31launch_logcumsumexp_cuda_kernelERKNSB_10TensorBaseESF_lENKUlvE_clEvENKUlvE0_clEvEUlffE_fEEDaPvRmT3_T4_T5_mT6_P12ihipStream_tbENKUlT_T0_E_clISt17integral_constantIbLb0EESV_IbLb1EEEEDaSR_SS_EUlSR_E0_NS1_11comp_targetILNS1_3genE0ELNS1_11target_archE4294967295ELNS1_3gpuE0ELNS1_3repE0EEENS1_30default_config_static_selectorELNS0_4arch9wavefront6targetE0EEEvT1_.has_indirect_call, 0
	.section	.AMDGPU.csdata,"",@progbits
; Kernel info:
; codeLenInByte = 0
; TotalNumSgprs: 0
; NumVgprs: 0
; ScratchSize: 0
; MemoryBound: 0
; FloatMode: 240
; IeeeMode: 1
; LDSByteSize: 0 bytes/workgroup (compile time only)
; SGPRBlocks: 0
; VGPRBlocks: 0
; NumSGPRsForWavesPerEU: 1
; NumVGPRsForWavesPerEU: 1
; Occupancy: 16
; WaveLimiterHint : 0
; COMPUTE_PGM_RSRC2:SCRATCH_EN: 0
; COMPUTE_PGM_RSRC2:USER_SGPR: 6
; COMPUTE_PGM_RSRC2:TRAP_HANDLER: 0
; COMPUTE_PGM_RSRC2:TGID_X_EN: 1
; COMPUTE_PGM_RSRC2:TGID_Y_EN: 0
; COMPUTE_PGM_RSRC2:TGID_Z_EN: 0
; COMPUTE_PGM_RSRC2:TIDIG_COMP_CNT: 0
	.section	.text._ZN7rocprim17ROCPRIM_400000_NS6detail17trampoline_kernelINS0_14default_configENS1_20scan_config_selectorIfEEZZNS1_9scan_implILNS1_25lookback_scan_determinismE0ELb0ELb0ES3_PKfPffZZZN2at6native31launch_logcumsumexp_cuda_kernelERKNSB_10TensorBaseESF_lENKUlvE_clEvENKUlvE0_clEvEUlffE_fEEDaPvRmT3_T4_T5_mT6_P12ihipStream_tbENKUlT_T0_E_clISt17integral_constantIbLb0EESV_IbLb1EEEEDaSR_SS_EUlSR_E0_NS1_11comp_targetILNS1_3genE5ELNS1_11target_archE942ELNS1_3gpuE9ELNS1_3repE0EEENS1_30default_config_static_selectorELNS0_4arch9wavefront6targetE0EEEvT1_,"axG",@progbits,_ZN7rocprim17ROCPRIM_400000_NS6detail17trampoline_kernelINS0_14default_configENS1_20scan_config_selectorIfEEZZNS1_9scan_implILNS1_25lookback_scan_determinismE0ELb0ELb0ES3_PKfPffZZZN2at6native31launch_logcumsumexp_cuda_kernelERKNSB_10TensorBaseESF_lENKUlvE_clEvENKUlvE0_clEvEUlffE_fEEDaPvRmT3_T4_T5_mT6_P12ihipStream_tbENKUlT_T0_E_clISt17integral_constantIbLb0EESV_IbLb1EEEEDaSR_SS_EUlSR_E0_NS1_11comp_targetILNS1_3genE5ELNS1_11target_archE942ELNS1_3gpuE9ELNS1_3repE0EEENS1_30default_config_static_selectorELNS0_4arch9wavefront6targetE0EEEvT1_,comdat
	.globl	_ZN7rocprim17ROCPRIM_400000_NS6detail17trampoline_kernelINS0_14default_configENS1_20scan_config_selectorIfEEZZNS1_9scan_implILNS1_25lookback_scan_determinismE0ELb0ELb0ES3_PKfPffZZZN2at6native31launch_logcumsumexp_cuda_kernelERKNSB_10TensorBaseESF_lENKUlvE_clEvENKUlvE0_clEvEUlffE_fEEDaPvRmT3_T4_T5_mT6_P12ihipStream_tbENKUlT_T0_E_clISt17integral_constantIbLb0EESV_IbLb1EEEEDaSR_SS_EUlSR_E0_NS1_11comp_targetILNS1_3genE5ELNS1_11target_archE942ELNS1_3gpuE9ELNS1_3repE0EEENS1_30default_config_static_selectorELNS0_4arch9wavefront6targetE0EEEvT1_ ; -- Begin function _ZN7rocprim17ROCPRIM_400000_NS6detail17trampoline_kernelINS0_14default_configENS1_20scan_config_selectorIfEEZZNS1_9scan_implILNS1_25lookback_scan_determinismE0ELb0ELb0ES3_PKfPffZZZN2at6native31launch_logcumsumexp_cuda_kernelERKNSB_10TensorBaseESF_lENKUlvE_clEvENKUlvE0_clEvEUlffE_fEEDaPvRmT3_T4_T5_mT6_P12ihipStream_tbENKUlT_T0_E_clISt17integral_constantIbLb0EESV_IbLb1EEEEDaSR_SS_EUlSR_E0_NS1_11comp_targetILNS1_3genE5ELNS1_11target_archE942ELNS1_3gpuE9ELNS1_3repE0EEENS1_30default_config_static_selectorELNS0_4arch9wavefront6targetE0EEEvT1_
	.p2align	8
	.type	_ZN7rocprim17ROCPRIM_400000_NS6detail17trampoline_kernelINS0_14default_configENS1_20scan_config_selectorIfEEZZNS1_9scan_implILNS1_25lookback_scan_determinismE0ELb0ELb0ES3_PKfPffZZZN2at6native31launch_logcumsumexp_cuda_kernelERKNSB_10TensorBaseESF_lENKUlvE_clEvENKUlvE0_clEvEUlffE_fEEDaPvRmT3_T4_T5_mT6_P12ihipStream_tbENKUlT_T0_E_clISt17integral_constantIbLb0EESV_IbLb1EEEEDaSR_SS_EUlSR_E0_NS1_11comp_targetILNS1_3genE5ELNS1_11target_archE942ELNS1_3gpuE9ELNS1_3repE0EEENS1_30default_config_static_selectorELNS0_4arch9wavefront6targetE0EEEvT1_,@function
_ZN7rocprim17ROCPRIM_400000_NS6detail17trampoline_kernelINS0_14default_configENS1_20scan_config_selectorIfEEZZNS1_9scan_implILNS1_25lookback_scan_determinismE0ELb0ELb0ES3_PKfPffZZZN2at6native31launch_logcumsumexp_cuda_kernelERKNSB_10TensorBaseESF_lENKUlvE_clEvENKUlvE0_clEvEUlffE_fEEDaPvRmT3_T4_T5_mT6_P12ihipStream_tbENKUlT_T0_E_clISt17integral_constantIbLb0EESV_IbLb1EEEEDaSR_SS_EUlSR_E0_NS1_11comp_targetILNS1_3genE5ELNS1_11target_archE942ELNS1_3gpuE9ELNS1_3repE0EEENS1_30default_config_static_selectorELNS0_4arch9wavefront6targetE0EEEvT1_: ; @_ZN7rocprim17ROCPRIM_400000_NS6detail17trampoline_kernelINS0_14default_configENS1_20scan_config_selectorIfEEZZNS1_9scan_implILNS1_25lookback_scan_determinismE0ELb0ELb0ES3_PKfPffZZZN2at6native31launch_logcumsumexp_cuda_kernelERKNSB_10TensorBaseESF_lENKUlvE_clEvENKUlvE0_clEvEUlffE_fEEDaPvRmT3_T4_T5_mT6_P12ihipStream_tbENKUlT_T0_E_clISt17integral_constantIbLb0EESV_IbLb1EEEEDaSR_SS_EUlSR_E0_NS1_11comp_targetILNS1_3genE5ELNS1_11target_archE942ELNS1_3gpuE9ELNS1_3repE0EEENS1_30default_config_static_selectorELNS0_4arch9wavefront6targetE0EEEvT1_
; %bb.0:
	.section	.rodata,"a",@progbits
	.p2align	6, 0x0
	.amdhsa_kernel _ZN7rocprim17ROCPRIM_400000_NS6detail17trampoline_kernelINS0_14default_configENS1_20scan_config_selectorIfEEZZNS1_9scan_implILNS1_25lookback_scan_determinismE0ELb0ELb0ES3_PKfPffZZZN2at6native31launch_logcumsumexp_cuda_kernelERKNSB_10TensorBaseESF_lENKUlvE_clEvENKUlvE0_clEvEUlffE_fEEDaPvRmT3_T4_T5_mT6_P12ihipStream_tbENKUlT_T0_E_clISt17integral_constantIbLb0EESV_IbLb1EEEEDaSR_SS_EUlSR_E0_NS1_11comp_targetILNS1_3genE5ELNS1_11target_archE942ELNS1_3gpuE9ELNS1_3repE0EEENS1_30default_config_static_selectorELNS0_4arch9wavefront6targetE0EEEvT1_
		.amdhsa_group_segment_fixed_size 0
		.amdhsa_private_segment_fixed_size 0
		.amdhsa_kernarg_size 32
		.amdhsa_user_sgpr_count 6
		.amdhsa_user_sgpr_private_segment_buffer 1
		.amdhsa_user_sgpr_dispatch_ptr 0
		.amdhsa_user_sgpr_queue_ptr 0
		.amdhsa_user_sgpr_kernarg_segment_ptr 1
		.amdhsa_user_sgpr_dispatch_id 0
		.amdhsa_user_sgpr_flat_scratch_init 0
		.amdhsa_user_sgpr_private_segment_size 0
		.amdhsa_wavefront_size32 1
		.amdhsa_uses_dynamic_stack 0
		.amdhsa_system_sgpr_private_segment_wavefront_offset 0
		.amdhsa_system_sgpr_workgroup_id_x 1
		.amdhsa_system_sgpr_workgroup_id_y 0
		.amdhsa_system_sgpr_workgroup_id_z 0
		.amdhsa_system_sgpr_workgroup_info 0
		.amdhsa_system_vgpr_workitem_id 0
		.amdhsa_next_free_vgpr 1
		.amdhsa_next_free_sgpr 1
		.amdhsa_reserve_vcc 0
		.amdhsa_reserve_flat_scratch 0
		.amdhsa_float_round_mode_32 0
		.amdhsa_float_round_mode_16_64 0
		.amdhsa_float_denorm_mode_32 3
		.amdhsa_float_denorm_mode_16_64 3
		.amdhsa_dx10_clamp 1
		.amdhsa_ieee_mode 1
		.amdhsa_fp16_overflow 0
		.amdhsa_workgroup_processor_mode 1
		.amdhsa_memory_ordered 1
		.amdhsa_forward_progress 1
		.amdhsa_shared_vgpr_count 0
		.amdhsa_exception_fp_ieee_invalid_op 0
		.amdhsa_exception_fp_denorm_src 0
		.amdhsa_exception_fp_ieee_div_zero 0
		.amdhsa_exception_fp_ieee_overflow 0
		.amdhsa_exception_fp_ieee_underflow 0
		.amdhsa_exception_fp_ieee_inexact 0
		.amdhsa_exception_int_div_zero 0
	.end_amdhsa_kernel
	.section	.text._ZN7rocprim17ROCPRIM_400000_NS6detail17trampoline_kernelINS0_14default_configENS1_20scan_config_selectorIfEEZZNS1_9scan_implILNS1_25lookback_scan_determinismE0ELb0ELb0ES3_PKfPffZZZN2at6native31launch_logcumsumexp_cuda_kernelERKNSB_10TensorBaseESF_lENKUlvE_clEvENKUlvE0_clEvEUlffE_fEEDaPvRmT3_T4_T5_mT6_P12ihipStream_tbENKUlT_T0_E_clISt17integral_constantIbLb0EESV_IbLb1EEEEDaSR_SS_EUlSR_E0_NS1_11comp_targetILNS1_3genE5ELNS1_11target_archE942ELNS1_3gpuE9ELNS1_3repE0EEENS1_30default_config_static_selectorELNS0_4arch9wavefront6targetE0EEEvT1_,"axG",@progbits,_ZN7rocprim17ROCPRIM_400000_NS6detail17trampoline_kernelINS0_14default_configENS1_20scan_config_selectorIfEEZZNS1_9scan_implILNS1_25lookback_scan_determinismE0ELb0ELb0ES3_PKfPffZZZN2at6native31launch_logcumsumexp_cuda_kernelERKNSB_10TensorBaseESF_lENKUlvE_clEvENKUlvE0_clEvEUlffE_fEEDaPvRmT3_T4_T5_mT6_P12ihipStream_tbENKUlT_T0_E_clISt17integral_constantIbLb0EESV_IbLb1EEEEDaSR_SS_EUlSR_E0_NS1_11comp_targetILNS1_3genE5ELNS1_11target_archE942ELNS1_3gpuE9ELNS1_3repE0EEENS1_30default_config_static_selectorELNS0_4arch9wavefront6targetE0EEEvT1_,comdat
.Lfunc_end163:
	.size	_ZN7rocprim17ROCPRIM_400000_NS6detail17trampoline_kernelINS0_14default_configENS1_20scan_config_selectorIfEEZZNS1_9scan_implILNS1_25lookback_scan_determinismE0ELb0ELb0ES3_PKfPffZZZN2at6native31launch_logcumsumexp_cuda_kernelERKNSB_10TensorBaseESF_lENKUlvE_clEvENKUlvE0_clEvEUlffE_fEEDaPvRmT3_T4_T5_mT6_P12ihipStream_tbENKUlT_T0_E_clISt17integral_constantIbLb0EESV_IbLb1EEEEDaSR_SS_EUlSR_E0_NS1_11comp_targetILNS1_3genE5ELNS1_11target_archE942ELNS1_3gpuE9ELNS1_3repE0EEENS1_30default_config_static_selectorELNS0_4arch9wavefront6targetE0EEEvT1_, .Lfunc_end163-_ZN7rocprim17ROCPRIM_400000_NS6detail17trampoline_kernelINS0_14default_configENS1_20scan_config_selectorIfEEZZNS1_9scan_implILNS1_25lookback_scan_determinismE0ELb0ELb0ES3_PKfPffZZZN2at6native31launch_logcumsumexp_cuda_kernelERKNSB_10TensorBaseESF_lENKUlvE_clEvENKUlvE0_clEvEUlffE_fEEDaPvRmT3_T4_T5_mT6_P12ihipStream_tbENKUlT_T0_E_clISt17integral_constantIbLb0EESV_IbLb1EEEEDaSR_SS_EUlSR_E0_NS1_11comp_targetILNS1_3genE5ELNS1_11target_archE942ELNS1_3gpuE9ELNS1_3repE0EEENS1_30default_config_static_selectorELNS0_4arch9wavefront6targetE0EEEvT1_
                                        ; -- End function
	.set _ZN7rocprim17ROCPRIM_400000_NS6detail17trampoline_kernelINS0_14default_configENS1_20scan_config_selectorIfEEZZNS1_9scan_implILNS1_25lookback_scan_determinismE0ELb0ELb0ES3_PKfPffZZZN2at6native31launch_logcumsumexp_cuda_kernelERKNSB_10TensorBaseESF_lENKUlvE_clEvENKUlvE0_clEvEUlffE_fEEDaPvRmT3_T4_T5_mT6_P12ihipStream_tbENKUlT_T0_E_clISt17integral_constantIbLb0EESV_IbLb1EEEEDaSR_SS_EUlSR_E0_NS1_11comp_targetILNS1_3genE5ELNS1_11target_archE942ELNS1_3gpuE9ELNS1_3repE0EEENS1_30default_config_static_selectorELNS0_4arch9wavefront6targetE0EEEvT1_.num_vgpr, 0
	.set _ZN7rocprim17ROCPRIM_400000_NS6detail17trampoline_kernelINS0_14default_configENS1_20scan_config_selectorIfEEZZNS1_9scan_implILNS1_25lookback_scan_determinismE0ELb0ELb0ES3_PKfPffZZZN2at6native31launch_logcumsumexp_cuda_kernelERKNSB_10TensorBaseESF_lENKUlvE_clEvENKUlvE0_clEvEUlffE_fEEDaPvRmT3_T4_T5_mT6_P12ihipStream_tbENKUlT_T0_E_clISt17integral_constantIbLb0EESV_IbLb1EEEEDaSR_SS_EUlSR_E0_NS1_11comp_targetILNS1_3genE5ELNS1_11target_archE942ELNS1_3gpuE9ELNS1_3repE0EEENS1_30default_config_static_selectorELNS0_4arch9wavefront6targetE0EEEvT1_.num_agpr, 0
	.set _ZN7rocprim17ROCPRIM_400000_NS6detail17trampoline_kernelINS0_14default_configENS1_20scan_config_selectorIfEEZZNS1_9scan_implILNS1_25lookback_scan_determinismE0ELb0ELb0ES3_PKfPffZZZN2at6native31launch_logcumsumexp_cuda_kernelERKNSB_10TensorBaseESF_lENKUlvE_clEvENKUlvE0_clEvEUlffE_fEEDaPvRmT3_T4_T5_mT6_P12ihipStream_tbENKUlT_T0_E_clISt17integral_constantIbLb0EESV_IbLb1EEEEDaSR_SS_EUlSR_E0_NS1_11comp_targetILNS1_3genE5ELNS1_11target_archE942ELNS1_3gpuE9ELNS1_3repE0EEENS1_30default_config_static_selectorELNS0_4arch9wavefront6targetE0EEEvT1_.numbered_sgpr, 0
	.set _ZN7rocprim17ROCPRIM_400000_NS6detail17trampoline_kernelINS0_14default_configENS1_20scan_config_selectorIfEEZZNS1_9scan_implILNS1_25lookback_scan_determinismE0ELb0ELb0ES3_PKfPffZZZN2at6native31launch_logcumsumexp_cuda_kernelERKNSB_10TensorBaseESF_lENKUlvE_clEvENKUlvE0_clEvEUlffE_fEEDaPvRmT3_T4_T5_mT6_P12ihipStream_tbENKUlT_T0_E_clISt17integral_constantIbLb0EESV_IbLb1EEEEDaSR_SS_EUlSR_E0_NS1_11comp_targetILNS1_3genE5ELNS1_11target_archE942ELNS1_3gpuE9ELNS1_3repE0EEENS1_30default_config_static_selectorELNS0_4arch9wavefront6targetE0EEEvT1_.num_named_barrier, 0
	.set _ZN7rocprim17ROCPRIM_400000_NS6detail17trampoline_kernelINS0_14default_configENS1_20scan_config_selectorIfEEZZNS1_9scan_implILNS1_25lookback_scan_determinismE0ELb0ELb0ES3_PKfPffZZZN2at6native31launch_logcumsumexp_cuda_kernelERKNSB_10TensorBaseESF_lENKUlvE_clEvENKUlvE0_clEvEUlffE_fEEDaPvRmT3_T4_T5_mT6_P12ihipStream_tbENKUlT_T0_E_clISt17integral_constantIbLb0EESV_IbLb1EEEEDaSR_SS_EUlSR_E0_NS1_11comp_targetILNS1_3genE5ELNS1_11target_archE942ELNS1_3gpuE9ELNS1_3repE0EEENS1_30default_config_static_selectorELNS0_4arch9wavefront6targetE0EEEvT1_.private_seg_size, 0
	.set _ZN7rocprim17ROCPRIM_400000_NS6detail17trampoline_kernelINS0_14default_configENS1_20scan_config_selectorIfEEZZNS1_9scan_implILNS1_25lookback_scan_determinismE0ELb0ELb0ES3_PKfPffZZZN2at6native31launch_logcumsumexp_cuda_kernelERKNSB_10TensorBaseESF_lENKUlvE_clEvENKUlvE0_clEvEUlffE_fEEDaPvRmT3_T4_T5_mT6_P12ihipStream_tbENKUlT_T0_E_clISt17integral_constantIbLb0EESV_IbLb1EEEEDaSR_SS_EUlSR_E0_NS1_11comp_targetILNS1_3genE5ELNS1_11target_archE942ELNS1_3gpuE9ELNS1_3repE0EEENS1_30default_config_static_selectorELNS0_4arch9wavefront6targetE0EEEvT1_.uses_vcc, 0
	.set _ZN7rocprim17ROCPRIM_400000_NS6detail17trampoline_kernelINS0_14default_configENS1_20scan_config_selectorIfEEZZNS1_9scan_implILNS1_25lookback_scan_determinismE0ELb0ELb0ES3_PKfPffZZZN2at6native31launch_logcumsumexp_cuda_kernelERKNSB_10TensorBaseESF_lENKUlvE_clEvENKUlvE0_clEvEUlffE_fEEDaPvRmT3_T4_T5_mT6_P12ihipStream_tbENKUlT_T0_E_clISt17integral_constantIbLb0EESV_IbLb1EEEEDaSR_SS_EUlSR_E0_NS1_11comp_targetILNS1_3genE5ELNS1_11target_archE942ELNS1_3gpuE9ELNS1_3repE0EEENS1_30default_config_static_selectorELNS0_4arch9wavefront6targetE0EEEvT1_.uses_flat_scratch, 0
	.set _ZN7rocprim17ROCPRIM_400000_NS6detail17trampoline_kernelINS0_14default_configENS1_20scan_config_selectorIfEEZZNS1_9scan_implILNS1_25lookback_scan_determinismE0ELb0ELb0ES3_PKfPffZZZN2at6native31launch_logcumsumexp_cuda_kernelERKNSB_10TensorBaseESF_lENKUlvE_clEvENKUlvE0_clEvEUlffE_fEEDaPvRmT3_T4_T5_mT6_P12ihipStream_tbENKUlT_T0_E_clISt17integral_constantIbLb0EESV_IbLb1EEEEDaSR_SS_EUlSR_E0_NS1_11comp_targetILNS1_3genE5ELNS1_11target_archE942ELNS1_3gpuE9ELNS1_3repE0EEENS1_30default_config_static_selectorELNS0_4arch9wavefront6targetE0EEEvT1_.has_dyn_sized_stack, 0
	.set _ZN7rocprim17ROCPRIM_400000_NS6detail17trampoline_kernelINS0_14default_configENS1_20scan_config_selectorIfEEZZNS1_9scan_implILNS1_25lookback_scan_determinismE0ELb0ELb0ES3_PKfPffZZZN2at6native31launch_logcumsumexp_cuda_kernelERKNSB_10TensorBaseESF_lENKUlvE_clEvENKUlvE0_clEvEUlffE_fEEDaPvRmT3_T4_T5_mT6_P12ihipStream_tbENKUlT_T0_E_clISt17integral_constantIbLb0EESV_IbLb1EEEEDaSR_SS_EUlSR_E0_NS1_11comp_targetILNS1_3genE5ELNS1_11target_archE942ELNS1_3gpuE9ELNS1_3repE0EEENS1_30default_config_static_selectorELNS0_4arch9wavefront6targetE0EEEvT1_.has_recursion, 0
	.set _ZN7rocprim17ROCPRIM_400000_NS6detail17trampoline_kernelINS0_14default_configENS1_20scan_config_selectorIfEEZZNS1_9scan_implILNS1_25lookback_scan_determinismE0ELb0ELb0ES3_PKfPffZZZN2at6native31launch_logcumsumexp_cuda_kernelERKNSB_10TensorBaseESF_lENKUlvE_clEvENKUlvE0_clEvEUlffE_fEEDaPvRmT3_T4_T5_mT6_P12ihipStream_tbENKUlT_T0_E_clISt17integral_constantIbLb0EESV_IbLb1EEEEDaSR_SS_EUlSR_E0_NS1_11comp_targetILNS1_3genE5ELNS1_11target_archE942ELNS1_3gpuE9ELNS1_3repE0EEENS1_30default_config_static_selectorELNS0_4arch9wavefront6targetE0EEEvT1_.has_indirect_call, 0
	.section	.AMDGPU.csdata,"",@progbits
; Kernel info:
; codeLenInByte = 0
; TotalNumSgprs: 0
; NumVgprs: 0
; ScratchSize: 0
; MemoryBound: 0
; FloatMode: 240
; IeeeMode: 1
; LDSByteSize: 0 bytes/workgroup (compile time only)
; SGPRBlocks: 0
; VGPRBlocks: 0
; NumSGPRsForWavesPerEU: 1
; NumVGPRsForWavesPerEU: 1
; Occupancy: 16
; WaveLimiterHint : 0
; COMPUTE_PGM_RSRC2:SCRATCH_EN: 0
; COMPUTE_PGM_RSRC2:USER_SGPR: 6
; COMPUTE_PGM_RSRC2:TRAP_HANDLER: 0
; COMPUTE_PGM_RSRC2:TGID_X_EN: 1
; COMPUTE_PGM_RSRC2:TGID_Y_EN: 0
; COMPUTE_PGM_RSRC2:TGID_Z_EN: 0
; COMPUTE_PGM_RSRC2:TIDIG_COMP_CNT: 0
	.section	.text._ZN7rocprim17ROCPRIM_400000_NS6detail17trampoline_kernelINS0_14default_configENS1_20scan_config_selectorIfEEZZNS1_9scan_implILNS1_25lookback_scan_determinismE0ELb0ELb0ES3_PKfPffZZZN2at6native31launch_logcumsumexp_cuda_kernelERKNSB_10TensorBaseESF_lENKUlvE_clEvENKUlvE0_clEvEUlffE_fEEDaPvRmT3_T4_T5_mT6_P12ihipStream_tbENKUlT_T0_E_clISt17integral_constantIbLb0EESV_IbLb1EEEEDaSR_SS_EUlSR_E0_NS1_11comp_targetILNS1_3genE4ELNS1_11target_archE910ELNS1_3gpuE8ELNS1_3repE0EEENS1_30default_config_static_selectorELNS0_4arch9wavefront6targetE0EEEvT1_,"axG",@progbits,_ZN7rocprim17ROCPRIM_400000_NS6detail17trampoline_kernelINS0_14default_configENS1_20scan_config_selectorIfEEZZNS1_9scan_implILNS1_25lookback_scan_determinismE0ELb0ELb0ES3_PKfPffZZZN2at6native31launch_logcumsumexp_cuda_kernelERKNSB_10TensorBaseESF_lENKUlvE_clEvENKUlvE0_clEvEUlffE_fEEDaPvRmT3_T4_T5_mT6_P12ihipStream_tbENKUlT_T0_E_clISt17integral_constantIbLb0EESV_IbLb1EEEEDaSR_SS_EUlSR_E0_NS1_11comp_targetILNS1_3genE4ELNS1_11target_archE910ELNS1_3gpuE8ELNS1_3repE0EEENS1_30default_config_static_selectorELNS0_4arch9wavefront6targetE0EEEvT1_,comdat
	.globl	_ZN7rocprim17ROCPRIM_400000_NS6detail17trampoline_kernelINS0_14default_configENS1_20scan_config_selectorIfEEZZNS1_9scan_implILNS1_25lookback_scan_determinismE0ELb0ELb0ES3_PKfPffZZZN2at6native31launch_logcumsumexp_cuda_kernelERKNSB_10TensorBaseESF_lENKUlvE_clEvENKUlvE0_clEvEUlffE_fEEDaPvRmT3_T4_T5_mT6_P12ihipStream_tbENKUlT_T0_E_clISt17integral_constantIbLb0EESV_IbLb1EEEEDaSR_SS_EUlSR_E0_NS1_11comp_targetILNS1_3genE4ELNS1_11target_archE910ELNS1_3gpuE8ELNS1_3repE0EEENS1_30default_config_static_selectorELNS0_4arch9wavefront6targetE0EEEvT1_ ; -- Begin function _ZN7rocprim17ROCPRIM_400000_NS6detail17trampoline_kernelINS0_14default_configENS1_20scan_config_selectorIfEEZZNS1_9scan_implILNS1_25lookback_scan_determinismE0ELb0ELb0ES3_PKfPffZZZN2at6native31launch_logcumsumexp_cuda_kernelERKNSB_10TensorBaseESF_lENKUlvE_clEvENKUlvE0_clEvEUlffE_fEEDaPvRmT3_T4_T5_mT6_P12ihipStream_tbENKUlT_T0_E_clISt17integral_constantIbLb0EESV_IbLb1EEEEDaSR_SS_EUlSR_E0_NS1_11comp_targetILNS1_3genE4ELNS1_11target_archE910ELNS1_3gpuE8ELNS1_3repE0EEENS1_30default_config_static_selectorELNS0_4arch9wavefront6targetE0EEEvT1_
	.p2align	8
	.type	_ZN7rocprim17ROCPRIM_400000_NS6detail17trampoline_kernelINS0_14default_configENS1_20scan_config_selectorIfEEZZNS1_9scan_implILNS1_25lookback_scan_determinismE0ELb0ELb0ES3_PKfPffZZZN2at6native31launch_logcumsumexp_cuda_kernelERKNSB_10TensorBaseESF_lENKUlvE_clEvENKUlvE0_clEvEUlffE_fEEDaPvRmT3_T4_T5_mT6_P12ihipStream_tbENKUlT_T0_E_clISt17integral_constantIbLb0EESV_IbLb1EEEEDaSR_SS_EUlSR_E0_NS1_11comp_targetILNS1_3genE4ELNS1_11target_archE910ELNS1_3gpuE8ELNS1_3repE0EEENS1_30default_config_static_selectorELNS0_4arch9wavefront6targetE0EEEvT1_,@function
_ZN7rocprim17ROCPRIM_400000_NS6detail17trampoline_kernelINS0_14default_configENS1_20scan_config_selectorIfEEZZNS1_9scan_implILNS1_25lookback_scan_determinismE0ELb0ELb0ES3_PKfPffZZZN2at6native31launch_logcumsumexp_cuda_kernelERKNSB_10TensorBaseESF_lENKUlvE_clEvENKUlvE0_clEvEUlffE_fEEDaPvRmT3_T4_T5_mT6_P12ihipStream_tbENKUlT_T0_E_clISt17integral_constantIbLb0EESV_IbLb1EEEEDaSR_SS_EUlSR_E0_NS1_11comp_targetILNS1_3genE4ELNS1_11target_archE910ELNS1_3gpuE8ELNS1_3repE0EEENS1_30default_config_static_selectorELNS0_4arch9wavefront6targetE0EEEvT1_: ; @_ZN7rocprim17ROCPRIM_400000_NS6detail17trampoline_kernelINS0_14default_configENS1_20scan_config_selectorIfEEZZNS1_9scan_implILNS1_25lookback_scan_determinismE0ELb0ELb0ES3_PKfPffZZZN2at6native31launch_logcumsumexp_cuda_kernelERKNSB_10TensorBaseESF_lENKUlvE_clEvENKUlvE0_clEvEUlffE_fEEDaPvRmT3_T4_T5_mT6_P12ihipStream_tbENKUlT_T0_E_clISt17integral_constantIbLb0EESV_IbLb1EEEEDaSR_SS_EUlSR_E0_NS1_11comp_targetILNS1_3genE4ELNS1_11target_archE910ELNS1_3gpuE8ELNS1_3repE0EEENS1_30default_config_static_selectorELNS0_4arch9wavefront6targetE0EEEvT1_
; %bb.0:
	.section	.rodata,"a",@progbits
	.p2align	6, 0x0
	.amdhsa_kernel _ZN7rocprim17ROCPRIM_400000_NS6detail17trampoline_kernelINS0_14default_configENS1_20scan_config_selectorIfEEZZNS1_9scan_implILNS1_25lookback_scan_determinismE0ELb0ELb0ES3_PKfPffZZZN2at6native31launch_logcumsumexp_cuda_kernelERKNSB_10TensorBaseESF_lENKUlvE_clEvENKUlvE0_clEvEUlffE_fEEDaPvRmT3_T4_T5_mT6_P12ihipStream_tbENKUlT_T0_E_clISt17integral_constantIbLb0EESV_IbLb1EEEEDaSR_SS_EUlSR_E0_NS1_11comp_targetILNS1_3genE4ELNS1_11target_archE910ELNS1_3gpuE8ELNS1_3repE0EEENS1_30default_config_static_selectorELNS0_4arch9wavefront6targetE0EEEvT1_
		.amdhsa_group_segment_fixed_size 0
		.amdhsa_private_segment_fixed_size 0
		.amdhsa_kernarg_size 32
		.amdhsa_user_sgpr_count 6
		.amdhsa_user_sgpr_private_segment_buffer 1
		.amdhsa_user_sgpr_dispatch_ptr 0
		.amdhsa_user_sgpr_queue_ptr 0
		.amdhsa_user_sgpr_kernarg_segment_ptr 1
		.amdhsa_user_sgpr_dispatch_id 0
		.amdhsa_user_sgpr_flat_scratch_init 0
		.amdhsa_user_sgpr_private_segment_size 0
		.amdhsa_wavefront_size32 1
		.amdhsa_uses_dynamic_stack 0
		.amdhsa_system_sgpr_private_segment_wavefront_offset 0
		.amdhsa_system_sgpr_workgroup_id_x 1
		.amdhsa_system_sgpr_workgroup_id_y 0
		.amdhsa_system_sgpr_workgroup_id_z 0
		.amdhsa_system_sgpr_workgroup_info 0
		.amdhsa_system_vgpr_workitem_id 0
		.amdhsa_next_free_vgpr 1
		.amdhsa_next_free_sgpr 1
		.amdhsa_reserve_vcc 0
		.amdhsa_reserve_flat_scratch 0
		.amdhsa_float_round_mode_32 0
		.amdhsa_float_round_mode_16_64 0
		.amdhsa_float_denorm_mode_32 3
		.amdhsa_float_denorm_mode_16_64 3
		.amdhsa_dx10_clamp 1
		.amdhsa_ieee_mode 1
		.amdhsa_fp16_overflow 0
		.amdhsa_workgroup_processor_mode 1
		.amdhsa_memory_ordered 1
		.amdhsa_forward_progress 1
		.amdhsa_shared_vgpr_count 0
		.amdhsa_exception_fp_ieee_invalid_op 0
		.amdhsa_exception_fp_denorm_src 0
		.amdhsa_exception_fp_ieee_div_zero 0
		.amdhsa_exception_fp_ieee_overflow 0
		.amdhsa_exception_fp_ieee_underflow 0
		.amdhsa_exception_fp_ieee_inexact 0
		.amdhsa_exception_int_div_zero 0
	.end_amdhsa_kernel
	.section	.text._ZN7rocprim17ROCPRIM_400000_NS6detail17trampoline_kernelINS0_14default_configENS1_20scan_config_selectorIfEEZZNS1_9scan_implILNS1_25lookback_scan_determinismE0ELb0ELb0ES3_PKfPffZZZN2at6native31launch_logcumsumexp_cuda_kernelERKNSB_10TensorBaseESF_lENKUlvE_clEvENKUlvE0_clEvEUlffE_fEEDaPvRmT3_T4_T5_mT6_P12ihipStream_tbENKUlT_T0_E_clISt17integral_constantIbLb0EESV_IbLb1EEEEDaSR_SS_EUlSR_E0_NS1_11comp_targetILNS1_3genE4ELNS1_11target_archE910ELNS1_3gpuE8ELNS1_3repE0EEENS1_30default_config_static_selectorELNS0_4arch9wavefront6targetE0EEEvT1_,"axG",@progbits,_ZN7rocprim17ROCPRIM_400000_NS6detail17trampoline_kernelINS0_14default_configENS1_20scan_config_selectorIfEEZZNS1_9scan_implILNS1_25lookback_scan_determinismE0ELb0ELb0ES3_PKfPffZZZN2at6native31launch_logcumsumexp_cuda_kernelERKNSB_10TensorBaseESF_lENKUlvE_clEvENKUlvE0_clEvEUlffE_fEEDaPvRmT3_T4_T5_mT6_P12ihipStream_tbENKUlT_T0_E_clISt17integral_constantIbLb0EESV_IbLb1EEEEDaSR_SS_EUlSR_E0_NS1_11comp_targetILNS1_3genE4ELNS1_11target_archE910ELNS1_3gpuE8ELNS1_3repE0EEENS1_30default_config_static_selectorELNS0_4arch9wavefront6targetE0EEEvT1_,comdat
.Lfunc_end164:
	.size	_ZN7rocprim17ROCPRIM_400000_NS6detail17trampoline_kernelINS0_14default_configENS1_20scan_config_selectorIfEEZZNS1_9scan_implILNS1_25lookback_scan_determinismE0ELb0ELb0ES3_PKfPffZZZN2at6native31launch_logcumsumexp_cuda_kernelERKNSB_10TensorBaseESF_lENKUlvE_clEvENKUlvE0_clEvEUlffE_fEEDaPvRmT3_T4_T5_mT6_P12ihipStream_tbENKUlT_T0_E_clISt17integral_constantIbLb0EESV_IbLb1EEEEDaSR_SS_EUlSR_E0_NS1_11comp_targetILNS1_3genE4ELNS1_11target_archE910ELNS1_3gpuE8ELNS1_3repE0EEENS1_30default_config_static_selectorELNS0_4arch9wavefront6targetE0EEEvT1_, .Lfunc_end164-_ZN7rocprim17ROCPRIM_400000_NS6detail17trampoline_kernelINS0_14default_configENS1_20scan_config_selectorIfEEZZNS1_9scan_implILNS1_25lookback_scan_determinismE0ELb0ELb0ES3_PKfPffZZZN2at6native31launch_logcumsumexp_cuda_kernelERKNSB_10TensorBaseESF_lENKUlvE_clEvENKUlvE0_clEvEUlffE_fEEDaPvRmT3_T4_T5_mT6_P12ihipStream_tbENKUlT_T0_E_clISt17integral_constantIbLb0EESV_IbLb1EEEEDaSR_SS_EUlSR_E0_NS1_11comp_targetILNS1_3genE4ELNS1_11target_archE910ELNS1_3gpuE8ELNS1_3repE0EEENS1_30default_config_static_selectorELNS0_4arch9wavefront6targetE0EEEvT1_
                                        ; -- End function
	.set _ZN7rocprim17ROCPRIM_400000_NS6detail17trampoline_kernelINS0_14default_configENS1_20scan_config_selectorIfEEZZNS1_9scan_implILNS1_25lookback_scan_determinismE0ELb0ELb0ES3_PKfPffZZZN2at6native31launch_logcumsumexp_cuda_kernelERKNSB_10TensorBaseESF_lENKUlvE_clEvENKUlvE0_clEvEUlffE_fEEDaPvRmT3_T4_T5_mT6_P12ihipStream_tbENKUlT_T0_E_clISt17integral_constantIbLb0EESV_IbLb1EEEEDaSR_SS_EUlSR_E0_NS1_11comp_targetILNS1_3genE4ELNS1_11target_archE910ELNS1_3gpuE8ELNS1_3repE0EEENS1_30default_config_static_selectorELNS0_4arch9wavefront6targetE0EEEvT1_.num_vgpr, 0
	.set _ZN7rocprim17ROCPRIM_400000_NS6detail17trampoline_kernelINS0_14default_configENS1_20scan_config_selectorIfEEZZNS1_9scan_implILNS1_25lookback_scan_determinismE0ELb0ELb0ES3_PKfPffZZZN2at6native31launch_logcumsumexp_cuda_kernelERKNSB_10TensorBaseESF_lENKUlvE_clEvENKUlvE0_clEvEUlffE_fEEDaPvRmT3_T4_T5_mT6_P12ihipStream_tbENKUlT_T0_E_clISt17integral_constantIbLb0EESV_IbLb1EEEEDaSR_SS_EUlSR_E0_NS1_11comp_targetILNS1_3genE4ELNS1_11target_archE910ELNS1_3gpuE8ELNS1_3repE0EEENS1_30default_config_static_selectorELNS0_4arch9wavefront6targetE0EEEvT1_.num_agpr, 0
	.set _ZN7rocprim17ROCPRIM_400000_NS6detail17trampoline_kernelINS0_14default_configENS1_20scan_config_selectorIfEEZZNS1_9scan_implILNS1_25lookback_scan_determinismE0ELb0ELb0ES3_PKfPffZZZN2at6native31launch_logcumsumexp_cuda_kernelERKNSB_10TensorBaseESF_lENKUlvE_clEvENKUlvE0_clEvEUlffE_fEEDaPvRmT3_T4_T5_mT6_P12ihipStream_tbENKUlT_T0_E_clISt17integral_constantIbLb0EESV_IbLb1EEEEDaSR_SS_EUlSR_E0_NS1_11comp_targetILNS1_3genE4ELNS1_11target_archE910ELNS1_3gpuE8ELNS1_3repE0EEENS1_30default_config_static_selectorELNS0_4arch9wavefront6targetE0EEEvT1_.numbered_sgpr, 0
	.set _ZN7rocprim17ROCPRIM_400000_NS6detail17trampoline_kernelINS0_14default_configENS1_20scan_config_selectorIfEEZZNS1_9scan_implILNS1_25lookback_scan_determinismE0ELb0ELb0ES3_PKfPffZZZN2at6native31launch_logcumsumexp_cuda_kernelERKNSB_10TensorBaseESF_lENKUlvE_clEvENKUlvE0_clEvEUlffE_fEEDaPvRmT3_T4_T5_mT6_P12ihipStream_tbENKUlT_T0_E_clISt17integral_constantIbLb0EESV_IbLb1EEEEDaSR_SS_EUlSR_E0_NS1_11comp_targetILNS1_3genE4ELNS1_11target_archE910ELNS1_3gpuE8ELNS1_3repE0EEENS1_30default_config_static_selectorELNS0_4arch9wavefront6targetE0EEEvT1_.num_named_barrier, 0
	.set _ZN7rocprim17ROCPRIM_400000_NS6detail17trampoline_kernelINS0_14default_configENS1_20scan_config_selectorIfEEZZNS1_9scan_implILNS1_25lookback_scan_determinismE0ELb0ELb0ES3_PKfPffZZZN2at6native31launch_logcumsumexp_cuda_kernelERKNSB_10TensorBaseESF_lENKUlvE_clEvENKUlvE0_clEvEUlffE_fEEDaPvRmT3_T4_T5_mT6_P12ihipStream_tbENKUlT_T0_E_clISt17integral_constantIbLb0EESV_IbLb1EEEEDaSR_SS_EUlSR_E0_NS1_11comp_targetILNS1_3genE4ELNS1_11target_archE910ELNS1_3gpuE8ELNS1_3repE0EEENS1_30default_config_static_selectorELNS0_4arch9wavefront6targetE0EEEvT1_.private_seg_size, 0
	.set _ZN7rocprim17ROCPRIM_400000_NS6detail17trampoline_kernelINS0_14default_configENS1_20scan_config_selectorIfEEZZNS1_9scan_implILNS1_25lookback_scan_determinismE0ELb0ELb0ES3_PKfPffZZZN2at6native31launch_logcumsumexp_cuda_kernelERKNSB_10TensorBaseESF_lENKUlvE_clEvENKUlvE0_clEvEUlffE_fEEDaPvRmT3_T4_T5_mT6_P12ihipStream_tbENKUlT_T0_E_clISt17integral_constantIbLb0EESV_IbLb1EEEEDaSR_SS_EUlSR_E0_NS1_11comp_targetILNS1_3genE4ELNS1_11target_archE910ELNS1_3gpuE8ELNS1_3repE0EEENS1_30default_config_static_selectorELNS0_4arch9wavefront6targetE0EEEvT1_.uses_vcc, 0
	.set _ZN7rocprim17ROCPRIM_400000_NS6detail17trampoline_kernelINS0_14default_configENS1_20scan_config_selectorIfEEZZNS1_9scan_implILNS1_25lookback_scan_determinismE0ELb0ELb0ES3_PKfPffZZZN2at6native31launch_logcumsumexp_cuda_kernelERKNSB_10TensorBaseESF_lENKUlvE_clEvENKUlvE0_clEvEUlffE_fEEDaPvRmT3_T4_T5_mT6_P12ihipStream_tbENKUlT_T0_E_clISt17integral_constantIbLb0EESV_IbLb1EEEEDaSR_SS_EUlSR_E0_NS1_11comp_targetILNS1_3genE4ELNS1_11target_archE910ELNS1_3gpuE8ELNS1_3repE0EEENS1_30default_config_static_selectorELNS0_4arch9wavefront6targetE0EEEvT1_.uses_flat_scratch, 0
	.set _ZN7rocprim17ROCPRIM_400000_NS6detail17trampoline_kernelINS0_14default_configENS1_20scan_config_selectorIfEEZZNS1_9scan_implILNS1_25lookback_scan_determinismE0ELb0ELb0ES3_PKfPffZZZN2at6native31launch_logcumsumexp_cuda_kernelERKNSB_10TensorBaseESF_lENKUlvE_clEvENKUlvE0_clEvEUlffE_fEEDaPvRmT3_T4_T5_mT6_P12ihipStream_tbENKUlT_T0_E_clISt17integral_constantIbLb0EESV_IbLb1EEEEDaSR_SS_EUlSR_E0_NS1_11comp_targetILNS1_3genE4ELNS1_11target_archE910ELNS1_3gpuE8ELNS1_3repE0EEENS1_30default_config_static_selectorELNS0_4arch9wavefront6targetE0EEEvT1_.has_dyn_sized_stack, 0
	.set _ZN7rocprim17ROCPRIM_400000_NS6detail17trampoline_kernelINS0_14default_configENS1_20scan_config_selectorIfEEZZNS1_9scan_implILNS1_25lookback_scan_determinismE0ELb0ELb0ES3_PKfPffZZZN2at6native31launch_logcumsumexp_cuda_kernelERKNSB_10TensorBaseESF_lENKUlvE_clEvENKUlvE0_clEvEUlffE_fEEDaPvRmT3_T4_T5_mT6_P12ihipStream_tbENKUlT_T0_E_clISt17integral_constantIbLb0EESV_IbLb1EEEEDaSR_SS_EUlSR_E0_NS1_11comp_targetILNS1_3genE4ELNS1_11target_archE910ELNS1_3gpuE8ELNS1_3repE0EEENS1_30default_config_static_selectorELNS0_4arch9wavefront6targetE0EEEvT1_.has_recursion, 0
	.set _ZN7rocprim17ROCPRIM_400000_NS6detail17trampoline_kernelINS0_14default_configENS1_20scan_config_selectorIfEEZZNS1_9scan_implILNS1_25lookback_scan_determinismE0ELb0ELb0ES3_PKfPffZZZN2at6native31launch_logcumsumexp_cuda_kernelERKNSB_10TensorBaseESF_lENKUlvE_clEvENKUlvE0_clEvEUlffE_fEEDaPvRmT3_T4_T5_mT6_P12ihipStream_tbENKUlT_T0_E_clISt17integral_constantIbLb0EESV_IbLb1EEEEDaSR_SS_EUlSR_E0_NS1_11comp_targetILNS1_3genE4ELNS1_11target_archE910ELNS1_3gpuE8ELNS1_3repE0EEENS1_30default_config_static_selectorELNS0_4arch9wavefront6targetE0EEEvT1_.has_indirect_call, 0
	.section	.AMDGPU.csdata,"",@progbits
; Kernel info:
; codeLenInByte = 0
; TotalNumSgprs: 0
; NumVgprs: 0
; ScratchSize: 0
; MemoryBound: 0
; FloatMode: 240
; IeeeMode: 1
; LDSByteSize: 0 bytes/workgroup (compile time only)
; SGPRBlocks: 0
; VGPRBlocks: 0
; NumSGPRsForWavesPerEU: 1
; NumVGPRsForWavesPerEU: 1
; Occupancy: 16
; WaveLimiterHint : 0
; COMPUTE_PGM_RSRC2:SCRATCH_EN: 0
; COMPUTE_PGM_RSRC2:USER_SGPR: 6
; COMPUTE_PGM_RSRC2:TRAP_HANDLER: 0
; COMPUTE_PGM_RSRC2:TGID_X_EN: 1
; COMPUTE_PGM_RSRC2:TGID_Y_EN: 0
; COMPUTE_PGM_RSRC2:TGID_Z_EN: 0
; COMPUTE_PGM_RSRC2:TIDIG_COMP_CNT: 0
	.section	.text._ZN7rocprim17ROCPRIM_400000_NS6detail17trampoline_kernelINS0_14default_configENS1_20scan_config_selectorIfEEZZNS1_9scan_implILNS1_25lookback_scan_determinismE0ELb0ELb0ES3_PKfPffZZZN2at6native31launch_logcumsumexp_cuda_kernelERKNSB_10TensorBaseESF_lENKUlvE_clEvENKUlvE0_clEvEUlffE_fEEDaPvRmT3_T4_T5_mT6_P12ihipStream_tbENKUlT_T0_E_clISt17integral_constantIbLb0EESV_IbLb1EEEEDaSR_SS_EUlSR_E0_NS1_11comp_targetILNS1_3genE3ELNS1_11target_archE908ELNS1_3gpuE7ELNS1_3repE0EEENS1_30default_config_static_selectorELNS0_4arch9wavefront6targetE0EEEvT1_,"axG",@progbits,_ZN7rocprim17ROCPRIM_400000_NS6detail17trampoline_kernelINS0_14default_configENS1_20scan_config_selectorIfEEZZNS1_9scan_implILNS1_25lookback_scan_determinismE0ELb0ELb0ES3_PKfPffZZZN2at6native31launch_logcumsumexp_cuda_kernelERKNSB_10TensorBaseESF_lENKUlvE_clEvENKUlvE0_clEvEUlffE_fEEDaPvRmT3_T4_T5_mT6_P12ihipStream_tbENKUlT_T0_E_clISt17integral_constantIbLb0EESV_IbLb1EEEEDaSR_SS_EUlSR_E0_NS1_11comp_targetILNS1_3genE3ELNS1_11target_archE908ELNS1_3gpuE7ELNS1_3repE0EEENS1_30default_config_static_selectorELNS0_4arch9wavefront6targetE0EEEvT1_,comdat
	.globl	_ZN7rocprim17ROCPRIM_400000_NS6detail17trampoline_kernelINS0_14default_configENS1_20scan_config_selectorIfEEZZNS1_9scan_implILNS1_25lookback_scan_determinismE0ELb0ELb0ES3_PKfPffZZZN2at6native31launch_logcumsumexp_cuda_kernelERKNSB_10TensorBaseESF_lENKUlvE_clEvENKUlvE0_clEvEUlffE_fEEDaPvRmT3_T4_T5_mT6_P12ihipStream_tbENKUlT_T0_E_clISt17integral_constantIbLb0EESV_IbLb1EEEEDaSR_SS_EUlSR_E0_NS1_11comp_targetILNS1_3genE3ELNS1_11target_archE908ELNS1_3gpuE7ELNS1_3repE0EEENS1_30default_config_static_selectorELNS0_4arch9wavefront6targetE0EEEvT1_ ; -- Begin function _ZN7rocprim17ROCPRIM_400000_NS6detail17trampoline_kernelINS0_14default_configENS1_20scan_config_selectorIfEEZZNS1_9scan_implILNS1_25lookback_scan_determinismE0ELb0ELb0ES3_PKfPffZZZN2at6native31launch_logcumsumexp_cuda_kernelERKNSB_10TensorBaseESF_lENKUlvE_clEvENKUlvE0_clEvEUlffE_fEEDaPvRmT3_T4_T5_mT6_P12ihipStream_tbENKUlT_T0_E_clISt17integral_constantIbLb0EESV_IbLb1EEEEDaSR_SS_EUlSR_E0_NS1_11comp_targetILNS1_3genE3ELNS1_11target_archE908ELNS1_3gpuE7ELNS1_3repE0EEENS1_30default_config_static_selectorELNS0_4arch9wavefront6targetE0EEEvT1_
	.p2align	8
	.type	_ZN7rocprim17ROCPRIM_400000_NS6detail17trampoline_kernelINS0_14default_configENS1_20scan_config_selectorIfEEZZNS1_9scan_implILNS1_25lookback_scan_determinismE0ELb0ELb0ES3_PKfPffZZZN2at6native31launch_logcumsumexp_cuda_kernelERKNSB_10TensorBaseESF_lENKUlvE_clEvENKUlvE0_clEvEUlffE_fEEDaPvRmT3_T4_T5_mT6_P12ihipStream_tbENKUlT_T0_E_clISt17integral_constantIbLb0EESV_IbLb1EEEEDaSR_SS_EUlSR_E0_NS1_11comp_targetILNS1_3genE3ELNS1_11target_archE908ELNS1_3gpuE7ELNS1_3repE0EEENS1_30default_config_static_selectorELNS0_4arch9wavefront6targetE0EEEvT1_,@function
_ZN7rocprim17ROCPRIM_400000_NS6detail17trampoline_kernelINS0_14default_configENS1_20scan_config_selectorIfEEZZNS1_9scan_implILNS1_25lookback_scan_determinismE0ELb0ELb0ES3_PKfPffZZZN2at6native31launch_logcumsumexp_cuda_kernelERKNSB_10TensorBaseESF_lENKUlvE_clEvENKUlvE0_clEvEUlffE_fEEDaPvRmT3_T4_T5_mT6_P12ihipStream_tbENKUlT_T0_E_clISt17integral_constantIbLb0EESV_IbLb1EEEEDaSR_SS_EUlSR_E0_NS1_11comp_targetILNS1_3genE3ELNS1_11target_archE908ELNS1_3gpuE7ELNS1_3repE0EEENS1_30default_config_static_selectorELNS0_4arch9wavefront6targetE0EEEvT1_: ; @_ZN7rocprim17ROCPRIM_400000_NS6detail17trampoline_kernelINS0_14default_configENS1_20scan_config_selectorIfEEZZNS1_9scan_implILNS1_25lookback_scan_determinismE0ELb0ELb0ES3_PKfPffZZZN2at6native31launch_logcumsumexp_cuda_kernelERKNSB_10TensorBaseESF_lENKUlvE_clEvENKUlvE0_clEvEUlffE_fEEDaPvRmT3_T4_T5_mT6_P12ihipStream_tbENKUlT_T0_E_clISt17integral_constantIbLb0EESV_IbLb1EEEEDaSR_SS_EUlSR_E0_NS1_11comp_targetILNS1_3genE3ELNS1_11target_archE908ELNS1_3gpuE7ELNS1_3repE0EEENS1_30default_config_static_selectorELNS0_4arch9wavefront6targetE0EEEvT1_
; %bb.0:
	.section	.rodata,"a",@progbits
	.p2align	6, 0x0
	.amdhsa_kernel _ZN7rocprim17ROCPRIM_400000_NS6detail17trampoline_kernelINS0_14default_configENS1_20scan_config_selectorIfEEZZNS1_9scan_implILNS1_25lookback_scan_determinismE0ELb0ELb0ES3_PKfPffZZZN2at6native31launch_logcumsumexp_cuda_kernelERKNSB_10TensorBaseESF_lENKUlvE_clEvENKUlvE0_clEvEUlffE_fEEDaPvRmT3_T4_T5_mT6_P12ihipStream_tbENKUlT_T0_E_clISt17integral_constantIbLb0EESV_IbLb1EEEEDaSR_SS_EUlSR_E0_NS1_11comp_targetILNS1_3genE3ELNS1_11target_archE908ELNS1_3gpuE7ELNS1_3repE0EEENS1_30default_config_static_selectorELNS0_4arch9wavefront6targetE0EEEvT1_
		.amdhsa_group_segment_fixed_size 0
		.amdhsa_private_segment_fixed_size 0
		.amdhsa_kernarg_size 32
		.amdhsa_user_sgpr_count 6
		.amdhsa_user_sgpr_private_segment_buffer 1
		.amdhsa_user_sgpr_dispatch_ptr 0
		.amdhsa_user_sgpr_queue_ptr 0
		.amdhsa_user_sgpr_kernarg_segment_ptr 1
		.amdhsa_user_sgpr_dispatch_id 0
		.amdhsa_user_sgpr_flat_scratch_init 0
		.amdhsa_user_sgpr_private_segment_size 0
		.amdhsa_wavefront_size32 1
		.amdhsa_uses_dynamic_stack 0
		.amdhsa_system_sgpr_private_segment_wavefront_offset 0
		.amdhsa_system_sgpr_workgroup_id_x 1
		.amdhsa_system_sgpr_workgroup_id_y 0
		.amdhsa_system_sgpr_workgroup_id_z 0
		.amdhsa_system_sgpr_workgroup_info 0
		.amdhsa_system_vgpr_workitem_id 0
		.amdhsa_next_free_vgpr 1
		.amdhsa_next_free_sgpr 1
		.amdhsa_reserve_vcc 0
		.amdhsa_reserve_flat_scratch 0
		.amdhsa_float_round_mode_32 0
		.amdhsa_float_round_mode_16_64 0
		.amdhsa_float_denorm_mode_32 3
		.amdhsa_float_denorm_mode_16_64 3
		.amdhsa_dx10_clamp 1
		.amdhsa_ieee_mode 1
		.amdhsa_fp16_overflow 0
		.amdhsa_workgroup_processor_mode 1
		.amdhsa_memory_ordered 1
		.amdhsa_forward_progress 1
		.amdhsa_shared_vgpr_count 0
		.amdhsa_exception_fp_ieee_invalid_op 0
		.amdhsa_exception_fp_denorm_src 0
		.amdhsa_exception_fp_ieee_div_zero 0
		.amdhsa_exception_fp_ieee_overflow 0
		.amdhsa_exception_fp_ieee_underflow 0
		.amdhsa_exception_fp_ieee_inexact 0
		.amdhsa_exception_int_div_zero 0
	.end_amdhsa_kernel
	.section	.text._ZN7rocprim17ROCPRIM_400000_NS6detail17trampoline_kernelINS0_14default_configENS1_20scan_config_selectorIfEEZZNS1_9scan_implILNS1_25lookback_scan_determinismE0ELb0ELb0ES3_PKfPffZZZN2at6native31launch_logcumsumexp_cuda_kernelERKNSB_10TensorBaseESF_lENKUlvE_clEvENKUlvE0_clEvEUlffE_fEEDaPvRmT3_T4_T5_mT6_P12ihipStream_tbENKUlT_T0_E_clISt17integral_constantIbLb0EESV_IbLb1EEEEDaSR_SS_EUlSR_E0_NS1_11comp_targetILNS1_3genE3ELNS1_11target_archE908ELNS1_3gpuE7ELNS1_3repE0EEENS1_30default_config_static_selectorELNS0_4arch9wavefront6targetE0EEEvT1_,"axG",@progbits,_ZN7rocprim17ROCPRIM_400000_NS6detail17trampoline_kernelINS0_14default_configENS1_20scan_config_selectorIfEEZZNS1_9scan_implILNS1_25lookback_scan_determinismE0ELb0ELb0ES3_PKfPffZZZN2at6native31launch_logcumsumexp_cuda_kernelERKNSB_10TensorBaseESF_lENKUlvE_clEvENKUlvE0_clEvEUlffE_fEEDaPvRmT3_T4_T5_mT6_P12ihipStream_tbENKUlT_T0_E_clISt17integral_constantIbLb0EESV_IbLb1EEEEDaSR_SS_EUlSR_E0_NS1_11comp_targetILNS1_3genE3ELNS1_11target_archE908ELNS1_3gpuE7ELNS1_3repE0EEENS1_30default_config_static_selectorELNS0_4arch9wavefront6targetE0EEEvT1_,comdat
.Lfunc_end165:
	.size	_ZN7rocprim17ROCPRIM_400000_NS6detail17trampoline_kernelINS0_14default_configENS1_20scan_config_selectorIfEEZZNS1_9scan_implILNS1_25lookback_scan_determinismE0ELb0ELb0ES3_PKfPffZZZN2at6native31launch_logcumsumexp_cuda_kernelERKNSB_10TensorBaseESF_lENKUlvE_clEvENKUlvE0_clEvEUlffE_fEEDaPvRmT3_T4_T5_mT6_P12ihipStream_tbENKUlT_T0_E_clISt17integral_constantIbLb0EESV_IbLb1EEEEDaSR_SS_EUlSR_E0_NS1_11comp_targetILNS1_3genE3ELNS1_11target_archE908ELNS1_3gpuE7ELNS1_3repE0EEENS1_30default_config_static_selectorELNS0_4arch9wavefront6targetE0EEEvT1_, .Lfunc_end165-_ZN7rocprim17ROCPRIM_400000_NS6detail17trampoline_kernelINS0_14default_configENS1_20scan_config_selectorIfEEZZNS1_9scan_implILNS1_25lookback_scan_determinismE0ELb0ELb0ES3_PKfPffZZZN2at6native31launch_logcumsumexp_cuda_kernelERKNSB_10TensorBaseESF_lENKUlvE_clEvENKUlvE0_clEvEUlffE_fEEDaPvRmT3_T4_T5_mT6_P12ihipStream_tbENKUlT_T0_E_clISt17integral_constantIbLb0EESV_IbLb1EEEEDaSR_SS_EUlSR_E0_NS1_11comp_targetILNS1_3genE3ELNS1_11target_archE908ELNS1_3gpuE7ELNS1_3repE0EEENS1_30default_config_static_selectorELNS0_4arch9wavefront6targetE0EEEvT1_
                                        ; -- End function
	.set _ZN7rocprim17ROCPRIM_400000_NS6detail17trampoline_kernelINS0_14default_configENS1_20scan_config_selectorIfEEZZNS1_9scan_implILNS1_25lookback_scan_determinismE0ELb0ELb0ES3_PKfPffZZZN2at6native31launch_logcumsumexp_cuda_kernelERKNSB_10TensorBaseESF_lENKUlvE_clEvENKUlvE0_clEvEUlffE_fEEDaPvRmT3_T4_T5_mT6_P12ihipStream_tbENKUlT_T0_E_clISt17integral_constantIbLb0EESV_IbLb1EEEEDaSR_SS_EUlSR_E0_NS1_11comp_targetILNS1_3genE3ELNS1_11target_archE908ELNS1_3gpuE7ELNS1_3repE0EEENS1_30default_config_static_selectorELNS0_4arch9wavefront6targetE0EEEvT1_.num_vgpr, 0
	.set _ZN7rocprim17ROCPRIM_400000_NS6detail17trampoline_kernelINS0_14default_configENS1_20scan_config_selectorIfEEZZNS1_9scan_implILNS1_25lookback_scan_determinismE0ELb0ELb0ES3_PKfPffZZZN2at6native31launch_logcumsumexp_cuda_kernelERKNSB_10TensorBaseESF_lENKUlvE_clEvENKUlvE0_clEvEUlffE_fEEDaPvRmT3_T4_T5_mT6_P12ihipStream_tbENKUlT_T0_E_clISt17integral_constantIbLb0EESV_IbLb1EEEEDaSR_SS_EUlSR_E0_NS1_11comp_targetILNS1_3genE3ELNS1_11target_archE908ELNS1_3gpuE7ELNS1_3repE0EEENS1_30default_config_static_selectorELNS0_4arch9wavefront6targetE0EEEvT1_.num_agpr, 0
	.set _ZN7rocprim17ROCPRIM_400000_NS6detail17trampoline_kernelINS0_14default_configENS1_20scan_config_selectorIfEEZZNS1_9scan_implILNS1_25lookback_scan_determinismE0ELb0ELb0ES3_PKfPffZZZN2at6native31launch_logcumsumexp_cuda_kernelERKNSB_10TensorBaseESF_lENKUlvE_clEvENKUlvE0_clEvEUlffE_fEEDaPvRmT3_T4_T5_mT6_P12ihipStream_tbENKUlT_T0_E_clISt17integral_constantIbLb0EESV_IbLb1EEEEDaSR_SS_EUlSR_E0_NS1_11comp_targetILNS1_3genE3ELNS1_11target_archE908ELNS1_3gpuE7ELNS1_3repE0EEENS1_30default_config_static_selectorELNS0_4arch9wavefront6targetE0EEEvT1_.numbered_sgpr, 0
	.set _ZN7rocprim17ROCPRIM_400000_NS6detail17trampoline_kernelINS0_14default_configENS1_20scan_config_selectorIfEEZZNS1_9scan_implILNS1_25lookback_scan_determinismE0ELb0ELb0ES3_PKfPffZZZN2at6native31launch_logcumsumexp_cuda_kernelERKNSB_10TensorBaseESF_lENKUlvE_clEvENKUlvE0_clEvEUlffE_fEEDaPvRmT3_T4_T5_mT6_P12ihipStream_tbENKUlT_T0_E_clISt17integral_constantIbLb0EESV_IbLb1EEEEDaSR_SS_EUlSR_E0_NS1_11comp_targetILNS1_3genE3ELNS1_11target_archE908ELNS1_3gpuE7ELNS1_3repE0EEENS1_30default_config_static_selectorELNS0_4arch9wavefront6targetE0EEEvT1_.num_named_barrier, 0
	.set _ZN7rocprim17ROCPRIM_400000_NS6detail17trampoline_kernelINS0_14default_configENS1_20scan_config_selectorIfEEZZNS1_9scan_implILNS1_25lookback_scan_determinismE0ELb0ELb0ES3_PKfPffZZZN2at6native31launch_logcumsumexp_cuda_kernelERKNSB_10TensorBaseESF_lENKUlvE_clEvENKUlvE0_clEvEUlffE_fEEDaPvRmT3_T4_T5_mT6_P12ihipStream_tbENKUlT_T0_E_clISt17integral_constantIbLb0EESV_IbLb1EEEEDaSR_SS_EUlSR_E0_NS1_11comp_targetILNS1_3genE3ELNS1_11target_archE908ELNS1_3gpuE7ELNS1_3repE0EEENS1_30default_config_static_selectorELNS0_4arch9wavefront6targetE0EEEvT1_.private_seg_size, 0
	.set _ZN7rocprim17ROCPRIM_400000_NS6detail17trampoline_kernelINS0_14default_configENS1_20scan_config_selectorIfEEZZNS1_9scan_implILNS1_25lookback_scan_determinismE0ELb0ELb0ES3_PKfPffZZZN2at6native31launch_logcumsumexp_cuda_kernelERKNSB_10TensorBaseESF_lENKUlvE_clEvENKUlvE0_clEvEUlffE_fEEDaPvRmT3_T4_T5_mT6_P12ihipStream_tbENKUlT_T0_E_clISt17integral_constantIbLb0EESV_IbLb1EEEEDaSR_SS_EUlSR_E0_NS1_11comp_targetILNS1_3genE3ELNS1_11target_archE908ELNS1_3gpuE7ELNS1_3repE0EEENS1_30default_config_static_selectorELNS0_4arch9wavefront6targetE0EEEvT1_.uses_vcc, 0
	.set _ZN7rocprim17ROCPRIM_400000_NS6detail17trampoline_kernelINS0_14default_configENS1_20scan_config_selectorIfEEZZNS1_9scan_implILNS1_25lookback_scan_determinismE0ELb0ELb0ES3_PKfPffZZZN2at6native31launch_logcumsumexp_cuda_kernelERKNSB_10TensorBaseESF_lENKUlvE_clEvENKUlvE0_clEvEUlffE_fEEDaPvRmT3_T4_T5_mT6_P12ihipStream_tbENKUlT_T0_E_clISt17integral_constantIbLb0EESV_IbLb1EEEEDaSR_SS_EUlSR_E0_NS1_11comp_targetILNS1_3genE3ELNS1_11target_archE908ELNS1_3gpuE7ELNS1_3repE0EEENS1_30default_config_static_selectorELNS0_4arch9wavefront6targetE0EEEvT1_.uses_flat_scratch, 0
	.set _ZN7rocprim17ROCPRIM_400000_NS6detail17trampoline_kernelINS0_14default_configENS1_20scan_config_selectorIfEEZZNS1_9scan_implILNS1_25lookback_scan_determinismE0ELb0ELb0ES3_PKfPffZZZN2at6native31launch_logcumsumexp_cuda_kernelERKNSB_10TensorBaseESF_lENKUlvE_clEvENKUlvE0_clEvEUlffE_fEEDaPvRmT3_T4_T5_mT6_P12ihipStream_tbENKUlT_T0_E_clISt17integral_constantIbLb0EESV_IbLb1EEEEDaSR_SS_EUlSR_E0_NS1_11comp_targetILNS1_3genE3ELNS1_11target_archE908ELNS1_3gpuE7ELNS1_3repE0EEENS1_30default_config_static_selectorELNS0_4arch9wavefront6targetE0EEEvT1_.has_dyn_sized_stack, 0
	.set _ZN7rocprim17ROCPRIM_400000_NS6detail17trampoline_kernelINS0_14default_configENS1_20scan_config_selectorIfEEZZNS1_9scan_implILNS1_25lookback_scan_determinismE0ELb0ELb0ES3_PKfPffZZZN2at6native31launch_logcumsumexp_cuda_kernelERKNSB_10TensorBaseESF_lENKUlvE_clEvENKUlvE0_clEvEUlffE_fEEDaPvRmT3_T4_T5_mT6_P12ihipStream_tbENKUlT_T0_E_clISt17integral_constantIbLb0EESV_IbLb1EEEEDaSR_SS_EUlSR_E0_NS1_11comp_targetILNS1_3genE3ELNS1_11target_archE908ELNS1_3gpuE7ELNS1_3repE0EEENS1_30default_config_static_selectorELNS0_4arch9wavefront6targetE0EEEvT1_.has_recursion, 0
	.set _ZN7rocprim17ROCPRIM_400000_NS6detail17trampoline_kernelINS0_14default_configENS1_20scan_config_selectorIfEEZZNS1_9scan_implILNS1_25lookback_scan_determinismE0ELb0ELb0ES3_PKfPffZZZN2at6native31launch_logcumsumexp_cuda_kernelERKNSB_10TensorBaseESF_lENKUlvE_clEvENKUlvE0_clEvEUlffE_fEEDaPvRmT3_T4_T5_mT6_P12ihipStream_tbENKUlT_T0_E_clISt17integral_constantIbLb0EESV_IbLb1EEEEDaSR_SS_EUlSR_E0_NS1_11comp_targetILNS1_3genE3ELNS1_11target_archE908ELNS1_3gpuE7ELNS1_3repE0EEENS1_30default_config_static_selectorELNS0_4arch9wavefront6targetE0EEEvT1_.has_indirect_call, 0
	.section	.AMDGPU.csdata,"",@progbits
; Kernel info:
; codeLenInByte = 0
; TotalNumSgprs: 0
; NumVgprs: 0
; ScratchSize: 0
; MemoryBound: 0
; FloatMode: 240
; IeeeMode: 1
; LDSByteSize: 0 bytes/workgroup (compile time only)
; SGPRBlocks: 0
; VGPRBlocks: 0
; NumSGPRsForWavesPerEU: 1
; NumVGPRsForWavesPerEU: 1
; Occupancy: 16
; WaveLimiterHint : 0
; COMPUTE_PGM_RSRC2:SCRATCH_EN: 0
; COMPUTE_PGM_RSRC2:USER_SGPR: 6
; COMPUTE_PGM_RSRC2:TRAP_HANDLER: 0
; COMPUTE_PGM_RSRC2:TGID_X_EN: 1
; COMPUTE_PGM_RSRC2:TGID_Y_EN: 0
; COMPUTE_PGM_RSRC2:TGID_Z_EN: 0
; COMPUTE_PGM_RSRC2:TIDIG_COMP_CNT: 0
	.section	.text._ZN7rocprim17ROCPRIM_400000_NS6detail17trampoline_kernelINS0_14default_configENS1_20scan_config_selectorIfEEZZNS1_9scan_implILNS1_25lookback_scan_determinismE0ELb0ELb0ES3_PKfPffZZZN2at6native31launch_logcumsumexp_cuda_kernelERKNSB_10TensorBaseESF_lENKUlvE_clEvENKUlvE0_clEvEUlffE_fEEDaPvRmT3_T4_T5_mT6_P12ihipStream_tbENKUlT_T0_E_clISt17integral_constantIbLb0EESV_IbLb1EEEEDaSR_SS_EUlSR_E0_NS1_11comp_targetILNS1_3genE2ELNS1_11target_archE906ELNS1_3gpuE6ELNS1_3repE0EEENS1_30default_config_static_selectorELNS0_4arch9wavefront6targetE0EEEvT1_,"axG",@progbits,_ZN7rocprim17ROCPRIM_400000_NS6detail17trampoline_kernelINS0_14default_configENS1_20scan_config_selectorIfEEZZNS1_9scan_implILNS1_25lookback_scan_determinismE0ELb0ELb0ES3_PKfPffZZZN2at6native31launch_logcumsumexp_cuda_kernelERKNSB_10TensorBaseESF_lENKUlvE_clEvENKUlvE0_clEvEUlffE_fEEDaPvRmT3_T4_T5_mT6_P12ihipStream_tbENKUlT_T0_E_clISt17integral_constantIbLb0EESV_IbLb1EEEEDaSR_SS_EUlSR_E0_NS1_11comp_targetILNS1_3genE2ELNS1_11target_archE906ELNS1_3gpuE6ELNS1_3repE0EEENS1_30default_config_static_selectorELNS0_4arch9wavefront6targetE0EEEvT1_,comdat
	.globl	_ZN7rocprim17ROCPRIM_400000_NS6detail17trampoline_kernelINS0_14default_configENS1_20scan_config_selectorIfEEZZNS1_9scan_implILNS1_25lookback_scan_determinismE0ELb0ELb0ES3_PKfPffZZZN2at6native31launch_logcumsumexp_cuda_kernelERKNSB_10TensorBaseESF_lENKUlvE_clEvENKUlvE0_clEvEUlffE_fEEDaPvRmT3_T4_T5_mT6_P12ihipStream_tbENKUlT_T0_E_clISt17integral_constantIbLb0EESV_IbLb1EEEEDaSR_SS_EUlSR_E0_NS1_11comp_targetILNS1_3genE2ELNS1_11target_archE906ELNS1_3gpuE6ELNS1_3repE0EEENS1_30default_config_static_selectorELNS0_4arch9wavefront6targetE0EEEvT1_ ; -- Begin function _ZN7rocprim17ROCPRIM_400000_NS6detail17trampoline_kernelINS0_14default_configENS1_20scan_config_selectorIfEEZZNS1_9scan_implILNS1_25lookback_scan_determinismE0ELb0ELb0ES3_PKfPffZZZN2at6native31launch_logcumsumexp_cuda_kernelERKNSB_10TensorBaseESF_lENKUlvE_clEvENKUlvE0_clEvEUlffE_fEEDaPvRmT3_T4_T5_mT6_P12ihipStream_tbENKUlT_T0_E_clISt17integral_constantIbLb0EESV_IbLb1EEEEDaSR_SS_EUlSR_E0_NS1_11comp_targetILNS1_3genE2ELNS1_11target_archE906ELNS1_3gpuE6ELNS1_3repE0EEENS1_30default_config_static_selectorELNS0_4arch9wavefront6targetE0EEEvT1_
	.p2align	8
	.type	_ZN7rocprim17ROCPRIM_400000_NS6detail17trampoline_kernelINS0_14default_configENS1_20scan_config_selectorIfEEZZNS1_9scan_implILNS1_25lookback_scan_determinismE0ELb0ELb0ES3_PKfPffZZZN2at6native31launch_logcumsumexp_cuda_kernelERKNSB_10TensorBaseESF_lENKUlvE_clEvENKUlvE0_clEvEUlffE_fEEDaPvRmT3_T4_T5_mT6_P12ihipStream_tbENKUlT_T0_E_clISt17integral_constantIbLb0EESV_IbLb1EEEEDaSR_SS_EUlSR_E0_NS1_11comp_targetILNS1_3genE2ELNS1_11target_archE906ELNS1_3gpuE6ELNS1_3repE0EEENS1_30default_config_static_selectorELNS0_4arch9wavefront6targetE0EEEvT1_,@function
_ZN7rocprim17ROCPRIM_400000_NS6detail17trampoline_kernelINS0_14default_configENS1_20scan_config_selectorIfEEZZNS1_9scan_implILNS1_25lookback_scan_determinismE0ELb0ELb0ES3_PKfPffZZZN2at6native31launch_logcumsumexp_cuda_kernelERKNSB_10TensorBaseESF_lENKUlvE_clEvENKUlvE0_clEvEUlffE_fEEDaPvRmT3_T4_T5_mT6_P12ihipStream_tbENKUlT_T0_E_clISt17integral_constantIbLb0EESV_IbLb1EEEEDaSR_SS_EUlSR_E0_NS1_11comp_targetILNS1_3genE2ELNS1_11target_archE906ELNS1_3gpuE6ELNS1_3repE0EEENS1_30default_config_static_selectorELNS0_4arch9wavefront6targetE0EEEvT1_: ; @_ZN7rocprim17ROCPRIM_400000_NS6detail17trampoline_kernelINS0_14default_configENS1_20scan_config_selectorIfEEZZNS1_9scan_implILNS1_25lookback_scan_determinismE0ELb0ELb0ES3_PKfPffZZZN2at6native31launch_logcumsumexp_cuda_kernelERKNSB_10TensorBaseESF_lENKUlvE_clEvENKUlvE0_clEvEUlffE_fEEDaPvRmT3_T4_T5_mT6_P12ihipStream_tbENKUlT_T0_E_clISt17integral_constantIbLb0EESV_IbLb1EEEEDaSR_SS_EUlSR_E0_NS1_11comp_targetILNS1_3genE2ELNS1_11target_archE906ELNS1_3gpuE6ELNS1_3repE0EEENS1_30default_config_static_selectorELNS0_4arch9wavefront6targetE0EEEvT1_
; %bb.0:
	.section	.rodata,"a",@progbits
	.p2align	6, 0x0
	.amdhsa_kernel _ZN7rocprim17ROCPRIM_400000_NS6detail17trampoline_kernelINS0_14default_configENS1_20scan_config_selectorIfEEZZNS1_9scan_implILNS1_25lookback_scan_determinismE0ELb0ELb0ES3_PKfPffZZZN2at6native31launch_logcumsumexp_cuda_kernelERKNSB_10TensorBaseESF_lENKUlvE_clEvENKUlvE0_clEvEUlffE_fEEDaPvRmT3_T4_T5_mT6_P12ihipStream_tbENKUlT_T0_E_clISt17integral_constantIbLb0EESV_IbLb1EEEEDaSR_SS_EUlSR_E0_NS1_11comp_targetILNS1_3genE2ELNS1_11target_archE906ELNS1_3gpuE6ELNS1_3repE0EEENS1_30default_config_static_selectorELNS0_4arch9wavefront6targetE0EEEvT1_
		.amdhsa_group_segment_fixed_size 0
		.amdhsa_private_segment_fixed_size 0
		.amdhsa_kernarg_size 32
		.amdhsa_user_sgpr_count 6
		.amdhsa_user_sgpr_private_segment_buffer 1
		.amdhsa_user_sgpr_dispatch_ptr 0
		.amdhsa_user_sgpr_queue_ptr 0
		.amdhsa_user_sgpr_kernarg_segment_ptr 1
		.amdhsa_user_sgpr_dispatch_id 0
		.amdhsa_user_sgpr_flat_scratch_init 0
		.amdhsa_user_sgpr_private_segment_size 0
		.amdhsa_wavefront_size32 1
		.amdhsa_uses_dynamic_stack 0
		.amdhsa_system_sgpr_private_segment_wavefront_offset 0
		.amdhsa_system_sgpr_workgroup_id_x 1
		.amdhsa_system_sgpr_workgroup_id_y 0
		.amdhsa_system_sgpr_workgroup_id_z 0
		.amdhsa_system_sgpr_workgroup_info 0
		.amdhsa_system_vgpr_workitem_id 0
		.amdhsa_next_free_vgpr 1
		.amdhsa_next_free_sgpr 1
		.amdhsa_reserve_vcc 0
		.amdhsa_reserve_flat_scratch 0
		.amdhsa_float_round_mode_32 0
		.amdhsa_float_round_mode_16_64 0
		.amdhsa_float_denorm_mode_32 3
		.amdhsa_float_denorm_mode_16_64 3
		.amdhsa_dx10_clamp 1
		.amdhsa_ieee_mode 1
		.amdhsa_fp16_overflow 0
		.amdhsa_workgroup_processor_mode 1
		.amdhsa_memory_ordered 1
		.amdhsa_forward_progress 1
		.amdhsa_shared_vgpr_count 0
		.amdhsa_exception_fp_ieee_invalid_op 0
		.amdhsa_exception_fp_denorm_src 0
		.amdhsa_exception_fp_ieee_div_zero 0
		.amdhsa_exception_fp_ieee_overflow 0
		.amdhsa_exception_fp_ieee_underflow 0
		.amdhsa_exception_fp_ieee_inexact 0
		.amdhsa_exception_int_div_zero 0
	.end_amdhsa_kernel
	.section	.text._ZN7rocprim17ROCPRIM_400000_NS6detail17trampoline_kernelINS0_14default_configENS1_20scan_config_selectorIfEEZZNS1_9scan_implILNS1_25lookback_scan_determinismE0ELb0ELb0ES3_PKfPffZZZN2at6native31launch_logcumsumexp_cuda_kernelERKNSB_10TensorBaseESF_lENKUlvE_clEvENKUlvE0_clEvEUlffE_fEEDaPvRmT3_T4_T5_mT6_P12ihipStream_tbENKUlT_T0_E_clISt17integral_constantIbLb0EESV_IbLb1EEEEDaSR_SS_EUlSR_E0_NS1_11comp_targetILNS1_3genE2ELNS1_11target_archE906ELNS1_3gpuE6ELNS1_3repE0EEENS1_30default_config_static_selectorELNS0_4arch9wavefront6targetE0EEEvT1_,"axG",@progbits,_ZN7rocprim17ROCPRIM_400000_NS6detail17trampoline_kernelINS0_14default_configENS1_20scan_config_selectorIfEEZZNS1_9scan_implILNS1_25lookback_scan_determinismE0ELb0ELb0ES3_PKfPffZZZN2at6native31launch_logcumsumexp_cuda_kernelERKNSB_10TensorBaseESF_lENKUlvE_clEvENKUlvE0_clEvEUlffE_fEEDaPvRmT3_T4_T5_mT6_P12ihipStream_tbENKUlT_T0_E_clISt17integral_constantIbLb0EESV_IbLb1EEEEDaSR_SS_EUlSR_E0_NS1_11comp_targetILNS1_3genE2ELNS1_11target_archE906ELNS1_3gpuE6ELNS1_3repE0EEENS1_30default_config_static_selectorELNS0_4arch9wavefront6targetE0EEEvT1_,comdat
.Lfunc_end166:
	.size	_ZN7rocprim17ROCPRIM_400000_NS6detail17trampoline_kernelINS0_14default_configENS1_20scan_config_selectorIfEEZZNS1_9scan_implILNS1_25lookback_scan_determinismE0ELb0ELb0ES3_PKfPffZZZN2at6native31launch_logcumsumexp_cuda_kernelERKNSB_10TensorBaseESF_lENKUlvE_clEvENKUlvE0_clEvEUlffE_fEEDaPvRmT3_T4_T5_mT6_P12ihipStream_tbENKUlT_T0_E_clISt17integral_constantIbLb0EESV_IbLb1EEEEDaSR_SS_EUlSR_E0_NS1_11comp_targetILNS1_3genE2ELNS1_11target_archE906ELNS1_3gpuE6ELNS1_3repE0EEENS1_30default_config_static_selectorELNS0_4arch9wavefront6targetE0EEEvT1_, .Lfunc_end166-_ZN7rocprim17ROCPRIM_400000_NS6detail17trampoline_kernelINS0_14default_configENS1_20scan_config_selectorIfEEZZNS1_9scan_implILNS1_25lookback_scan_determinismE0ELb0ELb0ES3_PKfPffZZZN2at6native31launch_logcumsumexp_cuda_kernelERKNSB_10TensorBaseESF_lENKUlvE_clEvENKUlvE0_clEvEUlffE_fEEDaPvRmT3_T4_T5_mT6_P12ihipStream_tbENKUlT_T0_E_clISt17integral_constantIbLb0EESV_IbLb1EEEEDaSR_SS_EUlSR_E0_NS1_11comp_targetILNS1_3genE2ELNS1_11target_archE906ELNS1_3gpuE6ELNS1_3repE0EEENS1_30default_config_static_selectorELNS0_4arch9wavefront6targetE0EEEvT1_
                                        ; -- End function
	.set _ZN7rocprim17ROCPRIM_400000_NS6detail17trampoline_kernelINS0_14default_configENS1_20scan_config_selectorIfEEZZNS1_9scan_implILNS1_25lookback_scan_determinismE0ELb0ELb0ES3_PKfPffZZZN2at6native31launch_logcumsumexp_cuda_kernelERKNSB_10TensorBaseESF_lENKUlvE_clEvENKUlvE0_clEvEUlffE_fEEDaPvRmT3_T4_T5_mT6_P12ihipStream_tbENKUlT_T0_E_clISt17integral_constantIbLb0EESV_IbLb1EEEEDaSR_SS_EUlSR_E0_NS1_11comp_targetILNS1_3genE2ELNS1_11target_archE906ELNS1_3gpuE6ELNS1_3repE0EEENS1_30default_config_static_selectorELNS0_4arch9wavefront6targetE0EEEvT1_.num_vgpr, 0
	.set _ZN7rocprim17ROCPRIM_400000_NS6detail17trampoline_kernelINS0_14default_configENS1_20scan_config_selectorIfEEZZNS1_9scan_implILNS1_25lookback_scan_determinismE0ELb0ELb0ES3_PKfPffZZZN2at6native31launch_logcumsumexp_cuda_kernelERKNSB_10TensorBaseESF_lENKUlvE_clEvENKUlvE0_clEvEUlffE_fEEDaPvRmT3_T4_T5_mT6_P12ihipStream_tbENKUlT_T0_E_clISt17integral_constantIbLb0EESV_IbLb1EEEEDaSR_SS_EUlSR_E0_NS1_11comp_targetILNS1_3genE2ELNS1_11target_archE906ELNS1_3gpuE6ELNS1_3repE0EEENS1_30default_config_static_selectorELNS0_4arch9wavefront6targetE0EEEvT1_.num_agpr, 0
	.set _ZN7rocprim17ROCPRIM_400000_NS6detail17trampoline_kernelINS0_14default_configENS1_20scan_config_selectorIfEEZZNS1_9scan_implILNS1_25lookback_scan_determinismE0ELb0ELb0ES3_PKfPffZZZN2at6native31launch_logcumsumexp_cuda_kernelERKNSB_10TensorBaseESF_lENKUlvE_clEvENKUlvE0_clEvEUlffE_fEEDaPvRmT3_T4_T5_mT6_P12ihipStream_tbENKUlT_T0_E_clISt17integral_constantIbLb0EESV_IbLb1EEEEDaSR_SS_EUlSR_E0_NS1_11comp_targetILNS1_3genE2ELNS1_11target_archE906ELNS1_3gpuE6ELNS1_3repE0EEENS1_30default_config_static_selectorELNS0_4arch9wavefront6targetE0EEEvT1_.numbered_sgpr, 0
	.set _ZN7rocprim17ROCPRIM_400000_NS6detail17trampoline_kernelINS0_14default_configENS1_20scan_config_selectorIfEEZZNS1_9scan_implILNS1_25lookback_scan_determinismE0ELb0ELb0ES3_PKfPffZZZN2at6native31launch_logcumsumexp_cuda_kernelERKNSB_10TensorBaseESF_lENKUlvE_clEvENKUlvE0_clEvEUlffE_fEEDaPvRmT3_T4_T5_mT6_P12ihipStream_tbENKUlT_T0_E_clISt17integral_constantIbLb0EESV_IbLb1EEEEDaSR_SS_EUlSR_E0_NS1_11comp_targetILNS1_3genE2ELNS1_11target_archE906ELNS1_3gpuE6ELNS1_3repE0EEENS1_30default_config_static_selectorELNS0_4arch9wavefront6targetE0EEEvT1_.num_named_barrier, 0
	.set _ZN7rocprim17ROCPRIM_400000_NS6detail17trampoline_kernelINS0_14default_configENS1_20scan_config_selectorIfEEZZNS1_9scan_implILNS1_25lookback_scan_determinismE0ELb0ELb0ES3_PKfPffZZZN2at6native31launch_logcumsumexp_cuda_kernelERKNSB_10TensorBaseESF_lENKUlvE_clEvENKUlvE0_clEvEUlffE_fEEDaPvRmT3_T4_T5_mT6_P12ihipStream_tbENKUlT_T0_E_clISt17integral_constantIbLb0EESV_IbLb1EEEEDaSR_SS_EUlSR_E0_NS1_11comp_targetILNS1_3genE2ELNS1_11target_archE906ELNS1_3gpuE6ELNS1_3repE0EEENS1_30default_config_static_selectorELNS0_4arch9wavefront6targetE0EEEvT1_.private_seg_size, 0
	.set _ZN7rocprim17ROCPRIM_400000_NS6detail17trampoline_kernelINS0_14default_configENS1_20scan_config_selectorIfEEZZNS1_9scan_implILNS1_25lookback_scan_determinismE0ELb0ELb0ES3_PKfPffZZZN2at6native31launch_logcumsumexp_cuda_kernelERKNSB_10TensorBaseESF_lENKUlvE_clEvENKUlvE0_clEvEUlffE_fEEDaPvRmT3_T4_T5_mT6_P12ihipStream_tbENKUlT_T0_E_clISt17integral_constantIbLb0EESV_IbLb1EEEEDaSR_SS_EUlSR_E0_NS1_11comp_targetILNS1_3genE2ELNS1_11target_archE906ELNS1_3gpuE6ELNS1_3repE0EEENS1_30default_config_static_selectorELNS0_4arch9wavefront6targetE0EEEvT1_.uses_vcc, 0
	.set _ZN7rocprim17ROCPRIM_400000_NS6detail17trampoline_kernelINS0_14default_configENS1_20scan_config_selectorIfEEZZNS1_9scan_implILNS1_25lookback_scan_determinismE0ELb0ELb0ES3_PKfPffZZZN2at6native31launch_logcumsumexp_cuda_kernelERKNSB_10TensorBaseESF_lENKUlvE_clEvENKUlvE0_clEvEUlffE_fEEDaPvRmT3_T4_T5_mT6_P12ihipStream_tbENKUlT_T0_E_clISt17integral_constantIbLb0EESV_IbLb1EEEEDaSR_SS_EUlSR_E0_NS1_11comp_targetILNS1_3genE2ELNS1_11target_archE906ELNS1_3gpuE6ELNS1_3repE0EEENS1_30default_config_static_selectorELNS0_4arch9wavefront6targetE0EEEvT1_.uses_flat_scratch, 0
	.set _ZN7rocprim17ROCPRIM_400000_NS6detail17trampoline_kernelINS0_14default_configENS1_20scan_config_selectorIfEEZZNS1_9scan_implILNS1_25lookback_scan_determinismE0ELb0ELb0ES3_PKfPffZZZN2at6native31launch_logcumsumexp_cuda_kernelERKNSB_10TensorBaseESF_lENKUlvE_clEvENKUlvE0_clEvEUlffE_fEEDaPvRmT3_T4_T5_mT6_P12ihipStream_tbENKUlT_T0_E_clISt17integral_constantIbLb0EESV_IbLb1EEEEDaSR_SS_EUlSR_E0_NS1_11comp_targetILNS1_3genE2ELNS1_11target_archE906ELNS1_3gpuE6ELNS1_3repE0EEENS1_30default_config_static_selectorELNS0_4arch9wavefront6targetE0EEEvT1_.has_dyn_sized_stack, 0
	.set _ZN7rocprim17ROCPRIM_400000_NS6detail17trampoline_kernelINS0_14default_configENS1_20scan_config_selectorIfEEZZNS1_9scan_implILNS1_25lookback_scan_determinismE0ELb0ELb0ES3_PKfPffZZZN2at6native31launch_logcumsumexp_cuda_kernelERKNSB_10TensorBaseESF_lENKUlvE_clEvENKUlvE0_clEvEUlffE_fEEDaPvRmT3_T4_T5_mT6_P12ihipStream_tbENKUlT_T0_E_clISt17integral_constantIbLb0EESV_IbLb1EEEEDaSR_SS_EUlSR_E0_NS1_11comp_targetILNS1_3genE2ELNS1_11target_archE906ELNS1_3gpuE6ELNS1_3repE0EEENS1_30default_config_static_selectorELNS0_4arch9wavefront6targetE0EEEvT1_.has_recursion, 0
	.set _ZN7rocprim17ROCPRIM_400000_NS6detail17trampoline_kernelINS0_14default_configENS1_20scan_config_selectorIfEEZZNS1_9scan_implILNS1_25lookback_scan_determinismE0ELb0ELb0ES3_PKfPffZZZN2at6native31launch_logcumsumexp_cuda_kernelERKNSB_10TensorBaseESF_lENKUlvE_clEvENKUlvE0_clEvEUlffE_fEEDaPvRmT3_T4_T5_mT6_P12ihipStream_tbENKUlT_T0_E_clISt17integral_constantIbLb0EESV_IbLb1EEEEDaSR_SS_EUlSR_E0_NS1_11comp_targetILNS1_3genE2ELNS1_11target_archE906ELNS1_3gpuE6ELNS1_3repE0EEENS1_30default_config_static_selectorELNS0_4arch9wavefront6targetE0EEEvT1_.has_indirect_call, 0
	.section	.AMDGPU.csdata,"",@progbits
; Kernel info:
; codeLenInByte = 0
; TotalNumSgprs: 0
; NumVgprs: 0
; ScratchSize: 0
; MemoryBound: 0
; FloatMode: 240
; IeeeMode: 1
; LDSByteSize: 0 bytes/workgroup (compile time only)
; SGPRBlocks: 0
; VGPRBlocks: 0
; NumSGPRsForWavesPerEU: 1
; NumVGPRsForWavesPerEU: 1
; Occupancy: 16
; WaveLimiterHint : 0
; COMPUTE_PGM_RSRC2:SCRATCH_EN: 0
; COMPUTE_PGM_RSRC2:USER_SGPR: 6
; COMPUTE_PGM_RSRC2:TRAP_HANDLER: 0
; COMPUTE_PGM_RSRC2:TGID_X_EN: 1
; COMPUTE_PGM_RSRC2:TGID_Y_EN: 0
; COMPUTE_PGM_RSRC2:TGID_Z_EN: 0
; COMPUTE_PGM_RSRC2:TIDIG_COMP_CNT: 0
	.section	.text._ZN7rocprim17ROCPRIM_400000_NS6detail17trampoline_kernelINS0_14default_configENS1_20scan_config_selectorIfEEZZNS1_9scan_implILNS1_25lookback_scan_determinismE0ELb0ELb0ES3_PKfPffZZZN2at6native31launch_logcumsumexp_cuda_kernelERKNSB_10TensorBaseESF_lENKUlvE_clEvENKUlvE0_clEvEUlffE_fEEDaPvRmT3_T4_T5_mT6_P12ihipStream_tbENKUlT_T0_E_clISt17integral_constantIbLb0EESV_IbLb1EEEEDaSR_SS_EUlSR_E0_NS1_11comp_targetILNS1_3genE10ELNS1_11target_archE1201ELNS1_3gpuE5ELNS1_3repE0EEENS1_30default_config_static_selectorELNS0_4arch9wavefront6targetE0EEEvT1_,"axG",@progbits,_ZN7rocprim17ROCPRIM_400000_NS6detail17trampoline_kernelINS0_14default_configENS1_20scan_config_selectorIfEEZZNS1_9scan_implILNS1_25lookback_scan_determinismE0ELb0ELb0ES3_PKfPffZZZN2at6native31launch_logcumsumexp_cuda_kernelERKNSB_10TensorBaseESF_lENKUlvE_clEvENKUlvE0_clEvEUlffE_fEEDaPvRmT3_T4_T5_mT6_P12ihipStream_tbENKUlT_T0_E_clISt17integral_constantIbLb0EESV_IbLb1EEEEDaSR_SS_EUlSR_E0_NS1_11comp_targetILNS1_3genE10ELNS1_11target_archE1201ELNS1_3gpuE5ELNS1_3repE0EEENS1_30default_config_static_selectorELNS0_4arch9wavefront6targetE0EEEvT1_,comdat
	.globl	_ZN7rocprim17ROCPRIM_400000_NS6detail17trampoline_kernelINS0_14default_configENS1_20scan_config_selectorIfEEZZNS1_9scan_implILNS1_25lookback_scan_determinismE0ELb0ELb0ES3_PKfPffZZZN2at6native31launch_logcumsumexp_cuda_kernelERKNSB_10TensorBaseESF_lENKUlvE_clEvENKUlvE0_clEvEUlffE_fEEDaPvRmT3_T4_T5_mT6_P12ihipStream_tbENKUlT_T0_E_clISt17integral_constantIbLb0EESV_IbLb1EEEEDaSR_SS_EUlSR_E0_NS1_11comp_targetILNS1_3genE10ELNS1_11target_archE1201ELNS1_3gpuE5ELNS1_3repE0EEENS1_30default_config_static_selectorELNS0_4arch9wavefront6targetE0EEEvT1_ ; -- Begin function _ZN7rocprim17ROCPRIM_400000_NS6detail17trampoline_kernelINS0_14default_configENS1_20scan_config_selectorIfEEZZNS1_9scan_implILNS1_25lookback_scan_determinismE0ELb0ELb0ES3_PKfPffZZZN2at6native31launch_logcumsumexp_cuda_kernelERKNSB_10TensorBaseESF_lENKUlvE_clEvENKUlvE0_clEvEUlffE_fEEDaPvRmT3_T4_T5_mT6_P12ihipStream_tbENKUlT_T0_E_clISt17integral_constantIbLb0EESV_IbLb1EEEEDaSR_SS_EUlSR_E0_NS1_11comp_targetILNS1_3genE10ELNS1_11target_archE1201ELNS1_3gpuE5ELNS1_3repE0EEENS1_30default_config_static_selectorELNS0_4arch9wavefront6targetE0EEEvT1_
	.p2align	8
	.type	_ZN7rocprim17ROCPRIM_400000_NS6detail17trampoline_kernelINS0_14default_configENS1_20scan_config_selectorIfEEZZNS1_9scan_implILNS1_25lookback_scan_determinismE0ELb0ELb0ES3_PKfPffZZZN2at6native31launch_logcumsumexp_cuda_kernelERKNSB_10TensorBaseESF_lENKUlvE_clEvENKUlvE0_clEvEUlffE_fEEDaPvRmT3_T4_T5_mT6_P12ihipStream_tbENKUlT_T0_E_clISt17integral_constantIbLb0EESV_IbLb1EEEEDaSR_SS_EUlSR_E0_NS1_11comp_targetILNS1_3genE10ELNS1_11target_archE1201ELNS1_3gpuE5ELNS1_3repE0EEENS1_30default_config_static_selectorELNS0_4arch9wavefront6targetE0EEEvT1_,@function
_ZN7rocprim17ROCPRIM_400000_NS6detail17trampoline_kernelINS0_14default_configENS1_20scan_config_selectorIfEEZZNS1_9scan_implILNS1_25lookback_scan_determinismE0ELb0ELb0ES3_PKfPffZZZN2at6native31launch_logcumsumexp_cuda_kernelERKNSB_10TensorBaseESF_lENKUlvE_clEvENKUlvE0_clEvEUlffE_fEEDaPvRmT3_T4_T5_mT6_P12ihipStream_tbENKUlT_T0_E_clISt17integral_constantIbLb0EESV_IbLb1EEEEDaSR_SS_EUlSR_E0_NS1_11comp_targetILNS1_3genE10ELNS1_11target_archE1201ELNS1_3gpuE5ELNS1_3repE0EEENS1_30default_config_static_selectorELNS0_4arch9wavefront6targetE0EEEvT1_: ; @_ZN7rocprim17ROCPRIM_400000_NS6detail17trampoline_kernelINS0_14default_configENS1_20scan_config_selectorIfEEZZNS1_9scan_implILNS1_25lookback_scan_determinismE0ELb0ELb0ES3_PKfPffZZZN2at6native31launch_logcumsumexp_cuda_kernelERKNSB_10TensorBaseESF_lENKUlvE_clEvENKUlvE0_clEvEUlffE_fEEDaPvRmT3_T4_T5_mT6_P12ihipStream_tbENKUlT_T0_E_clISt17integral_constantIbLb0EESV_IbLb1EEEEDaSR_SS_EUlSR_E0_NS1_11comp_targetILNS1_3genE10ELNS1_11target_archE1201ELNS1_3gpuE5ELNS1_3repE0EEENS1_30default_config_static_selectorELNS0_4arch9wavefront6targetE0EEEvT1_
; %bb.0:
	.section	.rodata,"a",@progbits
	.p2align	6, 0x0
	.amdhsa_kernel _ZN7rocprim17ROCPRIM_400000_NS6detail17trampoline_kernelINS0_14default_configENS1_20scan_config_selectorIfEEZZNS1_9scan_implILNS1_25lookback_scan_determinismE0ELb0ELb0ES3_PKfPffZZZN2at6native31launch_logcumsumexp_cuda_kernelERKNSB_10TensorBaseESF_lENKUlvE_clEvENKUlvE0_clEvEUlffE_fEEDaPvRmT3_T4_T5_mT6_P12ihipStream_tbENKUlT_T0_E_clISt17integral_constantIbLb0EESV_IbLb1EEEEDaSR_SS_EUlSR_E0_NS1_11comp_targetILNS1_3genE10ELNS1_11target_archE1201ELNS1_3gpuE5ELNS1_3repE0EEENS1_30default_config_static_selectorELNS0_4arch9wavefront6targetE0EEEvT1_
		.amdhsa_group_segment_fixed_size 0
		.amdhsa_private_segment_fixed_size 0
		.amdhsa_kernarg_size 32
		.amdhsa_user_sgpr_count 6
		.amdhsa_user_sgpr_private_segment_buffer 1
		.amdhsa_user_sgpr_dispatch_ptr 0
		.amdhsa_user_sgpr_queue_ptr 0
		.amdhsa_user_sgpr_kernarg_segment_ptr 1
		.amdhsa_user_sgpr_dispatch_id 0
		.amdhsa_user_sgpr_flat_scratch_init 0
		.amdhsa_user_sgpr_private_segment_size 0
		.amdhsa_wavefront_size32 1
		.amdhsa_uses_dynamic_stack 0
		.amdhsa_system_sgpr_private_segment_wavefront_offset 0
		.amdhsa_system_sgpr_workgroup_id_x 1
		.amdhsa_system_sgpr_workgroup_id_y 0
		.amdhsa_system_sgpr_workgroup_id_z 0
		.amdhsa_system_sgpr_workgroup_info 0
		.amdhsa_system_vgpr_workitem_id 0
		.amdhsa_next_free_vgpr 1
		.amdhsa_next_free_sgpr 1
		.amdhsa_reserve_vcc 0
		.amdhsa_reserve_flat_scratch 0
		.amdhsa_float_round_mode_32 0
		.amdhsa_float_round_mode_16_64 0
		.amdhsa_float_denorm_mode_32 3
		.amdhsa_float_denorm_mode_16_64 3
		.amdhsa_dx10_clamp 1
		.amdhsa_ieee_mode 1
		.amdhsa_fp16_overflow 0
		.amdhsa_workgroup_processor_mode 1
		.amdhsa_memory_ordered 1
		.amdhsa_forward_progress 1
		.amdhsa_shared_vgpr_count 0
		.amdhsa_exception_fp_ieee_invalid_op 0
		.amdhsa_exception_fp_denorm_src 0
		.amdhsa_exception_fp_ieee_div_zero 0
		.amdhsa_exception_fp_ieee_overflow 0
		.amdhsa_exception_fp_ieee_underflow 0
		.amdhsa_exception_fp_ieee_inexact 0
		.amdhsa_exception_int_div_zero 0
	.end_amdhsa_kernel
	.section	.text._ZN7rocprim17ROCPRIM_400000_NS6detail17trampoline_kernelINS0_14default_configENS1_20scan_config_selectorIfEEZZNS1_9scan_implILNS1_25lookback_scan_determinismE0ELb0ELb0ES3_PKfPffZZZN2at6native31launch_logcumsumexp_cuda_kernelERKNSB_10TensorBaseESF_lENKUlvE_clEvENKUlvE0_clEvEUlffE_fEEDaPvRmT3_T4_T5_mT6_P12ihipStream_tbENKUlT_T0_E_clISt17integral_constantIbLb0EESV_IbLb1EEEEDaSR_SS_EUlSR_E0_NS1_11comp_targetILNS1_3genE10ELNS1_11target_archE1201ELNS1_3gpuE5ELNS1_3repE0EEENS1_30default_config_static_selectorELNS0_4arch9wavefront6targetE0EEEvT1_,"axG",@progbits,_ZN7rocprim17ROCPRIM_400000_NS6detail17trampoline_kernelINS0_14default_configENS1_20scan_config_selectorIfEEZZNS1_9scan_implILNS1_25lookback_scan_determinismE0ELb0ELb0ES3_PKfPffZZZN2at6native31launch_logcumsumexp_cuda_kernelERKNSB_10TensorBaseESF_lENKUlvE_clEvENKUlvE0_clEvEUlffE_fEEDaPvRmT3_T4_T5_mT6_P12ihipStream_tbENKUlT_T0_E_clISt17integral_constantIbLb0EESV_IbLb1EEEEDaSR_SS_EUlSR_E0_NS1_11comp_targetILNS1_3genE10ELNS1_11target_archE1201ELNS1_3gpuE5ELNS1_3repE0EEENS1_30default_config_static_selectorELNS0_4arch9wavefront6targetE0EEEvT1_,comdat
.Lfunc_end167:
	.size	_ZN7rocprim17ROCPRIM_400000_NS6detail17trampoline_kernelINS0_14default_configENS1_20scan_config_selectorIfEEZZNS1_9scan_implILNS1_25lookback_scan_determinismE0ELb0ELb0ES3_PKfPffZZZN2at6native31launch_logcumsumexp_cuda_kernelERKNSB_10TensorBaseESF_lENKUlvE_clEvENKUlvE0_clEvEUlffE_fEEDaPvRmT3_T4_T5_mT6_P12ihipStream_tbENKUlT_T0_E_clISt17integral_constantIbLb0EESV_IbLb1EEEEDaSR_SS_EUlSR_E0_NS1_11comp_targetILNS1_3genE10ELNS1_11target_archE1201ELNS1_3gpuE5ELNS1_3repE0EEENS1_30default_config_static_selectorELNS0_4arch9wavefront6targetE0EEEvT1_, .Lfunc_end167-_ZN7rocprim17ROCPRIM_400000_NS6detail17trampoline_kernelINS0_14default_configENS1_20scan_config_selectorIfEEZZNS1_9scan_implILNS1_25lookback_scan_determinismE0ELb0ELb0ES3_PKfPffZZZN2at6native31launch_logcumsumexp_cuda_kernelERKNSB_10TensorBaseESF_lENKUlvE_clEvENKUlvE0_clEvEUlffE_fEEDaPvRmT3_T4_T5_mT6_P12ihipStream_tbENKUlT_T0_E_clISt17integral_constantIbLb0EESV_IbLb1EEEEDaSR_SS_EUlSR_E0_NS1_11comp_targetILNS1_3genE10ELNS1_11target_archE1201ELNS1_3gpuE5ELNS1_3repE0EEENS1_30default_config_static_selectorELNS0_4arch9wavefront6targetE0EEEvT1_
                                        ; -- End function
	.set _ZN7rocprim17ROCPRIM_400000_NS6detail17trampoline_kernelINS0_14default_configENS1_20scan_config_selectorIfEEZZNS1_9scan_implILNS1_25lookback_scan_determinismE0ELb0ELb0ES3_PKfPffZZZN2at6native31launch_logcumsumexp_cuda_kernelERKNSB_10TensorBaseESF_lENKUlvE_clEvENKUlvE0_clEvEUlffE_fEEDaPvRmT3_T4_T5_mT6_P12ihipStream_tbENKUlT_T0_E_clISt17integral_constantIbLb0EESV_IbLb1EEEEDaSR_SS_EUlSR_E0_NS1_11comp_targetILNS1_3genE10ELNS1_11target_archE1201ELNS1_3gpuE5ELNS1_3repE0EEENS1_30default_config_static_selectorELNS0_4arch9wavefront6targetE0EEEvT1_.num_vgpr, 0
	.set _ZN7rocprim17ROCPRIM_400000_NS6detail17trampoline_kernelINS0_14default_configENS1_20scan_config_selectorIfEEZZNS1_9scan_implILNS1_25lookback_scan_determinismE0ELb0ELb0ES3_PKfPffZZZN2at6native31launch_logcumsumexp_cuda_kernelERKNSB_10TensorBaseESF_lENKUlvE_clEvENKUlvE0_clEvEUlffE_fEEDaPvRmT3_T4_T5_mT6_P12ihipStream_tbENKUlT_T0_E_clISt17integral_constantIbLb0EESV_IbLb1EEEEDaSR_SS_EUlSR_E0_NS1_11comp_targetILNS1_3genE10ELNS1_11target_archE1201ELNS1_3gpuE5ELNS1_3repE0EEENS1_30default_config_static_selectorELNS0_4arch9wavefront6targetE0EEEvT1_.num_agpr, 0
	.set _ZN7rocprim17ROCPRIM_400000_NS6detail17trampoline_kernelINS0_14default_configENS1_20scan_config_selectorIfEEZZNS1_9scan_implILNS1_25lookback_scan_determinismE0ELb0ELb0ES3_PKfPffZZZN2at6native31launch_logcumsumexp_cuda_kernelERKNSB_10TensorBaseESF_lENKUlvE_clEvENKUlvE0_clEvEUlffE_fEEDaPvRmT3_T4_T5_mT6_P12ihipStream_tbENKUlT_T0_E_clISt17integral_constantIbLb0EESV_IbLb1EEEEDaSR_SS_EUlSR_E0_NS1_11comp_targetILNS1_3genE10ELNS1_11target_archE1201ELNS1_3gpuE5ELNS1_3repE0EEENS1_30default_config_static_selectorELNS0_4arch9wavefront6targetE0EEEvT1_.numbered_sgpr, 0
	.set _ZN7rocprim17ROCPRIM_400000_NS6detail17trampoline_kernelINS0_14default_configENS1_20scan_config_selectorIfEEZZNS1_9scan_implILNS1_25lookback_scan_determinismE0ELb0ELb0ES3_PKfPffZZZN2at6native31launch_logcumsumexp_cuda_kernelERKNSB_10TensorBaseESF_lENKUlvE_clEvENKUlvE0_clEvEUlffE_fEEDaPvRmT3_T4_T5_mT6_P12ihipStream_tbENKUlT_T0_E_clISt17integral_constantIbLb0EESV_IbLb1EEEEDaSR_SS_EUlSR_E0_NS1_11comp_targetILNS1_3genE10ELNS1_11target_archE1201ELNS1_3gpuE5ELNS1_3repE0EEENS1_30default_config_static_selectorELNS0_4arch9wavefront6targetE0EEEvT1_.num_named_barrier, 0
	.set _ZN7rocprim17ROCPRIM_400000_NS6detail17trampoline_kernelINS0_14default_configENS1_20scan_config_selectorIfEEZZNS1_9scan_implILNS1_25lookback_scan_determinismE0ELb0ELb0ES3_PKfPffZZZN2at6native31launch_logcumsumexp_cuda_kernelERKNSB_10TensorBaseESF_lENKUlvE_clEvENKUlvE0_clEvEUlffE_fEEDaPvRmT3_T4_T5_mT6_P12ihipStream_tbENKUlT_T0_E_clISt17integral_constantIbLb0EESV_IbLb1EEEEDaSR_SS_EUlSR_E0_NS1_11comp_targetILNS1_3genE10ELNS1_11target_archE1201ELNS1_3gpuE5ELNS1_3repE0EEENS1_30default_config_static_selectorELNS0_4arch9wavefront6targetE0EEEvT1_.private_seg_size, 0
	.set _ZN7rocprim17ROCPRIM_400000_NS6detail17trampoline_kernelINS0_14default_configENS1_20scan_config_selectorIfEEZZNS1_9scan_implILNS1_25lookback_scan_determinismE0ELb0ELb0ES3_PKfPffZZZN2at6native31launch_logcumsumexp_cuda_kernelERKNSB_10TensorBaseESF_lENKUlvE_clEvENKUlvE0_clEvEUlffE_fEEDaPvRmT3_T4_T5_mT6_P12ihipStream_tbENKUlT_T0_E_clISt17integral_constantIbLb0EESV_IbLb1EEEEDaSR_SS_EUlSR_E0_NS1_11comp_targetILNS1_3genE10ELNS1_11target_archE1201ELNS1_3gpuE5ELNS1_3repE0EEENS1_30default_config_static_selectorELNS0_4arch9wavefront6targetE0EEEvT1_.uses_vcc, 0
	.set _ZN7rocprim17ROCPRIM_400000_NS6detail17trampoline_kernelINS0_14default_configENS1_20scan_config_selectorIfEEZZNS1_9scan_implILNS1_25lookback_scan_determinismE0ELb0ELb0ES3_PKfPffZZZN2at6native31launch_logcumsumexp_cuda_kernelERKNSB_10TensorBaseESF_lENKUlvE_clEvENKUlvE0_clEvEUlffE_fEEDaPvRmT3_T4_T5_mT6_P12ihipStream_tbENKUlT_T0_E_clISt17integral_constantIbLb0EESV_IbLb1EEEEDaSR_SS_EUlSR_E0_NS1_11comp_targetILNS1_3genE10ELNS1_11target_archE1201ELNS1_3gpuE5ELNS1_3repE0EEENS1_30default_config_static_selectorELNS0_4arch9wavefront6targetE0EEEvT1_.uses_flat_scratch, 0
	.set _ZN7rocprim17ROCPRIM_400000_NS6detail17trampoline_kernelINS0_14default_configENS1_20scan_config_selectorIfEEZZNS1_9scan_implILNS1_25lookback_scan_determinismE0ELb0ELb0ES3_PKfPffZZZN2at6native31launch_logcumsumexp_cuda_kernelERKNSB_10TensorBaseESF_lENKUlvE_clEvENKUlvE0_clEvEUlffE_fEEDaPvRmT3_T4_T5_mT6_P12ihipStream_tbENKUlT_T0_E_clISt17integral_constantIbLb0EESV_IbLb1EEEEDaSR_SS_EUlSR_E0_NS1_11comp_targetILNS1_3genE10ELNS1_11target_archE1201ELNS1_3gpuE5ELNS1_3repE0EEENS1_30default_config_static_selectorELNS0_4arch9wavefront6targetE0EEEvT1_.has_dyn_sized_stack, 0
	.set _ZN7rocprim17ROCPRIM_400000_NS6detail17trampoline_kernelINS0_14default_configENS1_20scan_config_selectorIfEEZZNS1_9scan_implILNS1_25lookback_scan_determinismE0ELb0ELb0ES3_PKfPffZZZN2at6native31launch_logcumsumexp_cuda_kernelERKNSB_10TensorBaseESF_lENKUlvE_clEvENKUlvE0_clEvEUlffE_fEEDaPvRmT3_T4_T5_mT6_P12ihipStream_tbENKUlT_T0_E_clISt17integral_constantIbLb0EESV_IbLb1EEEEDaSR_SS_EUlSR_E0_NS1_11comp_targetILNS1_3genE10ELNS1_11target_archE1201ELNS1_3gpuE5ELNS1_3repE0EEENS1_30default_config_static_selectorELNS0_4arch9wavefront6targetE0EEEvT1_.has_recursion, 0
	.set _ZN7rocprim17ROCPRIM_400000_NS6detail17trampoline_kernelINS0_14default_configENS1_20scan_config_selectorIfEEZZNS1_9scan_implILNS1_25lookback_scan_determinismE0ELb0ELb0ES3_PKfPffZZZN2at6native31launch_logcumsumexp_cuda_kernelERKNSB_10TensorBaseESF_lENKUlvE_clEvENKUlvE0_clEvEUlffE_fEEDaPvRmT3_T4_T5_mT6_P12ihipStream_tbENKUlT_T0_E_clISt17integral_constantIbLb0EESV_IbLb1EEEEDaSR_SS_EUlSR_E0_NS1_11comp_targetILNS1_3genE10ELNS1_11target_archE1201ELNS1_3gpuE5ELNS1_3repE0EEENS1_30default_config_static_selectorELNS0_4arch9wavefront6targetE0EEEvT1_.has_indirect_call, 0
	.section	.AMDGPU.csdata,"",@progbits
; Kernel info:
; codeLenInByte = 0
; TotalNumSgprs: 0
; NumVgprs: 0
; ScratchSize: 0
; MemoryBound: 0
; FloatMode: 240
; IeeeMode: 1
; LDSByteSize: 0 bytes/workgroup (compile time only)
; SGPRBlocks: 0
; VGPRBlocks: 0
; NumSGPRsForWavesPerEU: 1
; NumVGPRsForWavesPerEU: 1
; Occupancy: 16
; WaveLimiterHint : 0
; COMPUTE_PGM_RSRC2:SCRATCH_EN: 0
; COMPUTE_PGM_RSRC2:USER_SGPR: 6
; COMPUTE_PGM_RSRC2:TRAP_HANDLER: 0
; COMPUTE_PGM_RSRC2:TGID_X_EN: 1
; COMPUTE_PGM_RSRC2:TGID_Y_EN: 0
; COMPUTE_PGM_RSRC2:TGID_Z_EN: 0
; COMPUTE_PGM_RSRC2:TIDIG_COMP_CNT: 0
	.section	.text._ZN7rocprim17ROCPRIM_400000_NS6detail17trampoline_kernelINS0_14default_configENS1_20scan_config_selectorIfEEZZNS1_9scan_implILNS1_25lookback_scan_determinismE0ELb0ELb0ES3_PKfPffZZZN2at6native31launch_logcumsumexp_cuda_kernelERKNSB_10TensorBaseESF_lENKUlvE_clEvENKUlvE0_clEvEUlffE_fEEDaPvRmT3_T4_T5_mT6_P12ihipStream_tbENKUlT_T0_E_clISt17integral_constantIbLb0EESV_IbLb1EEEEDaSR_SS_EUlSR_E0_NS1_11comp_targetILNS1_3genE10ELNS1_11target_archE1200ELNS1_3gpuE4ELNS1_3repE0EEENS1_30default_config_static_selectorELNS0_4arch9wavefront6targetE0EEEvT1_,"axG",@progbits,_ZN7rocprim17ROCPRIM_400000_NS6detail17trampoline_kernelINS0_14default_configENS1_20scan_config_selectorIfEEZZNS1_9scan_implILNS1_25lookback_scan_determinismE0ELb0ELb0ES3_PKfPffZZZN2at6native31launch_logcumsumexp_cuda_kernelERKNSB_10TensorBaseESF_lENKUlvE_clEvENKUlvE0_clEvEUlffE_fEEDaPvRmT3_T4_T5_mT6_P12ihipStream_tbENKUlT_T0_E_clISt17integral_constantIbLb0EESV_IbLb1EEEEDaSR_SS_EUlSR_E0_NS1_11comp_targetILNS1_3genE10ELNS1_11target_archE1200ELNS1_3gpuE4ELNS1_3repE0EEENS1_30default_config_static_selectorELNS0_4arch9wavefront6targetE0EEEvT1_,comdat
	.globl	_ZN7rocprim17ROCPRIM_400000_NS6detail17trampoline_kernelINS0_14default_configENS1_20scan_config_selectorIfEEZZNS1_9scan_implILNS1_25lookback_scan_determinismE0ELb0ELb0ES3_PKfPffZZZN2at6native31launch_logcumsumexp_cuda_kernelERKNSB_10TensorBaseESF_lENKUlvE_clEvENKUlvE0_clEvEUlffE_fEEDaPvRmT3_T4_T5_mT6_P12ihipStream_tbENKUlT_T0_E_clISt17integral_constantIbLb0EESV_IbLb1EEEEDaSR_SS_EUlSR_E0_NS1_11comp_targetILNS1_3genE10ELNS1_11target_archE1200ELNS1_3gpuE4ELNS1_3repE0EEENS1_30default_config_static_selectorELNS0_4arch9wavefront6targetE0EEEvT1_ ; -- Begin function _ZN7rocprim17ROCPRIM_400000_NS6detail17trampoline_kernelINS0_14default_configENS1_20scan_config_selectorIfEEZZNS1_9scan_implILNS1_25lookback_scan_determinismE0ELb0ELb0ES3_PKfPffZZZN2at6native31launch_logcumsumexp_cuda_kernelERKNSB_10TensorBaseESF_lENKUlvE_clEvENKUlvE0_clEvEUlffE_fEEDaPvRmT3_T4_T5_mT6_P12ihipStream_tbENKUlT_T0_E_clISt17integral_constantIbLb0EESV_IbLb1EEEEDaSR_SS_EUlSR_E0_NS1_11comp_targetILNS1_3genE10ELNS1_11target_archE1200ELNS1_3gpuE4ELNS1_3repE0EEENS1_30default_config_static_selectorELNS0_4arch9wavefront6targetE0EEEvT1_
	.p2align	8
	.type	_ZN7rocprim17ROCPRIM_400000_NS6detail17trampoline_kernelINS0_14default_configENS1_20scan_config_selectorIfEEZZNS1_9scan_implILNS1_25lookback_scan_determinismE0ELb0ELb0ES3_PKfPffZZZN2at6native31launch_logcumsumexp_cuda_kernelERKNSB_10TensorBaseESF_lENKUlvE_clEvENKUlvE0_clEvEUlffE_fEEDaPvRmT3_T4_T5_mT6_P12ihipStream_tbENKUlT_T0_E_clISt17integral_constantIbLb0EESV_IbLb1EEEEDaSR_SS_EUlSR_E0_NS1_11comp_targetILNS1_3genE10ELNS1_11target_archE1200ELNS1_3gpuE4ELNS1_3repE0EEENS1_30default_config_static_selectorELNS0_4arch9wavefront6targetE0EEEvT1_,@function
_ZN7rocprim17ROCPRIM_400000_NS6detail17trampoline_kernelINS0_14default_configENS1_20scan_config_selectorIfEEZZNS1_9scan_implILNS1_25lookback_scan_determinismE0ELb0ELb0ES3_PKfPffZZZN2at6native31launch_logcumsumexp_cuda_kernelERKNSB_10TensorBaseESF_lENKUlvE_clEvENKUlvE0_clEvEUlffE_fEEDaPvRmT3_T4_T5_mT6_P12ihipStream_tbENKUlT_T0_E_clISt17integral_constantIbLb0EESV_IbLb1EEEEDaSR_SS_EUlSR_E0_NS1_11comp_targetILNS1_3genE10ELNS1_11target_archE1200ELNS1_3gpuE4ELNS1_3repE0EEENS1_30default_config_static_selectorELNS0_4arch9wavefront6targetE0EEEvT1_: ; @_ZN7rocprim17ROCPRIM_400000_NS6detail17trampoline_kernelINS0_14default_configENS1_20scan_config_selectorIfEEZZNS1_9scan_implILNS1_25lookback_scan_determinismE0ELb0ELb0ES3_PKfPffZZZN2at6native31launch_logcumsumexp_cuda_kernelERKNSB_10TensorBaseESF_lENKUlvE_clEvENKUlvE0_clEvEUlffE_fEEDaPvRmT3_T4_T5_mT6_P12ihipStream_tbENKUlT_T0_E_clISt17integral_constantIbLb0EESV_IbLb1EEEEDaSR_SS_EUlSR_E0_NS1_11comp_targetILNS1_3genE10ELNS1_11target_archE1200ELNS1_3gpuE4ELNS1_3repE0EEENS1_30default_config_static_selectorELNS0_4arch9wavefront6targetE0EEEvT1_
; %bb.0:
	.section	.rodata,"a",@progbits
	.p2align	6, 0x0
	.amdhsa_kernel _ZN7rocprim17ROCPRIM_400000_NS6detail17trampoline_kernelINS0_14default_configENS1_20scan_config_selectorIfEEZZNS1_9scan_implILNS1_25lookback_scan_determinismE0ELb0ELb0ES3_PKfPffZZZN2at6native31launch_logcumsumexp_cuda_kernelERKNSB_10TensorBaseESF_lENKUlvE_clEvENKUlvE0_clEvEUlffE_fEEDaPvRmT3_T4_T5_mT6_P12ihipStream_tbENKUlT_T0_E_clISt17integral_constantIbLb0EESV_IbLb1EEEEDaSR_SS_EUlSR_E0_NS1_11comp_targetILNS1_3genE10ELNS1_11target_archE1200ELNS1_3gpuE4ELNS1_3repE0EEENS1_30default_config_static_selectorELNS0_4arch9wavefront6targetE0EEEvT1_
		.amdhsa_group_segment_fixed_size 0
		.amdhsa_private_segment_fixed_size 0
		.amdhsa_kernarg_size 32
		.amdhsa_user_sgpr_count 6
		.amdhsa_user_sgpr_private_segment_buffer 1
		.amdhsa_user_sgpr_dispatch_ptr 0
		.amdhsa_user_sgpr_queue_ptr 0
		.amdhsa_user_sgpr_kernarg_segment_ptr 1
		.amdhsa_user_sgpr_dispatch_id 0
		.amdhsa_user_sgpr_flat_scratch_init 0
		.amdhsa_user_sgpr_private_segment_size 0
		.amdhsa_wavefront_size32 1
		.amdhsa_uses_dynamic_stack 0
		.amdhsa_system_sgpr_private_segment_wavefront_offset 0
		.amdhsa_system_sgpr_workgroup_id_x 1
		.amdhsa_system_sgpr_workgroup_id_y 0
		.amdhsa_system_sgpr_workgroup_id_z 0
		.amdhsa_system_sgpr_workgroup_info 0
		.amdhsa_system_vgpr_workitem_id 0
		.amdhsa_next_free_vgpr 1
		.amdhsa_next_free_sgpr 1
		.amdhsa_reserve_vcc 0
		.amdhsa_reserve_flat_scratch 0
		.amdhsa_float_round_mode_32 0
		.amdhsa_float_round_mode_16_64 0
		.amdhsa_float_denorm_mode_32 3
		.amdhsa_float_denorm_mode_16_64 3
		.amdhsa_dx10_clamp 1
		.amdhsa_ieee_mode 1
		.amdhsa_fp16_overflow 0
		.amdhsa_workgroup_processor_mode 1
		.amdhsa_memory_ordered 1
		.amdhsa_forward_progress 1
		.amdhsa_shared_vgpr_count 0
		.amdhsa_exception_fp_ieee_invalid_op 0
		.amdhsa_exception_fp_denorm_src 0
		.amdhsa_exception_fp_ieee_div_zero 0
		.amdhsa_exception_fp_ieee_overflow 0
		.amdhsa_exception_fp_ieee_underflow 0
		.amdhsa_exception_fp_ieee_inexact 0
		.amdhsa_exception_int_div_zero 0
	.end_amdhsa_kernel
	.section	.text._ZN7rocprim17ROCPRIM_400000_NS6detail17trampoline_kernelINS0_14default_configENS1_20scan_config_selectorIfEEZZNS1_9scan_implILNS1_25lookback_scan_determinismE0ELb0ELb0ES3_PKfPffZZZN2at6native31launch_logcumsumexp_cuda_kernelERKNSB_10TensorBaseESF_lENKUlvE_clEvENKUlvE0_clEvEUlffE_fEEDaPvRmT3_T4_T5_mT6_P12ihipStream_tbENKUlT_T0_E_clISt17integral_constantIbLb0EESV_IbLb1EEEEDaSR_SS_EUlSR_E0_NS1_11comp_targetILNS1_3genE10ELNS1_11target_archE1200ELNS1_3gpuE4ELNS1_3repE0EEENS1_30default_config_static_selectorELNS0_4arch9wavefront6targetE0EEEvT1_,"axG",@progbits,_ZN7rocprim17ROCPRIM_400000_NS6detail17trampoline_kernelINS0_14default_configENS1_20scan_config_selectorIfEEZZNS1_9scan_implILNS1_25lookback_scan_determinismE0ELb0ELb0ES3_PKfPffZZZN2at6native31launch_logcumsumexp_cuda_kernelERKNSB_10TensorBaseESF_lENKUlvE_clEvENKUlvE0_clEvEUlffE_fEEDaPvRmT3_T4_T5_mT6_P12ihipStream_tbENKUlT_T0_E_clISt17integral_constantIbLb0EESV_IbLb1EEEEDaSR_SS_EUlSR_E0_NS1_11comp_targetILNS1_3genE10ELNS1_11target_archE1200ELNS1_3gpuE4ELNS1_3repE0EEENS1_30default_config_static_selectorELNS0_4arch9wavefront6targetE0EEEvT1_,comdat
.Lfunc_end168:
	.size	_ZN7rocprim17ROCPRIM_400000_NS6detail17trampoline_kernelINS0_14default_configENS1_20scan_config_selectorIfEEZZNS1_9scan_implILNS1_25lookback_scan_determinismE0ELb0ELb0ES3_PKfPffZZZN2at6native31launch_logcumsumexp_cuda_kernelERKNSB_10TensorBaseESF_lENKUlvE_clEvENKUlvE0_clEvEUlffE_fEEDaPvRmT3_T4_T5_mT6_P12ihipStream_tbENKUlT_T0_E_clISt17integral_constantIbLb0EESV_IbLb1EEEEDaSR_SS_EUlSR_E0_NS1_11comp_targetILNS1_3genE10ELNS1_11target_archE1200ELNS1_3gpuE4ELNS1_3repE0EEENS1_30default_config_static_selectorELNS0_4arch9wavefront6targetE0EEEvT1_, .Lfunc_end168-_ZN7rocprim17ROCPRIM_400000_NS6detail17trampoline_kernelINS0_14default_configENS1_20scan_config_selectorIfEEZZNS1_9scan_implILNS1_25lookback_scan_determinismE0ELb0ELb0ES3_PKfPffZZZN2at6native31launch_logcumsumexp_cuda_kernelERKNSB_10TensorBaseESF_lENKUlvE_clEvENKUlvE0_clEvEUlffE_fEEDaPvRmT3_T4_T5_mT6_P12ihipStream_tbENKUlT_T0_E_clISt17integral_constantIbLb0EESV_IbLb1EEEEDaSR_SS_EUlSR_E0_NS1_11comp_targetILNS1_3genE10ELNS1_11target_archE1200ELNS1_3gpuE4ELNS1_3repE0EEENS1_30default_config_static_selectorELNS0_4arch9wavefront6targetE0EEEvT1_
                                        ; -- End function
	.set _ZN7rocprim17ROCPRIM_400000_NS6detail17trampoline_kernelINS0_14default_configENS1_20scan_config_selectorIfEEZZNS1_9scan_implILNS1_25lookback_scan_determinismE0ELb0ELb0ES3_PKfPffZZZN2at6native31launch_logcumsumexp_cuda_kernelERKNSB_10TensorBaseESF_lENKUlvE_clEvENKUlvE0_clEvEUlffE_fEEDaPvRmT3_T4_T5_mT6_P12ihipStream_tbENKUlT_T0_E_clISt17integral_constantIbLb0EESV_IbLb1EEEEDaSR_SS_EUlSR_E0_NS1_11comp_targetILNS1_3genE10ELNS1_11target_archE1200ELNS1_3gpuE4ELNS1_3repE0EEENS1_30default_config_static_selectorELNS0_4arch9wavefront6targetE0EEEvT1_.num_vgpr, 0
	.set _ZN7rocprim17ROCPRIM_400000_NS6detail17trampoline_kernelINS0_14default_configENS1_20scan_config_selectorIfEEZZNS1_9scan_implILNS1_25lookback_scan_determinismE0ELb0ELb0ES3_PKfPffZZZN2at6native31launch_logcumsumexp_cuda_kernelERKNSB_10TensorBaseESF_lENKUlvE_clEvENKUlvE0_clEvEUlffE_fEEDaPvRmT3_T4_T5_mT6_P12ihipStream_tbENKUlT_T0_E_clISt17integral_constantIbLb0EESV_IbLb1EEEEDaSR_SS_EUlSR_E0_NS1_11comp_targetILNS1_3genE10ELNS1_11target_archE1200ELNS1_3gpuE4ELNS1_3repE0EEENS1_30default_config_static_selectorELNS0_4arch9wavefront6targetE0EEEvT1_.num_agpr, 0
	.set _ZN7rocprim17ROCPRIM_400000_NS6detail17trampoline_kernelINS0_14default_configENS1_20scan_config_selectorIfEEZZNS1_9scan_implILNS1_25lookback_scan_determinismE0ELb0ELb0ES3_PKfPffZZZN2at6native31launch_logcumsumexp_cuda_kernelERKNSB_10TensorBaseESF_lENKUlvE_clEvENKUlvE0_clEvEUlffE_fEEDaPvRmT3_T4_T5_mT6_P12ihipStream_tbENKUlT_T0_E_clISt17integral_constantIbLb0EESV_IbLb1EEEEDaSR_SS_EUlSR_E0_NS1_11comp_targetILNS1_3genE10ELNS1_11target_archE1200ELNS1_3gpuE4ELNS1_3repE0EEENS1_30default_config_static_selectorELNS0_4arch9wavefront6targetE0EEEvT1_.numbered_sgpr, 0
	.set _ZN7rocprim17ROCPRIM_400000_NS6detail17trampoline_kernelINS0_14default_configENS1_20scan_config_selectorIfEEZZNS1_9scan_implILNS1_25lookback_scan_determinismE0ELb0ELb0ES3_PKfPffZZZN2at6native31launch_logcumsumexp_cuda_kernelERKNSB_10TensorBaseESF_lENKUlvE_clEvENKUlvE0_clEvEUlffE_fEEDaPvRmT3_T4_T5_mT6_P12ihipStream_tbENKUlT_T0_E_clISt17integral_constantIbLb0EESV_IbLb1EEEEDaSR_SS_EUlSR_E0_NS1_11comp_targetILNS1_3genE10ELNS1_11target_archE1200ELNS1_3gpuE4ELNS1_3repE0EEENS1_30default_config_static_selectorELNS0_4arch9wavefront6targetE0EEEvT1_.num_named_barrier, 0
	.set _ZN7rocprim17ROCPRIM_400000_NS6detail17trampoline_kernelINS0_14default_configENS1_20scan_config_selectorIfEEZZNS1_9scan_implILNS1_25lookback_scan_determinismE0ELb0ELb0ES3_PKfPffZZZN2at6native31launch_logcumsumexp_cuda_kernelERKNSB_10TensorBaseESF_lENKUlvE_clEvENKUlvE0_clEvEUlffE_fEEDaPvRmT3_T4_T5_mT6_P12ihipStream_tbENKUlT_T0_E_clISt17integral_constantIbLb0EESV_IbLb1EEEEDaSR_SS_EUlSR_E0_NS1_11comp_targetILNS1_3genE10ELNS1_11target_archE1200ELNS1_3gpuE4ELNS1_3repE0EEENS1_30default_config_static_selectorELNS0_4arch9wavefront6targetE0EEEvT1_.private_seg_size, 0
	.set _ZN7rocprim17ROCPRIM_400000_NS6detail17trampoline_kernelINS0_14default_configENS1_20scan_config_selectorIfEEZZNS1_9scan_implILNS1_25lookback_scan_determinismE0ELb0ELb0ES3_PKfPffZZZN2at6native31launch_logcumsumexp_cuda_kernelERKNSB_10TensorBaseESF_lENKUlvE_clEvENKUlvE0_clEvEUlffE_fEEDaPvRmT3_T4_T5_mT6_P12ihipStream_tbENKUlT_T0_E_clISt17integral_constantIbLb0EESV_IbLb1EEEEDaSR_SS_EUlSR_E0_NS1_11comp_targetILNS1_3genE10ELNS1_11target_archE1200ELNS1_3gpuE4ELNS1_3repE0EEENS1_30default_config_static_selectorELNS0_4arch9wavefront6targetE0EEEvT1_.uses_vcc, 0
	.set _ZN7rocprim17ROCPRIM_400000_NS6detail17trampoline_kernelINS0_14default_configENS1_20scan_config_selectorIfEEZZNS1_9scan_implILNS1_25lookback_scan_determinismE0ELb0ELb0ES3_PKfPffZZZN2at6native31launch_logcumsumexp_cuda_kernelERKNSB_10TensorBaseESF_lENKUlvE_clEvENKUlvE0_clEvEUlffE_fEEDaPvRmT3_T4_T5_mT6_P12ihipStream_tbENKUlT_T0_E_clISt17integral_constantIbLb0EESV_IbLb1EEEEDaSR_SS_EUlSR_E0_NS1_11comp_targetILNS1_3genE10ELNS1_11target_archE1200ELNS1_3gpuE4ELNS1_3repE0EEENS1_30default_config_static_selectorELNS0_4arch9wavefront6targetE0EEEvT1_.uses_flat_scratch, 0
	.set _ZN7rocprim17ROCPRIM_400000_NS6detail17trampoline_kernelINS0_14default_configENS1_20scan_config_selectorIfEEZZNS1_9scan_implILNS1_25lookback_scan_determinismE0ELb0ELb0ES3_PKfPffZZZN2at6native31launch_logcumsumexp_cuda_kernelERKNSB_10TensorBaseESF_lENKUlvE_clEvENKUlvE0_clEvEUlffE_fEEDaPvRmT3_T4_T5_mT6_P12ihipStream_tbENKUlT_T0_E_clISt17integral_constantIbLb0EESV_IbLb1EEEEDaSR_SS_EUlSR_E0_NS1_11comp_targetILNS1_3genE10ELNS1_11target_archE1200ELNS1_3gpuE4ELNS1_3repE0EEENS1_30default_config_static_selectorELNS0_4arch9wavefront6targetE0EEEvT1_.has_dyn_sized_stack, 0
	.set _ZN7rocprim17ROCPRIM_400000_NS6detail17trampoline_kernelINS0_14default_configENS1_20scan_config_selectorIfEEZZNS1_9scan_implILNS1_25lookback_scan_determinismE0ELb0ELb0ES3_PKfPffZZZN2at6native31launch_logcumsumexp_cuda_kernelERKNSB_10TensorBaseESF_lENKUlvE_clEvENKUlvE0_clEvEUlffE_fEEDaPvRmT3_T4_T5_mT6_P12ihipStream_tbENKUlT_T0_E_clISt17integral_constantIbLb0EESV_IbLb1EEEEDaSR_SS_EUlSR_E0_NS1_11comp_targetILNS1_3genE10ELNS1_11target_archE1200ELNS1_3gpuE4ELNS1_3repE0EEENS1_30default_config_static_selectorELNS0_4arch9wavefront6targetE0EEEvT1_.has_recursion, 0
	.set _ZN7rocprim17ROCPRIM_400000_NS6detail17trampoline_kernelINS0_14default_configENS1_20scan_config_selectorIfEEZZNS1_9scan_implILNS1_25lookback_scan_determinismE0ELb0ELb0ES3_PKfPffZZZN2at6native31launch_logcumsumexp_cuda_kernelERKNSB_10TensorBaseESF_lENKUlvE_clEvENKUlvE0_clEvEUlffE_fEEDaPvRmT3_T4_T5_mT6_P12ihipStream_tbENKUlT_T0_E_clISt17integral_constantIbLb0EESV_IbLb1EEEEDaSR_SS_EUlSR_E0_NS1_11comp_targetILNS1_3genE10ELNS1_11target_archE1200ELNS1_3gpuE4ELNS1_3repE0EEENS1_30default_config_static_selectorELNS0_4arch9wavefront6targetE0EEEvT1_.has_indirect_call, 0
	.section	.AMDGPU.csdata,"",@progbits
; Kernel info:
; codeLenInByte = 0
; TotalNumSgprs: 0
; NumVgprs: 0
; ScratchSize: 0
; MemoryBound: 0
; FloatMode: 240
; IeeeMode: 1
; LDSByteSize: 0 bytes/workgroup (compile time only)
; SGPRBlocks: 0
; VGPRBlocks: 0
; NumSGPRsForWavesPerEU: 1
; NumVGPRsForWavesPerEU: 1
; Occupancy: 16
; WaveLimiterHint : 0
; COMPUTE_PGM_RSRC2:SCRATCH_EN: 0
; COMPUTE_PGM_RSRC2:USER_SGPR: 6
; COMPUTE_PGM_RSRC2:TRAP_HANDLER: 0
; COMPUTE_PGM_RSRC2:TGID_X_EN: 1
; COMPUTE_PGM_RSRC2:TGID_Y_EN: 0
; COMPUTE_PGM_RSRC2:TGID_Z_EN: 0
; COMPUTE_PGM_RSRC2:TIDIG_COMP_CNT: 0
	.section	.text._ZN7rocprim17ROCPRIM_400000_NS6detail17trampoline_kernelINS0_14default_configENS1_20scan_config_selectorIfEEZZNS1_9scan_implILNS1_25lookback_scan_determinismE0ELb0ELb0ES3_PKfPffZZZN2at6native31launch_logcumsumexp_cuda_kernelERKNSB_10TensorBaseESF_lENKUlvE_clEvENKUlvE0_clEvEUlffE_fEEDaPvRmT3_T4_T5_mT6_P12ihipStream_tbENKUlT_T0_E_clISt17integral_constantIbLb0EESV_IbLb1EEEEDaSR_SS_EUlSR_E0_NS1_11comp_targetILNS1_3genE9ELNS1_11target_archE1100ELNS1_3gpuE3ELNS1_3repE0EEENS1_30default_config_static_selectorELNS0_4arch9wavefront6targetE0EEEvT1_,"axG",@progbits,_ZN7rocprim17ROCPRIM_400000_NS6detail17trampoline_kernelINS0_14default_configENS1_20scan_config_selectorIfEEZZNS1_9scan_implILNS1_25lookback_scan_determinismE0ELb0ELb0ES3_PKfPffZZZN2at6native31launch_logcumsumexp_cuda_kernelERKNSB_10TensorBaseESF_lENKUlvE_clEvENKUlvE0_clEvEUlffE_fEEDaPvRmT3_T4_T5_mT6_P12ihipStream_tbENKUlT_T0_E_clISt17integral_constantIbLb0EESV_IbLb1EEEEDaSR_SS_EUlSR_E0_NS1_11comp_targetILNS1_3genE9ELNS1_11target_archE1100ELNS1_3gpuE3ELNS1_3repE0EEENS1_30default_config_static_selectorELNS0_4arch9wavefront6targetE0EEEvT1_,comdat
	.globl	_ZN7rocprim17ROCPRIM_400000_NS6detail17trampoline_kernelINS0_14default_configENS1_20scan_config_selectorIfEEZZNS1_9scan_implILNS1_25lookback_scan_determinismE0ELb0ELb0ES3_PKfPffZZZN2at6native31launch_logcumsumexp_cuda_kernelERKNSB_10TensorBaseESF_lENKUlvE_clEvENKUlvE0_clEvEUlffE_fEEDaPvRmT3_T4_T5_mT6_P12ihipStream_tbENKUlT_T0_E_clISt17integral_constantIbLb0EESV_IbLb1EEEEDaSR_SS_EUlSR_E0_NS1_11comp_targetILNS1_3genE9ELNS1_11target_archE1100ELNS1_3gpuE3ELNS1_3repE0EEENS1_30default_config_static_selectorELNS0_4arch9wavefront6targetE0EEEvT1_ ; -- Begin function _ZN7rocprim17ROCPRIM_400000_NS6detail17trampoline_kernelINS0_14default_configENS1_20scan_config_selectorIfEEZZNS1_9scan_implILNS1_25lookback_scan_determinismE0ELb0ELb0ES3_PKfPffZZZN2at6native31launch_logcumsumexp_cuda_kernelERKNSB_10TensorBaseESF_lENKUlvE_clEvENKUlvE0_clEvEUlffE_fEEDaPvRmT3_T4_T5_mT6_P12ihipStream_tbENKUlT_T0_E_clISt17integral_constantIbLb0EESV_IbLb1EEEEDaSR_SS_EUlSR_E0_NS1_11comp_targetILNS1_3genE9ELNS1_11target_archE1100ELNS1_3gpuE3ELNS1_3repE0EEENS1_30default_config_static_selectorELNS0_4arch9wavefront6targetE0EEEvT1_
	.p2align	8
	.type	_ZN7rocprim17ROCPRIM_400000_NS6detail17trampoline_kernelINS0_14default_configENS1_20scan_config_selectorIfEEZZNS1_9scan_implILNS1_25lookback_scan_determinismE0ELb0ELb0ES3_PKfPffZZZN2at6native31launch_logcumsumexp_cuda_kernelERKNSB_10TensorBaseESF_lENKUlvE_clEvENKUlvE0_clEvEUlffE_fEEDaPvRmT3_T4_T5_mT6_P12ihipStream_tbENKUlT_T0_E_clISt17integral_constantIbLb0EESV_IbLb1EEEEDaSR_SS_EUlSR_E0_NS1_11comp_targetILNS1_3genE9ELNS1_11target_archE1100ELNS1_3gpuE3ELNS1_3repE0EEENS1_30default_config_static_selectorELNS0_4arch9wavefront6targetE0EEEvT1_,@function
_ZN7rocprim17ROCPRIM_400000_NS6detail17trampoline_kernelINS0_14default_configENS1_20scan_config_selectorIfEEZZNS1_9scan_implILNS1_25lookback_scan_determinismE0ELb0ELb0ES3_PKfPffZZZN2at6native31launch_logcumsumexp_cuda_kernelERKNSB_10TensorBaseESF_lENKUlvE_clEvENKUlvE0_clEvEUlffE_fEEDaPvRmT3_T4_T5_mT6_P12ihipStream_tbENKUlT_T0_E_clISt17integral_constantIbLb0EESV_IbLb1EEEEDaSR_SS_EUlSR_E0_NS1_11comp_targetILNS1_3genE9ELNS1_11target_archE1100ELNS1_3gpuE3ELNS1_3repE0EEENS1_30default_config_static_selectorELNS0_4arch9wavefront6targetE0EEEvT1_: ; @_ZN7rocprim17ROCPRIM_400000_NS6detail17trampoline_kernelINS0_14default_configENS1_20scan_config_selectorIfEEZZNS1_9scan_implILNS1_25lookback_scan_determinismE0ELb0ELb0ES3_PKfPffZZZN2at6native31launch_logcumsumexp_cuda_kernelERKNSB_10TensorBaseESF_lENKUlvE_clEvENKUlvE0_clEvEUlffE_fEEDaPvRmT3_T4_T5_mT6_P12ihipStream_tbENKUlT_T0_E_clISt17integral_constantIbLb0EESV_IbLb1EEEEDaSR_SS_EUlSR_E0_NS1_11comp_targetILNS1_3genE9ELNS1_11target_archE1100ELNS1_3gpuE3ELNS1_3repE0EEENS1_30default_config_static_selectorELNS0_4arch9wavefront6targetE0EEEvT1_
; %bb.0:
	.section	.rodata,"a",@progbits
	.p2align	6, 0x0
	.amdhsa_kernel _ZN7rocprim17ROCPRIM_400000_NS6detail17trampoline_kernelINS0_14default_configENS1_20scan_config_selectorIfEEZZNS1_9scan_implILNS1_25lookback_scan_determinismE0ELb0ELb0ES3_PKfPffZZZN2at6native31launch_logcumsumexp_cuda_kernelERKNSB_10TensorBaseESF_lENKUlvE_clEvENKUlvE0_clEvEUlffE_fEEDaPvRmT3_T4_T5_mT6_P12ihipStream_tbENKUlT_T0_E_clISt17integral_constantIbLb0EESV_IbLb1EEEEDaSR_SS_EUlSR_E0_NS1_11comp_targetILNS1_3genE9ELNS1_11target_archE1100ELNS1_3gpuE3ELNS1_3repE0EEENS1_30default_config_static_selectorELNS0_4arch9wavefront6targetE0EEEvT1_
		.amdhsa_group_segment_fixed_size 0
		.amdhsa_private_segment_fixed_size 0
		.amdhsa_kernarg_size 32
		.amdhsa_user_sgpr_count 6
		.amdhsa_user_sgpr_private_segment_buffer 1
		.amdhsa_user_sgpr_dispatch_ptr 0
		.amdhsa_user_sgpr_queue_ptr 0
		.amdhsa_user_sgpr_kernarg_segment_ptr 1
		.amdhsa_user_sgpr_dispatch_id 0
		.amdhsa_user_sgpr_flat_scratch_init 0
		.amdhsa_user_sgpr_private_segment_size 0
		.amdhsa_wavefront_size32 1
		.amdhsa_uses_dynamic_stack 0
		.amdhsa_system_sgpr_private_segment_wavefront_offset 0
		.amdhsa_system_sgpr_workgroup_id_x 1
		.amdhsa_system_sgpr_workgroup_id_y 0
		.amdhsa_system_sgpr_workgroup_id_z 0
		.amdhsa_system_sgpr_workgroup_info 0
		.amdhsa_system_vgpr_workitem_id 0
		.amdhsa_next_free_vgpr 1
		.amdhsa_next_free_sgpr 1
		.amdhsa_reserve_vcc 0
		.amdhsa_reserve_flat_scratch 0
		.amdhsa_float_round_mode_32 0
		.amdhsa_float_round_mode_16_64 0
		.amdhsa_float_denorm_mode_32 3
		.amdhsa_float_denorm_mode_16_64 3
		.amdhsa_dx10_clamp 1
		.amdhsa_ieee_mode 1
		.amdhsa_fp16_overflow 0
		.amdhsa_workgroup_processor_mode 1
		.amdhsa_memory_ordered 1
		.amdhsa_forward_progress 1
		.amdhsa_shared_vgpr_count 0
		.amdhsa_exception_fp_ieee_invalid_op 0
		.amdhsa_exception_fp_denorm_src 0
		.amdhsa_exception_fp_ieee_div_zero 0
		.amdhsa_exception_fp_ieee_overflow 0
		.amdhsa_exception_fp_ieee_underflow 0
		.amdhsa_exception_fp_ieee_inexact 0
		.amdhsa_exception_int_div_zero 0
	.end_amdhsa_kernel
	.section	.text._ZN7rocprim17ROCPRIM_400000_NS6detail17trampoline_kernelINS0_14default_configENS1_20scan_config_selectorIfEEZZNS1_9scan_implILNS1_25lookback_scan_determinismE0ELb0ELb0ES3_PKfPffZZZN2at6native31launch_logcumsumexp_cuda_kernelERKNSB_10TensorBaseESF_lENKUlvE_clEvENKUlvE0_clEvEUlffE_fEEDaPvRmT3_T4_T5_mT6_P12ihipStream_tbENKUlT_T0_E_clISt17integral_constantIbLb0EESV_IbLb1EEEEDaSR_SS_EUlSR_E0_NS1_11comp_targetILNS1_3genE9ELNS1_11target_archE1100ELNS1_3gpuE3ELNS1_3repE0EEENS1_30default_config_static_selectorELNS0_4arch9wavefront6targetE0EEEvT1_,"axG",@progbits,_ZN7rocprim17ROCPRIM_400000_NS6detail17trampoline_kernelINS0_14default_configENS1_20scan_config_selectorIfEEZZNS1_9scan_implILNS1_25lookback_scan_determinismE0ELb0ELb0ES3_PKfPffZZZN2at6native31launch_logcumsumexp_cuda_kernelERKNSB_10TensorBaseESF_lENKUlvE_clEvENKUlvE0_clEvEUlffE_fEEDaPvRmT3_T4_T5_mT6_P12ihipStream_tbENKUlT_T0_E_clISt17integral_constantIbLb0EESV_IbLb1EEEEDaSR_SS_EUlSR_E0_NS1_11comp_targetILNS1_3genE9ELNS1_11target_archE1100ELNS1_3gpuE3ELNS1_3repE0EEENS1_30default_config_static_selectorELNS0_4arch9wavefront6targetE0EEEvT1_,comdat
.Lfunc_end169:
	.size	_ZN7rocprim17ROCPRIM_400000_NS6detail17trampoline_kernelINS0_14default_configENS1_20scan_config_selectorIfEEZZNS1_9scan_implILNS1_25lookback_scan_determinismE0ELb0ELb0ES3_PKfPffZZZN2at6native31launch_logcumsumexp_cuda_kernelERKNSB_10TensorBaseESF_lENKUlvE_clEvENKUlvE0_clEvEUlffE_fEEDaPvRmT3_T4_T5_mT6_P12ihipStream_tbENKUlT_T0_E_clISt17integral_constantIbLb0EESV_IbLb1EEEEDaSR_SS_EUlSR_E0_NS1_11comp_targetILNS1_3genE9ELNS1_11target_archE1100ELNS1_3gpuE3ELNS1_3repE0EEENS1_30default_config_static_selectorELNS0_4arch9wavefront6targetE0EEEvT1_, .Lfunc_end169-_ZN7rocprim17ROCPRIM_400000_NS6detail17trampoline_kernelINS0_14default_configENS1_20scan_config_selectorIfEEZZNS1_9scan_implILNS1_25lookback_scan_determinismE0ELb0ELb0ES3_PKfPffZZZN2at6native31launch_logcumsumexp_cuda_kernelERKNSB_10TensorBaseESF_lENKUlvE_clEvENKUlvE0_clEvEUlffE_fEEDaPvRmT3_T4_T5_mT6_P12ihipStream_tbENKUlT_T0_E_clISt17integral_constantIbLb0EESV_IbLb1EEEEDaSR_SS_EUlSR_E0_NS1_11comp_targetILNS1_3genE9ELNS1_11target_archE1100ELNS1_3gpuE3ELNS1_3repE0EEENS1_30default_config_static_selectorELNS0_4arch9wavefront6targetE0EEEvT1_
                                        ; -- End function
	.set _ZN7rocprim17ROCPRIM_400000_NS6detail17trampoline_kernelINS0_14default_configENS1_20scan_config_selectorIfEEZZNS1_9scan_implILNS1_25lookback_scan_determinismE0ELb0ELb0ES3_PKfPffZZZN2at6native31launch_logcumsumexp_cuda_kernelERKNSB_10TensorBaseESF_lENKUlvE_clEvENKUlvE0_clEvEUlffE_fEEDaPvRmT3_T4_T5_mT6_P12ihipStream_tbENKUlT_T0_E_clISt17integral_constantIbLb0EESV_IbLb1EEEEDaSR_SS_EUlSR_E0_NS1_11comp_targetILNS1_3genE9ELNS1_11target_archE1100ELNS1_3gpuE3ELNS1_3repE0EEENS1_30default_config_static_selectorELNS0_4arch9wavefront6targetE0EEEvT1_.num_vgpr, 0
	.set _ZN7rocprim17ROCPRIM_400000_NS6detail17trampoline_kernelINS0_14default_configENS1_20scan_config_selectorIfEEZZNS1_9scan_implILNS1_25lookback_scan_determinismE0ELb0ELb0ES3_PKfPffZZZN2at6native31launch_logcumsumexp_cuda_kernelERKNSB_10TensorBaseESF_lENKUlvE_clEvENKUlvE0_clEvEUlffE_fEEDaPvRmT3_T4_T5_mT6_P12ihipStream_tbENKUlT_T0_E_clISt17integral_constantIbLb0EESV_IbLb1EEEEDaSR_SS_EUlSR_E0_NS1_11comp_targetILNS1_3genE9ELNS1_11target_archE1100ELNS1_3gpuE3ELNS1_3repE0EEENS1_30default_config_static_selectorELNS0_4arch9wavefront6targetE0EEEvT1_.num_agpr, 0
	.set _ZN7rocprim17ROCPRIM_400000_NS6detail17trampoline_kernelINS0_14default_configENS1_20scan_config_selectorIfEEZZNS1_9scan_implILNS1_25lookback_scan_determinismE0ELb0ELb0ES3_PKfPffZZZN2at6native31launch_logcumsumexp_cuda_kernelERKNSB_10TensorBaseESF_lENKUlvE_clEvENKUlvE0_clEvEUlffE_fEEDaPvRmT3_T4_T5_mT6_P12ihipStream_tbENKUlT_T0_E_clISt17integral_constantIbLb0EESV_IbLb1EEEEDaSR_SS_EUlSR_E0_NS1_11comp_targetILNS1_3genE9ELNS1_11target_archE1100ELNS1_3gpuE3ELNS1_3repE0EEENS1_30default_config_static_selectorELNS0_4arch9wavefront6targetE0EEEvT1_.numbered_sgpr, 0
	.set _ZN7rocprim17ROCPRIM_400000_NS6detail17trampoline_kernelINS0_14default_configENS1_20scan_config_selectorIfEEZZNS1_9scan_implILNS1_25lookback_scan_determinismE0ELb0ELb0ES3_PKfPffZZZN2at6native31launch_logcumsumexp_cuda_kernelERKNSB_10TensorBaseESF_lENKUlvE_clEvENKUlvE0_clEvEUlffE_fEEDaPvRmT3_T4_T5_mT6_P12ihipStream_tbENKUlT_T0_E_clISt17integral_constantIbLb0EESV_IbLb1EEEEDaSR_SS_EUlSR_E0_NS1_11comp_targetILNS1_3genE9ELNS1_11target_archE1100ELNS1_3gpuE3ELNS1_3repE0EEENS1_30default_config_static_selectorELNS0_4arch9wavefront6targetE0EEEvT1_.num_named_barrier, 0
	.set _ZN7rocprim17ROCPRIM_400000_NS6detail17trampoline_kernelINS0_14default_configENS1_20scan_config_selectorIfEEZZNS1_9scan_implILNS1_25lookback_scan_determinismE0ELb0ELb0ES3_PKfPffZZZN2at6native31launch_logcumsumexp_cuda_kernelERKNSB_10TensorBaseESF_lENKUlvE_clEvENKUlvE0_clEvEUlffE_fEEDaPvRmT3_T4_T5_mT6_P12ihipStream_tbENKUlT_T0_E_clISt17integral_constantIbLb0EESV_IbLb1EEEEDaSR_SS_EUlSR_E0_NS1_11comp_targetILNS1_3genE9ELNS1_11target_archE1100ELNS1_3gpuE3ELNS1_3repE0EEENS1_30default_config_static_selectorELNS0_4arch9wavefront6targetE0EEEvT1_.private_seg_size, 0
	.set _ZN7rocprim17ROCPRIM_400000_NS6detail17trampoline_kernelINS0_14default_configENS1_20scan_config_selectorIfEEZZNS1_9scan_implILNS1_25lookback_scan_determinismE0ELb0ELb0ES3_PKfPffZZZN2at6native31launch_logcumsumexp_cuda_kernelERKNSB_10TensorBaseESF_lENKUlvE_clEvENKUlvE0_clEvEUlffE_fEEDaPvRmT3_T4_T5_mT6_P12ihipStream_tbENKUlT_T0_E_clISt17integral_constantIbLb0EESV_IbLb1EEEEDaSR_SS_EUlSR_E0_NS1_11comp_targetILNS1_3genE9ELNS1_11target_archE1100ELNS1_3gpuE3ELNS1_3repE0EEENS1_30default_config_static_selectorELNS0_4arch9wavefront6targetE0EEEvT1_.uses_vcc, 0
	.set _ZN7rocprim17ROCPRIM_400000_NS6detail17trampoline_kernelINS0_14default_configENS1_20scan_config_selectorIfEEZZNS1_9scan_implILNS1_25lookback_scan_determinismE0ELb0ELb0ES3_PKfPffZZZN2at6native31launch_logcumsumexp_cuda_kernelERKNSB_10TensorBaseESF_lENKUlvE_clEvENKUlvE0_clEvEUlffE_fEEDaPvRmT3_T4_T5_mT6_P12ihipStream_tbENKUlT_T0_E_clISt17integral_constantIbLb0EESV_IbLb1EEEEDaSR_SS_EUlSR_E0_NS1_11comp_targetILNS1_3genE9ELNS1_11target_archE1100ELNS1_3gpuE3ELNS1_3repE0EEENS1_30default_config_static_selectorELNS0_4arch9wavefront6targetE0EEEvT1_.uses_flat_scratch, 0
	.set _ZN7rocprim17ROCPRIM_400000_NS6detail17trampoline_kernelINS0_14default_configENS1_20scan_config_selectorIfEEZZNS1_9scan_implILNS1_25lookback_scan_determinismE0ELb0ELb0ES3_PKfPffZZZN2at6native31launch_logcumsumexp_cuda_kernelERKNSB_10TensorBaseESF_lENKUlvE_clEvENKUlvE0_clEvEUlffE_fEEDaPvRmT3_T4_T5_mT6_P12ihipStream_tbENKUlT_T0_E_clISt17integral_constantIbLb0EESV_IbLb1EEEEDaSR_SS_EUlSR_E0_NS1_11comp_targetILNS1_3genE9ELNS1_11target_archE1100ELNS1_3gpuE3ELNS1_3repE0EEENS1_30default_config_static_selectorELNS0_4arch9wavefront6targetE0EEEvT1_.has_dyn_sized_stack, 0
	.set _ZN7rocprim17ROCPRIM_400000_NS6detail17trampoline_kernelINS0_14default_configENS1_20scan_config_selectorIfEEZZNS1_9scan_implILNS1_25lookback_scan_determinismE0ELb0ELb0ES3_PKfPffZZZN2at6native31launch_logcumsumexp_cuda_kernelERKNSB_10TensorBaseESF_lENKUlvE_clEvENKUlvE0_clEvEUlffE_fEEDaPvRmT3_T4_T5_mT6_P12ihipStream_tbENKUlT_T0_E_clISt17integral_constantIbLb0EESV_IbLb1EEEEDaSR_SS_EUlSR_E0_NS1_11comp_targetILNS1_3genE9ELNS1_11target_archE1100ELNS1_3gpuE3ELNS1_3repE0EEENS1_30default_config_static_selectorELNS0_4arch9wavefront6targetE0EEEvT1_.has_recursion, 0
	.set _ZN7rocprim17ROCPRIM_400000_NS6detail17trampoline_kernelINS0_14default_configENS1_20scan_config_selectorIfEEZZNS1_9scan_implILNS1_25lookback_scan_determinismE0ELb0ELb0ES3_PKfPffZZZN2at6native31launch_logcumsumexp_cuda_kernelERKNSB_10TensorBaseESF_lENKUlvE_clEvENKUlvE0_clEvEUlffE_fEEDaPvRmT3_T4_T5_mT6_P12ihipStream_tbENKUlT_T0_E_clISt17integral_constantIbLb0EESV_IbLb1EEEEDaSR_SS_EUlSR_E0_NS1_11comp_targetILNS1_3genE9ELNS1_11target_archE1100ELNS1_3gpuE3ELNS1_3repE0EEENS1_30default_config_static_selectorELNS0_4arch9wavefront6targetE0EEEvT1_.has_indirect_call, 0
	.section	.AMDGPU.csdata,"",@progbits
; Kernel info:
; codeLenInByte = 0
; TotalNumSgprs: 0
; NumVgprs: 0
; ScratchSize: 0
; MemoryBound: 0
; FloatMode: 240
; IeeeMode: 1
; LDSByteSize: 0 bytes/workgroup (compile time only)
; SGPRBlocks: 0
; VGPRBlocks: 0
; NumSGPRsForWavesPerEU: 1
; NumVGPRsForWavesPerEU: 1
; Occupancy: 16
; WaveLimiterHint : 0
; COMPUTE_PGM_RSRC2:SCRATCH_EN: 0
; COMPUTE_PGM_RSRC2:USER_SGPR: 6
; COMPUTE_PGM_RSRC2:TRAP_HANDLER: 0
; COMPUTE_PGM_RSRC2:TGID_X_EN: 1
; COMPUTE_PGM_RSRC2:TGID_Y_EN: 0
; COMPUTE_PGM_RSRC2:TGID_Z_EN: 0
; COMPUTE_PGM_RSRC2:TIDIG_COMP_CNT: 0
	.section	.text._ZN7rocprim17ROCPRIM_400000_NS6detail17trampoline_kernelINS0_14default_configENS1_20scan_config_selectorIfEEZZNS1_9scan_implILNS1_25lookback_scan_determinismE0ELb0ELb0ES3_PKfPffZZZN2at6native31launch_logcumsumexp_cuda_kernelERKNSB_10TensorBaseESF_lENKUlvE_clEvENKUlvE0_clEvEUlffE_fEEDaPvRmT3_T4_T5_mT6_P12ihipStream_tbENKUlT_T0_E_clISt17integral_constantIbLb0EESV_IbLb1EEEEDaSR_SS_EUlSR_E0_NS1_11comp_targetILNS1_3genE8ELNS1_11target_archE1030ELNS1_3gpuE2ELNS1_3repE0EEENS1_30default_config_static_selectorELNS0_4arch9wavefront6targetE0EEEvT1_,"axG",@progbits,_ZN7rocprim17ROCPRIM_400000_NS6detail17trampoline_kernelINS0_14default_configENS1_20scan_config_selectorIfEEZZNS1_9scan_implILNS1_25lookback_scan_determinismE0ELb0ELb0ES3_PKfPffZZZN2at6native31launch_logcumsumexp_cuda_kernelERKNSB_10TensorBaseESF_lENKUlvE_clEvENKUlvE0_clEvEUlffE_fEEDaPvRmT3_T4_T5_mT6_P12ihipStream_tbENKUlT_T0_E_clISt17integral_constantIbLb0EESV_IbLb1EEEEDaSR_SS_EUlSR_E0_NS1_11comp_targetILNS1_3genE8ELNS1_11target_archE1030ELNS1_3gpuE2ELNS1_3repE0EEENS1_30default_config_static_selectorELNS0_4arch9wavefront6targetE0EEEvT1_,comdat
	.globl	_ZN7rocprim17ROCPRIM_400000_NS6detail17trampoline_kernelINS0_14default_configENS1_20scan_config_selectorIfEEZZNS1_9scan_implILNS1_25lookback_scan_determinismE0ELb0ELb0ES3_PKfPffZZZN2at6native31launch_logcumsumexp_cuda_kernelERKNSB_10TensorBaseESF_lENKUlvE_clEvENKUlvE0_clEvEUlffE_fEEDaPvRmT3_T4_T5_mT6_P12ihipStream_tbENKUlT_T0_E_clISt17integral_constantIbLb0EESV_IbLb1EEEEDaSR_SS_EUlSR_E0_NS1_11comp_targetILNS1_3genE8ELNS1_11target_archE1030ELNS1_3gpuE2ELNS1_3repE0EEENS1_30default_config_static_selectorELNS0_4arch9wavefront6targetE0EEEvT1_ ; -- Begin function _ZN7rocprim17ROCPRIM_400000_NS6detail17trampoline_kernelINS0_14default_configENS1_20scan_config_selectorIfEEZZNS1_9scan_implILNS1_25lookback_scan_determinismE0ELb0ELb0ES3_PKfPffZZZN2at6native31launch_logcumsumexp_cuda_kernelERKNSB_10TensorBaseESF_lENKUlvE_clEvENKUlvE0_clEvEUlffE_fEEDaPvRmT3_T4_T5_mT6_P12ihipStream_tbENKUlT_T0_E_clISt17integral_constantIbLb0EESV_IbLb1EEEEDaSR_SS_EUlSR_E0_NS1_11comp_targetILNS1_3genE8ELNS1_11target_archE1030ELNS1_3gpuE2ELNS1_3repE0EEENS1_30default_config_static_selectorELNS0_4arch9wavefront6targetE0EEEvT1_
	.p2align	8
	.type	_ZN7rocprim17ROCPRIM_400000_NS6detail17trampoline_kernelINS0_14default_configENS1_20scan_config_selectorIfEEZZNS1_9scan_implILNS1_25lookback_scan_determinismE0ELb0ELb0ES3_PKfPffZZZN2at6native31launch_logcumsumexp_cuda_kernelERKNSB_10TensorBaseESF_lENKUlvE_clEvENKUlvE0_clEvEUlffE_fEEDaPvRmT3_T4_T5_mT6_P12ihipStream_tbENKUlT_T0_E_clISt17integral_constantIbLb0EESV_IbLb1EEEEDaSR_SS_EUlSR_E0_NS1_11comp_targetILNS1_3genE8ELNS1_11target_archE1030ELNS1_3gpuE2ELNS1_3repE0EEENS1_30default_config_static_selectorELNS0_4arch9wavefront6targetE0EEEvT1_,@function
_ZN7rocprim17ROCPRIM_400000_NS6detail17trampoline_kernelINS0_14default_configENS1_20scan_config_selectorIfEEZZNS1_9scan_implILNS1_25lookback_scan_determinismE0ELb0ELb0ES3_PKfPffZZZN2at6native31launch_logcumsumexp_cuda_kernelERKNSB_10TensorBaseESF_lENKUlvE_clEvENKUlvE0_clEvEUlffE_fEEDaPvRmT3_T4_T5_mT6_P12ihipStream_tbENKUlT_T0_E_clISt17integral_constantIbLb0EESV_IbLb1EEEEDaSR_SS_EUlSR_E0_NS1_11comp_targetILNS1_3genE8ELNS1_11target_archE1030ELNS1_3gpuE2ELNS1_3repE0EEENS1_30default_config_static_selectorELNS0_4arch9wavefront6targetE0EEEvT1_: ; @_ZN7rocprim17ROCPRIM_400000_NS6detail17trampoline_kernelINS0_14default_configENS1_20scan_config_selectorIfEEZZNS1_9scan_implILNS1_25lookback_scan_determinismE0ELb0ELb0ES3_PKfPffZZZN2at6native31launch_logcumsumexp_cuda_kernelERKNSB_10TensorBaseESF_lENKUlvE_clEvENKUlvE0_clEvEUlffE_fEEDaPvRmT3_T4_T5_mT6_P12ihipStream_tbENKUlT_T0_E_clISt17integral_constantIbLb0EESV_IbLb1EEEEDaSR_SS_EUlSR_E0_NS1_11comp_targetILNS1_3genE8ELNS1_11target_archE1030ELNS1_3gpuE2ELNS1_3repE0EEENS1_30default_config_static_selectorELNS0_4arch9wavefront6targetE0EEEvT1_
; %bb.0:
	s_load_dwordx4 s[16:19], s[4:5], 0x0
	v_lshlrev_b32_e32 v7, 2, v0
	s_waitcnt lgkmcnt(0)
	s_load_dword s8, s[16:17], 0x0
	v_cmp_gt_u32_e32 vcc_lo, s18, v0
	s_waitcnt lgkmcnt(0)
	s_mov_b32 s9, s8
	s_mov_b32 s10, s8
	;; [unrolled: 1-line block ×4, first 2 shown]
	v_mov_b32_e32 v1, s8
	v_mov_b32_e32 v6, s8
	;; [unrolled: 1-line block ×6, first 2 shown]
	s_and_saveexec_b32 s0, vcc_lo
	s_cbranch_execz .LBB170_2
; %bb.1:
	global_load_dword v6, v7, s[16:17]
	v_mov_b32_e32 v1, s8
	v_mov_b32_e32 v2, s9
	;; [unrolled: 1-line block ×5, first 2 shown]
.LBB170_2:
	s_or_b32 exec_lo, exec_lo, s0
	v_or_b32_e32 v1, 64, v0
	v_cmp_gt_u32_e64 s0, s18, v1
	s_and_saveexec_b32 s1, s0
	s_cbranch_execz .LBB170_4
; %bb.3:
	global_load_dword v2, v7, s[16:17] offset:256
.LBB170_4:
	s_or_b32 exec_lo, exec_lo, s1
	v_or_b32_e32 v1, 0x80, v0
	v_cmp_gt_u32_e64 s1, s18, v1
	s_and_saveexec_b32 s2, s1
	s_cbranch_execz .LBB170_6
; %bb.5:
	global_load_dword v3, v7, s[16:17] offset:512
.LBB170_6:
	;; [unrolled: 8-line block ×3, first 2 shown]
	s_or_b32 exec_lo, exec_lo, s3
	v_or_b32_e32 v1, 0x100, v0
	v_cmp_gt_u32_e64 s3, s18, v1
	v_cmp_le_u32_e64 s6, s18, v1
	s_and_saveexec_b32 s7, s6
	s_xor_b32 s6, exec_lo, s7
	s_andn2_saveexec_b32 s6, s6
	s_cbranch_execz .LBB170_10
; %bb.9:
	v_lshlrev_b32_e32 v1, 2, v0
	global_load_dword v5, v1, s[16:17] offset:1024
.LBB170_10:
	s_or_b32 exec_lo, exec_lo, s6
	v_lshlrev_b32_e32 v1, 4, v0
	s_waitcnt vmcnt(0)
	ds_write2st64_b32 v7, v6, v2 offset1:1
	ds_write2st64_b32 v7, v3, v4 offset0:2 offset1:3
	ds_write_b32 v7, v5 offset:1024
	s_waitcnt lgkmcnt(0)
	s_barrier
	v_add_nc_u32_e32 v8, v7, v1
	buffer_gl0_inv
	ds_read2_b32 v[1:2], v8 offset1:1
	ds_read2_b32 v[3:4], v8 offset0:2 offset1:3
	ds_read_b32 v9, v8 offset:16
	s_waitcnt lgkmcnt(0)
	s_barrier
	buffer_gl0_inv
	v_max_f32_e32 v13, v2, v2
	v_max_f32_e32 v15, v1, v1
	v_cmp_u_f32_e64 s10, v1, v1
	v_cmp_u_f32_e64 s6, v2, v2
	v_mov_b32_e32 v18, v1
	v_min_f32_e32 v14, v15, v13
	v_max_f32_e32 v16, v15, v13
	v_cndmask_b32_e64 v5, v14, v1, s10
	v_cndmask_b32_e64 v10, v16, v1, s10
	;; [unrolled: 1-line block ×4, first 2 shown]
	v_cmp_class_f32_e64 s8, v6, 0x1f8
	v_cmp_neq_f32_e64 s7, v6, v5
	s_or_b32 s7, s7, s8
	s_and_saveexec_b32 s8, s7
	s_cbranch_execz .LBB170_12
; %bb.11:
	v_sub_f32_e32 v6, v6, v5
	v_mul_f32_e32 v10, 0x3fb8aa3b, v6
	v_cmp_ngt_f32_e64 s7, 0xc2ce8ed0, v6
	v_fma_f32 v11, 0x3fb8aa3b, v6, -v10
	v_rndne_f32_e32 v12, v10
	v_fmamk_f32 v11, v6, 0x32a5705f, v11
	v_sub_f32_e32 v10, v10, v12
	v_add_f32_e32 v10, v10, v11
	v_cvt_i32_f32_e32 v11, v12
	v_exp_f32_e32 v10, v10
	v_ldexp_f32 v10, v10, v11
	v_cndmask_b32_e64 v10, 0, v10, s7
	v_cmp_nlt_f32_e64 s7, 0x42b17218, v6
	v_cndmask_b32_e64 v6, 0x7f800000, v10, s7
	v_add_f32_e32 v12, 1.0, v6
	v_cvt_f64_f32_e32 v[10:11], v12
	v_frexp_exp_i32_f64_e32 v10, v[10:11]
	v_frexp_mant_f32_e32 v11, v12
	v_cmp_gt_f32_e64 s7, 0x3f2aaaab, v11
	v_add_f32_e32 v11, -1.0, v12
	v_sub_f32_e32 v18, v11, v12
	v_sub_f32_e32 v11, v6, v11
	v_add_f32_e32 v18, 1.0, v18
	v_add_f32_e32 v11, v11, v18
	v_subrev_co_ci_u32_e64 v10, null, 0, v10, s7
	s_mov_b32 s7, 0x3e9b6dac
	v_sub_nc_u32_e32 v17, 0, v10
	v_cvt_f32_i32_e32 v10, v10
	v_ldexp_f32 v12, v12, v17
	v_ldexp_f32 v11, v11, v17
	v_add_f32_e32 v19, 1.0, v12
	v_add_f32_e32 v17, -1.0, v12
	v_add_f32_e32 v18, -1.0, v19
	v_add_f32_e32 v20, 1.0, v17
	v_sub_f32_e32 v18, v12, v18
	v_sub_f32_e32 v12, v12, v20
	v_add_f32_e32 v18, v11, v18
	v_add_f32_e32 v11, v11, v12
	;; [unrolled: 1-line block ×4, first 2 shown]
	v_rcp_f32_e32 v12, v20
	v_sub_f32_e32 v19, v19, v20
	v_sub_f32_e32 v17, v17, v21
	v_add_f32_e32 v18, v18, v19
	v_add_f32_e32 v11, v11, v17
	v_mul_f32_e32 v22, v21, v12
	v_mul_f32_e32 v23, v20, v22
	v_fma_f32 v19, v22, v20, -v23
	v_fmac_f32_e32 v19, v22, v18
	v_add_f32_e32 v24, v23, v19
	v_sub_f32_e32 v25, v21, v24
	v_sub_f32_e32 v17, v24, v23
	v_sub_f32_e32 v21, v21, v25
	v_sub_f32_e32 v17, v17, v19
	v_sub_f32_e32 v21, v21, v24
	v_add_f32_e32 v11, v11, v21
	v_add_f32_e32 v11, v17, v11
	;; [unrolled: 1-line block ×3, first 2 shown]
	v_mul_f32_e32 v19, v12, v17
	v_sub_f32_e32 v24, v25, v17
	v_mul_f32_e32 v21, v20, v19
	v_add_f32_e32 v11, v11, v24
	v_fma_f32 v20, v19, v20, -v21
	v_fmac_f32_e32 v20, v19, v18
	v_add_f32_e32 v18, v21, v20
	v_sub_f32_e32 v23, v17, v18
	v_sub_f32_e32 v21, v18, v21
	;; [unrolled: 1-line block ×5, first 2 shown]
	v_add_f32_e32 v11, v11, v17
	v_add_f32_e32 v17, v22, v19
	;; [unrolled: 1-line block ×3, first 2 shown]
	v_sub_f32_e32 v18, v17, v22
	v_add_f32_e32 v11, v23, v11
	v_sub_f32_e32 v18, v19, v18
	v_mul_f32_e32 v11, v12, v11
	v_add_f32_e32 v11, v18, v11
	v_add_f32_e32 v12, v17, v11
	v_mul_f32_e32 v18, v12, v12
	v_fmaak_f32 v19, s7, v18, 0x3ecc95a3
	v_mul_f32_e32 v20, v12, v18
	v_cmp_neq_f32_e64 s7, 0x7f800000, v6
	v_fmaak_f32 v18, v18, v19, 0x3f2aaada
	v_ldexp_f32 v19, v12, 1
	v_sub_f32_e32 v12, v12, v17
	v_mul_f32_e32 v18, v20, v18
	v_mul_f32_e32 v20, 0x3f317218, v10
	v_sub_f32_e32 v11, v11, v12
	v_add_f32_e32 v17, v19, v18
	v_ldexp_f32 v11, v11, 1
	v_sub_f32_e32 v12, v17, v19
	v_fma_f32 v19, 0x3f317218, v10, -v20
	v_sub_f32_e32 v12, v18, v12
	v_fmamk_f32 v10, v10, 0xb102e308, v19
	v_add_f32_e32 v11, v11, v12
	v_add_f32_e32 v12, v20, v10
	v_add_f32_e32 v18, v17, v11
	v_sub_f32_e32 v20, v12, v20
	v_add_f32_e32 v19, v12, v18
	v_sub_f32_e32 v17, v18, v17
	v_sub_f32_e32 v10, v10, v20
	;; [unrolled: 1-line block ×6, first 2 shown]
	v_add_f32_e32 v18, v10, v11
	v_sub_f32_e32 v12, v12, v22
	v_add_f32_e32 v12, v17, v12
	v_sub_f32_e32 v17, v18, v10
	v_add_f32_e32 v12, v18, v12
	v_sub_f32_e32 v18, v18, v17
	v_sub_f32_e32 v11, v11, v17
	v_add_f32_e32 v20, v19, v12
	v_sub_f32_e32 v10, v10, v18
	v_sub_f32_e32 v17, v20, v19
	v_add_f32_e32 v10, v11, v10
	v_sub_f32_e32 v11, v12, v17
	v_add_f32_e32 v10, v10, v11
	v_add_f32_e32 v10, v20, v10
	v_cndmask_b32_e64 v10, 0x7f800000, v10, s7
	v_cmp_gt_f32_e64 s7, 0x33800000, |v6|
	v_cndmask_b32_e64 v6, v10, v6, s7
	v_add_f32_e32 v18, v5, v6
.LBB170_12:
	s_or_b32 exec_lo, exec_lo, s8
	v_max_f32_e32 v5, v18, v18
	v_max_f32_e32 v10, v3, v3
	v_cmp_u_f32_e64 s7, v18, v18
	v_min_f32_e32 v6, v5, v10
	v_max_f32_e32 v5, v5, v10
	v_cndmask_b32_e64 v6, v6, v18, s7
	v_cndmask_b32_e64 v5, v5, v18, s7
	v_cmp_u_f32_e64 s7, v3, v3
	v_cndmask_b32_e64 v6, v6, v3, s7
	v_cndmask_b32_e64 v5, v5, v3, s7
	v_cmp_class_f32_e64 s9, v6, 0x1f8
	v_cmp_neq_f32_e64 s8, v6, v5
	s_or_b32 s8, s8, s9
	s_and_saveexec_b32 s9, s8
	s_cbranch_execz .LBB170_14
; %bb.13:
	v_sub_f32_e32 v6, v6, v5
	v_mul_f32_e32 v11, 0x3fb8aa3b, v6
	v_cmp_ngt_f32_e64 s8, 0xc2ce8ed0, v6
	v_fma_f32 v12, 0x3fb8aa3b, v6, -v11
	v_rndne_f32_e32 v17, v11
	v_fmamk_f32 v12, v6, 0x32a5705f, v12
	v_sub_f32_e32 v11, v11, v17
	v_add_f32_e32 v11, v11, v12
	v_cvt_i32_f32_e32 v12, v17
	v_exp_f32_e32 v11, v11
	v_ldexp_f32 v11, v11, v12
	v_cndmask_b32_e64 v11, 0, v11, s8
	v_cmp_nlt_f32_e64 s8, 0x42b17218, v6
	v_cndmask_b32_e64 v6, 0x7f800000, v11, s8
	v_add_f32_e32 v17, 1.0, v6
	v_cvt_f64_f32_e32 v[11:12], v17
	v_frexp_exp_i32_f64_e32 v11, v[11:12]
	v_frexp_mant_f32_e32 v12, v17
	v_cmp_gt_f32_e64 s8, 0x3f2aaaab, v12
	v_add_f32_e32 v12, -1.0, v17
	v_sub_f32_e32 v19, v12, v17
	v_sub_f32_e32 v12, v6, v12
	v_add_f32_e32 v19, 1.0, v19
	v_add_f32_e32 v12, v12, v19
	v_subrev_co_ci_u32_e64 v11, null, 0, v11, s8
	s_mov_b32 s8, 0x3e9b6dac
	v_sub_nc_u32_e32 v18, 0, v11
	v_cvt_f32_i32_e32 v11, v11
	v_ldexp_f32 v17, v17, v18
	v_ldexp_f32 v12, v12, v18
	v_add_f32_e32 v20, 1.0, v17
	v_add_f32_e32 v18, -1.0, v17
	v_add_f32_e32 v19, -1.0, v20
	v_add_f32_e32 v21, 1.0, v18
	v_sub_f32_e32 v19, v17, v19
	v_sub_f32_e32 v17, v17, v21
	v_add_f32_e32 v19, v12, v19
	v_add_f32_e32 v12, v12, v17
	;; [unrolled: 1-line block ×4, first 2 shown]
	v_rcp_f32_e32 v17, v21
	v_sub_f32_e32 v20, v20, v21
	v_sub_f32_e32 v18, v18, v22
	v_add_f32_e32 v19, v19, v20
	v_add_f32_e32 v12, v12, v18
	v_mul_f32_e32 v23, v22, v17
	v_mul_f32_e32 v24, v21, v23
	v_fma_f32 v20, v23, v21, -v24
	v_fmac_f32_e32 v20, v23, v19
	v_add_f32_e32 v25, v24, v20
	v_sub_f32_e32 v26, v22, v25
	v_sub_f32_e32 v18, v25, v24
	;; [unrolled: 1-line block ×5, first 2 shown]
	v_add_f32_e32 v12, v12, v22
	v_add_f32_e32 v12, v18, v12
	;; [unrolled: 1-line block ×3, first 2 shown]
	v_mul_f32_e32 v20, v17, v18
	v_sub_f32_e32 v25, v26, v18
	v_mul_f32_e32 v22, v21, v20
	v_add_f32_e32 v12, v12, v25
	v_fma_f32 v21, v20, v21, -v22
	v_fmac_f32_e32 v21, v20, v19
	v_add_f32_e32 v19, v22, v21
	v_sub_f32_e32 v24, v18, v19
	v_sub_f32_e32 v22, v19, v22
	;; [unrolled: 1-line block ×5, first 2 shown]
	v_add_f32_e32 v12, v12, v18
	v_add_f32_e32 v18, v23, v20
	;; [unrolled: 1-line block ×3, first 2 shown]
	v_sub_f32_e32 v19, v18, v23
	v_add_f32_e32 v12, v24, v12
	v_sub_f32_e32 v19, v20, v19
	v_mul_f32_e32 v12, v17, v12
	v_add_f32_e32 v12, v19, v12
	v_add_f32_e32 v17, v18, v12
	v_mul_f32_e32 v19, v17, v17
	v_fmaak_f32 v20, s8, v19, 0x3ecc95a3
	v_mul_f32_e32 v21, v17, v19
	v_cmp_neq_f32_e64 s8, 0x7f800000, v6
	v_fmaak_f32 v19, v19, v20, 0x3f2aaada
	v_ldexp_f32 v20, v17, 1
	v_sub_f32_e32 v17, v17, v18
	v_mul_f32_e32 v19, v21, v19
	v_mul_f32_e32 v21, 0x3f317218, v11
	v_sub_f32_e32 v12, v12, v17
	v_add_f32_e32 v18, v20, v19
	v_ldexp_f32 v12, v12, 1
	v_sub_f32_e32 v17, v18, v20
	v_fma_f32 v20, 0x3f317218, v11, -v21
	v_sub_f32_e32 v17, v19, v17
	v_fmamk_f32 v11, v11, 0xb102e308, v20
	v_add_f32_e32 v12, v12, v17
	v_add_f32_e32 v17, v21, v11
	;; [unrolled: 1-line block ×3, first 2 shown]
	v_sub_f32_e32 v21, v17, v21
	v_add_f32_e32 v20, v17, v19
	v_sub_f32_e32 v18, v19, v18
	v_sub_f32_e32 v11, v11, v21
	;; [unrolled: 1-line block ×6, first 2 shown]
	v_add_f32_e32 v19, v11, v12
	v_sub_f32_e32 v17, v17, v23
	v_add_f32_e32 v17, v18, v17
	v_sub_f32_e32 v18, v19, v11
	;; [unrolled: 2-line block ×3, first 2 shown]
	v_sub_f32_e32 v12, v12, v18
	v_add_f32_e32 v21, v20, v17
	v_sub_f32_e32 v11, v11, v19
	v_sub_f32_e32 v18, v21, v20
	v_add_f32_e32 v11, v12, v11
	v_sub_f32_e32 v12, v17, v18
	v_add_f32_e32 v11, v11, v12
	v_add_f32_e32 v11, v21, v11
	v_cndmask_b32_e64 v11, 0x7f800000, v11, s8
	v_cmp_gt_f32_e64 s8, 0x33800000, |v6|
	v_cndmask_b32_e64 v6, v11, v6, s8
	v_add_f32_e32 v18, v5, v6
.LBB170_14:
	s_or_b32 exec_lo, exec_lo, s9
	v_max_f32_e32 v5, v18, v18
	v_max_f32_e32 v11, v4, v4
	v_cmp_u_f32_e64 s8, v18, v18
	v_min_f32_e32 v6, v5, v11
	v_max_f32_e32 v5, v5, v11
	v_cndmask_b32_e64 v6, v6, v18, s8
	v_cndmask_b32_e64 v5, v5, v18, s8
	v_cmp_u_f32_e64 s8, v4, v4
	v_cndmask_b32_e64 v6, v6, v4, s8
	v_cndmask_b32_e64 v5, v5, v4, s8
	v_cmp_class_f32_e64 s11, v6, 0x1f8
	v_cmp_neq_f32_e64 s9, v6, v5
	s_or_b32 s9, s9, s11
	s_and_saveexec_b32 s11, s9
	s_cbranch_execz .LBB170_16
; %bb.15:
	v_sub_f32_e32 v6, v6, v5
	v_mul_f32_e32 v12, 0x3fb8aa3b, v6
	v_cmp_ngt_f32_e64 s9, 0xc2ce8ed0, v6
	v_fma_f32 v17, 0x3fb8aa3b, v6, -v12
	v_rndne_f32_e32 v18, v12
	v_fmamk_f32 v17, v6, 0x32a5705f, v17
	v_sub_f32_e32 v12, v12, v18
	v_add_f32_e32 v12, v12, v17
	v_cvt_i32_f32_e32 v17, v18
	v_exp_f32_e32 v12, v12
	v_ldexp_f32 v12, v12, v17
	v_cndmask_b32_e64 v12, 0, v12, s9
	v_cmp_nlt_f32_e64 s9, 0x42b17218, v6
	v_cndmask_b32_e64 v6, 0x7f800000, v12, s9
	v_add_f32_e32 v12, 1.0, v6
	v_cvt_f64_f32_e32 v[17:18], v12
	v_frexp_exp_i32_f64_e32 v17, v[17:18]
	v_frexp_mant_f32_e32 v18, v12
	v_cmp_gt_f32_e64 s9, 0x3f2aaaab, v18
	v_add_f32_e32 v18, -1.0, v12
	v_sub_f32_e32 v20, v18, v12
	v_sub_f32_e32 v18, v6, v18
	v_add_f32_e32 v20, 1.0, v20
	v_add_f32_e32 v18, v18, v20
	v_subrev_co_ci_u32_e64 v17, null, 0, v17, s9
	s_mov_b32 s9, 0x3e9b6dac
	v_sub_nc_u32_e32 v19, 0, v17
	v_cvt_f32_i32_e32 v17, v17
	v_ldexp_f32 v12, v12, v19
	v_ldexp_f32 v18, v18, v19
	v_add_f32_e32 v21, 1.0, v12
	v_add_f32_e32 v19, -1.0, v12
	v_add_f32_e32 v20, -1.0, v21
	v_add_f32_e32 v22, 1.0, v19
	v_sub_f32_e32 v20, v12, v20
	v_sub_f32_e32 v12, v12, v22
	v_add_f32_e32 v20, v18, v20
	v_add_f32_e32 v12, v18, v12
	;; [unrolled: 1-line block ×4, first 2 shown]
	v_rcp_f32_e32 v18, v22
	v_sub_f32_e32 v21, v21, v22
	v_sub_f32_e32 v19, v19, v23
	v_add_f32_e32 v20, v20, v21
	v_add_f32_e32 v12, v12, v19
	v_mul_f32_e32 v24, v23, v18
	v_mul_f32_e32 v25, v22, v24
	v_fma_f32 v21, v24, v22, -v25
	v_fmac_f32_e32 v21, v24, v20
	v_add_f32_e32 v26, v25, v21
	v_sub_f32_e32 v27, v23, v26
	v_sub_f32_e32 v19, v26, v25
	;; [unrolled: 1-line block ×5, first 2 shown]
	v_add_f32_e32 v12, v12, v23
	v_add_f32_e32 v12, v19, v12
	;; [unrolled: 1-line block ×3, first 2 shown]
	v_mul_f32_e32 v21, v18, v19
	v_sub_f32_e32 v26, v27, v19
	v_mul_f32_e32 v23, v22, v21
	v_add_f32_e32 v12, v12, v26
	v_fma_f32 v22, v21, v22, -v23
	v_fmac_f32_e32 v22, v21, v20
	v_add_f32_e32 v20, v23, v22
	v_sub_f32_e32 v25, v19, v20
	v_sub_f32_e32 v23, v20, v23
	v_sub_f32_e32 v19, v19, v25
	v_sub_f32_e32 v19, v19, v20
	v_sub_f32_e32 v20, v23, v22
	v_add_f32_e32 v12, v12, v19
	v_add_f32_e32 v19, v24, v21
	;; [unrolled: 1-line block ×3, first 2 shown]
	v_sub_f32_e32 v20, v19, v24
	v_add_f32_e32 v12, v25, v12
	v_sub_f32_e32 v20, v21, v20
	v_mul_f32_e32 v12, v18, v12
	v_add_f32_e32 v12, v20, v12
	v_add_f32_e32 v18, v19, v12
	v_mul_f32_e32 v20, v18, v18
	v_fmaak_f32 v21, s9, v20, 0x3ecc95a3
	v_mul_f32_e32 v22, v18, v20
	v_cmp_neq_f32_e64 s9, 0x7f800000, v6
	v_fmaak_f32 v20, v20, v21, 0x3f2aaada
	v_ldexp_f32 v21, v18, 1
	v_sub_f32_e32 v18, v18, v19
	v_mul_f32_e32 v20, v22, v20
	v_mul_f32_e32 v22, 0x3f317218, v17
	v_sub_f32_e32 v12, v12, v18
	v_add_f32_e32 v19, v21, v20
	v_ldexp_f32 v12, v12, 1
	v_sub_f32_e32 v18, v19, v21
	v_fma_f32 v21, 0x3f317218, v17, -v22
	v_sub_f32_e32 v18, v20, v18
	v_fmamk_f32 v17, v17, 0xb102e308, v21
	v_add_f32_e32 v12, v12, v18
	v_add_f32_e32 v18, v22, v17
	;; [unrolled: 1-line block ×3, first 2 shown]
	v_sub_f32_e32 v22, v18, v22
	v_add_f32_e32 v21, v18, v20
	v_sub_f32_e32 v19, v20, v19
	v_sub_f32_e32 v17, v17, v22
	;; [unrolled: 1-line block ×6, first 2 shown]
	v_add_f32_e32 v20, v17, v12
	v_sub_f32_e32 v18, v18, v24
	v_add_f32_e32 v18, v19, v18
	v_sub_f32_e32 v19, v20, v17
	;; [unrolled: 2-line block ×3, first 2 shown]
	v_sub_f32_e32 v12, v12, v19
	v_add_f32_e32 v22, v21, v18
	v_sub_f32_e32 v17, v17, v20
	v_sub_f32_e32 v19, v22, v21
	v_add_f32_e32 v12, v12, v17
	v_sub_f32_e32 v17, v18, v19
	v_add_f32_e32 v12, v12, v17
	v_add_f32_e32 v12, v22, v12
	v_cndmask_b32_e64 v12, 0x7f800000, v12, s9
	v_cmp_gt_f32_e64 s9, 0x33800000, |v6|
	v_cndmask_b32_e64 v6, v12, v6, s9
	v_add_f32_e32 v18, v5, v6
.LBB170_16:
	s_or_b32 exec_lo, exec_lo, s11
	v_max_f32_e32 v12, v9, v9
	v_max_f32_e32 v5, v18, v18
	v_cmp_u_f32_e64 s9, v18, v18
	v_min_f32_e32 v6, v5, v12
	v_max_f32_e32 v5, v5, v12
	v_cndmask_b32_e64 v6, v6, v18, s9
	v_cndmask_b32_e64 v5, v5, v18, s9
	v_cmp_u_f32_e64 s9, v9, v9
	v_cndmask_b32_e64 v6, v6, v9, s9
	v_cndmask_b32_e64 v5, v5, v9, s9
	v_cmp_class_f32_e64 s12, v6, 0x1f8
	v_cmp_neq_f32_e64 s11, v6, v5
	s_or_b32 s11, s11, s12
	s_and_saveexec_b32 s12, s11
	s_cbranch_execz .LBB170_18
; %bb.17:
	v_sub_f32_e32 v6, v6, v5
	v_mul_f32_e32 v17, 0x3fb8aa3b, v6
	v_cmp_ngt_f32_e64 s11, 0xc2ce8ed0, v6
	v_fma_f32 v18, 0x3fb8aa3b, v6, -v17
	v_rndne_f32_e32 v19, v17
	v_fmamk_f32 v18, v6, 0x32a5705f, v18
	v_sub_f32_e32 v17, v17, v19
	v_add_f32_e32 v17, v17, v18
	v_cvt_i32_f32_e32 v18, v19
	v_exp_f32_e32 v17, v17
	v_ldexp_f32 v17, v17, v18
	v_cndmask_b32_e64 v17, 0, v17, s11
	v_cmp_nlt_f32_e64 s11, 0x42b17218, v6
	v_cndmask_b32_e64 v6, 0x7f800000, v17, s11
	v_add_f32_e32 v19, 1.0, v6
	v_cvt_f64_f32_e32 v[17:18], v19
	v_frexp_exp_i32_f64_e32 v17, v[17:18]
	v_frexp_mant_f32_e32 v18, v19
	v_cmp_gt_f32_e64 s11, 0x3f2aaaab, v18
	v_add_f32_e32 v18, -1.0, v19
	v_sub_f32_e32 v21, v18, v19
	v_sub_f32_e32 v18, v6, v18
	v_add_f32_e32 v21, 1.0, v21
	v_add_f32_e32 v18, v18, v21
	v_subrev_co_ci_u32_e64 v17, null, 0, v17, s11
	s_mov_b32 s11, 0x3e9b6dac
	v_sub_nc_u32_e32 v20, 0, v17
	v_cvt_f32_i32_e32 v17, v17
	v_ldexp_f32 v19, v19, v20
	v_ldexp_f32 v18, v18, v20
	v_add_f32_e32 v22, 1.0, v19
	v_add_f32_e32 v20, -1.0, v19
	v_add_f32_e32 v21, -1.0, v22
	v_add_f32_e32 v23, 1.0, v20
	v_sub_f32_e32 v21, v19, v21
	v_sub_f32_e32 v19, v19, v23
	v_add_f32_e32 v21, v18, v21
	v_add_f32_e32 v18, v18, v19
	;; [unrolled: 1-line block ×4, first 2 shown]
	v_rcp_f32_e32 v19, v23
	v_sub_f32_e32 v22, v22, v23
	v_sub_f32_e32 v20, v20, v24
	v_add_f32_e32 v21, v21, v22
	v_add_f32_e32 v18, v18, v20
	v_mul_f32_e32 v25, v24, v19
	v_mul_f32_e32 v26, v23, v25
	v_fma_f32 v22, v25, v23, -v26
	v_fmac_f32_e32 v22, v25, v21
	v_add_f32_e32 v27, v26, v22
	v_sub_f32_e32 v28, v24, v27
	v_sub_f32_e32 v20, v27, v26
	;; [unrolled: 1-line block ×5, first 2 shown]
	v_add_f32_e32 v18, v18, v24
	v_add_f32_e32 v18, v20, v18
	;; [unrolled: 1-line block ×3, first 2 shown]
	v_mul_f32_e32 v22, v19, v20
	v_sub_f32_e32 v27, v28, v20
	v_mul_f32_e32 v24, v23, v22
	v_add_f32_e32 v18, v18, v27
	v_fma_f32 v23, v22, v23, -v24
	v_fmac_f32_e32 v23, v22, v21
	v_add_f32_e32 v21, v24, v23
	v_sub_f32_e32 v26, v20, v21
	v_sub_f32_e32 v24, v21, v24
	v_sub_f32_e32 v20, v20, v26
	v_sub_f32_e32 v20, v20, v21
	v_sub_f32_e32 v21, v24, v23
	v_add_f32_e32 v18, v18, v20
	v_add_f32_e32 v20, v25, v22
	;; [unrolled: 1-line block ×3, first 2 shown]
	v_sub_f32_e32 v21, v20, v25
	v_add_f32_e32 v18, v26, v18
	v_sub_f32_e32 v21, v22, v21
	v_mul_f32_e32 v18, v19, v18
	v_add_f32_e32 v18, v21, v18
	v_add_f32_e32 v19, v20, v18
	v_mul_f32_e32 v21, v19, v19
	v_fmaak_f32 v22, s11, v21, 0x3ecc95a3
	v_mul_f32_e32 v23, v19, v21
	v_cmp_neq_f32_e64 s11, 0x7f800000, v6
	v_fmaak_f32 v21, v21, v22, 0x3f2aaada
	v_ldexp_f32 v22, v19, 1
	v_sub_f32_e32 v19, v19, v20
	v_mul_f32_e32 v21, v23, v21
	v_mul_f32_e32 v23, 0x3f317218, v17
	v_sub_f32_e32 v18, v18, v19
	v_add_f32_e32 v20, v22, v21
	v_ldexp_f32 v18, v18, 1
	v_sub_f32_e32 v19, v20, v22
	v_fma_f32 v22, 0x3f317218, v17, -v23
	v_sub_f32_e32 v19, v21, v19
	v_fmamk_f32 v17, v17, 0xb102e308, v22
	v_add_f32_e32 v18, v18, v19
	v_add_f32_e32 v19, v23, v17
	;; [unrolled: 1-line block ×3, first 2 shown]
	v_sub_f32_e32 v23, v19, v23
	v_add_f32_e32 v22, v19, v21
	v_sub_f32_e32 v20, v21, v20
	v_sub_f32_e32 v17, v17, v23
	;; [unrolled: 1-line block ×6, first 2 shown]
	v_add_f32_e32 v21, v17, v18
	v_sub_f32_e32 v19, v19, v25
	v_add_f32_e32 v19, v20, v19
	v_sub_f32_e32 v20, v21, v17
	;; [unrolled: 2-line block ×3, first 2 shown]
	v_sub_f32_e32 v18, v18, v20
	v_add_f32_e32 v23, v22, v19
	v_sub_f32_e32 v17, v17, v21
	v_sub_f32_e32 v20, v23, v22
	v_add_f32_e32 v17, v18, v17
	v_sub_f32_e32 v18, v19, v20
	v_add_f32_e32 v17, v17, v18
	v_add_f32_e32 v17, v23, v17
	v_cndmask_b32_e64 v17, 0x7f800000, v17, s11
	v_cmp_gt_f32_e64 s11, 0x33800000, |v6|
	v_cndmask_b32_e64 v6, v17, v6, s11
	v_add_f32_e32 v18, v5, v6
.LBB170_18:
	s_or_b32 exec_lo, exec_lo, s12
	s_load_dwordx2 s[12:13], s[4:5], 0x18
	v_lshrrev_b32_e32 v5, 3, v0
	s_mov_b32 s11, exec_lo
	v_and_b32_e32 v5, 4, v5
	v_lshl_add_u32 v5, v0, 2, v5
	ds_write_b32 v5, v18
	s_waitcnt lgkmcnt(0)
	s_barrier
	buffer_gl0_inv
	v_cmpx_gt_u32_e32 32, v0
	s_cbranch_execz .LBB170_46
; %bb.19:
	v_lshrrev_b32_e32 v5, 2, v0
	v_lshlrev_b32_e32 v6, 3, v0
	v_and_b32_e32 v5, 12, v5
	v_add_nc_u32_e32 v17, v5, v6
	ds_read2_b32 v[5:6], v17 offset1:1
	s_waitcnt lgkmcnt(0)
	v_max_f32_e32 v20, v6, v6
	v_max_f32_e32 v19, v5, v5
	v_cmp_u_f32_e64 s4, v5, v5
	v_cmp_u_f32_e64 s5, v6, v6
	v_min_f32_e32 v21, v19, v20
	v_max_f32_e32 v20, v19, v20
	v_cndmask_b32_e64 v21, v21, v5, s4
	v_cndmask_b32_e64 v22, v20, v5, s4
	;; [unrolled: 1-line block ×4, first 2 shown]
	v_mov_b32_e32 v21, v5
	v_cmp_class_f32_e64 s14, v20, 0x1f8
	v_cmp_neq_f32_e64 s5, v20, v6
	s_or_b32 s5, s5, s14
	s_and_saveexec_b32 s14, s5
	s_cbranch_execz .LBB170_21
; %bb.20:
	v_sub_f32_e32 v20, v20, v6
	v_mul_f32_e32 v21, 0x3fb8aa3b, v20
	v_cmp_ngt_f32_e64 s5, 0xc2ce8ed0, v20
	v_fma_f32 v22, 0x3fb8aa3b, v20, -v21
	v_rndne_f32_e32 v23, v21
	v_fmamk_f32 v22, v20, 0x32a5705f, v22
	v_sub_f32_e32 v21, v21, v23
	v_add_f32_e32 v21, v21, v22
	v_cvt_i32_f32_e32 v22, v23
	v_exp_f32_e32 v21, v21
	v_ldexp_f32 v21, v21, v22
	v_cndmask_b32_e64 v21, 0, v21, s5
	v_cmp_nlt_f32_e64 s5, 0x42b17218, v20
	v_cndmask_b32_e64 v22, 0x7f800000, v21, s5
	v_add_f32_e32 v23, 1.0, v22
	v_cvt_f64_f32_e32 v[20:21], v23
	v_frexp_exp_i32_f64_e32 v20, v[20:21]
	v_frexp_mant_f32_e32 v21, v23
	v_cmp_gt_f32_e64 s5, 0x3f2aaaab, v21
	v_add_f32_e32 v21, -1.0, v23
	v_sub_f32_e32 v25, v21, v23
	v_sub_f32_e32 v21, v22, v21
	v_add_f32_e32 v25, 1.0, v25
	v_add_f32_e32 v21, v21, v25
	v_subrev_co_ci_u32_e64 v20, null, 0, v20, s5
	s_mov_b32 s5, 0x3e9b6dac
	v_sub_nc_u32_e32 v24, 0, v20
	v_cvt_f32_i32_e32 v20, v20
	v_ldexp_f32 v23, v23, v24
	v_ldexp_f32 v21, v21, v24
	v_add_f32_e32 v26, 1.0, v23
	v_add_f32_e32 v24, -1.0, v23
	v_add_f32_e32 v25, -1.0, v26
	v_add_f32_e32 v27, 1.0, v24
	v_sub_f32_e32 v25, v23, v25
	v_sub_f32_e32 v23, v23, v27
	v_add_f32_e32 v25, v21, v25
	v_add_f32_e32 v21, v21, v23
	v_add_f32_e32 v27, v26, v25
	v_add_f32_e32 v28, v24, v21
	v_rcp_f32_e32 v23, v27
	v_sub_f32_e32 v26, v26, v27
	v_sub_f32_e32 v24, v24, v28
	v_add_f32_e32 v25, v25, v26
	v_add_f32_e32 v21, v21, v24
	v_mul_f32_e32 v29, v28, v23
	v_mul_f32_e32 v30, v27, v29
	v_fma_f32 v26, v29, v27, -v30
	v_fmac_f32_e32 v26, v29, v25
	v_add_f32_e32 v31, v30, v26
	v_sub_f32_e32 v32, v28, v31
	v_sub_f32_e32 v24, v31, v30
	;; [unrolled: 1-line block ×5, first 2 shown]
	v_add_f32_e32 v21, v21, v28
	v_add_f32_e32 v21, v24, v21
	;; [unrolled: 1-line block ×3, first 2 shown]
	v_mul_f32_e32 v26, v23, v24
	v_sub_f32_e32 v31, v32, v24
	v_mul_f32_e32 v28, v27, v26
	v_add_f32_e32 v21, v21, v31
	v_fma_f32 v27, v26, v27, -v28
	v_fmac_f32_e32 v27, v26, v25
	v_add_f32_e32 v25, v28, v27
	v_sub_f32_e32 v30, v24, v25
	v_sub_f32_e32 v28, v25, v28
	;; [unrolled: 1-line block ×5, first 2 shown]
	v_add_f32_e32 v21, v21, v24
	v_add_f32_e32 v24, v29, v26
	;; [unrolled: 1-line block ×3, first 2 shown]
	v_sub_f32_e32 v25, v24, v29
	v_add_f32_e32 v21, v30, v21
	v_sub_f32_e32 v25, v26, v25
	v_mul_f32_e32 v21, v23, v21
	v_add_f32_e32 v21, v25, v21
	v_add_f32_e32 v23, v24, v21
	v_mul_f32_e32 v25, v23, v23
	v_fmaak_f32 v26, s5, v25, 0x3ecc95a3
	v_mul_f32_e32 v27, v23, v25
	v_cmp_neq_f32_e64 s5, 0x7f800000, v22
	v_fmaak_f32 v25, v25, v26, 0x3f2aaada
	v_ldexp_f32 v26, v23, 1
	v_sub_f32_e32 v23, v23, v24
	v_mul_f32_e32 v25, v27, v25
	v_mul_f32_e32 v27, 0x3f317218, v20
	v_sub_f32_e32 v21, v21, v23
	v_add_f32_e32 v24, v26, v25
	v_ldexp_f32 v21, v21, 1
	v_sub_f32_e32 v23, v24, v26
	v_fma_f32 v26, 0x3f317218, v20, -v27
	v_sub_f32_e32 v23, v25, v23
	v_fmamk_f32 v20, v20, 0xb102e308, v26
	v_add_f32_e32 v21, v21, v23
	v_add_f32_e32 v23, v27, v20
	;; [unrolled: 1-line block ×3, first 2 shown]
	v_sub_f32_e32 v27, v23, v27
	v_add_f32_e32 v26, v23, v25
	v_sub_f32_e32 v24, v25, v24
	v_sub_f32_e32 v20, v20, v27
	;; [unrolled: 1-line block ×6, first 2 shown]
	v_add_f32_e32 v25, v20, v21
	v_sub_f32_e32 v23, v23, v29
	v_add_f32_e32 v23, v24, v23
	v_sub_f32_e32 v24, v25, v20
	;; [unrolled: 2-line block ×3, first 2 shown]
	v_sub_f32_e32 v21, v21, v24
	v_add_f32_e32 v27, v26, v23
	v_sub_f32_e32 v20, v20, v25
	v_sub_f32_e32 v24, v27, v26
	v_add_f32_e32 v20, v21, v20
	v_sub_f32_e32 v21, v23, v24
	v_add_f32_e32 v20, v20, v21
	v_add_f32_e32 v20, v27, v20
	v_cndmask_b32_e64 v20, 0x7f800000, v20, s5
	v_cmp_gt_f32_e64 s5, 0x33800000, |v22|
	v_cndmask_b32_e64 v20, v20, v22, s5
	v_add_f32_e32 v21, v6, v20
.LBB170_21:
	s_or_b32 exec_lo, exec_lo, s14
	v_mbcnt_lo_u32_b32 v6, -1, 0
	v_mov_b32_dpp v22, v21 row_shr:1 row_mask:0xf bank_mask:0xf
	s_mov_b32 s14, exec_lo
	v_and_b32_e32 v20, 15, v6
	v_cmpx_ne_u32_e32 0, v20
	s_xor_b32 s14, exec_lo, s14
	s_cbranch_execz .LBB170_25
; %bb.22:
	v_max_f32_e32 v23, v21, v21
	v_max_f32_e32 v24, v22, v22
	v_cmp_u_f32_e64 s5, v22, v22
	v_min_f32_e32 v25, v24, v23
	v_max_f32_e32 v23, v24, v23
	v_cndmask_b32_e64 v24, v25, v22, s5
	v_cndmask_b32_e64 v25, v23, v22, s5
	v_cmp_u_f32_e64 s5, v21, v21
	v_cndmask_b32_e64 v23, v24, v21, s5
	v_cndmask_b32_e64 v21, v25, v21, s5
	v_cmp_class_f32_e64 s15, v23, 0x1f8
	v_cmp_neq_f32_e64 s5, v23, v21
	s_or_b32 s5, s5, s15
	s_and_saveexec_b32 s15, s5
	s_cbranch_execz .LBB170_24
; %bb.23:
	v_sub_f32_e32 v22, v23, v21
	v_mul_f32_e32 v23, 0x3fb8aa3b, v22
	v_cmp_ngt_f32_e64 s5, 0xc2ce8ed0, v22
	v_fma_f32 v24, 0x3fb8aa3b, v22, -v23
	v_rndne_f32_e32 v25, v23
	v_fmamk_f32 v24, v22, 0x32a5705f, v24
	v_sub_f32_e32 v23, v23, v25
	v_add_f32_e32 v23, v23, v24
	v_cvt_i32_f32_e32 v24, v25
	v_exp_f32_e32 v23, v23
	v_ldexp_f32 v23, v23, v24
	v_cndmask_b32_e64 v23, 0, v23, s5
	v_cmp_nlt_f32_e64 s5, 0x42b17218, v22
	v_cndmask_b32_e64 v24, 0x7f800000, v23, s5
	v_add_f32_e32 v25, 1.0, v24
	v_cvt_f64_f32_e32 v[22:23], v25
	v_frexp_exp_i32_f64_e32 v22, v[22:23]
	v_frexp_mant_f32_e32 v23, v25
	v_cmp_gt_f32_e64 s5, 0x3f2aaaab, v23
	v_add_f32_e32 v23, -1.0, v25
	v_sub_f32_e32 v27, v23, v25
	v_sub_f32_e32 v23, v24, v23
	v_add_f32_e32 v27, 1.0, v27
	v_add_f32_e32 v23, v23, v27
	v_subrev_co_ci_u32_e64 v22, null, 0, v22, s5
	s_mov_b32 s5, 0x3e9b6dac
	v_sub_nc_u32_e32 v26, 0, v22
	v_cvt_f32_i32_e32 v22, v22
	v_ldexp_f32 v25, v25, v26
	v_ldexp_f32 v23, v23, v26
	v_add_f32_e32 v28, 1.0, v25
	v_add_f32_e32 v26, -1.0, v25
	v_add_f32_e32 v27, -1.0, v28
	v_add_f32_e32 v29, 1.0, v26
	v_sub_f32_e32 v27, v25, v27
	v_sub_f32_e32 v25, v25, v29
	v_add_f32_e32 v27, v23, v27
	v_add_f32_e32 v23, v23, v25
	;; [unrolled: 1-line block ×4, first 2 shown]
	v_rcp_f32_e32 v25, v29
	v_sub_f32_e32 v28, v28, v29
	v_sub_f32_e32 v26, v26, v30
	v_add_f32_e32 v27, v27, v28
	v_add_f32_e32 v23, v23, v26
	v_mul_f32_e32 v31, v30, v25
	v_mul_f32_e32 v32, v29, v31
	v_fma_f32 v28, v31, v29, -v32
	v_fmac_f32_e32 v28, v31, v27
	v_add_f32_e32 v33, v32, v28
	v_sub_f32_e32 v34, v30, v33
	v_sub_f32_e32 v26, v33, v32
	;; [unrolled: 1-line block ×5, first 2 shown]
	v_add_f32_e32 v23, v23, v30
	v_add_f32_e32 v23, v26, v23
	;; [unrolled: 1-line block ×3, first 2 shown]
	v_mul_f32_e32 v28, v25, v26
	v_sub_f32_e32 v33, v34, v26
	v_mul_f32_e32 v30, v29, v28
	v_add_f32_e32 v23, v23, v33
	v_fma_f32 v29, v28, v29, -v30
	v_fmac_f32_e32 v29, v28, v27
	v_add_f32_e32 v27, v30, v29
	v_sub_f32_e32 v32, v26, v27
	v_sub_f32_e32 v30, v27, v30
	;; [unrolled: 1-line block ×5, first 2 shown]
	v_add_f32_e32 v23, v23, v26
	v_add_f32_e32 v26, v31, v28
	;; [unrolled: 1-line block ×3, first 2 shown]
	v_sub_f32_e32 v27, v26, v31
	v_add_f32_e32 v23, v32, v23
	v_sub_f32_e32 v27, v28, v27
	v_mul_f32_e32 v23, v25, v23
	v_add_f32_e32 v23, v27, v23
	v_add_f32_e32 v25, v26, v23
	v_mul_f32_e32 v27, v25, v25
	v_fmaak_f32 v28, s5, v27, 0x3ecc95a3
	v_mul_f32_e32 v29, v25, v27
	v_cmp_neq_f32_e64 s5, 0x7f800000, v24
	v_fmaak_f32 v27, v27, v28, 0x3f2aaada
	v_ldexp_f32 v28, v25, 1
	v_sub_f32_e32 v25, v25, v26
	v_mul_f32_e32 v27, v29, v27
	v_mul_f32_e32 v29, 0x3f317218, v22
	v_sub_f32_e32 v23, v23, v25
	v_add_f32_e32 v26, v28, v27
	v_ldexp_f32 v23, v23, 1
	v_sub_f32_e32 v25, v26, v28
	v_fma_f32 v28, 0x3f317218, v22, -v29
	v_sub_f32_e32 v25, v27, v25
	v_fmamk_f32 v22, v22, 0xb102e308, v28
	v_add_f32_e32 v23, v23, v25
	v_add_f32_e32 v25, v29, v22
	;; [unrolled: 1-line block ×3, first 2 shown]
	v_sub_f32_e32 v29, v25, v29
	v_add_f32_e32 v28, v25, v27
	v_sub_f32_e32 v26, v27, v26
	v_sub_f32_e32 v22, v22, v29
	v_sub_f32_e32 v30, v28, v25
	v_sub_f32_e32 v23, v23, v26
	v_sub_f32_e32 v31, v28, v30
	v_sub_f32_e32 v26, v27, v30
	v_add_f32_e32 v27, v22, v23
	v_sub_f32_e32 v25, v25, v31
	v_add_f32_e32 v25, v26, v25
	v_sub_f32_e32 v26, v27, v22
	;; [unrolled: 2-line block ×3, first 2 shown]
	v_sub_f32_e32 v23, v23, v26
	v_add_f32_e32 v29, v28, v25
	v_sub_f32_e32 v22, v22, v27
	v_sub_f32_e32 v26, v29, v28
	v_add_f32_e32 v22, v23, v22
	v_sub_f32_e32 v23, v25, v26
	v_add_f32_e32 v22, v22, v23
	v_add_f32_e32 v22, v29, v22
	v_cndmask_b32_e64 v22, 0x7f800000, v22, s5
	v_cmp_gt_f32_e64 s5, 0x33800000, |v24|
	v_cndmask_b32_e64 v22, v22, v24, s5
	v_add_f32_e32 v22, v21, v22
.LBB170_24:
	s_or_b32 exec_lo, exec_lo, s15
	v_mov_b32_e32 v21, v22
.LBB170_25:
	s_or_b32 exec_lo, exec_lo, s14
	v_mov_b32_dpp v22, v21 row_shr:2 row_mask:0xf bank_mask:0xf
	s_mov_b32 s14, exec_lo
	v_cmpx_lt_u32_e32 1, v20
	s_cbranch_execz .LBB170_29
; %bb.26:
	v_max_f32_e32 v23, v21, v21
	v_max_f32_e32 v24, v22, v22
	v_cmp_u_f32_e64 s5, v22, v22
	v_min_f32_e32 v25, v24, v23
	v_max_f32_e32 v23, v24, v23
	v_cndmask_b32_e64 v24, v25, v22, s5
	v_cndmask_b32_e64 v25, v23, v22, s5
	v_cmp_u_f32_e64 s5, v21, v21
	v_cndmask_b32_e64 v23, v24, v21, s5
	v_cndmask_b32_e64 v21, v25, v21, s5
	v_cmp_class_f32_e64 s15, v23, 0x1f8
	v_cmp_neq_f32_e64 s5, v23, v21
	s_or_b32 s5, s5, s15
	s_and_saveexec_b32 s15, s5
	s_cbranch_execz .LBB170_28
; %bb.27:
	v_sub_f32_e32 v22, v23, v21
	v_mul_f32_e32 v23, 0x3fb8aa3b, v22
	v_cmp_ngt_f32_e64 s5, 0xc2ce8ed0, v22
	v_fma_f32 v24, 0x3fb8aa3b, v22, -v23
	v_rndne_f32_e32 v25, v23
	v_fmamk_f32 v24, v22, 0x32a5705f, v24
	v_sub_f32_e32 v23, v23, v25
	v_add_f32_e32 v23, v23, v24
	v_cvt_i32_f32_e32 v24, v25
	v_exp_f32_e32 v23, v23
	v_ldexp_f32 v23, v23, v24
	v_cndmask_b32_e64 v23, 0, v23, s5
	v_cmp_nlt_f32_e64 s5, 0x42b17218, v22
	v_cndmask_b32_e64 v24, 0x7f800000, v23, s5
	v_add_f32_e32 v25, 1.0, v24
	v_cvt_f64_f32_e32 v[22:23], v25
	v_frexp_exp_i32_f64_e32 v22, v[22:23]
	v_frexp_mant_f32_e32 v23, v25
	v_cmp_gt_f32_e64 s5, 0x3f2aaaab, v23
	v_add_f32_e32 v23, -1.0, v25
	v_sub_f32_e32 v27, v23, v25
	v_sub_f32_e32 v23, v24, v23
	v_add_f32_e32 v27, 1.0, v27
	v_add_f32_e32 v23, v23, v27
	v_subrev_co_ci_u32_e64 v22, null, 0, v22, s5
	s_mov_b32 s5, 0x3e9b6dac
	v_sub_nc_u32_e32 v26, 0, v22
	v_cvt_f32_i32_e32 v22, v22
	v_ldexp_f32 v25, v25, v26
	v_ldexp_f32 v23, v23, v26
	v_add_f32_e32 v28, 1.0, v25
	v_add_f32_e32 v26, -1.0, v25
	v_add_f32_e32 v27, -1.0, v28
	v_add_f32_e32 v29, 1.0, v26
	v_sub_f32_e32 v27, v25, v27
	v_sub_f32_e32 v25, v25, v29
	v_add_f32_e32 v27, v23, v27
	v_add_f32_e32 v23, v23, v25
	;; [unrolled: 1-line block ×4, first 2 shown]
	v_rcp_f32_e32 v25, v29
	v_sub_f32_e32 v28, v28, v29
	v_sub_f32_e32 v26, v26, v30
	v_add_f32_e32 v27, v27, v28
	v_add_f32_e32 v23, v23, v26
	v_mul_f32_e32 v31, v30, v25
	v_mul_f32_e32 v32, v29, v31
	v_fma_f32 v28, v31, v29, -v32
	v_fmac_f32_e32 v28, v31, v27
	v_add_f32_e32 v33, v32, v28
	v_sub_f32_e32 v34, v30, v33
	v_sub_f32_e32 v26, v33, v32
	v_sub_f32_e32 v30, v30, v34
	v_sub_f32_e32 v26, v26, v28
	v_sub_f32_e32 v30, v30, v33
	v_add_f32_e32 v23, v23, v30
	v_add_f32_e32 v23, v26, v23
	;; [unrolled: 1-line block ×3, first 2 shown]
	v_mul_f32_e32 v28, v25, v26
	v_sub_f32_e32 v33, v34, v26
	v_mul_f32_e32 v30, v29, v28
	v_add_f32_e32 v23, v23, v33
	v_fma_f32 v29, v28, v29, -v30
	v_fmac_f32_e32 v29, v28, v27
	v_add_f32_e32 v27, v30, v29
	v_sub_f32_e32 v32, v26, v27
	v_sub_f32_e32 v30, v27, v30
	;; [unrolled: 1-line block ×5, first 2 shown]
	v_add_f32_e32 v23, v23, v26
	v_add_f32_e32 v26, v31, v28
	;; [unrolled: 1-line block ×3, first 2 shown]
	v_sub_f32_e32 v27, v26, v31
	v_add_f32_e32 v23, v32, v23
	v_sub_f32_e32 v27, v28, v27
	v_mul_f32_e32 v23, v25, v23
	v_add_f32_e32 v23, v27, v23
	v_add_f32_e32 v25, v26, v23
	v_mul_f32_e32 v27, v25, v25
	v_fmaak_f32 v28, s5, v27, 0x3ecc95a3
	v_mul_f32_e32 v29, v25, v27
	v_cmp_neq_f32_e64 s5, 0x7f800000, v24
	v_fmaak_f32 v27, v27, v28, 0x3f2aaada
	v_ldexp_f32 v28, v25, 1
	v_sub_f32_e32 v25, v25, v26
	v_mul_f32_e32 v27, v29, v27
	v_mul_f32_e32 v29, 0x3f317218, v22
	v_sub_f32_e32 v23, v23, v25
	v_add_f32_e32 v26, v28, v27
	v_ldexp_f32 v23, v23, 1
	v_sub_f32_e32 v25, v26, v28
	v_fma_f32 v28, 0x3f317218, v22, -v29
	v_sub_f32_e32 v25, v27, v25
	v_fmamk_f32 v22, v22, 0xb102e308, v28
	v_add_f32_e32 v23, v23, v25
	v_add_f32_e32 v25, v29, v22
	;; [unrolled: 1-line block ×3, first 2 shown]
	v_sub_f32_e32 v29, v25, v29
	v_add_f32_e32 v28, v25, v27
	v_sub_f32_e32 v26, v27, v26
	v_sub_f32_e32 v22, v22, v29
	;; [unrolled: 1-line block ×6, first 2 shown]
	v_add_f32_e32 v27, v22, v23
	v_sub_f32_e32 v25, v25, v31
	v_add_f32_e32 v25, v26, v25
	v_sub_f32_e32 v26, v27, v22
	;; [unrolled: 2-line block ×3, first 2 shown]
	v_sub_f32_e32 v23, v23, v26
	v_add_f32_e32 v29, v28, v25
	v_sub_f32_e32 v22, v22, v27
	v_sub_f32_e32 v26, v29, v28
	v_add_f32_e32 v22, v23, v22
	v_sub_f32_e32 v23, v25, v26
	v_add_f32_e32 v22, v22, v23
	v_add_f32_e32 v22, v29, v22
	v_cndmask_b32_e64 v22, 0x7f800000, v22, s5
	v_cmp_gt_f32_e64 s5, 0x33800000, |v24|
	v_cndmask_b32_e64 v22, v22, v24, s5
	v_add_f32_e32 v22, v21, v22
.LBB170_28:
	s_or_b32 exec_lo, exec_lo, s15
	v_mov_b32_e32 v21, v22
.LBB170_29:
	s_or_b32 exec_lo, exec_lo, s14
	v_mov_b32_dpp v22, v21 row_shr:4 row_mask:0xf bank_mask:0xf
	s_mov_b32 s14, exec_lo
	v_cmpx_lt_u32_e32 3, v20
	s_cbranch_execz .LBB170_33
; %bb.30:
	v_max_f32_e32 v23, v21, v21
	v_max_f32_e32 v24, v22, v22
	v_cmp_u_f32_e64 s5, v22, v22
	v_min_f32_e32 v25, v24, v23
	v_max_f32_e32 v23, v24, v23
	v_cndmask_b32_e64 v24, v25, v22, s5
	v_cndmask_b32_e64 v25, v23, v22, s5
	v_cmp_u_f32_e64 s5, v21, v21
	v_cndmask_b32_e64 v23, v24, v21, s5
	v_cndmask_b32_e64 v21, v25, v21, s5
	v_cmp_class_f32_e64 s15, v23, 0x1f8
	v_cmp_neq_f32_e64 s5, v23, v21
	s_or_b32 s5, s5, s15
	s_and_saveexec_b32 s15, s5
	s_cbranch_execz .LBB170_32
; %bb.31:
	v_sub_f32_e32 v22, v23, v21
	v_mul_f32_e32 v23, 0x3fb8aa3b, v22
	v_cmp_ngt_f32_e64 s5, 0xc2ce8ed0, v22
	v_fma_f32 v24, 0x3fb8aa3b, v22, -v23
	v_rndne_f32_e32 v25, v23
	v_fmamk_f32 v24, v22, 0x32a5705f, v24
	v_sub_f32_e32 v23, v23, v25
	v_add_f32_e32 v23, v23, v24
	v_cvt_i32_f32_e32 v24, v25
	v_exp_f32_e32 v23, v23
	v_ldexp_f32 v23, v23, v24
	v_cndmask_b32_e64 v23, 0, v23, s5
	v_cmp_nlt_f32_e64 s5, 0x42b17218, v22
	v_cndmask_b32_e64 v24, 0x7f800000, v23, s5
	v_add_f32_e32 v25, 1.0, v24
	v_cvt_f64_f32_e32 v[22:23], v25
	v_frexp_exp_i32_f64_e32 v22, v[22:23]
	v_frexp_mant_f32_e32 v23, v25
	v_cmp_gt_f32_e64 s5, 0x3f2aaaab, v23
	v_add_f32_e32 v23, -1.0, v25
	v_sub_f32_e32 v27, v23, v25
	v_sub_f32_e32 v23, v24, v23
	v_add_f32_e32 v27, 1.0, v27
	v_add_f32_e32 v23, v23, v27
	v_subrev_co_ci_u32_e64 v22, null, 0, v22, s5
	s_mov_b32 s5, 0x3e9b6dac
	v_sub_nc_u32_e32 v26, 0, v22
	v_cvt_f32_i32_e32 v22, v22
	v_ldexp_f32 v25, v25, v26
	v_ldexp_f32 v23, v23, v26
	v_add_f32_e32 v28, 1.0, v25
	v_add_f32_e32 v26, -1.0, v25
	v_add_f32_e32 v27, -1.0, v28
	v_add_f32_e32 v29, 1.0, v26
	v_sub_f32_e32 v27, v25, v27
	v_sub_f32_e32 v25, v25, v29
	v_add_f32_e32 v27, v23, v27
	v_add_f32_e32 v23, v23, v25
	;; [unrolled: 1-line block ×4, first 2 shown]
	v_rcp_f32_e32 v25, v29
	v_sub_f32_e32 v28, v28, v29
	v_sub_f32_e32 v26, v26, v30
	v_add_f32_e32 v27, v27, v28
	v_add_f32_e32 v23, v23, v26
	v_mul_f32_e32 v31, v30, v25
	v_mul_f32_e32 v32, v29, v31
	v_fma_f32 v28, v31, v29, -v32
	v_fmac_f32_e32 v28, v31, v27
	v_add_f32_e32 v33, v32, v28
	v_sub_f32_e32 v34, v30, v33
	v_sub_f32_e32 v26, v33, v32
	;; [unrolled: 1-line block ×5, first 2 shown]
	v_add_f32_e32 v23, v23, v30
	v_add_f32_e32 v23, v26, v23
	;; [unrolled: 1-line block ×3, first 2 shown]
	v_mul_f32_e32 v28, v25, v26
	v_sub_f32_e32 v33, v34, v26
	v_mul_f32_e32 v30, v29, v28
	v_add_f32_e32 v23, v23, v33
	v_fma_f32 v29, v28, v29, -v30
	v_fmac_f32_e32 v29, v28, v27
	v_add_f32_e32 v27, v30, v29
	v_sub_f32_e32 v32, v26, v27
	v_sub_f32_e32 v30, v27, v30
	v_sub_f32_e32 v26, v26, v32
	v_sub_f32_e32 v26, v26, v27
	v_sub_f32_e32 v27, v30, v29
	v_add_f32_e32 v23, v23, v26
	v_add_f32_e32 v26, v31, v28
	v_add_f32_e32 v23, v27, v23
	v_sub_f32_e32 v27, v26, v31
	v_add_f32_e32 v23, v32, v23
	v_sub_f32_e32 v27, v28, v27
	v_mul_f32_e32 v23, v25, v23
	v_add_f32_e32 v23, v27, v23
	v_add_f32_e32 v25, v26, v23
	v_mul_f32_e32 v27, v25, v25
	v_fmaak_f32 v28, s5, v27, 0x3ecc95a3
	v_mul_f32_e32 v29, v25, v27
	v_cmp_neq_f32_e64 s5, 0x7f800000, v24
	v_fmaak_f32 v27, v27, v28, 0x3f2aaada
	v_ldexp_f32 v28, v25, 1
	v_sub_f32_e32 v25, v25, v26
	v_mul_f32_e32 v27, v29, v27
	v_mul_f32_e32 v29, 0x3f317218, v22
	v_sub_f32_e32 v23, v23, v25
	v_add_f32_e32 v26, v28, v27
	v_ldexp_f32 v23, v23, 1
	v_sub_f32_e32 v25, v26, v28
	v_fma_f32 v28, 0x3f317218, v22, -v29
	v_sub_f32_e32 v25, v27, v25
	v_fmamk_f32 v22, v22, 0xb102e308, v28
	v_add_f32_e32 v23, v23, v25
	v_add_f32_e32 v25, v29, v22
	;; [unrolled: 1-line block ×3, first 2 shown]
	v_sub_f32_e32 v29, v25, v29
	v_add_f32_e32 v28, v25, v27
	v_sub_f32_e32 v26, v27, v26
	v_sub_f32_e32 v22, v22, v29
	;; [unrolled: 1-line block ×6, first 2 shown]
	v_add_f32_e32 v27, v22, v23
	v_sub_f32_e32 v25, v25, v31
	v_add_f32_e32 v25, v26, v25
	v_sub_f32_e32 v26, v27, v22
	;; [unrolled: 2-line block ×3, first 2 shown]
	v_sub_f32_e32 v23, v23, v26
	v_add_f32_e32 v29, v28, v25
	v_sub_f32_e32 v22, v22, v27
	v_sub_f32_e32 v26, v29, v28
	v_add_f32_e32 v22, v23, v22
	v_sub_f32_e32 v23, v25, v26
	v_add_f32_e32 v22, v22, v23
	v_add_f32_e32 v22, v29, v22
	v_cndmask_b32_e64 v22, 0x7f800000, v22, s5
	v_cmp_gt_f32_e64 s5, 0x33800000, |v24|
	v_cndmask_b32_e64 v22, v22, v24, s5
	v_add_f32_e32 v22, v21, v22
.LBB170_32:
	s_or_b32 exec_lo, exec_lo, s15
	v_mov_b32_e32 v21, v22
.LBB170_33:
	s_or_b32 exec_lo, exec_lo, s14
	v_mov_b32_dpp v22, v21 row_shr:8 row_mask:0xf bank_mask:0xf
	s_mov_b32 s14, exec_lo
	v_cmpx_lt_u32_e32 7, v20
	s_cbranch_execz .LBB170_37
; %bb.34:
	v_max_f32_e32 v20, v21, v21
	v_max_f32_e32 v23, v22, v22
	v_cmp_u_f32_e64 s5, v22, v22
	v_min_f32_e32 v24, v23, v20
	v_max_f32_e32 v20, v23, v20
	v_cndmask_b32_e64 v23, v24, v22, s5
	v_cndmask_b32_e64 v20, v20, v22, s5
	v_cmp_u_f32_e64 s5, v21, v21
	v_cndmask_b32_e64 v23, v23, v21, s5
	v_cndmask_b32_e64 v20, v20, v21, s5
	v_cmp_class_f32_e64 s15, v23, 0x1f8
	v_cmp_neq_f32_e64 s5, v23, v20
	s_or_b32 s5, s5, s15
	s_and_saveexec_b32 s15, s5
	s_cbranch_execz .LBB170_36
; %bb.35:
	v_sub_f32_e32 v21, v23, v20
	v_mul_f32_e32 v22, 0x3fb8aa3b, v21
	v_cmp_ngt_f32_e64 s5, 0xc2ce8ed0, v21
	v_fma_f32 v23, 0x3fb8aa3b, v21, -v22
	v_rndne_f32_e32 v24, v22
	v_fmamk_f32 v23, v21, 0x32a5705f, v23
	v_sub_f32_e32 v22, v22, v24
	v_add_f32_e32 v22, v22, v23
	v_cvt_i32_f32_e32 v23, v24
	v_exp_f32_e32 v22, v22
	v_ldexp_f32 v22, v22, v23
	v_cndmask_b32_e64 v22, 0, v22, s5
	v_cmp_nlt_f32_e64 s5, 0x42b17218, v21
	v_cndmask_b32_e64 v23, 0x7f800000, v22, s5
	v_add_f32_e32 v24, 1.0, v23
	v_cvt_f64_f32_e32 v[21:22], v24
	v_frexp_exp_i32_f64_e32 v21, v[21:22]
	v_frexp_mant_f32_e32 v22, v24
	v_cmp_gt_f32_e64 s5, 0x3f2aaaab, v22
	v_add_f32_e32 v22, -1.0, v24
	v_sub_f32_e32 v26, v22, v24
	v_sub_f32_e32 v22, v23, v22
	v_add_f32_e32 v26, 1.0, v26
	v_add_f32_e32 v22, v22, v26
	v_subrev_co_ci_u32_e64 v21, null, 0, v21, s5
	s_mov_b32 s5, 0x3e9b6dac
	v_sub_nc_u32_e32 v25, 0, v21
	v_cvt_f32_i32_e32 v21, v21
	v_ldexp_f32 v24, v24, v25
	v_ldexp_f32 v22, v22, v25
	v_add_f32_e32 v27, 1.0, v24
	v_add_f32_e32 v25, -1.0, v24
	v_add_f32_e32 v26, -1.0, v27
	v_add_f32_e32 v28, 1.0, v25
	v_sub_f32_e32 v26, v24, v26
	v_sub_f32_e32 v24, v24, v28
	v_add_f32_e32 v26, v22, v26
	v_add_f32_e32 v22, v22, v24
	;; [unrolled: 1-line block ×4, first 2 shown]
	v_rcp_f32_e32 v24, v28
	v_sub_f32_e32 v27, v27, v28
	v_sub_f32_e32 v25, v25, v29
	v_add_f32_e32 v26, v26, v27
	v_add_f32_e32 v22, v22, v25
	v_mul_f32_e32 v30, v29, v24
	v_mul_f32_e32 v31, v28, v30
	v_fma_f32 v27, v30, v28, -v31
	v_fmac_f32_e32 v27, v30, v26
	v_add_f32_e32 v32, v31, v27
	v_sub_f32_e32 v33, v29, v32
	v_sub_f32_e32 v25, v32, v31
	;; [unrolled: 1-line block ×5, first 2 shown]
	v_add_f32_e32 v22, v22, v29
	v_add_f32_e32 v22, v25, v22
	;; [unrolled: 1-line block ×3, first 2 shown]
	v_mul_f32_e32 v27, v24, v25
	v_sub_f32_e32 v32, v33, v25
	v_mul_f32_e32 v29, v28, v27
	v_add_f32_e32 v22, v22, v32
	v_fma_f32 v28, v27, v28, -v29
	v_fmac_f32_e32 v28, v27, v26
	v_add_f32_e32 v26, v29, v28
	v_sub_f32_e32 v31, v25, v26
	v_sub_f32_e32 v29, v26, v29
	;; [unrolled: 1-line block ×5, first 2 shown]
	v_add_f32_e32 v22, v22, v25
	v_add_f32_e32 v25, v30, v27
	;; [unrolled: 1-line block ×3, first 2 shown]
	v_sub_f32_e32 v26, v25, v30
	v_add_f32_e32 v22, v31, v22
	v_sub_f32_e32 v26, v27, v26
	v_mul_f32_e32 v22, v24, v22
	v_add_f32_e32 v22, v26, v22
	v_add_f32_e32 v24, v25, v22
	v_mul_f32_e32 v26, v24, v24
	v_fmaak_f32 v27, s5, v26, 0x3ecc95a3
	v_mul_f32_e32 v28, v24, v26
	v_cmp_neq_f32_e64 s5, 0x7f800000, v23
	v_fmaak_f32 v26, v26, v27, 0x3f2aaada
	v_ldexp_f32 v27, v24, 1
	v_sub_f32_e32 v24, v24, v25
	v_mul_f32_e32 v26, v28, v26
	v_mul_f32_e32 v28, 0x3f317218, v21
	v_sub_f32_e32 v22, v22, v24
	v_add_f32_e32 v25, v27, v26
	v_ldexp_f32 v22, v22, 1
	v_sub_f32_e32 v24, v25, v27
	v_fma_f32 v27, 0x3f317218, v21, -v28
	v_sub_f32_e32 v24, v26, v24
	v_fmamk_f32 v21, v21, 0xb102e308, v27
	v_add_f32_e32 v22, v22, v24
	v_add_f32_e32 v24, v28, v21
	v_add_f32_e32 v26, v25, v22
	v_sub_f32_e32 v28, v24, v28
	v_add_f32_e32 v27, v24, v26
	v_sub_f32_e32 v25, v26, v25
	v_sub_f32_e32 v21, v21, v28
	;; [unrolled: 1-line block ×6, first 2 shown]
	v_add_f32_e32 v26, v21, v22
	v_sub_f32_e32 v24, v24, v30
	v_add_f32_e32 v24, v25, v24
	v_sub_f32_e32 v25, v26, v21
	;; [unrolled: 2-line block ×3, first 2 shown]
	v_sub_f32_e32 v22, v22, v25
	v_add_f32_e32 v28, v27, v24
	v_sub_f32_e32 v21, v21, v26
	v_sub_f32_e32 v25, v28, v27
	v_add_f32_e32 v21, v22, v21
	v_sub_f32_e32 v22, v24, v25
	v_add_f32_e32 v21, v21, v22
	v_add_f32_e32 v21, v28, v21
	v_cndmask_b32_e64 v21, 0x7f800000, v21, s5
	v_cmp_gt_f32_e64 s5, 0x33800000, |v23|
	v_cndmask_b32_e64 v21, v21, v23, s5
	v_add_f32_e32 v22, v20, v21
.LBB170_36:
	s_or_b32 exec_lo, exec_lo, s15
	v_mov_b32_e32 v21, v22
.LBB170_37:
	s_or_b32 exec_lo, exec_lo, s14
	ds_swizzle_b32 v22, v21 offset:swizzle(BROADCAST,32,15)
	v_and_b32_e32 v20, 16, v6
	s_mov_b32 s14, exec_lo
	v_cmpx_ne_u32_e32 0, v20
	s_cbranch_execz .LBB170_41
; %bb.38:
	v_max_f32_e32 v20, v21, v21
	s_waitcnt lgkmcnt(0)
	v_max_f32_e32 v23, v22, v22
	v_cmp_u_f32_e64 s5, v22, v22
	v_min_f32_e32 v24, v23, v20
	v_max_f32_e32 v20, v23, v20
	v_cndmask_b32_e64 v23, v24, v22, s5
	v_cndmask_b32_e64 v20, v20, v22, s5
	v_cmp_u_f32_e64 s5, v21, v21
	v_cndmask_b32_e64 v23, v23, v21, s5
	v_cndmask_b32_e64 v20, v20, v21, s5
	v_cmp_class_f32_e64 s15, v23, 0x1f8
	v_cmp_neq_f32_e64 s5, v23, v20
	s_or_b32 s5, s5, s15
	s_and_saveexec_b32 s15, s5
	s_cbranch_execz .LBB170_40
; %bb.39:
	v_sub_f32_e32 v21, v23, v20
	v_mul_f32_e32 v22, 0x3fb8aa3b, v21
	v_cmp_ngt_f32_e64 s5, 0xc2ce8ed0, v21
	v_fma_f32 v23, 0x3fb8aa3b, v21, -v22
	v_rndne_f32_e32 v24, v22
	v_fmamk_f32 v23, v21, 0x32a5705f, v23
	v_sub_f32_e32 v22, v22, v24
	v_add_f32_e32 v22, v22, v23
	v_cvt_i32_f32_e32 v23, v24
	v_exp_f32_e32 v22, v22
	v_ldexp_f32 v22, v22, v23
	v_cndmask_b32_e64 v22, 0, v22, s5
	v_cmp_nlt_f32_e64 s5, 0x42b17218, v21
	v_cndmask_b32_e64 v23, 0x7f800000, v22, s5
	v_add_f32_e32 v24, 1.0, v23
	v_cvt_f64_f32_e32 v[21:22], v24
	v_frexp_exp_i32_f64_e32 v21, v[21:22]
	v_frexp_mant_f32_e32 v22, v24
	v_cmp_gt_f32_e64 s5, 0x3f2aaaab, v22
	v_add_f32_e32 v22, -1.0, v24
	v_sub_f32_e32 v26, v22, v24
	v_sub_f32_e32 v22, v23, v22
	v_add_f32_e32 v26, 1.0, v26
	v_add_f32_e32 v22, v22, v26
	v_subrev_co_ci_u32_e64 v21, null, 0, v21, s5
	s_mov_b32 s5, 0x3e9b6dac
	v_sub_nc_u32_e32 v25, 0, v21
	v_cvt_f32_i32_e32 v21, v21
	v_ldexp_f32 v24, v24, v25
	v_ldexp_f32 v22, v22, v25
	v_add_f32_e32 v27, 1.0, v24
	v_add_f32_e32 v25, -1.0, v24
	v_add_f32_e32 v26, -1.0, v27
	v_add_f32_e32 v28, 1.0, v25
	v_sub_f32_e32 v26, v24, v26
	v_sub_f32_e32 v24, v24, v28
	v_add_f32_e32 v26, v22, v26
	v_add_f32_e32 v22, v22, v24
	;; [unrolled: 1-line block ×4, first 2 shown]
	v_rcp_f32_e32 v24, v28
	v_sub_f32_e32 v27, v27, v28
	v_sub_f32_e32 v25, v25, v29
	v_add_f32_e32 v26, v26, v27
	v_add_f32_e32 v22, v22, v25
	v_mul_f32_e32 v30, v29, v24
	v_mul_f32_e32 v31, v28, v30
	v_fma_f32 v27, v30, v28, -v31
	v_fmac_f32_e32 v27, v30, v26
	v_add_f32_e32 v32, v31, v27
	v_sub_f32_e32 v33, v29, v32
	v_sub_f32_e32 v25, v32, v31
	;; [unrolled: 1-line block ×5, first 2 shown]
	v_add_f32_e32 v22, v22, v29
	v_add_f32_e32 v22, v25, v22
	;; [unrolled: 1-line block ×3, first 2 shown]
	v_mul_f32_e32 v27, v24, v25
	v_sub_f32_e32 v32, v33, v25
	v_mul_f32_e32 v29, v28, v27
	v_add_f32_e32 v22, v22, v32
	v_fma_f32 v28, v27, v28, -v29
	v_fmac_f32_e32 v28, v27, v26
	v_add_f32_e32 v26, v29, v28
	v_sub_f32_e32 v31, v25, v26
	v_sub_f32_e32 v29, v26, v29
	;; [unrolled: 1-line block ×5, first 2 shown]
	v_add_f32_e32 v22, v22, v25
	v_add_f32_e32 v25, v30, v27
	;; [unrolled: 1-line block ×3, first 2 shown]
	v_sub_f32_e32 v26, v25, v30
	v_add_f32_e32 v22, v31, v22
	v_sub_f32_e32 v26, v27, v26
	v_mul_f32_e32 v22, v24, v22
	v_add_f32_e32 v22, v26, v22
	v_add_f32_e32 v24, v25, v22
	v_mul_f32_e32 v26, v24, v24
	v_fmaak_f32 v27, s5, v26, 0x3ecc95a3
	v_mul_f32_e32 v28, v24, v26
	v_cmp_neq_f32_e64 s5, 0x7f800000, v23
	v_fmaak_f32 v26, v26, v27, 0x3f2aaada
	v_ldexp_f32 v27, v24, 1
	v_sub_f32_e32 v24, v24, v25
	v_mul_f32_e32 v26, v28, v26
	v_mul_f32_e32 v28, 0x3f317218, v21
	v_sub_f32_e32 v22, v22, v24
	v_add_f32_e32 v25, v27, v26
	v_ldexp_f32 v22, v22, 1
	v_sub_f32_e32 v24, v25, v27
	v_fma_f32 v27, 0x3f317218, v21, -v28
	v_sub_f32_e32 v24, v26, v24
	v_fmamk_f32 v21, v21, 0xb102e308, v27
	v_add_f32_e32 v22, v22, v24
	v_add_f32_e32 v24, v28, v21
	v_add_f32_e32 v26, v25, v22
	v_sub_f32_e32 v28, v24, v28
	v_add_f32_e32 v27, v24, v26
	v_sub_f32_e32 v25, v26, v25
	v_sub_f32_e32 v21, v21, v28
	;; [unrolled: 1-line block ×6, first 2 shown]
	v_add_f32_e32 v26, v21, v22
	v_sub_f32_e32 v24, v24, v30
	v_add_f32_e32 v24, v25, v24
	v_sub_f32_e32 v25, v26, v21
	;; [unrolled: 2-line block ×3, first 2 shown]
	v_sub_f32_e32 v22, v22, v25
	v_add_f32_e32 v28, v27, v24
	v_sub_f32_e32 v21, v21, v26
	v_sub_f32_e32 v25, v28, v27
	v_add_f32_e32 v21, v22, v21
	v_sub_f32_e32 v22, v24, v25
	v_add_f32_e32 v21, v21, v22
	v_add_f32_e32 v21, v28, v21
	v_cndmask_b32_e64 v21, 0x7f800000, v21, s5
	v_cmp_gt_f32_e64 s5, 0x33800000, |v23|
	v_cndmask_b32_e64 v21, v21, v23, s5
	v_add_f32_e32 v22, v20, v21
.LBB170_40:
	s_or_b32 exec_lo, exec_lo, s15
	v_mov_b32_e32 v21, v22
.LBB170_41:
	s_or_b32 exec_lo, exec_lo, s14
	v_add_nc_u32_e32 v20, -1, v6
	v_cmp_gt_i32_e64 s5, 0, v20
	v_cndmask_b32_e64 v6, v20, v6, s5
	v_lshlrev_b32_e32 v6, 2, v6
	ds_bpermute_b32 v6, v6, v21
	s_waitcnt lgkmcnt(0)
	v_max_f32_e32 v20, v6, v6
	v_cmp_u_f32_e64 s5, v6, v6
	v_min_f32_e32 v21, v20, v19
	v_max_f32_e32 v19, v20, v19
	v_cndmask_b32_e64 v20, v21, v6, s5
	v_cndmask_b32_e64 v21, v19, v6, s5
	v_cndmask_b32_e64 v19, v20, v5, s4
	v_cndmask_b32_e64 v5, v21, v5, s4
	v_cmp_class_f32_e64 s5, v19, 0x1f8
	v_cmp_neq_f32_e64 s4, v19, v5
	s_or_b32 s4, s4, s5
	s_and_saveexec_b32 s5, s4
	s_cbranch_execz .LBB170_43
; %bb.42:
	v_sub_f32_e32 v6, v19, v5
	v_mul_f32_e32 v19, 0x3fb8aa3b, v6
	v_cmp_ngt_f32_e64 s4, 0xc2ce8ed0, v6
	v_fma_f32 v20, 0x3fb8aa3b, v6, -v19
	v_rndne_f32_e32 v21, v19
	v_fmamk_f32 v20, v6, 0x32a5705f, v20
	v_sub_f32_e32 v19, v19, v21
	v_add_f32_e32 v19, v19, v20
	v_cvt_i32_f32_e32 v20, v21
	v_exp_f32_e32 v19, v19
	v_ldexp_f32 v19, v19, v20
	v_cndmask_b32_e64 v19, 0, v19, s4
	v_cmp_nlt_f32_e64 s4, 0x42b17218, v6
	v_cndmask_b32_e64 v6, 0x7f800000, v19, s4
	v_add_f32_e32 v21, 1.0, v6
	v_cvt_f64_f32_e32 v[19:20], v21
	v_frexp_exp_i32_f64_e32 v19, v[19:20]
	v_frexp_mant_f32_e32 v20, v21
	v_cmp_gt_f32_e64 s4, 0x3f2aaaab, v20
	v_add_f32_e32 v20, -1.0, v21
	v_sub_f32_e32 v23, v20, v21
	v_sub_f32_e32 v20, v6, v20
	v_add_f32_e32 v23, 1.0, v23
	v_add_f32_e32 v20, v20, v23
	v_subrev_co_ci_u32_e64 v19, null, 0, v19, s4
	s_mov_b32 s4, 0x3e9b6dac
	v_sub_nc_u32_e32 v22, 0, v19
	v_cvt_f32_i32_e32 v19, v19
	v_ldexp_f32 v21, v21, v22
	v_ldexp_f32 v20, v20, v22
	v_add_f32_e32 v24, 1.0, v21
	v_add_f32_e32 v22, -1.0, v21
	v_add_f32_e32 v23, -1.0, v24
	v_add_f32_e32 v25, 1.0, v22
	v_sub_f32_e32 v23, v21, v23
	v_sub_f32_e32 v21, v21, v25
	v_add_f32_e32 v23, v20, v23
	v_add_f32_e32 v20, v20, v21
	;; [unrolled: 1-line block ×4, first 2 shown]
	v_rcp_f32_e32 v21, v25
	v_sub_f32_e32 v24, v24, v25
	v_sub_f32_e32 v22, v22, v26
	v_add_f32_e32 v23, v23, v24
	v_add_f32_e32 v20, v20, v22
	v_mul_f32_e32 v27, v26, v21
	v_mul_f32_e32 v28, v25, v27
	v_fma_f32 v24, v27, v25, -v28
	v_fmac_f32_e32 v24, v27, v23
	v_add_f32_e32 v29, v28, v24
	v_sub_f32_e32 v30, v26, v29
	v_sub_f32_e32 v22, v29, v28
	;; [unrolled: 1-line block ×5, first 2 shown]
	v_add_f32_e32 v20, v20, v26
	v_add_f32_e32 v20, v22, v20
	v_add_f32_e32 v22, v30, v20
	v_mul_f32_e32 v24, v21, v22
	v_sub_f32_e32 v29, v30, v22
	v_mul_f32_e32 v26, v25, v24
	v_add_f32_e32 v20, v20, v29
	v_fma_f32 v25, v24, v25, -v26
	v_fmac_f32_e32 v25, v24, v23
	v_add_f32_e32 v23, v26, v25
	v_sub_f32_e32 v28, v22, v23
	v_sub_f32_e32 v26, v23, v26
	;; [unrolled: 1-line block ×5, first 2 shown]
	v_add_f32_e32 v20, v20, v22
	v_add_f32_e32 v22, v27, v24
	v_add_f32_e32 v20, v23, v20
	v_sub_f32_e32 v23, v22, v27
	v_add_f32_e32 v20, v28, v20
	v_sub_f32_e32 v23, v24, v23
	v_mul_f32_e32 v20, v21, v20
	v_add_f32_e32 v20, v23, v20
	v_add_f32_e32 v21, v22, v20
	v_mul_f32_e32 v23, v21, v21
	v_fmaak_f32 v24, s4, v23, 0x3ecc95a3
	v_mul_f32_e32 v25, v21, v23
	v_cmp_neq_f32_e64 s4, 0x7f800000, v6
	v_fmaak_f32 v23, v23, v24, 0x3f2aaada
	v_ldexp_f32 v24, v21, 1
	v_sub_f32_e32 v21, v21, v22
	v_mul_f32_e32 v23, v25, v23
	v_mul_f32_e32 v25, 0x3f317218, v19
	v_sub_f32_e32 v20, v20, v21
	v_add_f32_e32 v22, v24, v23
	v_ldexp_f32 v20, v20, 1
	v_sub_f32_e32 v21, v22, v24
	v_fma_f32 v24, 0x3f317218, v19, -v25
	v_sub_f32_e32 v21, v23, v21
	v_fmamk_f32 v19, v19, 0xb102e308, v24
	v_add_f32_e32 v20, v20, v21
	v_add_f32_e32 v21, v25, v19
	;; [unrolled: 1-line block ×3, first 2 shown]
	v_sub_f32_e32 v25, v21, v25
	v_add_f32_e32 v24, v21, v23
	v_sub_f32_e32 v22, v23, v22
	v_sub_f32_e32 v19, v19, v25
	;; [unrolled: 1-line block ×6, first 2 shown]
	v_add_f32_e32 v23, v19, v20
	v_sub_f32_e32 v21, v21, v27
	v_add_f32_e32 v21, v22, v21
	v_sub_f32_e32 v22, v23, v19
	v_add_f32_e32 v21, v23, v21
	v_sub_f32_e32 v23, v23, v22
	v_sub_f32_e32 v20, v20, v22
	v_add_f32_e32 v25, v24, v21
	v_sub_f32_e32 v19, v19, v23
	v_sub_f32_e32 v22, v25, v24
	v_add_f32_e32 v19, v20, v19
	v_sub_f32_e32 v20, v21, v22
	v_add_f32_e32 v19, v19, v20
	v_add_f32_e32 v19, v25, v19
	v_cndmask_b32_e64 v19, 0x7f800000, v19, s4
	v_cmp_gt_f32_e64 s4, 0x33800000, |v6|
	v_cndmask_b32_e64 v6, v19, v6, s4
	v_add_f32_e32 v6, v5, v6
.LBB170_43:
	s_or_b32 exec_lo, exec_lo, s5
	v_cmp_eq_u32_e64 s4, 0, v0
	; wave barrier
	v_cndmask_b32_e64 v6, v6, v18, s4
	ds_write_b32 v17, v6
	; wave barrier
	ds_read_b32 v5, v17 offset:4
	v_max_f32_e32 v18, v6, v6
	v_cmp_u_f32_e64 s4, v6, v6
	s_waitcnt lgkmcnt(0)
	v_max_f32_e32 v19, v5, v5
	v_min_f32_e32 v20, v18, v19
	v_max_f32_e32 v18, v18, v19
	v_cndmask_b32_e64 v19, v20, v6, s4
	v_cndmask_b32_e64 v20, v18, v6, s4
	v_cmp_u_f32_e64 s4, v5, v5
	v_cndmask_b32_e64 v18, v19, v5, s4
	v_cndmask_b32_e64 v5, v20, v5, s4
	v_cmp_class_f32_e64 s5, v18, 0x1f8
	v_cmp_neq_f32_e64 s4, v18, v5
	s_or_b32 s4, s4, s5
	s_and_saveexec_b32 s5, s4
	s_cbranch_execz .LBB170_45
; %bb.44:
	v_sub_f32_e32 v6, v18, v5
	v_mul_f32_e32 v18, 0x3fb8aa3b, v6
	v_cmp_ngt_f32_e64 s4, 0xc2ce8ed0, v6
	v_fma_f32 v19, 0x3fb8aa3b, v6, -v18
	v_rndne_f32_e32 v20, v18
	v_fmamk_f32 v19, v6, 0x32a5705f, v19
	v_sub_f32_e32 v18, v18, v20
	v_add_f32_e32 v18, v18, v19
	v_cvt_i32_f32_e32 v19, v20
	v_exp_f32_e32 v18, v18
	v_ldexp_f32 v18, v18, v19
	v_cndmask_b32_e64 v18, 0, v18, s4
	v_cmp_nlt_f32_e64 s4, 0x42b17218, v6
	v_cndmask_b32_e64 v6, 0x7f800000, v18, s4
	v_add_f32_e32 v20, 1.0, v6
	v_cvt_f64_f32_e32 v[18:19], v20
	v_frexp_exp_i32_f64_e32 v18, v[18:19]
	v_frexp_mant_f32_e32 v19, v20
	v_cmp_gt_f32_e64 s4, 0x3f2aaaab, v19
	v_add_f32_e32 v19, -1.0, v20
	v_sub_f32_e32 v22, v19, v20
	v_sub_f32_e32 v19, v6, v19
	v_add_f32_e32 v22, 1.0, v22
	v_add_f32_e32 v19, v19, v22
	v_subrev_co_ci_u32_e64 v18, null, 0, v18, s4
	s_mov_b32 s4, 0x3e9b6dac
	v_sub_nc_u32_e32 v21, 0, v18
	v_cvt_f32_i32_e32 v18, v18
	v_ldexp_f32 v20, v20, v21
	v_ldexp_f32 v19, v19, v21
	v_add_f32_e32 v23, 1.0, v20
	v_add_f32_e32 v21, -1.0, v20
	v_add_f32_e32 v22, -1.0, v23
	v_add_f32_e32 v24, 1.0, v21
	v_sub_f32_e32 v22, v20, v22
	v_sub_f32_e32 v20, v20, v24
	v_add_f32_e32 v22, v19, v22
	v_add_f32_e32 v19, v19, v20
	;; [unrolled: 1-line block ×4, first 2 shown]
	v_rcp_f32_e32 v20, v24
	v_sub_f32_e32 v23, v23, v24
	v_sub_f32_e32 v21, v21, v25
	v_add_f32_e32 v22, v22, v23
	v_add_f32_e32 v19, v19, v21
	v_mul_f32_e32 v26, v25, v20
	v_mul_f32_e32 v27, v24, v26
	v_fma_f32 v23, v26, v24, -v27
	v_fmac_f32_e32 v23, v26, v22
	v_add_f32_e32 v28, v27, v23
	v_sub_f32_e32 v29, v25, v28
	v_sub_f32_e32 v21, v28, v27
	;; [unrolled: 1-line block ×5, first 2 shown]
	v_add_f32_e32 v19, v19, v25
	v_add_f32_e32 v19, v21, v19
	;; [unrolled: 1-line block ×3, first 2 shown]
	v_mul_f32_e32 v23, v20, v21
	v_sub_f32_e32 v28, v29, v21
	v_mul_f32_e32 v25, v24, v23
	v_add_f32_e32 v19, v19, v28
	v_fma_f32 v24, v23, v24, -v25
	v_fmac_f32_e32 v24, v23, v22
	v_add_f32_e32 v22, v25, v24
	v_sub_f32_e32 v27, v21, v22
	v_sub_f32_e32 v25, v22, v25
	;; [unrolled: 1-line block ×5, first 2 shown]
	v_add_f32_e32 v19, v19, v21
	v_add_f32_e32 v21, v26, v23
	;; [unrolled: 1-line block ×3, first 2 shown]
	v_sub_f32_e32 v22, v21, v26
	v_add_f32_e32 v19, v27, v19
	v_sub_f32_e32 v22, v23, v22
	v_mul_f32_e32 v19, v20, v19
	v_add_f32_e32 v19, v22, v19
	v_add_f32_e32 v20, v21, v19
	v_mul_f32_e32 v22, v20, v20
	v_fmaak_f32 v23, s4, v22, 0x3ecc95a3
	v_mul_f32_e32 v24, v20, v22
	v_cmp_neq_f32_e64 s4, 0x7f800000, v6
	v_fmaak_f32 v22, v22, v23, 0x3f2aaada
	v_ldexp_f32 v23, v20, 1
	v_sub_f32_e32 v20, v20, v21
	v_mul_f32_e32 v22, v24, v22
	v_mul_f32_e32 v24, 0x3f317218, v18
	v_sub_f32_e32 v19, v19, v20
	v_add_f32_e32 v21, v23, v22
	v_ldexp_f32 v19, v19, 1
	v_sub_f32_e32 v20, v21, v23
	v_fma_f32 v23, 0x3f317218, v18, -v24
	v_sub_f32_e32 v20, v22, v20
	v_fmamk_f32 v18, v18, 0xb102e308, v23
	v_add_f32_e32 v19, v19, v20
	v_add_f32_e32 v20, v24, v18
	;; [unrolled: 1-line block ×3, first 2 shown]
	v_sub_f32_e32 v24, v20, v24
	v_add_f32_e32 v23, v20, v22
	v_sub_f32_e32 v21, v22, v21
	v_sub_f32_e32 v18, v18, v24
	;; [unrolled: 1-line block ×6, first 2 shown]
	v_add_f32_e32 v22, v18, v19
	v_sub_f32_e32 v20, v20, v26
	v_add_f32_e32 v20, v21, v20
	v_sub_f32_e32 v21, v22, v18
	;; [unrolled: 2-line block ×3, first 2 shown]
	v_sub_f32_e32 v19, v19, v21
	v_add_f32_e32 v24, v23, v20
	v_sub_f32_e32 v18, v18, v22
	v_sub_f32_e32 v21, v24, v23
	v_add_f32_e32 v18, v19, v18
	v_sub_f32_e32 v19, v20, v21
	v_add_f32_e32 v18, v18, v19
	v_add_f32_e32 v18, v24, v18
	v_cndmask_b32_e64 v18, 0x7f800000, v18, s4
	v_cmp_gt_f32_e64 s4, 0x33800000, |v6|
	v_cndmask_b32_e64 v6, v18, v6, s4
	v_add_f32_e32 v6, v5, v6
.LBB170_45:
	s_or_b32 exec_lo, exec_lo, s5
	ds_write_b32 v17, v6 offset:4
.LBB170_46:
	s_or_b32 exec_lo, exec_lo, s11
	s_mov_b32 s5, exec_lo
	s_waitcnt lgkmcnt(0)
	s_barrier
	buffer_gl0_inv
	v_cmpx_ne_u32_e32 0, v0
	s_cbranch_execz .LBB170_50
; %bb.47:
	v_add_nc_u32_e32 v5, -1, v0
	v_lshrrev_b32_e32 v6, 3, v5
	v_and_b32_e32 v6, 0x1ffffffc, v6
	v_lshl_add_u32 v5, v5, 2, v6
	ds_read_b32 v5, v5
	s_waitcnt lgkmcnt(0)
	v_max_f32_e32 v6, v5, v5
	v_cmp_u_f32_e64 s4, v5, v5
	v_min_f32_e32 v14, v6, v15
	v_max_f32_e32 v6, v6, v15
	v_cndmask_b32_e64 v14, v14, v5, s4
	v_cndmask_b32_e64 v15, v6, v5, s4
	;; [unrolled: 1-line block ×4, first 2 shown]
	v_cmp_class_f32_e64 s10, v6, 0x1f8
	v_cmp_neq_f32_e64 s4, v6, v1
	s_or_b32 s4, s4, s10
	s_and_saveexec_b32 s10, s4
	s_cbranch_execz .LBB170_49
; %bb.48:
	v_sub_f32_e32 v5, v6, v1
	v_mul_f32_e32 v6, 0x3fb8aa3b, v5
	v_cmp_ngt_f32_e64 s4, 0xc2ce8ed0, v5
	v_fma_f32 v14, 0x3fb8aa3b, v5, -v6
	v_rndne_f32_e32 v15, v6
	v_fmamk_f32 v14, v5, 0x32a5705f, v14
	v_sub_f32_e32 v6, v6, v15
	v_add_f32_e32 v6, v6, v14
	v_cvt_i32_f32_e32 v14, v15
	v_exp_f32_e32 v6, v6
	v_ldexp_f32 v6, v6, v14
	v_cndmask_b32_e64 v6, 0, v6, s4
	v_cmp_nlt_f32_e64 s4, 0x42b17218, v5
	v_cndmask_b32_e64 v14, 0x7f800000, v6, s4
	v_add_f32_e32 v15, 1.0, v14
	v_cvt_f64_f32_e32 v[5:6], v15
	v_frexp_exp_i32_f64_e32 v5, v[5:6]
	v_frexp_mant_f32_e32 v6, v15
	v_cmp_gt_f32_e64 s4, 0x3f2aaaab, v6
	v_add_f32_e32 v6, -1.0, v15
	v_sub_f32_e32 v17, v6, v15
	v_sub_f32_e32 v6, v14, v6
	v_add_f32_e32 v17, 1.0, v17
	v_add_f32_e32 v6, v6, v17
	v_subrev_co_ci_u32_e64 v5, null, 0, v5, s4
	s_mov_b32 s4, 0x3e9b6dac
	v_sub_nc_u32_e32 v16, 0, v5
	v_cvt_f32_i32_e32 v5, v5
	v_ldexp_f32 v15, v15, v16
	v_ldexp_f32 v6, v6, v16
	v_add_f32_e32 v18, 1.0, v15
	v_add_f32_e32 v16, -1.0, v15
	v_add_f32_e32 v17, -1.0, v18
	v_add_f32_e32 v19, 1.0, v16
	v_sub_f32_e32 v17, v15, v17
	v_sub_f32_e32 v15, v15, v19
	v_add_f32_e32 v17, v6, v17
	v_add_f32_e32 v6, v6, v15
	;; [unrolled: 1-line block ×4, first 2 shown]
	v_rcp_f32_e32 v15, v19
	v_sub_f32_e32 v18, v18, v19
	v_sub_f32_e32 v16, v16, v20
	v_add_f32_e32 v17, v17, v18
	v_add_f32_e32 v6, v6, v16
	v_mul_f32_e32 v21, v20, v15
	v_mul_f32_e32 v22, v19, v21
	v_fma_f32 v18, v21, v19, -v22
	v_fmac_f32_e32 v18, v21, v17
	v_add_f32_e32 v23, v22, v18
	v_sub_f32_e32 v24, v20, v23
	v_sub_f32_e32 v16, v23, v22
	;; [unrolled: 1-line block ×5, first 2 shown]
	v_add_f32_e32 v6, v6, v20
	v_add_f32_e32 v6, v16, v6
	;; [unrolled: 1-line block ×3, first 2 shown]
	v_mul_f32_e32 v18, v15, v16
	v_sub_f32_e32 v23, v24, v16
	v_mul_f32_e32 v20, v19, v18
	v_add_f32_e32 v6, v6, v23
	v_fma_f32 v19, v18, v19, -v20
	v_fmac_f32_e32 v19, v18, v17
	v_add_f32_e32 v17, v20, v19
	v_sub_f32_e32 v22, v16, v17
	v_sub_f32_e32 v20, v17, v20
	;; [unrolled: 1-line block ×5, first 2 shown]
	v_add_f32_e32 v6, v6, v16
	v_add_f32_e32 v16, v21, v18
	;; [unrolled: 1-line block ×3, first 2 shown]
	v_sub_f32_e32 v17, v16, v21
	v_add_f32_e32 v6, v22, v6
	v_sub_f32_e32 v17, v18, v17
	v_mul_f32_e32 v6, v15, v6
	v_add_f32_e32 v6, v17, v6
	v_add_f32_e32 v15, v16, v6
	v_mul_f32_e32 v17, v15, v15
	v_fmaak_f32 v18, s4, v17, 0x3ecc95a3
	v_mul_f32_e32 v19, v15, v17
	v_cmp_neq_f32_e64 s4, 0x7f800000, v14
	v_fmaak_f32 v17, v17, v18, 0x3f2aaada
	v_ldexp_f32 v18, v15, 1
	v_sub_f32_e32 v15, v15, v16
	v_mul_f32_e32 v17, v19, v17
	v_mul_f32_e32 v19, 0x3f317218, v5
	v_sub_f32_e32 v6, v6, v15
	v_add_f32_e32 v16, v18, v17
	v_ldexp_f32 v6, v6, 1
	v_sub_f32_e32 v15, v16, v18
	v_fma_f32 v18, 0x3f317218, v5, -v19
	v_sub_f32_e32 v15, v17, v15
	v_fmamk_f32 v5, v5, 0xb102e308, v18
	v_add_f32_e32 v6, v6, v15
	v_add_f32_e32 v15, v19, v5
	;; [unrolled: 1-line block ×3, first 2 shown]
	v_sub_f32_e32 v19, v15, v19
	v_add_f32_e32 v18, v15, v17
	v_sub_f32_e32 v16, v17, v16
	v_sub_f32_e32 v5, v5, v19
	v_sub_f32_e32 v20, v18, v15
	v_sub_f32_e32 v6, v6, v16
	v_sub_f32_e32 v21, v18, v20
	v_sub_f32_e32 v16, v17, v20
	v_add_f32_e32 v17, v5, v6
	v_sub_f32_e32 v15, v15, v21
	v_add_f32_e32 v15, v16, v15
	v_sub_f32_e32 v16, v17, v5
	;; [unrolled: 2-line block ×3, first 2 shown]
	v_sub_f32_e32 v6, v6, v16
	v_add_f32_e32 v19, v18, v15
	v_sub_f32_e32 v5, v5, v17
	v_sub_f32_e32 v16, v19, v18
	v_add_f32_e32 v5, v6, v5
	v_sub_f32_e32 v6, v15, v16
	v_add_f32_e32 v5, v5, v6
	v_add_f32_e32 v5, v19, v5
	v_cndmask_b32_e64 v5, 0x7f800000, v5, s4
	v_cmp_gt_f32_e64 s4, 0x33800000, |v14|
	v_cndmask_b32_e64 v5, v5, v14, s4
	v_add_f32_e32 v5, v1, v5
.LBB170_49:
	s_or_b32 exec_lo, exec_lo, s10
	v_max_f32_e32 v1, v5, v5
	;;#ASMSTART
	;;#ASMEND
	v_min_f32_e32 v14, v1, v13
	v_max_f32_e32 v16, v1, v13
	v_mov_b32_e32 v1, v5
.LBB170_50:
	s_or_b32 exec_lo, exec_lo, s5
	v_cmp_u_f32_e64 s4, v1, v1
	v_cndmask_b32_e64 v5, v14, v1, s4
	v_cndmask_b32_e64 v13, v16, v1, s4
	;; [unrolled: 1-line block ×4, first 2 shown]
	v_mov_b32_e32 v2, v1
	v_cmp_class_f32_e64 s5, v6, 0x1f8
	v_cmp_neq_f32_e64 s4, v6, v5
	s_or_b32 s4, s4, s5
	s_and_saveexec_b32 s5, s4
	s_cbranch_execz .LBB170_52
; %bb.51:
	v_sub_f32_e32 v2, v6, v5
	v_mul_f32_e32 v6, 0x3fb8aa3b, v2
	v_cmp_ngt_f32_e64 s4, 0xc2ce8ed0, v2
	v_fma_f32 v13, 0x3fb8aa3b, v2, -v6
	v_rndne_f32_e32 v14, v6
	v_fmamk_f32 v13, v2, 0x32a5705f, v13
	v_sub_f32_e32 v6, v6, v14
	v_add_f32_e32 v6, v6, v13
	v_cvt_i32_f32_e32 v13, v14
	v_exp_f32_e32 v6, v6
	v_ldexp_f32 v6, v6, v13
	v_cndmask_b32_e64 v6, 0, v6, s4
	v_cmp_nlt_f32_e64 s4, 0x42b17218, v2
	v_cndmask_b32_e64 v2, 0x7f800000, v6, s4
	v_add_f32_e32 v6, 1.0, v2
	v_cvt_f64_f32_e32 v[13:14], v6
	v_frexp_exp_i32_f64_e32 v13, v[13:14]
	v_frexp_mant_f32_e32 v14, v6
	v_cmp_gt_f32_e64 s4, 0x3f2aaaab, v14
	v_add_f32_e32 v14, -1.0, v6
	v_sub_f32_e32 v16, v14, v6
	v_sub_f32_e32 v14, v2, v14
	v_add_f32_e32 v16, 1.0, v16
	v_add_f32_e32 v14, v14, v16
	v_subrev_co_ci_u32_e64 v13, null, 0, v13, s4
	s_mov_b32 s4, 0x3e9b6dac
	v_sub_nc_u32_e32 v15, 0, v13
	v_cvt_f32_i32_e32 v13, v13
	v_ldexp_f32 v6, v6, v15
	v_ldexp_f32 v14, v14, v15
	v_add_f32_e32 v17, 1.0, v6
	v_add_f32_e32 v15, -1.0, v6
	v_add_f32_e32 v16, -1.0, v17
	v_add_f32_e32 v18, 1.0, v15
	v_sub_f32_e32 v16, v6, v16
	v_sub_f32_e32 v6, v6, v18
	v_add_f32_e32 v16, v14, v16
	v_add_f32_e32 v6, v14, v6
	v_add_f32_e32 v18, v17, v16
	v_add_f32_e32 v19, v15, v6
	v_rcp_f32_e32 v14, v18
	v_sub_f32_e32 v17, v17, v18
	v_sub_f32_e32 v15, v15, v19
	v_add_f32_e32 v16, v16, v17
	v_add_f32_e32 v6, v6, v15
	v_mul_f32_e32 v20, v19, v14
	v_mul_f32_e32 v21, v18, v20
	v_fma_f32 v17, v20, v18, -v21
	v_fmac_f32_e32 v17, v20, v16
	v_add_f32_e32 v22, v21, v17
	v_sub_f32_e32 v23, v19, v22
	v_sub_f32_e32 v15, v22, v21
	;; [unrolled: 1-line block ×5, first 2 shown]
	v_add_f32_e32 v6, v6, v19
	v_add_f32_e32 v6, v15, v6
	v_add_f32_e32 v15, v23, v6
	v_mul_f32_e32 v17, v14, v15
	v_sub_f32_e32 v22, v23, v15
	v_mul_f32_e32 v19, v18, v17
	v_add_f32_e32 v6, v6, v22
	v_fma_f32 v18, v17, v18, -v19
	v_fmac_f32_e32 v18, v17, v16
	v_add_f32_e32 v16, v19, v18
	v_sub_f32_e32 v21, v15, v16
	v_sub_f32_e32 v19, v16, v19
	;; [unrolled: 1-line block ×5, first 2 shown]
	v_add_f32_e32 v6, v6, v15
	v_add_f32_e32 v15, v20, v17
	;; [unrolled: 1-line block ×3, first 2 shown]
	v_sub_f32_e32 v16, v15, v20
	v_add_f32_e32 v6, v21, v6
	v_sub_f32_e32 v16, v17, v16
	v_mul_f32_e32 v6, v14, v6
	v_add_f32_e32 v6, v16, v6
	v_add_f32_e32 v14, v15, v6
	v_mul_f32_e32 v16, v14, v14
	v_fmaak_f32 v17, s4, v16, 0x3ecc95a3
	v_mul_f32_e32 v18, v14, v16
	v_cmp_neq_f32_e64 s4, 0x7f800000, v2
	v_fmaak_f32 v16, v16, v17, 0x3f2aaada
	v_ldexp_f32 v17, v14, 1
	v_sub_f32_e32 v14, v14, v15
	v_mul_f32_e32 v16, v18, v16
	v_mul_f32_e32 v18, 0x3f317218, v13
	v_sub_f32_e32 v6, v6, v14
	v_add_f32_e32 v15, v17, v16
	v_ldexp_f32 v6, v6, 1
	v_sub_f32_e32 v14, v15, v17
	v_fma_f32 v17, 0x3f317218, v13, -v18
	v_sub_f32_e32 v14, v16, v14
	v_fmamk_f32 v13, v13, 0xb102e308, v17
	v_add_f32_e32 v6, v6, v14
	v_add_f32_e32 v14, v18, v13
	;; [unrolled: 1-line block ×3, first 2 shown]
	v_sub_f32_e32 v18, v14, v18
	v_add_f32_e32 v17, v14, v16
	v_sub_f32_e32 v15, v16, v15
	v_sub_f32_e32 v13, v13, v18
	;; [unrolled: 1-line block ×6, first 2 shown]
	v_add_f32_e32 v16, v13, v6
	v_sub_f32_e32 v14, v14, v20
	v_add_f32_e32 v14, v15, v14
	v_sub_f32_e32 v15, v16, v13
	;; [unrolled: 2-line block ×3, first 2 shown]
	v_sub_f32_e32 v6, v6, v15
	v_add_f32_e32 v18, v17, v14
	v_sub_f32_e32 v13, v13, v16
	v_sub_f32_e32 v15, v18, v17
	v_add_f32_e32 v6, v6, v13
	v_sub_f32_e32 v13, v14, v15
	v_add_f32_e32 v6, v6, v13
	v_add_f32_e32 v6, v18, v6
	v_cndmask_b32_e64 v6, 0x7f800000, v6, s4
	v_cmp_gt_f32_e64 s4, 0x33800000, |v2|
	v_cndmask_b32_e64 v2, v6, v2, s4
	v_add_f32_e32 v2, v5, v2
.LBB170_52:
	s_or_b32 exec_lo, exec_lo, s5
	v_max_f32_e32 v5, v2, v2
	v_cmp_u_f32_e64 s4, v2, v2
	v_min_f32_e32 v6, v5, v10
	v_max_f32_e32 v5, v5, v10
	v_cndmask_b32_e64 v6, v6, v2, s4
	v_cndmask_b32_e64 v5, v5, v2, s4
	;; [unrolled: 1-line block ×4, first 2 shown]
	v_mov_b32_e32 v3, v2
	v_cmp_class_f32_e64 s5, v6, 0x1f8
	v_cmp_neq_f32_e64 s4, v6, v5
	s_or_b32 s4, s4, s5
	s_and_saveexec_b32 s5, s4
	s_cbranch_execz .LBB170_54
; %bb.53:
	v_sub_f32_e32 v3, v6, v5
	v_mul_f32_e32 v6, 0x3fb8aa3b, v3
	v_cmp_ngt_f32_e64 s4, 0xc2ce8ed0, v3
	v_fma_f32 v10, 0x3fb8aa3b, v3, -v6
	v_rndne_f32_e32 v13, v6
	v_fmamk_f32 v10, v3, 0x32a5705f, v10
	v_sub_f32_e32 v6, v6, v13
	v_add_f32_e32 v6, v6, v10
	v_cvt_i32_f32_e32 v10, v13
	v_exp_f32_e32 v6, v6
	v_ldexp_f32 v6, v6, v10
	v_cndmask_b32_e64 v6, 0, v6, s4
	v_cmp_nlt_f32_e64 s4, 0x42b17218, v3
	v_cndmask_b32_e64 v3, 0x7f800000, v6, s4
	v_add_f32_e32 v6, 1.0, v3
	v_cvt_f64_f32_e32 v[13:14], v6
	v_frexp_exp_i32_f64_e32 v10, v[13:14]
	v_frexp_mant_f32_e32 v13, v6
	v_cmp_gt_f32_e64 s4, 0x3f2aaaab, v13
	v_add_f32_e32 v13, -1.0, v6
	v_sub_f32_e32 v15, v13, v6
	v_sub_f32_e32 v13, v3, v13
	v_add_f32_e32 v15, 1.0, v15
	v_add_f32_e32 v13, v13, v15
	v_subrev_co_ci_u32_e64 v10, null, 0, v10, s4
	s_mov_b32 s4, 0x3e9b6dac
	v_sub_nc_u32_e32 v14, 0, v10
	v_cvt_f32_i32_e32 v10, v10
	v_ldexp_f32 v6, v6, v14
	v_ldexp_f32 v13, v13, v14
	v_add_f32_e32 v16, 1.0, v6
	v_add_f32_e32 v14, -1.0, v6
	v_add_f32_e32 v15, -1.0, v16
	v_add_f32_e32 v17, 1.0, v14
	v_sub_f32_e32 v15, v6, v15
	v_sub_f32_e32 v6, v6, v17
	v_add_f32_e32 v15, v13, v15
	v_add_f32_e32 v6, v13, v6
	;; [unrolled: 1-line block ×4, first 2 shown]
	v_rcp_f32_e32 v13, v17
	v_sub_f32_e32 v16, v16, v17
	v_sub_f32_e32 v14, v14, v18
	v_add_f32_e32 v15, v15, v16
	v_add_f32_e32 v6, v6, v14
	v_mul_f32_e32 v19, v18, v13
	v_mul_f32_e32 v20, v17, v19
	v_fma_f32 v16, v19, v17, -v20
	v_fmac_f32_e32 v16, v19, v15
	v_add_f32_e32 v21, v20, v16
	v_sub_f32_e32 v22, v18, v21
	v_sub_f32_e32 v14, v21, v20
	;; [unrolled: 1-line block ×5, first 2 shown]
	v_add_f32_e32 v6, v6, v18
	v_add_f32_e32 v6, v14, v6
	;; [unrolled: 1-line block ×3, first 2 shown]
	v_mul_f32_e32 v16, v13, v14
	v_sub_f32_e32 v21, v22, v14
	v_mul_f32_e32 v18, v17, v16
	v_add_f32_e32 v6, v6, v21
	v_fma_f32 v17, v16, v17, -v18
	v_fmac_f32_e32 v17, v16, v15
	v_add_f32_e32 v15, v18, v17
	v_sub_f32_e32 v20, v14, v15
	v_sub_f32_e32 v18, v15, v18
	;; [unrolled: 1-line block ×5, first 2 shown]
	v_add_f32_e32 v6, v6, v14
	v_add_f32_e32 v14, v19, v16
	;; [unrolled: 1-line block ×3, first 2 shown]
	v_sub_f32_e32 v15, v14, v19
	v_add_f32_e32 v6, v20, v6
	v_sub_f32_e32 v15, v16, v15
	v_mul_f32_e32 v6, v13, v6
	v_add_f32_e32 v6, v15, v6
	v_add_f32_e32 v13, v14, v6
	v_mul_f32_e32 v15, v13, v13
	v_fmaak_f32 v16, s4, v15, 0x3ecc95a3
	v_mul_f32_e32 v17, v13, v15
	v_cmp_neq_f32_e64 s4, 0x7f800000, v3
	v_fmaak_f32 v15, v15, v16, 0x3f2aaada
	v_ldexp_f32 v16, v13, 1
	v_sub_f32_e32 v13, v13, v14
	v_mul_f32_e32 v15, v17, v15
	v_mul_f32_e32 v17, 0x3f317218, v10
	v_sub_f32_e32 v6, v6, v13
	v_add_f32_e32 v14, v16, v15
	v_ldexp_f32 v6, v6, 1
	v_sub_f32_e32 v13, v14, v16
	v_fma_f32 v16, 0x3f317218, v10, -v17
	v_sub_f32_e32 v13, v15, v13
	v_fmamk_f32 v10, v10, 0xb102e308, v16
	v_add_f32_e32 v6, v6, v13
	v_add_f32_e32 v13, v17, v10
	;; [unrolled: 1-line block ×3, first 2 shown]
	v_sub_f32_e32 v17, v13, v17
	v_add_f32_e32 v16, v13, v15
	v_sub_f32_e32 v14, v15, v14
	v_sub_f32_e32 v10, v10, v17
	;; [unrolled: 1-line block ×6, first 2 shown]
	v_add_f32_e32 v15, v10, v6
	v_sub_f32_e32 v13, v13, v19
	v_add_f32_e32 v13, v14, v13
	v_sub_f32_e32 v14, v15, v10
	;; [unrolled: 2-line block ×3, first 2 shown]
	v_sub_f32_e32 v6, v6, v14
	v_add_f32_e32 v17, v16, v13
	v_sub_f32_e32 v10, v10, v15
	v_sub_f32_e32 v14, v17, v16
	v_add_f32_e32 v6, v6, v10
	v_sub_f32_e32 v10, v13, v14
	v_add_f32_e32 v6, v6, v10
	v_add_f32_e32 v6, v17, v6
	v_cndmask_b32_e64 v6, 0x7f800000, v6, s4
	v_cmp_gt_f32_e64 s4, 0x33800000, |v3|
	v_cndmask_b32_e64 v3, v6, v3, s4
	v_add_f32_e32 v3, v5, v3
.LBB170_54:
	s_or_b32 exec_lo, exec_lo, s5
	v_max_f32_e32 v5, v3, v3
	v_cmp_u_f32_e64 s4, v3, v3
	v_min_f32_e32 v6, v5, v11
	v_max_f32_e32 v5, v5, v11
	v_cndmask_b32_e64 v6, v6, v3, s4
	v_cndmask_b32_e64 v5, v5, v3, s4
	;; [unrolled: 1-line block ×4, first 2 shown]
	v_mov_b32_e32 v4, v3
	v_cmp_class_f32_e64 s5, v6, 0x1f8
	v_cmp_neq_f32_e64 s4, v6, v5
	s_or_b32 s4, s4, s5
	s_and_saveexec_b32 s5, s4
	s_cbranch_execz .LBB170_56
; %bb.55:
	v_sub_f32_e32 v4, v6, v5
	v_mul_f32_e32 v6, 0x3fb8aa3b, v4
	v_cmp_ngt_f32_e64 s4, 0xc2ce8ed0, v4
	v_fma_f32 v10, 0x3fb8aa3b, v4, -v6
	v_rndne_f32_e32 v11, v6
	v_fmamk_f32 v10, v4, 0x32a5705f, v10
	v_sub_f32_e32 v6, v6, v11
	v_add_f32_e32 v6, v6, v10
	v_cvt_i32_f32_e32 v10, v11
	v_exp_f32_e32 v6, v6
	v_ldexp_f32 v6, v6, v10
	v_cndmask_b32_e64 v6, 0, v6, s4
	v_cmp_nlt_f32_e64 s4, 0x42b17218, v4
	v_cndmask_b32_e64 v4, 0x7f800000, v6, s4
	v_add_f32_e32 v6, 1.0, v4
	v_cvt_f64_f32_e32 v[10:11], v6
	v_frexp_exp_i32_f64_e32 v10, v[10:11]
	v_frexp_mant_f32_e32 v11, v6
	v_cmp_gt_f32_e64 s4, 0x3f2aaaab, v11
	v_add_f32_e32 v11, -1.0, v6
	v_sub_f32_e32 v14, v11, v6
	v_sub_f32_e32 v11, v4, v11
	v_add_f32_e32 v14, 1.0, v14
	v_add_f32_e32 v11, v11, v14
	v_subrev_co_ci_u32_e64 v10, null, 0, v10, s4
	s_mov_b32 s4, 0x3e9b6dac
	v_sub_nc_u32_e32 v13, 0, v10
	v_cvt_f32_i32_e32 v10, v10
	v_ldexp_f32 v6, v6, v13
	v_ldexp_f32 v11, v11, v13
	v_add_f32_e32 v15, 1.0, v6
	v_add_f32_e32 v13, -1.0, v6
	v_add_f32_e32 v14, -1.0, v15
	v_add_f32_e32 v16, 1.0, v13
	v_sub_f32_e32 v14, v6, v14
	v_sub_f32_e32 v6, v6, v16
	v_add_f32_e32 v14, v11, v14
	v_add_f32_e32 v6, v11, v6
	;; [unrolled: 1-line block ×4, first 2 shown]
	v_rcp_f32_e32 v11, v16
	v_sub_f32_e32 v15, v15, v16
	v_sub_f32_e32 v13, v13, v17
	v_add_f32_e32 v14, v14, v15
	v_add_f32_e32 v6, v6, v13
	v_mul_f32_e32 v18, v17, v11
	v_mul_f32_e32 v19, v16, v18
	v_fma_f32 v15, v18, v16, -v19
	v_fmac_f32_e32 v15, v18, v14
	v_add_f32_e32 v20, v19, v15
	v_sub_f32_e32 v21, v17, v20
	v_sub_f32_e32 v13, v20, v19
	;; [unrolled: 1-line block ×5, first 2 shown]
	v_add_f32_e32 v6, v6, v17
	v_add_f32_e32 v6, v13, v6
	v_add_f32_e32 v13, v21, v6
	v_mul_f32_e32 v15, v11, v13
	v_sub_f32_e32 v20, v21, v13
	v_mul_f32_e32 v17, v16, v15
	v_add_f32_e32 v6, v6, v20
	v_fma_f32 v16, v15, v16, -v17
	v_fmac_f32_e32 v16, v15, v14
	v_add_f32_e32 v14, v17, v16
	v_sub_f32_e32 v19, v13, v14
	v_sub_f32_e32 v17, v14, v17
	;; [unrolled: 1-line block ×5, first 2 shown]
	v_add_f32_e32 v6, v6, v13
	v_add_f32_e32 v13, v18, v15
	;; [unrolled: 1-line block ×3, first 2 shown]
	v_sub_f32_e32 v14, v13, v18
	v_add_f32_e32 v6, v19, v6
	v_sub_f32_e32 v14, v15, v14
	v_mul_f32_e32 v6, v11, v6
	v_add_f32_e32 v6, v14, v6
	v_add_f32_e32 v11, v13, v6
	v_mul_f32_e32 v14, v11, v11
	v_fmaak_f32 v15, s4, v14, 0x3ecc95a3
	v_mul_f32_e32 v16, v11, v14
	v_cmp_neq_f32_e64 s4, 0x7f800000, v4
	v_fmaak_f32 v14, v14, v15, 0x3f2aaada
	v_ldexp_f32 v15, v11, 1
	v_sub_f32_e32 v11, v11, v13
	v_mul_f32_e32 v14, v16, v14
	v_mul_f32_e32 v16, 0x3f317218, v10
	v_sub_f32_e32 v6, v6, v11
	v_add_f32_e32 v13, v15, v14
	v_ldexp_f32 v6, v6, 1
	v_sub_f32_e32 v11, v13, v15
	v_fma_f32 v15, 0x3f317218, v10, -v16
	v_sub_f32_e32 v11, v14, v11
	v_fmamk_f32 v10, v10, 0xb102e308, v15
	v_add_f32_e32 v6, v6, v11
	v_add_f32_e32 v11, v16, v10
	;; [unrolled: 1-line block ×3, first 2 shown]
	v_sub_f32_e32 v16, v11, v16
	v_add_f32_e32 v15, v11, v14
	v_sub_f32_e32 v13, v14, v13
	v_sub_f32_e32 v10, v10, v16
	;; [unrolled: 1-line block ×6, first 2 shown]
	v_add_f32_e32 v14, v10, v6
	v_sub_f32_e32 v11, v11, v18
	v_add_f32_e32 v11, v13, v11
	v_sub_f32_e32 v13, v14, v10
	;; [unrolled: 2-line block ×3, first 2 shown]
	v_sub_f32_e32 v6, v6, v13
	v_add_f32_e32 v16, v15, v11
	v_sub_f32_e32 v10, v10, v14
	v_sub_f32_e32 v13, v16, v15
	v_add_f32_e32 v6, v6, v10
	v_sub_f32_e32 v10, v11, v13
	v_add_f32_e32 v6, v6, v10
	v_add_f32_e32 v6, v16, v6
	v_cndmask_b32_e64 v6, 0x7f800000, v6, s4
	v_cmp_gt_f32_e64 s4, 0x33800000, |v4|
	v_cndmask_b32_e64 v4, v6, v4, s4
	v_add_f32_e32 v4, v5, v4
.LBB170_56:
	s_or_b32 exec_lo, exec_lo, s5
	v_max_f32_e32 v5, v4, v4
	v_cmp_u_f32_e64 s4, v4, v4
	v_min_f32_e32 v6, v5, v12
	v_max_f32_e32 v5, v5, v12
	v_cndmask_b32_e64 v6, v6, v4, s4
	v_cndmask_b32_e64 v5, v5, v4, s4
	v_cndmask_b32_e64 v10, v6, v9, s9
	v_cndmask_b32_e64 v5, v5, v9, s9
	v_mov_b32_e32 v6, v4
	v_cmp_class_f32_e64 s5, v10, 0x1f8
	v_cmp_neq_f32_e64 s4, v10, v5
	s_or_b32 s4, s4, s5
	s_and_saveexec_b32 s5, s4
	s_cbranch_execz .LBB170_58
; %bb.57:
	v_sub_f32_e32 v6, v10, v5
	v_mul_f32_e32 v9, 0x3fb8aa3b, v6
	v_cmp_ngt_f32_e64 s4, 0xc2ce8ed0, v6
	v_fma_f32 v10, 0x3fb8aa3b, v6, -v9
	v_rndne_f32_e32 v11, v9
	v_fmamk_f32 v10, v6, 0x32a5705f, v10
	v_sub_f32_e32 v9, v9, v11
	v_add_f32_e32 v9, v9, v10
	v_cvt_i32_f32_e32 v10, v11
	v_exp_f32_e32 v9, v9
	v_ldexp_f32 v9, v9, v10
	v_cndmask_b32_e64 v9, 0, v9, s4
	v_cmp_nlt_f32_e64 s4, 0x42b17218, v6
	v_cndmask_b32_e64 v6, 0x7f800000, v9, s4
	v_add_f32_e32 v11, 1.0, v6
	v_cvt_f64_f32_e32 v[9:10], v11
	v_frexp_exp_i32_f64_e32 v9, v[9:10]
	v_frexp_mant_f32_e32 v10, v11
	v_cmp_gt_f32_e64 s4, 0x3f2aaaab, v10
	v_add_f32_e32 v10, -1.0, v11
	v_sub_f32_e32 v13, v10, v11
	v_sub_f32_e32 v10, v6, v10
	v_add_f32_e32 v13, 1.0, v13
	v_add_f32_e32 v10, v10, v13
	v_subrev_co_ci_u32_e64 v9, null, 0, v9, s4
	s_mov_b32 s4, 0x3e9b6dac
	v_sub_nc_u32_e32 v12, 0, v9
	v_cvt_f32_i32_e32 v9, v9
	v_ldexp_f32 v11, v11, v12
	v_ldexp_f32 v10, v10, v12
	v_add_f32_e32 v14, 1.0, v11
	v_add_f32_e32 v12, -1.0, v11
	v_add_f32_e32 v13, -1.0, v14
	v_add_f32_e32 v15, 1.0, v12
	v_sub_f32_e32 v13, v11, v13
	v_sub_f32_e32 v11, v11, v15
	v_add_f32_e32 v13, v10, v13
	v_add_f32_e32 v10, v10, v11
	;; [unrolled: 1-line block ×4, first 2 shown]
	v_rcp_f32_e32 v11, v15
	v_sub_f32_e32 v14, v14, v15
	v_sub_f32_e32 v12, v12, v16
	v_add_f32_e32 v13, v13, v14
	v_add_f32_e32 v10, v10, v12
	v_mul_f32_e32 v17, v16, v11
	v_mul_f32_e32 v18, v15, v17
	v_fma_f32 v14, v17, v15, -v18
	v_fmac_f32_e32 v14, v17, v13
	v_add_f32_e32 v19, v18, v14
	v_sub_f32_e32 v20, v16, v19
	v_sub_f32_e32 v12, v19, v18
	;; [unrolled: 1-line block ×5, first 2 shown]
	v_add_f32_e32 v10, v10, v16
	v_add_f32_e32 v10, v12, v10
	;; [unrolled: 1-line block ×3, first 2 shown]
	v_mul_f32_e32 v14, v11, v12
	v_sub_f32_e32 v19, v20, v12
	v_mul_f32_e32 v16, v15, v14
	v_add_f32_e32 v10, v10, v19
	v_fma_f32 v15, v14, v15, -v16
	v_fmac_f32_e32 v15, v14, v13
	v_add_f32_e32 v13, v16, v15
	v_sub_f32_e32 v18, v12, v13
	v_sub_f32_e32 v16, v13, v16
	;; [unrolled: 1-line block ×5, first 2 shown]
	v_add_f32_e32 v10, v10, v12
	v_add_f32_e32 v12, v17, v14
	;; [unrolled: 1-line block ×3, first 2 shown]
	v_sub_f32_e32 v13, v12, v17
	v_add_f32_e32 v10, v18, v10
	v_sub_f32_e32 v13, v14, v13
	v_mul_f32_e32 v10, v11, v10
	v_add_f32_e32 v10, v13, v10
	v_add_f32_e32 v11, v12, v10
	v_mul_f32_e32 v13, v11, v11
	v_fmaak_f32 v14, s4, v13, 0x3ecc95a3
	v_mul_f32_e32 v15, v11, v13
	v_cmp_neq_f32_e64 s4, 0x7f800000, v6
	v_fmaak_f32 v13, v13, v14, 0x3f2aaada
	v_ldexp_f32 v14, v11, 1
	v_sub_f32_e32 v11, v11, v12
	v_mul_f32_e32 v13, v15, v13
	v_mul_f32_e32 v15, 0x3f317218, v9
	v_sub_f32_e32 v10, v10, v11
	v_add_f32_e32 v12, v14, v13
	v_ldexp_f32 v10, v10, 1
	v_sub_f32_e32 v11, v12, v14
	v_fma_f32 v14, 0x3f317218, v9, -v15
	v_sub_f32_e32 v11, v13, v11
	v_fmamk_f32 v9, v9, 0xb102e308, v14
	v_add_f32_e32 v10, v10, v11
	v_add_f32_e32 v11, v15, v9
	;; [unrolled: 1-line block ×3, first 2 shown]
	v_sub_f32_e32 v15, v11, v15
	v_add_f32_e32 v14, v11, v13
	v_sub_f32_e32 v12, v13, v12
	v_sub_f32_e32 v9, v9, v15
	v_sub_f32_e32 v16, v14, v11
	v_sub_f32_e32 v10, v10, v12
	v_sub_f32_e32 v17, v14, v16
	v_sub_f32_e32 v12, v13, v16
	v_add_f32_e32 v13, v9, v10
	v_sub_f32_e32 v11, v11, v17
	v_add_f32_e32 v11, v12, v11
	v_sub_f32_e32 v12, v13, v9
	;; [unrolled: 2-line block ×3, first 2 shown]
	v_sub_f32_e32 v10, v10, v12
	v_add_f32_e32 v15, v14, v11
	v_sub_f32_e32 v9, v9, v13
	v_sub_f32_e32 v12, v15, v14
	v_add_f32_e32 v9, v10, v9
	v_sub_f32_e32 v10, v11, v12
	v_add_f32_e32 v9, v9, v10
	v_add_f32_e32 v9, v15, v9
	v_cndmask_b32_e64 v9, 0x7f800000, v9, s4
	v_cmp_gt_f32_e64 s4, 0x33800000, |v6|
	v_cndmask_b32_e64 v6, v9, v6, s4
	v_add_f32_e32 v6, v5, v6
.LBB170_58:
	s_or_b32 exec_lo, exec_lo, s5
	s_barrier
	buffer_gl0_inv
	ds_write2_b32 v8, v1, v2 offset1:1
	ds_write2_b32 v8, v3, v4 offset0:2 offset1:3
	ds_write_b32 v8, v6 offset:16
	s_waitcnt lgkmcnt(0)
	s_barrier
	buffer_gl0_inv
	ds_read2st64_b32 v[5:6], v7 offset0:1 offset1:2
	ds_read2st64_b32 v[1:2], v7 offset0:3 offset1:4
	v_lshlrev_b32_e32 v0, 2, v0
	v_add_co_u32 v3, s4, s12, v0
	v_add_co_ci_u32_e64 v4, null, s13, 0, s4
	s_and_saveexec_b32 s4, vcc_lo
	s_cbranch_execnz .LBB170_64
; %bb.59:
	s_or_b32 exec_lo, exec_lo, s4
	s_and_saveexec_b32 s4, s0
	s_cbranch_execnz .LBB170_65
.LBB170_60:
	s_or_b32 exec_lo, exec_lo, s4
	s_and_saveexec_b32 s0, s1
	s_cbranch_execnz .LBB170_66
.LBB170_61:
	s_or_b32 exec_lo, exec_lo, s0
	s_and_saveexec_b32 s0, s2
	s_cbranch_execnz .LBB170_67
.LBB170_62:
	s_or_b32 exec_lo, exec_lo, s0
	s_and_saveexec_b32 s0, s3
	s_cbranch_execnz .LBB170_68
.LBB170_63:
	s_endpgm
.LBB170_64:
	ds_read_b32 v0, v7
	s_waitcnt lgkmcnt(0)
	global_store_dword v[3:4], v0, off
	s_or_b32 exec_lo, exec_lo, s4
	s_and_saveexec_b32 s4, s0
	s_cbranch_execz .LBB170_60
.LBB170_65:
	s_waitcnt lgkmcnt(1)
	global_store_dword v[3:4], v5, off offset:256
	s_or_b32 exec_lo, exec_lo, s4
	s_and_saveexec_b32 s0, s1
	s_cbranch_execz .LBB170_61
.LBB170_66:
	s_waitcnt lgkmcnt(1)
	global_store_dword v[3:4], v6, off offset:512
	s_or_b32 exec_lo, exec_lo, s0
	s_and_saveexec_b32 s0, s2
	s_cbranch_execz .LBB170_62
.LBB170_67:
	s_waitcnt lgkmcnt(0)
	global_store_dword v[3:4], v1, off offset:768
	s_or_b32 exec_lo, exec_lo, s0
	s_and_saveexec_b32 s0, s3
	s_cbranch_execz .LBB170_63
.LBB170_68:
	s_waitcnt lgkmcnt(0)
	global_store_dword v[3:4], v2, off offset:1024
	s_endpgm
	.section	.rodata,"a",@progbits
	.p2align	6, 0x0
	.amdhsa_kernel _ZN7rocprim17ROCPRIM_400000_NS6detail17trampoline_kernelINS0_14default_configENS1_20scan_config_selectorIfEEZZNS1_9scan_implILNS1_25lookback_scan_determinismE0ELb0ELb0ES3_PKfPffZZZN2at6native31launch_logcumsumexp_cuda_kernelERKNSB_10TensorBaseESF_lENKUlvE_clEvENKUlvE0_clEvEUlffE_fEEDaPvRmT3_T4_T5_mT6_P12ihipStream_tbENKUlT_T0_E_clISt17integral_constantIbLb0EESV_IbLb1EEEEDaSR_SS_EUlSR_E0_NS1_11comp_targetILNS1_3genE8ELNS1_11target_archE1030ELNS1_3gpuE2ELNS1_3repE0EEENS1_30default_config_static_selectorELNS0_4arch9wavefront6targetE0EEEvT1_
		.amdhsa_group_segment_fixed_size 1280
		.amdhsa_private_segment_fixed_size 0
		.amdhsa_kernarg_size 32
		.amdhsa_user_sgpr_count 6
		.amdhsa_user_sgpr_private_segment_buffer 1
		.amdhsa_user_sgpr_dispatch_ptr 0
		.amdhsa_user_sgpr_queue_ptr 0
		.amdhsa_user_sgpr_kernarg_segment_ptr 1
		.amdhsa_user_sgpr_dispatch_id 0
		.amdhsa_user_sgpr_flat_scratch_init 0
		.amdhsa_user_sgpr_private_segment_size 0
		.amdhsa_wavefront_size32 1
		.amdhsa_uses_dynamic_stack 0
		.amdhsa_system_sgpr_private_segment_wavefront_offset 0
		.amdhsa_system_sgpr_workgroup_id_x 1
		.amdhsa_system_sgpr_workgroup_id_y 0
		.amdhsa_system_sgpr_workgroup_id_z 0
		.amdhsa_system_sgpr_workgroup_info 0
		.amdhsa_system_vgpr_workitem_id 0
		.amdhsa_next_free_vgpr 35
		.amdhsa_next_free_sgpr 20
		.amdhsa_reserve_vcc 1
		.amdhsa_reserve_flat_scratch 0
		.amdhsa_float_round_mode_32 0
		.amdhsa_float_round_mode_16_64 0
		.amdhsa_float_denorm_mode_32 3
		.amdhsa_float_denorm_mode_16_64 3
		.amdhsa_dx10_clamp 1
		.amdhsa_ieee_mode 1
		.amdhsa_fp16_overflow 0
		.amdhsa_workgroup_processor_mode 1
		.amdhsa_memory_ordered 1
		.amdhsa_forward_progress 1
		.amdhsa_shared_vgpr_count 0
		.amdhsa_exception_fp_ieee_invalid_op 0
		.amdhsa_exception_fp_denorm_src 0
		.amdhsa_exception_fp_ieee_div_zero 0
		.amdhsa_exception_fp_ieee_overflow 0
		.amdhsa_exception_fp_ieee_underflow 0
		.amdhsa_exception_fp_ieee_inexact 0
		.amdhsa_exception_int_div_zero 0
	.end_amdhsa_kernel
	.section	.text._ZN7rocprim17ROCPRIM_400000_NS6detail17trampoline_kernelINS0_14default_configENS1_20scan_config_selectorIfEEZZNS1_9scan_implILNS1_25lookback_scan_determinismE0ELb0ELb0ES3_PKfPffZZZN2at6native31launch_logcumsumexp_cuda_kernelERKNSB_10TensorBaseESF_lENKUlvE_clEvENKUlvE0_clEvEUlffE_fEEDaPvRmT3_T4_T5_mT6_P12ihipStream_tbENKUlT_T0_E_clISt17integral_constantIbLb0EESV_IbLb1EEEEDaSR_SS_EUlSR_E0_NS1_11comp_targetILNS1_3genE8ELNS1_11target_archE1030ELNS1_3gpuE2ELNS1_3repE0EEENS1_30default_config_static_selectorELNS0_4arch9wavefront6targetE0EEEvT1_,"axG",@progbits,_ZN7rocprim17ROCPRIM_400000_NS6detail17trampoline_kernelINS0_14default_configENS1_20scan_config_selectorIfEEZZNS1_9scan_implILNS1_25lookback_scan_determinismE0ELb0ELb0ES3_PKfPffZZZN2at6native31launch_logcumsumexp_cuda_kernelERKNSB_10TensorBaseESF_lENKUlvE_clEvENKUlvE0_clEvEUlffE_fEEDaPvRmT3_T4_T5_mT6_P12ihipStream_tbENKUlT_T0_E_clISt17integral_constantIbLb0EESV_IbLb1EEEEDaSR_SS_EUlSR_E0_NS1_11comp_targetILNS1_3genE8ELNS1_11target_archE1030ELNS1_3gpuE2ELNS1_3repE0EEENS1_30default_config_static_selectorELNS0_4arch9wavefront6targetE0EEEvT1_,comdat
.Lfunc_end170:
	.size	_ZN7rocprim17ROCPRIM_400000_NS6detail17trampoline_kernelINS0_14default_configENS1_20scan_config_selectorIfEEZZNS1_9scan_implILNS1_25lookback_scan_determinismE0ELb0ELb0ES3_PKfPffZZZN2at6native31launch_logcumsumexp_cuda_kernelERKNSB_10TensorBaseESF_lENKUlvE_clEvENKUlvE0_clEvEUlffE_fEEDaPvRmT3_T4_T5_mT6_P12ihipStream_tbENKUlT_T0_E_clISt17integral_constantIbLb0EESV_IbLb1EEEEDaSR_SS_EUlSR_E0_NS1_11comp_targetILNS1_3genE8ELNS1_11target_archE1030ELNS1_3gpuE2ELNS1_3repE0EEENS1_30default_config_static_selectorELNS0_4arch9wavefront6targetE0EEEvT1_, .Lfunc_end170-_ZN7rocprim17ROCPRIM_400000_NS6detail17trampoline_kernelINS0_14default_configENS1_20scan_config_selectorIfEEZZNS1_9scan_implILNS1_25lookback_scan_determinismE0ELb0ELb0ES3_PKfPffZZZN2at6native31launch_logcumsumexp_cuda_kernelERKNSB_10TensorBaseESF_lENKUlvE_clEvENKUlvE0_clEvEUlffE_fEEDaPvRmT3_T4_T5_mT6_P12ihipStream_tbENKUlT_T0_E_clISt17integral_constantIbLb0EESV_IbLb1EEEEDaSR_SS_EUlSR_E0_NS1_11comp_targetILNS1_3genE8ELNS1_11target_archE1030ELNS1_3gpuE2ELNS1_3repE0EEENS1_30default_config_static_selectorELNS0_4arch9wavefront6targetE0EEEvT1_
                                        ; -- End function
	.set _ZN7rocprim17ROCPRIM_400000_NS6detail17trampoline_kernelINS0_14default_configENS1_20scan_config_selectorIfEEZZNS1_9scan_implILNS1_25lookback_scan_determinismE0ELb0ELb0ES3_PKfPffZZZN2at6native31launch_logcumsumexp_cuda_kernelERKNSB_10TensorBaseESF_lENKUlvE_clEvENKUlvE0_clEvEUlffE_fEEDaPvRmT3_T4_T5_mT6_P12ihipStream_tbENKUlT_T0_E_clISt17integral_constantIbLb0EESV_IbLb1EEEEDaSR_SS_EUlSR_E0_NS1_11comp_targetILNS1_3genE8ELNS1_11target_archE1030ELNS1_3gpuE2ELNS1_3repE0EEENS1_30default_config_static_selectorELNS0_4arch9wavefront6targetE0EEEvT1_.num_vgpr, 35
	.set _ZN7rocprim17ROCPRIM_400000_NS6detail17trampoline_kernelINS0_14default_configENS1_20scan_config_selectorIfEEZZNS1_9scan_implILNS1_25lookback_scan_determinismE0ELb0ELb0ES3_PKfPffZZZN2at6native31launch_logcumsumexp_cuda_kernelERKNSB_10TensorBaseESF_lENKUlvE_clEvENKUlvE0_clEvEUlffE_fEEDaPvRmT3_T4_T5_mT6_P12ihipStream_tbENKUlT_T0_E_clISt17integral_constantIbLb0EESV_IbLb1EEEEDaSR_SS_EUlSR_E0_NS1_11comp_targetILNS1_3genE8ELNS1_11target_archE1030ELNS1_3gpuE2ELNS1_3repE0EEENS1_30default_config_static_selectorELNS0_4arch9wavefront6targetE0EEEvT1_.num_agpr, 0
	.set _ZN7rocprim17ROCPRIM_400000_NS6detail17trampoline_kernelINS0_14default_configENS1_20scan_config_selectorIfEEZZNS1_9scan_implILNS1_25lookback_scan_determinismE0ELb0ELb0ES3_PKfPffZZZN2at6native31launch_logcumsumexp_cuda_kernelERKNSB_10TensorBaseESF_lENKUlvE_clEvENKUlvE0_clEvEUlffE_fEEDaPvRmT3_T4_T5_mT6_P12ihipStream_tbENKUlT_T0_E_clISt17integral_constantIbLb0EESV_IbLb1EEEEDaSR_SS_EUlSR_E0_NS1_11comp_targetILNS1_3genE8ELNS1_11target_archE1030ELNS1_3gpuE2ELNS1_3repE0EEENS1_30default_config_static_selectorELNS0_4arch9wavefront6targetE0EEEvT1_.numbered_sgpr, 20
	.set _ZN7rocprim17ROCPRIM_400000_NS6detail17trampoline_kernelINS0_14default_configENS1_20scan_config_selectorIfEEZZNS1_9scan_implILNS1_25lookback_scan_determinismE0ELb0ELb0ES3_PKfPffZZZN2at6native31launch_logcumsumexp_cuda_kernelERKNSB_10TensorBaseESF_lENKUlvE_clEvENKUlvE0_clEvEUlffE_fEEDaPvRmT3_T4_T5_mT6_P12ihipStream_tbENKUlT_T0_E_clISt17integral_constantIbLb0EESV_IbLb1EEEEDaSR_SS_EUlSR_E0_NS1_11comp_targetILNS1_3genE8ELNS1_11target_archE1030ELNS1_3gpuE2ELNS1_3repE0EEENS1_30default_config_static_selectorELNS0_4arch9wavefront6targetE0EEEvT1_.num_named_barrier, 0
	.set _ZN7rocprim17ROCPRIM_400000_NS6detail17trampoline_kernelINS0_14default_configENS1_20scan_config_selectorIfEEZZNS1_9scan_implILNS1_25lookback_scan_determinismE0ELb0ELb0ES3_PKfPffZZZN2at6native31launch_logcumsumexp_cuda_kernelERKNSB_10TensorBaseESF_lENKUlvE_clEvENKUlvE0_clEvEUlffE_fEEDaPvRmT3_T4_T5_mT6_P12ihipStream_tbENKUlT_T0_E_clISt17integral_constantIbLb0EESV_IbLb1EEEEDaSR_SS_EUlSR_E0_NS1_11comp_targetILNS1_3genE8ELNS1_11target_archE1030ELNS1_3gpuE2ELNS1_3repE0EEENS1_30default_config_static_selectorELNS0_4arch9wavefront6targetE0EEEvT1_.private_seg_size, 0
	.set _ZN7rocprim17ROCPRIM_400000_NS6detail17trampoline_kernelINS0_14default_configENS1_20scan_config_selectorIfEEZZNS1_9scan_implILNS1_25lookback_scan_determinismE0ELb0ELb0ES3_PKfPffZZZN2at6native31launch_logcumsumexp_cuda_kernelERKNSB_10TensorBaseESF_lENKUlvE_clEvENKUlvE0_clEvEUlffE_fEEDaPvRmT3_T4_T5_mT6_P12ihipStream_tbENKUlT_T0_E_clISt17integral_constantIbLb0EESV_IbLb1EEEEDaSR_SS_EUlSR_E0_NS1_11comp_targetILNS1_3genE8ELNS1_11target_archE1030ELNS1_3gpuE2ELNS1_3repE0EEENS1_30default_config_static_selectorELNS0_4arch9wavefront6targetE0EEEvT1_.uses_vcc, 1
	.set _ZN7rocprim17ROCPRIM_400000_NS6detail17trampoline_kernelINS0_14default_configENS1_20scan_config_selectorIfEEZZNS1_9scan_implILNS1_25lookback_scan_determinismE0ELb0ELb0ES3_PKfPffZZZN2at6native31launch_logcumsumexp_cuda_kernelERKNSB_10TensorBaseESF_lENKUlvE_clEvENKUlvE0_clEvEUlffE_fEEDaPvRmT3_T4_T5_mT6_P12ihipStream_tbENKUlT_T0_E_clISt17integral_constantIbLb0EESV_IbLb1EEEEDaSR_SS_EUlSR_E0_NS1_11comp_targetILNS1_3genE8ELNS1_11target_archE1030ELNS1_3gpuE2ELNS1_3repE0EEENS1_30default_config_static_selectorELNS0_4arch9wavefront6targetE0EEEvT1_.uses_flat_scratch, 0
	.set _ZN7rocprim17ROCPRIM_400000_NS6detail17trampoline_kernelINS0_14default_configENS1_20scan_config_selectorIfEEZZNS1_9scan_implILNS1_25lookback_scan_determinismE0ELb0ELb0ES3_PKfPffZZZN2at6native31launch_logcumsumexp_cuda_kernelERKNSB_10TensorBaseESF_lENKUlvE_clEvENKUlvE0_clEvEUlffE_fEEDaPvRmT3_T4_T5_mT6_P12ihipStream_tbENKUlT_T0_E_clISt17integral_constantIbLb0EESV_IbLb1EEEEDaSR_SS_EUlSR_E0_NS1_11comp_targetILNS1_3genE8ELNS1_11target_archE1030ELNS1_3gpuE2ELNS1_3repE0EEENS1_30default_config_static_selectorELNS0_4arch9wavefront6targetE0EEEvT1_.has_dyn_sized_stack, 0
	.set _ZN7rocprim17ROCPRIM_400000_NS6detail17trampoline_kernelINS0_14default_configENS1_20scan_config_selectorIfEEZZNS1_9scan_implILNS1_25lookback_scan_determinismE0ELb0ELb0ES3_PKfPffZZZN2at6native31launch_logcumsumexp_cuda_kernelERKNSB_10TensorBaseESF_lENKUlvE_clEvENKUlvE0_clEvEUlffE_fEEDaPvRmT3_T4_T5_mT6_P12ihipStream_tbENKUlT_T0_E_clISt17integral_constantIbLb0EESV_IbLb1EEEEDaSR_SS_EUlSR_E0_NS1_11comp_targetILNS1_3genE8ELNS1_11target_archE1030ELNS1_3gpuE2ELNS1_3repE0EEENS1_30default_config_static_selectorELNS0_4arch9wavefront6targetE0EEEvT1_.has_recursion, 0
	.set _ZN7rocprim17ROCPRIM_400000_NS6detail17trampoline_kernelINS0_14default_configENS1_20scan_config_selectorIfEEZZNS1_9scan_implILNS1_25lookback_scan_determinismE0ELb0ELb0ES3_PKfPffZZZN2at6native31launch_logcumsumexp_cuda_kernelERKNSB_10TensorBaseESF_lENKUlvE_clEvENKUlvE0_clEvEUlffE_fEEDaPvRmT3_T4_T5_mT6_P12ihipStream_tbENKUlT_T0_E_clISt17integral_constantIbLb0EESV_IbLb1EEEEDaSR_SS_EUlSR_E0_NS1_11comp_targetILNS1_3genE8ELNS1_11target_archE1030ELNS1_3gpuE2ELNS1_3repE0EEENS1_30default_config_static_selectorELNS0_4arch9wavefront6targetE0EEEvT1_.has_indirect_call, 0
	.section	.AMDGPU.csdata,"",@progbits
; Kernel info:
; codeLenInByte = 13504
; TotalNumSgprs: 22
; NumVgprs: 35
; ScratchSize: 0
; MemoryBound: 0
; FloatMode: 240
; IeeeMode: 1
; LDSByteSize: 1280 bytes/workgroup (compile time only)
; SGPRBlocks: 0
; VGPRBlocks: 4
; NumSGPRsForWavesPerEU: 22
; NumVGPRsForWavesPerEU: 35
; Occupancy: 16
; WaveLimiterHint : 0
; COMPUTE_PGM_RSRC2:SCRATCH_EN: 0
; COMPUTE_PGM_RSRC2:USER_SGPR: 6
; COMPUTE_PGM_RSRC2:TRAP_HANDLER: 0
; COMPUTE_PGM_RSRC2:TGID_X_EN: 1
; COMPUTE_PGM_RSRC2:TGID_Y_EN: 0
; COMPUTE_PGM_RSRC2:TGID_Z_EN: 0
; COMPUTE_PGM_RSRC2:TIDIG_COMP_CNT: 0
	.section	.text._ZN2at6native32tensor_kernel_scan_innermost_dimIfZZZNS0_31launch_logcumsumexp_cuda_kernelERKNS_10TensorBaseES4_lENKUlvE_clEvENKUlvE0_clEvEUlffE_EEvPT_PKS8_jjjS8_T0_,"axG",@progbits,_ZN2at6native32tensor_kernel_scan_innermost_dimIfZZZNS0_31launch_logcumsumexp_cuda_kernelERKNS_10TensorBaseES4_lENKUlvE_clEvENKUlvE0_clEvEUlffE_EEvPT_PKS8_jjjS8_T0_,comdat
	.globl	_ZN2at6native32tensor_kernel_scan_innermost_dimIfZZZNS0_31launch_logcumsumexp_cuda_kernelERKNS_10TensorBaseES4_lENKUlvE_clEvENKUlvE0_clEvEUlffE_EEvPT_PKS8_jjjS8_T0_ ; -- Begin function _ZN2at6native32tensor_kernel_scan_innermost_dimIfZZZNS0_31launch_logcumsumexp_cuda_kernelERKNS_10TensorBaseES4_lENKUlvE_clEvENKUlvE0_clEvEUlffE_EEvPT_PKS8_jjjS8_T0_
	.p2align	8
	.type	_ZN2at6native32tensor_kernel_scan_innermost_dimIfZZZNS0_31launch_logcumsumexp_cuda_kernelERKNS_10TensorBaseES4_lENKUlvE_clEvENKUlvE0_clEvEUlffE_EEvPT_PKS8_jjjS8_T0_,@function
_ZN2at6native32tensor_kernel_scan_innermost_dimIfZZZNS0_31launch_logcumsumexp_cuda_kernelERKNS_10TensorBaseES4_lENKUlvE_clEvENKUlvE0_clEvEUlffE_EEvPT_PKS8_jjjS8_T0_: ; @_ZN2at6native32tensor_kernel_scan_innermost_dimIfZZZNS0_31launch_logcumsumexp_cuda_kernelERKNS_10TensorBaseES4_lENKUlvE_clEvENKUlvE0_clEvEUlffE_EEvPT_PKS8_jjjS8_T0_
; %bb.0:
	s_load_dwordx8 s[8:15], s[4:5], 0x0
	v_mov_b32_e32 v2, v1
	s_waitcnt lgkmcnt(0)
	s_lshl_b32 s3, 2, s14
	s_mul_hi_u32 s0, s12, s13
	v_mul_lo_u32 v1, s3, v2
	s_cmp_lg_u32 s0, 0
	s_mov_b32 s0, -1
	v_lshl_add_u32 v10, v1, 2, 0
	s_cbranch_scc1 .LBB171_30
; %bb.1:
	s_load_dword s2, s[4:5], 0x34
	s_add_u32 s0, s4, 40
	s_addc_u32 s1, s5, 0
	s_waitcnt lgkmcnt(0)
	s_lshr_b32 s2, s2, 16
	s_mul_i32 s7, s6, s2
	s_cmp_ge_u32 s7, s12
	s_cbranch_scc1 .LBB171_29
; %bb.2:
	s_load_dword s19, s[0:1], 0x0
	s_lshl_b32 s16, 1, s14
	v_lshl_add_u32 v1, v0, 2, v10
	s_cmp_lg_u32 s13, 0
	v_cmp_eq_u32_e64 s0, 0, v0
	s_cselect_b32 s17, -1, 0
	s_lshl_b32 s1, s3, 2
	v_mov_b32_e32 v4, 0
	v_lshl_add_u32 v7, s16, 2, v1
	v_add3_u32 v8, v10, s1, -4
	s_add_i32 s18, s14, 1
	s_mov_b32 s20, 0x3e9b6dac
	s_waitcnt lgkmcnt(0)
	s_mul_i32 s19, s19, s2
	s_branch .LBB171_4
.LBB171_3:                              ;   in Loop: Header=BB171_4 Depth=1
	s_add_i32 s7, s7, s19
	s_cmp_ge_u32 s7, s12
	s_cbranch_scc1 .LBB171_29
.LBB171_4:                              ; =>This Loop Header: Depth=1
                                        ;     Child Loop BB171_7 Depth 2
                                        ;       Child Loop BB171_19 Depth 3
	s_andn2_b32 vcc_lo, exec_lo, s17
	s_cbranch_vccnz .LBB171_3
; %bb.5:                                ;   in Loop: Header=BB171_4 Depth=1
	v_add_nc_u32_e32 v9, s7, v2
	v_mov_b32_e32 v14, s15
	s_mov_b32 s21, 0
	v_mul_lo_u32 v3, v9, s13
	v_cmp_gt_u32_e32 vcc_lo, s12, v9
	v_cmp_le_u32_e64 s1, s12, v9
	v_lshlrev_b64 v[5:6], 2, v[3:4]
	v_add_co_u32 v9, s2, s10, v5
	v_add_co_ci_u32_e64 v11, null, s11, v6, s2
	v_add_co_u32 v12, s2, s8, v5
	v_add_co_ci_u32_e64 v13, null, s9, v6, s2
	s_branch .LBB171_7
.LBB171_6:                              ;   in Loop: Header=BB171_7 Depth=2
	s_or_b32 exec_lo, exec_lo, s22
	ds_read_b32 v14, v8
	s_add_i32 s21, s21, s3
	s_waitcnt lgkmcnt(0)
	s_waitcnt_vscnt null, 0x0
	s_cmp_ge_u32 s21, s13
	s_barrier
	buffer_gl0_inv
	s_cbranch_scc1 .LBB171_3
.LBB171_7:                              ;   Parent Loop BB171_4 Depth=1
                                        ; =>  This Loop Header: Depth=2
                                        ;       Child Loop BB171_19 Depth 3
	v_add_nc_u32_e32 v3, s21, v0
	v_add_nc_u32_e32 v5, s16, v3
	s_and_saveexec_b32 s22, vcc_lo
	s_cbranch_execz .LBB171_16
; %bb.8:                                ;   in Loop: Header=BB171_7 Depth=2
	v_mov_b32_e32 v6, s15
	s_mov_b32 s23, exec_lo
	v_cmpx_gt_u32_e64 s13, v3
	s_cbranch_execz .LBB171_10
; %bb.9:                                ;   in Loop: Header=BB171_7 Depth=2
	v_lshlrev_b64 v[15:16], 2, v[3:4]
	v_add_co_u32 v15, s2, v9, v15
	v_add_co_ci_u32_e64 v16, null, v11, v16, s2
	global_load_dword v6, v[15:16], off
.LBB171_10:                             ;   in Loop: Header=BB171_7 Depth=2
	s_or_b32 exec_lo, exec_lo, s23
	v_mov_b32_e32 v15, s15
	s_mov_b32 s23, exec_lo
	s_waitcnt vmcnt(0)
	ds_write_b32 v1, v6
	v_cmpx_gt_u32_e64 s13, v5
	s_cbranch_execz .LBB171_12
; %bb.11:                               ;   in Loop: Header=BB171_7 Depth=2
	v_mov_b32_e32 v6, v4
	v_lshlrev_b64 v[15:16], 2, v[5:6]
	v_add_co_u32 v15, s2, v9, v15
	v_add_co_ci_u32_e64 v16, null, v11, v16, s2
	global_load_dword v15, v[15:16], off
.LBB171_12:                             ;   in Loop: Header=BB171_7 Depth=2
	s_or_b32 exec_lo, exec_lo, s23
	s_waitcnt vmcnt(0)
	ds_write_b32 v7, v15
	s_and_b32 exec_lo, exec_lo, s0
	s_cbranch_execz .LBB171_16
; %bb.13:                               ;   in Loop: Header=BB171_7 Depth=2
	ds_read_b32 v15, v10
	v_max_f32_e32 v6, v14, v14
	s_waitcnt lgkmcnt(0)
	v_max_f32_e32 v16, v15, v15
	v_cmp_u_f32_e64 s2, v15, v15
	v_min_f32_e32 v17, v16, v6
	v_max_f32_e32 v6, v16, v6
	v_cndmask_b32_e64 v16, v17, v15, s2
	v_cndmask_b32_e64 v6, v6, v15, s2
	v_cmp_u_f32_e64 s2, v14, v14
	v_cndmask_b32_e64 v16, v16, v14, s2
	v_cndmask_b32_e64 v6, v6, v14, s2
	v_cmp_class_f32_e64 s23, v16, 0x1f8
	v_cmp_neq_f32_e64 s2, v16, v6
	s_or_b32 s2, s2, s23
	s_and_saveexec_b32 s23, s2
	s_cbranch_execz .LBB171_15
; %bb.14:                               ;   in Loop: Header=BB171_7 Depth=2
	v_sub_f32_e32 v14, v16, v6
	v_mul_f32_e32 v15, 0x3fb8aa3b, v14
	v_cmp_ngt_f32_e64 s2, 0xc2ce8ed0, v14
	v_fma_f32 v16, 0x3fb8aa3b, v14, -v15
	v_rndne_f32_e32 v17, v15
	v_fmac_f32_e32 v16, 0x32a5705f, v14
	v_sub_f32_e32 v15, v15, v17
	v_add_f32_e32 v15, v15, v16
	v_cvt_i32_f32_e32 v16, v17
	v_exp_f32_e32 v15, v15
	v_ldexp_f32 v15, v15, v16
	v_cndmask_b32_e64 v15, 0, v15, s2
	v_cmp_nlt_f32_e64 s2, 0x42b17218, v14
	v_cndmask_b32_e64 v16, 0x7f800000, v15, s2
	v_add_f32_e32 v17, 1.0, v16
	v_cvt_f64_f32_e32 v[14:15], v17
	v_frexp_exp_i32_f64_e32 v14, v[14:15]
	v_frexp_mant_f32_e32 v15, v17
	v_cmp_gt_f32_e64 s2, 0x3f2aaaab, v15
	v_add_f32_e32 v15, -1.0, v17
	v_sub_f32_e32 v19, v15, v17
	v_sub_f32_e32 v15, v16, v15
	v_add_f32_e32 v19, 1.0, v19
	v_add_f32_e32 v15, v15, v19
	v_subrev_co_ci_u32_e64 v14, null, 0, v14, s2
	v_cmp_neq_f32_e64 s2, 0x7f800000, v16
	v_sub_nc_u32_e32 v18, 0, v14
	v_cvt_f32_i32_e32 v14, v14
	v_ldexp_f32 v17, v17, v18
	v_ldexp_f32 v15, v15, v18
	v_add_f32_e32 v20, 1.0, v17
	v_add_f32_e32 v18, -1.0, v17
	v_add_f32_e32 v19, -1.0, v20
	v_add_f32_e32 v21, 1.0, v18
	v_sub_f32_e32 v19, v17, v19
	v_sub_f32_e32 v17, v17, v21
	v_add_f32_e32 v19, v15, v19
	v_add_f32_e32 v15, v15, v17
	;; [unrolled: 1-line block ×4, first 2 shown]
	v_rcp_f32_e32 v17, v21
	v_sub_f32_e32 v20, v20, v21
	v_sub_f32_e32 v18, v18, v22
	v_add_f32_e32 v19, v19, v20
	v_add_f32_e32 v15, v15, v18
	v_mul_f32_e32 v23, v22, v17
	v_mul_f32_e32 v24, v21, v23
	v_fma_f32 v20, v23, v21, -v24
	v_fmac_f32_e32 v20, v23, v19
	v_add_f32_e32 v25, v24, v20
	v_sub_f32_e32 v26, v22, v25
	v_sub_f32_e32 v18, v25, v24
	v_sub_f32_e32 v22, v22, v26
	v_sub_f32_e32 v18, v18, v20
	v_sub_f32_e32 v22, v22, v25
	v_add_f32_e32 v15, v15, v22
	v_add_f32_e32 v15, v18, v15
	;; [unrolled: 1-line block ×3, first 2 shown]
	v_mul_f32_e32 v20, v17, v18
	v_sub_f32_e32 v25, v26, v18
	v_mul_f32_e32 v22, v21, v20
	v_add_f32_e32 v15, v15, v25
	v_fma_f32 v21, v20, v21, -v22
	v_fmac_f32_e32 v21, v20, v19
	v_add_f32_e32 v19, v22, v21
	v_sub_f32_e32 v24, v18, v19
	v_sub_f32_e32 v22, v19, v22
	;; [unrolled: 1-line block ×5, first 2 shown]
	v_add_f32_e32 v15, v15, v18
	v_add_f32_e32 v18, v23, v20
	;; [unrolled: 1-line block ×3, first 2 shown]
	v_sub_f32_e32 v19, v18, v23
	v_add_f32_e32 v15, v24, v15
	v_sub_f32_e32 v19, v20, v19
	v_mul_f32_e32 v15, v17, v15
	v_add_f32_e32 v15, v19, v15
	v_add_f32_e32 v17, v18, v15
	v_mul_f32_e32 v19, v17, v17
	v_fmaak_f32 v20, s20, v19, 0x3ecc95a3
	v_mul_f32_e32 v21, v17, v19
	v_fmaak_f32 v19, v19, v20, 0x3f2aaada
	v_ldexp_f32 v20, v17, 1
	v_sub_f32_e32 v17, v17, v18
	v_mul_f32_e32 v19, v21, v19
	v_mul_f32_e32 v21, 0x3f317218, v14
	v_sub_f32_e32 v15, v15, v17
	v_add_f32_e32 v18, v20, v19
	v_ldexp_f32 v15, v15, 1
	v_sub_f32_e32 v17, v18, v20
	v_fma_f32 v20, 0x3f317218, v14, -v21
	v_sub_f32_e32 v17, v19, v17
	v_fmac_f32_e32 v20, 0xb102e308, v14
	v_add_f32_e32 v14, v15, v17
	v_add_f32_e32 v15, v21, v20
	;; [unrolled: 1-line block ×3, first 2 shown]
	v_sub_f32_e32 v21, v15, v21
	v_add_f32_e32 v19, v15, v17
	v_sub_f32_e32 v18, v17, v18
	v_sub_f32_e32 v20, v20, v21
	;; [unrolled: 1-line block ×6, first 2 shown]
	v_add_f32_e32 v18, v20, v14
	v_sub_f32_e32 v15, v15, v23
	v_add_f32_e32 v15, v17, v15
	v_sub_f32_e32 v17, v18, v20
	;; [unrolled: 2-line block ×3, first 2 shown]
	v_sub_f32_e32 v14, v14, v17
	v_add_f32_e32 v21, v19, v15
	v_sub_f32_e32 v18, v20, v18
	v_sub_f32_e32 v17, v21, v19
	v_add_f32_e32 v14, v14, v18
	v_sub_f32_e32 v15, v15, v17
	v_add_f32_e32 v14, v14, v15
	v_add_f32_e32 v14, v21, v14
	v_cndmask_b32_e64 v14, 0x7f800000, v14, s2
	v_cmp_gt_f32_e64 s2, 0x33800000, |v16|
	v_cndmask_b32_e64 v14, v14, v16, s2
	v_add_f32_e32 v15, v6, v14
.LBB171_15:                             ;   in Loop: Header=BB171_7 Depth=2
	s_or_b32 exec_lo, exec_lo, s23
	ds_write_b32 v10, v15
.LBB171_16:                             ;   in Loop: Header=BB171_7 Depth=2
	s_or_b32 exec_lo, exec_lo, s22
	v_mov_b32_e32 v14, 0
	s_mov_b32 s22, 0
	s_waitcnt lgkmcnt(0)
	s_barrier
	buffer_gl0_inv
	s_branch .LBB171_19
.LBB171_17:                             ;   in Loop: Header=BB171_19 Depth=3
	s_or_b32 exec_lo, exec_lo, s24
	ds_write_b32 v14, v16
.LBB171_18:                             ;   in Loop: Header=BB171_19 Depth=3
	s_or_b32 exec_lo, exec_lo, s23
	v_cmp_eq_u32_e64 s2, s18, v6
	v_mov_b32_e32 v14, v6
	s_waitcnt lgkmcnt(0)
	s_barrier
	buffer_gl0_inv
	s_or_b32 s22, s2, s22
	s_andn2_b32 exec_lo, exec_lo, s22
	s_cbranch_execz .LBB171_24
.LBB171_19:                             ;   Parent Loop BB171_4 Depth=1
                                        ;     Parent Loop BB171_7 Depth=2
                                        ; =>    This Inner Loop Header: Depth=3
	v_add_nc_u32_e32 v6, 1, v14
	s_and_saveexec_b32 s2, s1
	s_xor_b32 s2, exec_lo, s2
; %bb.20:                               ;   in Loop: Header=BB171_19 Depth=3
	v_add_nc_u32_e32 v6, 1, v14
                                        ; implicit-def: $vgpr14
; %bb.21:                               ;   in Loop: Header=BB171_19 Depth=3
	s_andn2_saveexec_b32 s23, s2
	s_cbranch_execz .LBB171_18
; %bb.22:                               ;   in Loop: Header=BB171_19 Depth=3
	v_lshlrev_b32_e64 v15, v14, 1
	v_lshrrev_b32_e32 v16, v14, v0
	v_bfm_b32 v14, v14, 0
	v_lshl_or_b32 v15, v16, v6, v15
	v_and_b32_e32 v14, v14, v0
	v_lshl_add_u32 v15, v15, 2, v10
	v_add_nc_u32_e32 v16, -4, v15
	v_lshl_add_u32 v14, v14, 2, v15
	ds_read_b32 v15, v16
	ds_read_b32 v16, v14
	s_waitcnt lgkmcnt(1)
	v_max_f32_e32 v17, v15, v15
	s_waitcnt lgkmcnt(0)
	v_max_f32_e32 v18, v16, v16
	v_cmp_u_f32_e64 s2, v16, v16
	v_min_f32_e32 v19, v18, v17
	v_max_f32_e32 v17, v18, v17
	v_cndmask_b32_e64 v18, v19, v16, s2
	v_cndmask_b32_e64 v19, v17, v16, s2
	v_cmp_u_f32_e64 s2, v15, v15
	v_cndmask_b32_e64 v17, v18, v15, s2
	v_cndmask_b32_e64 v15, v19, v15, s2
	v_cmp_class_f32_e64 s24, v17, 0x1f8
	v_cmp_neq_f32_e64 s2, v17, v15
	s_or_b32 s2, s2, s24
	s_and_saveexec_b32 s24, s2
	s_cbranch_execz .LBB171_17
; %bb.23:                               ;   in Loop: Header=BB171_19 Depth=3
	v_sub_f32_e32 v16, v17, v15
	v_mul_f32_e32 v17, 0x3fb8aa3b, v16
	v_cmp_ngt_f32_e64 s2, 0xc2ce8ed0, v16
	v_fma_f32 v18, 0x3fb8aa3b, v16, -v17
	v_rndne_f32_e32 v19, v17
	v_fmac_f32_e32 v18, 0x32a5705f, v16
	v_sub_f32_e32 v17, v17, v19
	v_add_f32_e32 v17, v17, v18
	v_cvt_i32_f32_e32 v18, v19
	v_exp_f32_e32 v17, v17
	v_ldexp_f32 v17, v17, v18
	v_cndmask_b32_e64 v17, 0, v17, s2
	v_cmp_nlt_f32_e64 s2, 0x42b17218, v16
	v_cndmask_b32_e64 v18, 0x7f800000, v17, s2
	v_add_f32_e32 v19, 1.0, v18
	v_cvt_f64_f32_e32 v[16:17], v19
	v_frexp_exp_i32_f64_e32 v16, v[16:17]
	v_frexp_mant_f32_e32 v17, v19
	v_cmp_gt_f32_e64 s2, 0x3f2aaaab, v17
	v_add_f32_e32 v17, -1.0, v19
	v_sub_f32_e32 v21, v17, v19
	v_sub_f32_e32 v17, v18, v17
	v_add_f32_e32 v21, 1.0, v21
	v_add_f32_e32 v17, v17, v21
	v_subrev_co_ci_u32_e64 v16, null, 0, v16, s2
	v_cmp_neq_f32_e64 s2, 0x7f800000, v18
	v_sub_nc_u32_e32 v20, 0, v16
	v_cvt_f32_i32_e32 v16, v16
	v_ldexp_f32 v19, v19, v20
	v_ldexp_f32 v17, v17, v20
	v_add_f32_e32 v22, 1.0, v19
	v_add_f32_e32 v20, -1.0, v19
	v_add_f32_e32 v21, -1.0, v22
	v_add_f32_e32 v23, 1.0, v20
	v_sub_f32_e32 v21, v19, v21
	v_sub_f32_e32 v19, v19, v23
	v_add_f32_e32 v21, v17, v21
	v_add_f32_e32 v17, v17, v19
	v_add_f32_e32 v23, v22, v21
	v_add_f32_e32 v24, v20, v17
	v_rcp_f32_e32 v19, v23
	v_sub_f32_e32 v22, v22, v23
	v_sub_f32_e32 v20, v20, v24
	v_add_f32_e32 v21, v21, v22
	v_add_f32_e32 v17, v17, v20
	v_mul_f32_e32 v25, v24, v19
	v_mul_f32_e32 v26, v23, v25
	v_fma_f32 v22, v25, v23, -v26
	v_fmac_f32_e32 v22, v25, v21
	v_add_f32_e32 v27, v26, v22
	v_sub_f32_e32 v28, v24, v27
	v_sub_f32_e32 v20, v27, v26
	;; [unrolled: 1-line block ×5, first 2 shown]
	v_add_f32_e32 v17, v17, v24
	v_add_f32_e32 v17, v20, v17
	;; [unrolled: 1-line block ×3, first 2 shown]
	v_mul_f32_e32 v22, v19, v20
	v_sub_f32_e32 v27, v28, v20
	v_mul_f32_e32 v24, v23, v22
	v_add_f32_e32 v17, v17, v27
	v_fma_f32 v23, v22, v23, -v24
	v_fmac_f32_e32 v23, v22, v21
	v_add_f32_e32 v21, v24, v23
	v_sub_f32_e32 v26, v20, v21
	v_sub_f32_e32 v24, v21, v24
	;; [unrolled: 1-line block ×5, first 2 shown]
	v_add_f32_e32 v17, v17, v20
	v_add_f32_e32 v20, v25, v22
	;; [unrolled: 1-line block ×3, first 2 shown]
	v_sub_f32_e32 v21, v20, v25
	v_add_f32_e32 v17, v26, v17
	v_sub_f32_e32 v21, v22, v21
	v_mul_f32_e32 v17, v19, v17
	v_add_f32_e32 v17, v21, v17
	v_add_f32_e32 v19, v20, v17
	v_mul_f32_e32 v21, v19, v19
	v_fmaak_f32 v22, s20, v21, 0x3ecc95a3
	v_mul_f32_e32 v23, v19, v21
	v_fmaak_f32 v21, v21, v22, 0x3f2aaada
	v_ldexp_f32 v22, v19, 1
	v_sub_f32_e32 v19, v19, v20
	v_mul_f32_e32 v21, v23, v21
	v_mul_f32_e32 v23, 0x3f317218, v16
	v_sub_f32_e32 v17, v17, v19
	v_add_f32_e32 v20, v22, v21
	v_ldexp_f32 v17, v17, 1
	v_sub_f32_e32 v19, v20, v22
	v_fma_f32 v22, 0x3f317218, v16, -v23
	v_sub_f32_e32 v19, v21, v19
	v_fmac_f32_e32 v22, 0xb102e308, v16
	v_add_f32_e32 v16, v17, v19
	v_add_f32_e32 v17, v23, v22
	;; [unrolled: 1-line block ×3, first 2 shown]
	v_sub_f32_e32 v23, v17, v23
	v_add_f32_e32 v21, v17, v19
	v_sub_f32_e32 v20, v19, v20
	v_sub_f32_e32 v22, v22, v23
	;; [unrolled: 1-line block ×6, first 2 shown]
	v_add_f32_e32 v20, v22, v16
	v_sub_f32_e32 v17, v17, v25
	v_add_f32_e32 v17, v19, v17
	v_sub_f32_e32 v19, v20, v22
	;; [unrolled: 2-line block ×3, first 2 shown]
	v_sub_f32_e32 v16, v16, v19
	v_add_f32_e32 v23, v21, v17
	v_sub_f32_e32 v20, v22, v20
	v_sub_f32_e32 v19, v23, v21
	v_add_f32_e32 v16, v16, v20
	v_sub_f32_e32 v17, v17, v19
	v_add_f32_e32 v16, v16, v17
	v_add_f32_e32 v16, v23, v16
	v_cndmask_b32_e64 v16, 0x7f800000, v16, s2
	v_cmp_gt_f32_e64 s2, 0x33800000, |v18|
	v_cndmask_b32_e64 v16, v16, v18, s2
	v_add_f32_e32 v16, v15, v16
	s_branch .LBB171_17
.LBB171_24:                             ;   in Loop: Header=BB171_7 Depth=2
	s_or_b32 exec_lo, exec_lo, s22
	s_and_saveexec_b32 s22, vcc_lo
	s_cbranch_execz .LBB171_6
; %bb.25:                               ;   in Loop: Header=BB171_7 Depth=2
	s_mov_b32 s23, exec_lo
	v_cmpx_gt_u32_e64 s13, v3
	s_cbranch_execz .LBB171_27
; %bb.26:                               ;   in Loop: Header=BB171_7 Depth=2
	ds_read_b32 v6, v1
	v_lshlrev_b64 v[14:15], 2, v[3:4]
	v_add_co_u32 v14, s2, v12, v14
	v_add_co_ci_u32_e64 v15, null, v13, v15, s2
	s_waitcnt lgkmcnt(0)
	global_store_dword v[14:15], v6, off
.LBB171_27:                             ;   in Loop: Header=BB171_7 Depth=2
	s_or_b32 exec_lo, exec_lo, s23
	v_cmp_gt_u32_e64 s2, s13, v5
	s_and_b32 exec_lo, exec_lo, s2
	s_cbranch_execz .LBB171_6
; %bb.28:                               ;   in Loop: Header=BB171_7 Depth=2
	ds_read_b32 v3, v7
	v_mov_b32_e32 v6, v4
	v_lshlrev_b64 v[5:6], 2, v[5:6]
	v_add_co_u32 v5, s2, v12, v5
	v_add_co_ci_u32_e64 v6, null, v13, v6, s2
	s_waitcnt lgkmcnt(0)
	global_store_dword v[5:6], v3, off
	s_branch .LBB171_6
.LBB171_29:
	s_mov_b32 s0, 0
.LBB171_30:
	s_andn2_b32 vcc_lo, exec_lo, s0
	s_cbranch_vccnz .LBB171_61
; %bb.31:
	s_load_dword s2, s[4:5], 0x34
	s_add_u32 s0, s4, 40
	s_addc_u32 s1, s5, 0
	s_mov_b32 s5, 0
	s_mov_b32 s4, s12
	s_waitcnt lgkmcnt(0)
	s_lshr_b32 s2, s2, 16
	s_mul_hi_u32 s7, s2, s6
	s_mul_i32 s6, s2, s6
	v_cmp_ge_u64_e64 s3, s[6:7], s[4:5]
	s_and_b32 vcc_lo, exec_lo, s3
	s_cbranch_vccnz .LBB171_61
; %bb.32:
	s_load_dword s1, s[0:1], 0x0
	s_lshl_b32 s16, 1, s14
	s_and_b32 s2, 0xffff, s2
	s_ashr_i32 s17, s16, 31
	s_cmp_lg_u32 s13, 0
	v_lshl_add_u32 v11, v0, 2, v10
	s_mov_b32 s18, s13
	s_cselect_b32 s3, -1, 0
	s_lshl_b64 s[12:13], s[16:17], 1
	v_mov_b32_e32 v1, 0
	s_lshl_b32 s20, s12, 2
	v_cmp_eq_u32_e64 s0, 0, v0
	v_lshl_add_u32 v12, s16, 2, v11
	v_add3_u32 v13, v10, s20, -4
	s_mov_b32 s19, s5
	s_add_i32 s14, s14, 1
	s_mov_b32 s23, 0x3e9b6dac
	s_waitcnt lgkmcnt(0)
	s_mul_i32 s22, s1, s2
	s_branch .LBB171_34
.LBB171_33:                             ;   in Loop: Header=BB171_34 Depth=1
	s_add_u32 s6, s6, s22
	s_addc_u32 s7, s7, 0
	v_cmp_ge_u64_e64 s1, s[6:7], s[4:5]
	s_and_b32 vcc_lo, exec_lo, s1
	s_cbranch_vccnz .LBB171_61
.LBB171_34:                             ; =>This Loop Header: Depth=1
                                        ;     Child Loop BB171_37 Depth 2
                                        ;       Child Loop BB171_49 Depth 3
	s_andn2_b32 vcc_lo, exec_lo, s3
	s_cbranch_vccnz .LBB171_33
; %bb.35:                               ;   in Loop: Header=BB171_34 Depth=1
	v_add_co_u32 v3, s1, s6, v2
	v_add_co_ci_u32_e64 v4, null, s7, 0, s1
	s_mov_b64 s[20:21], 0
	v_mad_u64_u32 v[5:6], null, v3, s18, 0
	v_cmp_gt_u64_e64 s1, s[4:5], v[3:4]
	v_cmp_le_u64_e64 s2, s[4:5], v[3:4]
	v_mad_u64_u32 v[6:7], null, v4, s18, v[6:7]
	v_mov_b32_e32 v7, s15
	v_lshlrev_b64 v[5:6], 2, v[5:6]
	v_add_co_u32 v14, vcc_lo, s10, v5
	v_add_co_ci_u32_e64 v15, null, s11, v6, vcc_lo
	v_add_co_u32 v16, vcc_lo, s8, v5
	v_add_co_ci_u32_e64 v17, null, s9, v6, vcc_lo
	s_branch .LBB171_37
.LBB171_36:                             ;   in Loop: Header=BB171_37 Depth=2
	s_or_b32 exec_lo, exec_lo, s24
	ds_read_b32 v7, v13
	s_add_u32 s20, s20, s12
	s_addc_u32 s21, s21, s13
	s_waitcnt lgkmcnt(0)
	s_waitcnt_vscnt null, 0x0
	v_cmp_ge_u64_e64 s24, s[20:21], s[18:19]
	s_barrier
	buffer_gl0_inv
	s_and_b32 vcc_lo, exec_lo, s24
	s_cbranch_vccnz .LBB171_33
.LBB171_37:                             ;   Parent Loop BB171_34 Depth=1
                                        ; =>  This Loop Header: Depth=2
                                        ;       Child Loop BB171_49 Depth 3
	v_add_co_u32 v5, s24, s20, v0
	v_add_co_ci_u32_e64 v6, null, s21, 0, s24
	v_add_co_u32 v3, vcc_lo, v5, s16
	v_add_co_ci_u32_e64 v4, null, s17, v6, vcc_lo
	s_and_saveexec_b32 s24, s1
	s_cbranch_execz .LBB171_46
; %bb.38:                               ;   in Loop: Header=BB171_37 Depth=2
	v_mov_b32_e32 v8, s15
	s_mov_b32 s25, exec_lo
	v_cmpx_gt_u64_e64 s[18:19], v[5:6]
	s_cbranch_execz .LBB171_40
; %bb.39:                               ;   in Loop: Header=BB171_37 Depth=2
	v_lshlrev_b64 v[8:9], 2, v[5:6]
	v_add_co_u32 v8, vcc_lo, v14, v8
	v_add_co_ci_u32_e64 v9, null, v15, v9, vcc_lo
	global_load_dword v8, v[8:9], off
.LBB171_40:                             ;   in Loop: Header=BB171_37 Depth=2
	s_or_b32 exec_lo, exec_lo, s25
	v_mov_b32_e32 v9, s15
	s_mov_b32 s25, exec_lo
	s_waitcnt vmcnt(0)
	ds_write_b32 v11, v8
	v_cmpx_gt_u64_e64 s[18:19], v[3:4]
	s_cbranch_execz .LBB171_42
; %bb.41:                               ;   in Loop: Header=BB171_37 Depth=2
	v_lshlrev_b64 v[8:9], 2, v[3:4]
	v_add_co_u32 v8, vcc_lo, v14, v8
	v_add_co_ci_u32_e64 v9, null, v15, v9, vcc_lo
	global_load_dword v9, v[8:9], off
.LBB171_42:                             ;   in Loop: Header=BB171_37 Depth=2
	s_or_b32 exec_lo, exec_lo, s25
	s_waitcnt vmcnt(0)
	ds_write_b32 v12, v9
	s_and_b32 exec_lo, exec_lo, s0
	s_cbranch_execz .LBB171_46
; %bb.43:                               ;   in Loop: Header=BB171_37 Depth=2
	ds_read_b32 v8, v10
	v_max_f32_e32 v9, v7, v7
	s_waitcnt lgkmcnt(0)
	v_max_f32_e32 v18, v8, v8
	v_cmp_u_f32_e32 vcc_lo, v8, v8
	v_min_f32_e32 v19, v18, v9
	v_max_f32_e32 v9, v18, v9
	v_cndmask_b32_e32 v18, v19, v8, vcc_lo
	v_cndmask_b32_e32 v19, v9, v8, vcc_lo
	v_cmp_u_f32_e32 vcc_lo, v7, v7
	v_cndmask_b32_e32 v9, v18, v7, vcc_lo
	v_cndmask_b32_e32 v7, v19, v7, vcc_lo
	v_cmp_class_f32_e64 s25, v9, 0x1f8
	v_cmp_neq_f32_e32 vcc_lo, v9, v7
	s_or_b32 s26, vcc_lo, s25
	s_and_saveexec_b32 s25, s26
	s_cbranch_execz .LBB171_45
; %bb.44:                               ;   in Loop: Header=BB171_37 Depth=2
	v_sub_f32_e32 v8, v9, v7
	v_mul_f32_e32 v9, 0x3fb8aa3b, v8
	v_cmp_ngt_f32_e32 vcc_lo, 0xc2ce8ed0, v8
	v_fma_f32 v18, 0x3fb8aa3b, v8, -v9
	v_rndne_f32_e32 v19, v9
	v_fmac_f32_e32 v18, 0x32a5705f, v8
	v_sub_f32_e32 v9, v9, v19
	v_add_f32_e32 v9, v9, v18
	v_cvt_i32_f32_e32 v18, v19
	v_exp_f32_e32 v9, v9
	v_ldexp_f32 v9, v9, v18
	v_cndmask_b32_e32 v9, 0, v9, vcc_lo
	v_cmp_nlt_f32_e32 vcc_lo, 0x42b17218, v8
	v_cndmask_b32_e32 v18, 0x7f800000, v9, vcc_lo
	v_add_f32_e32 v19, 1.0, v18
	v_cvt_f64_f32_e32 v[8:9], v19
	v_frexp_exp_i32_f64_e32 v8, v[8:9]
	v_frexp_mant_f32_e32 v9, v19
	v_cmp_gt_f32_e32 vcc_lo, 0x3f2aaaab, v9
	v_add_f32_e32 v9, -1.0, v19
	v_sub_f32_e32 v21, v9, v19
	v_sub_f32_e32 v9, v18, v9
	v_add_f32_e32 v21, 1.0, v21
	v_add_f32_e32 v9, v9, v21
	v_subrev_co_ci_u32_e64 v8, null, 0, v8, vcc_lo
	v_cmp_neq_f32_e32 vcc_lo, 0x7f800000, v18
	v_sub_nc_u32_e32 v20, 0, v8
	v_cvt_f32_i32_e32 v8, v8
	v_ldexp_f32 v19, v19, v20
	v_ldexp_f32 v9, v9, v20
	v_add_f32_e32 v22, 1.0, v19
	v_add_f32_e32 v20, -1.0, v19
	v_add_f32_e32 v21, -1.0, v22
	v_add_f32_e32 v23, 1.0, v20
	v_sub_f32_e32 v21, v19, v21
	v_sub_f32_e32 v19, v19, v23
	v_add_f32_e32 v21, v9, v21
	v_add_f32_e32 v9, v9, v19
	;; [unrolled: 1-line block ×4, first 2 shown]
	v_rcp_f32_e32 v19, v23
	v_sub_f32_e32 v22, v22, v23
	v_sub_f32_e32 v20, v20, v24
	v_add_f32_e32 v21, v21, v22
	v_add_f32_e32 v9, v9, v20
	v_mul_f32_e32 v25, v24, v19
	v_mul_f32_e32 v26, v23, v25
	v_fma_f32 v22, v25, v23, -v26
	v_fmac_f32_e32 v22, v25, v21
	v_add_f32_e32 v27, v26, v22
	v_sub_f32_e32 v28, v24, v27
	v_sub_f32_e32 v20, v27, v26
	;; [unrolled: 1-line block ×5, first 2 shown]
	v_add_f32_e32 v9, v9, v24
	v_add_f32_e32 v9, v20, v9
	;; [unrolled: 1-line block ×3, first 2 shown]
	v_mul_f32_e32 v22, v19, v20
	v_sub_f32_e32 v27, v28, v20
	v_mul_f32_e32 v24, v23, v22
	v_add_f32_e32 v9, v9, v27
	v_fma_f32 v23, v22, v23, -v24
	v_fmac_f32_e32 v23, v22, v21
	v_add_f32_e32 v21, v24, v23
	v_sub_f32_e32 v26, v20, v21
	v_sub_f32_e32 v24, v21, v24
	;; [unrolled: 1-line block ×5, first 2 shown]
	v_add_f32_e32 v9, v9, v20
	v_add_f32_e32 v20, v25, v22
	;; [unrolled: 1-line block ×3, first 2 shown]
	v_sub_f32_e32 v21, v20, v25
	v_add_f32_e32 v9, v26, v9
	v_sub_f32_e32 v21, v22, v21
	v_mul_f32_e32 v9, v19, v9
	v_add_f32_e32 v9, v21, v9
	v_add_f32_e32 v19, v20, v9
	v_mul_f32_e32 v21, v19, v19
	v_fmaak_f32 v22, s23, v21, 0x3ecc95a3
	v_mul_f32_e32 v23, v19, v21
	v_fmaak_f32 v21, v21, v22, 0x3f2aaada
	v_ldexp_f32 v22, v19, 1
	v_sub_f32_e32 v19, v19, v20
	v_mul_f32_e32 v21, v23, v21
	v_mul_f32_e32 v23, 0x3f317218, v8
	v_sub_f32_e32 v9, v9, v19
	v_add_f32_e32 v20, v22, v21
	v_ldexp_f32 v9, v9, 1
	v_sub_f32_e32 v19, v20, v22
	v_fma_f32 v22, 0x3f317218, v8, -v23
	v_sub_f32_e32 v19, v21, v19
	v_fmac_f32_e32 v22, 0xb102e308, v8
	v_add_f32_e32 v8, v9, v19
	v_add_f32_e32 v9, v23, v22
	;; [unrolled: 1-line block ×3, first 2 shown]
	v_sub_f32_e32 v23, v9, v23
	v_add_f32_e32 v21, v9, v19
	v_sub_f32_e32 v20, v19, v20
	v_sub_f32_e32 v22, v22, v23
	;; [unrolled: 1-line block ×6, first 2 shown]
	v_add_f32_e32 v20, v22, v8
	v_sub_f32_e32 v9, v9, v25
	v_add_f32_e32 v9, v19, v9
	v_sub_f32_e32 v19, v20, v22
	;; [unrolled: 2-line block ×3, first 2 shown]
	v_sub_f32_e32 v8, v8, v19
	v_add_f32_e32 v23, v21, v9
	v_sub_f32_e32 v20, v22, v20
	v_sub_f32_e32 v19, v23, v21
	v_add_f32_e32 v8, v8, v20
	v_sub_f32_e32 v9, v9, v19
	v_add_f32_e32 v8, v8, v9
	v_add_f32_e32 v8, v23, v8
	v_cndmask_b32_e32 v8, 0x7f800000, v8, vcc_lo
	v_cmp_gt_f32_e64 vcc_lo, 0x33800000, |v18|
	v_cndmask_b32_e32 v8, v8, v18, vcc_lo
	v_add_f32_e32 v8, v7, v8
.LBB171_45:                             ;   in Loop: Header=BB171_37 Depth=2
	s_or_b32 exec_lo, exec_lo, s25
	ds_write_b32 v10, v8
.LBB171_46:                             ;   in Loop: Header=BB171_37 Depth=2
	s_or_b32 exec_lo, exec_lo, s24
	v_mov_b32_e32 v19, 0
	s_mov_b32 s24, 0
	s_waitcnt lgkmcnt(0)
	s_barrier
	buffer_gl0_inv
	s_branch .LBB171_49
.LBB171_47:                             ;   in Loop: Header=BB171_49 Depth=3
	s_or_b32 exec_lo, exec_lo, s26
	ds_write_b32 v7, v9
.LBB171_48:                             ;   in Loop: Header=BB171_49 Depth=3
	s_or_b32 exec_lo, exec_lo, s25
	v_cmp_eq_u32_e32 vcc_lo, s14, v18
	v_mov_b32_e32 v19, v18
	s_waitcnt lgkmcnt(0)
	s_barrier
	buffer_gl0_inv
	s_or_b32 s24, vcc_lo, s24
	s_andn2_b32 exec_lo, exec_lo, s24
	s_cbranch_execz .LBB171_56
.LBB171_49:                             ;   Parent Loop BB171_34 Depth=1
                                        ;     Parent Loop BB171_37 Depth=2
                                        ; =>    This Inner Loop Header: Depth=3
	v_add_nc_u32_e32 v18, 1, v19
	s_and_saveexec_b32 s25, s2
	s_xor_b32 s25, exec_lo, s25
; %bb.50:                               ;   in Loop: Header=BB171_49 Depth=3
	v_add_nc_u32_e32 v18, 1, v19
                                        ; implicit-def: $vgpr19
; %bb.51:                               ;   in Loop: Header=BB171_49 Depth=3
	s_andn2_saveexec_b32 s25, s25
	s_cbranch_execz .LBB171_48
; %bb.52:                               ;   in Loop: Header=BB171_49 Depth=3
	v_lshlrev_b32_e64 v7, v19, 1
	v_ashrrev_i32_e32 v8, 31, v7
	v_cmp_ge_u64_e32 vcc_lo, v[0:1], v[7:8]
	v_mov_b32_e32 v9, v1
	v_mov_b32_e32 v8, v0
	s_and_saveexec_b32 s26, vcc_lo
	s_cbranch_execz .LBB171_54
; %bb.53:                               ;   in Loop: Header=BB171_49 Depth=3
	v_cvt_f32_u32_e32 v8, v7
	v_sub_nc_u32_e32 v9, 0, v7
	v_rcp_iflag_f32_e32 v8, v8
	v_mul_f32_e32 v8, 0x4f7ffffe, v8
	v_cvt_u32_f32_e32 v8, v8
	v_mul_lo_u32 v9, v9, v8
	v_mul_hi_u32 v9, v8, v9
	v_add_nc_u32_e32 v8, v8, v9
	v_mul_hi_u32 v8, v0, v8
	v_mul_lo_u32 v8, v8, v7
	v_sub_nc_u32_e32 v8, v0, v8
	v_sub_nc_u32_e32 v9, v8, v7
	v_cmp_ge_u32_e32 vcc_lo, v8, v7
	v_cndmask_b32_e32 v8, v8, v9, vcc_lo
	v_sub_nc_u32_e32 v9, v8, v7
	v_cmp_ge_u32_e32 vcc_lo, v8, v7
	v_cndmask_b32_e32 v8, v8, v9, vcc_lo
.LBB171_54:                             ;   in Loop: Header=BB171_49 Depth=3
	s_or_b32 exec_lo, exec_lo, s26
	v_lshrrev_b32_e32 v9, v19, v0
	v_lshl_or_b32 v7, v9, v18, v7
	v_lshl_add_u32 v7, v7, 2, v10
	v_add_nc_u32_e32 v9, -4, v7
	v_lshl_add_u32 v7, v8, 2, v7
	ds_read_b32 v8, v9
	ds_read_b32 v9, v7
	s_waitcnt lgkmcnt(1)
	v_max_f32_e32 v19, v8, v8
	s_waitcnt lgkmcnt(0)
	v_max_f32_e32 v20, v9, v9
	v_cmp_u_f32_e32 vcc_lo, v9, v9
	v_min_f32_e32 v21, v20, v19
	v_max_f32_e32 v19, v20, v19
	v_cndmask_b32_e32 v20, v21, v9, vcc_lo
	v_cndmask_b32_e32 v21, v19, v9, vcc_lo
	v_cmp_u_f32_e32 vcc_lo, v8, v8
	v_cndmask_b32_e32 v19, v20, v8, vcc_lo
	v_cndmask_b32_e32 v8, v21, v8, vcc_lo
	v_cmp_class_f32_e64 s26, v19, 0x1f8
	v_cmp_neq_f32_e32 vcc_lo, v19, v8
	s_or_b32 s27, vcc_lo, s26
	s_and_saveexec_b32 s26, s27
	s_cbranch_execz .LBB171_47
; %bb.55:                               ;   in Loop: Header=BB171_49 Depth=3
	v_sub_f32_e32 v9, v19, v8
	v_mul_f32_e32 v19, 0x3fb8aa3b, v9
	v_cmp_ngt_f32_e32 vcc_lo, 0xc2ce8ed0, v9
	v_fma_f32 v20, 0x3fb8aa3b, v9, -v19
	v_rndne_f32_e32 v21, v19
	v_fmac_f32_e32 v20, 0x32a5705f, v9
	v_sub_f32_e32 v19, v19, v21
	v_add_f32_e32 v19, v19, v20
	v_cvt_i32_f32_e32 v20, v21
	v_exp_f32_e32 v19, v19
	v_ldexp_f32 v19, v19, v20
	v_cndmask_b32_e32 v19, 0, v19, vcc_lo
	v_cmp_nlt_f32_e32 vcc_lo, 0x42b17218, v9
	v_cndmask_b32_e32 v9, 0x7f800000, v19, vcc_lo
	v_add_f32_e32 v21, 1.0, v9
	v_cvt_f64_f32_e32 v[19:20], v21
	v_frexp_exp_i32_f64_e32 v19, v[19:20]
	v_frexp_mant_f32_e32 v20, v21
	v_cmp_gt_f32_e32 vcc_lo, 0x3f2aaaab, v20
	v_add_f32_e32 v20, -1.0, v21
	v_sub_f32_e32 v23, v20, v21
	v_sub_f32_e32 v20, v9, v20
	v_add_f32_e32 v23, 1.0, v23
	v_add_f32_e32 v20, v20, v23
	v_subrev_co_ci_u32_e64 v19, null, 0, v19, vcc_lo
	v_cmp_neq_f32_e32 vcc_lo, 0x7f800000, v9
	v_sub_nc_u32_e32 v22, 0, v19
	v_cvt_f32_i32_e32 v19, v19
	v_ldexp_f32 v21, v21, v22
	v_ldexp_f32 v20, v20, v22
	v_add_f32_e32 v24, 1.0, v21
	v_add_f32_e32 v22, -1.0, v21
	v_add_f32_e32 v23, -1.0, v24
	v_add_f32_e32 v25, 1.0, v22
	v_sub_f32_e32 v23, v21, v23
	v_sub_f32_e32 v21, v21, v25
	v_add_f32_e32 v23, v20, v23
	v_add_f32_e32 v20, v20, v21
	;; [unrolled: 1-line block ×4, first 2 shown]
	v_rcp_f32_e32 v21, v25
	v_sub_f32_e32 v24, v24, v25
	v_sub_f32_e32 v22, v22, v26
	v_add_f32_e32 v23, v23, v24
	v_add_f32_e32 v20, v20, v22
	v_mul_f32_e32 v27, v26, v21
	v_mul_f32_e32 v28, v25, v27
	v_fma_f32 v24, v27, v25, -v28
	v_fmac_f32_e32 v24, v27, v23
	v_add_f32_e32 v29, v28, v24
	v_sub_f32_e32 v30, v26, v29
	v_sub_f32_e32 v22, v29, v28
	;; [unrolled: 1-line block ×5, first 2 shown]
	v_add_f32_e32 v20, v20, v26
	v_add_f32_e32 v20, v22, v20
	;; [unrolled: 1-line block ×3, first 2 shown]
	v_mul_f32_e32 v24, v21, v22
	v_sub_f32_e32 v29, v30, v22
	v_mul_f32_e32 v26, v25, v24
	v_add_f32_e32 v20, v20, v29
	v_fma_f32 v25, v24, v25, -v26
	v_fmac_f32_e32 v25, v24, v23
	v_add_f32_e32 v23, v26, v25
	v_sub_f32_e32 v28, v22, v23
	v_sub_f32_e32 v26, v23, v26
	;; [unrolled: 1-line block ×5, first 2 shown]
	v_add_f32_e32 v20, v20, v22
	v_add_f32_e32 v22, v27, v24
	;; [unrolled: 1-line block ×3, first 2 shown]
	v_sub_f32_e32 v23, v22, v27
	v_add_f32_e32 v20, v28, v20
	v_sub_f32_e32 v23, v24, v23
	v_mul_f32_e32 v20, v21, v20
	v_add_f32_e32 v20, v23, v20
	v_add_f32_e32 v21, v22, v20
	v_mul_f32_e32 v23, v21, v21
	v_fmaak_f32 v24, s23, v23, 0x3ecc95a3
	v_mul_f32_e32 v25, v21, v23
	v_fmaak_f32 v23, v23, v24, 0x3f2aaada
	v_ldexp_f32 v24, v21, 1
	v_sub_f32_e32 v21, v21, v22
	v_mul_f32_e32 v23, v25, v23
	v_mul_f32_e32 v25, 0x3f317218, v19
	v_sub_f32_e32 v20, v20, v21
	v_add_f32_e32 v22, v24, v23
	v_ldexp_f32 v20, v20, 1
	v_sub_f32_e32 v21, v22, v24
	v_fma_f32 v24, 0x3f317218, v19, -v25
	v_sub_f32_e32 v21, v23, v21
	v_fmac_f32_e32 v24, 0xb102e308, v19
	v_add_f32_e32 v19, v20, v21
	v_add_f32_e32 v20, v25, v24
	;; [unrolled: 1-line block ×3, first 2 shown]
	v_sub_f32_e32 v25, v20, v25
	v_add_f32_e32 v23, v20, v21
	v_sub_f32_e32 v22, v21, v22
	v_sub_f32_e32 v24, v24, v25
	;; [unrolled: 1-line block ×6, first 2 shown]
	v_add_f32_e32 v22, v24, v19
	v_sub_f32_e32 v20, v20, v27
	v_add_f32_e32 v20, v21, v20
	v_sub_f32_e32 v21, v22, v24
	;; [unrolled: 2-line block ×3, first 2 shown]
	v_sub_f32_e32 v19, v19, v21
	v_add_f32_e32 v25, v23, v20
	v_sub_f32_e32 v22, v24, v22
	v_sub_f32_e32 v21, v25, v23
	v_add_f32_e32 v19, v19, v22
	v_sub_f32_e32 v20, v20, v21
	v_add_f32_e32 v19, v19, v20
	v_add_f32_e32 v19, v25, v19
	v_cndmask_b32_e32 v19, 0x7f800000, v19, vcc_lo
	v_cmp_gt_f32_e64 vcc_lo, 0x33800000, |v9|
	v_cndmask_b32_e32 v9, v19, v9, vcc_lo
	v_add_f32_e32 v9, v8, v9
	s_branch .LBB171_47
.LBB171_56:                             ;   in Loop: Header=BB171_37 Depth=2
	s_or_b32 exec_lo, exec_lo, s24
	s_and_saveexec_b32 s24, s1
	s_cbranch_execz .LBB171_36
; %bb.57:                               ;   in Loop: Header=BB171_37 Depth=2
	s_mov_b32 s25, exec_lo
	v_cmpx_gt_u64_e64 s[18:19], v[5:6]
	s_cbranch_execz .LBB171_59
; %bb.58:                               ;   in Loop: Header=BB171_37 Depth=2
	ds_read_b32 v7, v11
	v_lshlrev_b64 v[5:6], 2, v[5:6]
	v_add_co_u32 v5, vcc_lo, v16, v5
	v_add_co_ci_u32_e64 v6, null, v17, v6, vcc_lo
	s_waitcnt lgkmcnt(0)
	global_store_dword v[5:6], v7, off
.LBB171_59:                             ;   in Loop: Header=BB171_37 Depth=2
	s_or_b32 exec_lo, exec_lo, s25
	v_cmp_gt_u64_e32 vcc_lo, s[18:19], v[3:4]
	s_and_b32 exec_lo, exec_lo, vcc_lo
	s_cbranch_execz .LBB171_36
; %bb.60:                               ;   in Loop: Header=BB171_37 Depth=2
	ds_read_b32 v5, v12
	v_lshlrev_b64 v[3:4], 2, v[3:4]
	v_add_co_u32 v3, vcc_lo, v16, v3
	v_add_co_ci_u32_e64 v4, null, v17, v4, vcc_lo
	s_waitcnt lgkmcnt(0)
	global_store_dword v[3:4], v5, off
	s_branch .LBB171_36
.LBB171_61:
	s_endpgm
	.section	.rodata,"a",@progbits
	.p2align	6, 0x0
	.amdhsa_kernel _ZN2at6native32tensor_kernel_scan_innermost_dimIfZZZNS0_31launch_logcumsumexp_cuda_kernelERKNS_10TensorBaseES4_lENKUlvE_clEvENKUlvE0_clEvEUlffE_EEvPT_PKS8_jjjS8_T0_
		.amdhsa_group_segment_fixed_size 0
		.amdhsa_private_segment_fixed_size 0
		.amdhsa_kernarg_size 296
		.amdhsa_user_sgpr_count 6
		.amdhsa_user_sgpr_private_segment_buffer 1
		.amdhsa_user_sgpr_dispatch_ptr 0
		.amdhsa_user_sgpr_queue_ptr 0
		.amdhsa_user_sgpr_kernarg_segment_ptr 1
		.amdhsa_user_sgpr_dispatch_id 0
		.amdhsa_user_sgpr_flat_scratch_init 0
		.amdhsa_user_sgpr_private_segment_size 0
		.amdhsa_wavefront_size32 1
		.amdhsa_uses_dynamic_stack 0
		.amdhsa_system_sgpr_private_segment_wavefront_offset 0
		.amdhsa_system_sgpr_workgroup_id_x 1
		.amdhsa_system_sgpr_workgroup_id_y 0
		.amdhsa_system_sgpr_workgroup_id_z 0
		.amdhsa_system_sgpr_workgroup_info 0
		.amdhsa_system_vgpr_workitem_id 1
		.amdhsa_next_free_vgpr 31
		.amdhsa_next_free_sgpr 28
		.amdhsa_reserve_vcc 1
		.amdhsa_reserve_flat_scratch 0
		.amdhsa_float_round_mode_32 0
		.amdhsa_float_round_mode_16_64 0
		.amdhsa_float_denorm_mode_32 3
		.amdhsa_float_denorm_mode_16_64 3
		.amdhsa_dx10_clamp 1
		.amdhsa_ieee_mode 1
		.amdhsa_fp16_overflow 0
		.amdhsa_workgroup_processor_mode 1
		.amdhsa_memory_ordered 1
		.amdhsa_forward_progress 1
		.amdhsa_shared_vgpr_count 0
		.amdhsa_exception_fp_ieee_invalid_op 0
		.amdhsa_exception_fp_denorm_src 0
		.amdhsa_exception_fp_ieee_div_zero 0
		.amdhsa_exception_fp_ieee_overflow 0
		.amdhsa_exception_fp_ieee_underflow 0
		.amdhsa_exception_fp_ieee_inexact 0
		.amdhsa_exception_int_div_zero 0
	.end_amdhsa_kernel
	.section	.text._ZN2at6native32tensor_kernel_scan_innermost_dimIfZZZNS0_31launch_logcumsumexp_cuda_kernelERKNS_10TensorBaseES4_lENKUlvE_clEvENKUlvE0_clEvEUlffE_EEvPT_PKS8_jjjS8_T0_,"axG",@progbits,_ZN2at6native32tensor_kernel_scan_innermost_dimIfZZZNS0_31launch_logcumsumexp_cuda_kernelERKNS_10TensorBaseES4_lENKUlvE_clEvENKUlvE0_clEvEUlffE_EEvPT_PKS8_jjjS8_T0_,comdat
.Lfunc_end171:
	.size	_ZN2at6native32tensor_kernel_scan_innermost_dimIfZZZNS0_31launch_logcumsumexp_cuda_kernelERKNS_10TensorBaseES4_lENKUlvE_clEvENKUlvE0_clEvEUlffE_EEvPT_PKS8_jjjS8_T0_, .Lfunc_end171-_ZN2at6native32tensor_kernel_scan_innermost_dimIfZZZNS0_31launch_logcumsumexp_cuda_kernelERKNS_10TensorBaseES4_lENKUlvE_clEvENKUlvE0_clEvEUlffE_EEvPT_PKS8_jjjS8_T0_
                                        ; -- End function
	.set _ZN2at6native32tensor_kernel_scan_innermost_dimIfZZZNS0_31launch_logcumsumexp_cuda_kernelERKNS_10TensorBaseES4_lENKUlvE_clEvENKUlvE0_clEvEUlffE_EEvPT_PKS8_jjjS8_T0_.num_vgpr, 31
	.set _ZN2at6native32tensor_kernel_scan_innermost_dimIfZZZNS0_31launch_logcumsumexp_cuda_kernelERKNS_10TensorBaseES4_lENKUlvE_clEvENKUlvE0_clEvEUlffE_EEvPT_PKS8_jjjS8_T0_.num_agpr, 0
	.set _ZN2at6native32tensor_kernel_scan_innermost_dimIfZZZNS0_31launch_logcumsumexp_cuda_kernelERKNS_10TensorBaseES4_lENKUlvE_clEvENKUlvE0_clEvEUlffE_EEvPT_PKS8_jjjS8_T0_.numbered_sgpr, 28
	.set _ZN2at6native32tensor_kernel_scan_innermost_dimIfZZZNS0_31launch_logcumsumexp_cuda_kernelERKNS_10TensorBaseES4_lENKUlvE_clEvENKUlvE0_clEvEUlffE_EEvPT_PKS8_jjjS8_T0_.num_named_barrier, 0
	.set _ZN2at6native32tensor_kernel_scan_innermost_dimIfZZZNS0_31launch_logcumsumexp_cuda_kernelERKNS_10TensorBaseES4_lENKUlvE_clEvENKUlvE0_clEvEUlffE_EEvPT_PKS8_jjjS8_T0_.private_seg_size, 0
	.set _ZN2at6native32tensor_kernel_scan_innermost_dimIfZZZNS0_31launch_logcumsumexp_cuda_kernelERKNS_10TensorBaseES4_lENKUlvE_clEvENKUlvE0_clEvEUlffE_EEvPT_PKS8_jjjS8_T0_.uses_vcc, 1
	.set _ZN2at6native32tensor_kernel_scan_innermost_dimIfZZZNS0_31launch_logcumsumexp_cuda_kernelERKNS_10TensorBaseES4_lENKUlvE_clEvENKUlvE0_clEvEUlffE_EEvPT_PKS8_jjjS8_T0_.uses_flat_scratch, 0
	.set _ZN2at6native32tensor_kernel_scan_innermost_dimIfZZZNS0_31launch_logcumsumexp_cuda_kernelERKNS_10TensorBaseES4_lENKUlvE_clEvENKUlvE0_clEvEUlffE_EEvPT_PKS8_jjjS8_T0_.has_dyn_sized_stack, 0
	.set _ZN2at6native32tensor_kernel_scan_innermost_dimIfZZZNS0_31launch_logcumsumexp_cuda_kernelERKNS_10TensorBaseES4_lENKUlvE_clEvENKUlvE0_clEvEUlffE_EEvPT_PKS8_jjjS8_T0_.has_recursion, 0
	.set _ZN2at6native32tensor_kernel_scan_innermost_dimIfZZZNS0_31launch_logcumsumexp_cuda_kernelERKNS_10TensorBaseES4_lENKUlvE_clEvENKUlvE0_clEvEUlffE_EEvPT_PKS8_jjjS8_T0_.has_indirect_call, 0
	.section	.AMDGPU.csdata,"",@progbits
; Kernel info:
; codeLenInByte = 4616
; TotalNumSgprs: 30
; NumVgprs: 31
; ScratchSize: 0
; MemoryBound: 0
; FloatMode: 240
; IeeeMode: 1
; LDSByteSize: 0 bytes/workgroup (compile time only)
; SGPRBlocks: 0
; VGPRBlocks: 3
; NumSGPRsForWavesPerEU: 30
; NumVGPRsForWavesPerEU: 31
; Occupancy: 16
; WaveLimiterHint : 0
; COMPUTE_PGM_RSRC2:SCRATCH_EN: 0
; COMPUTE_PGM_RSRC2:USER_SGPR: 6
; COMPUTE_PGM_RSRC2:TRAP_HANDLER: 0
; COMPUTE_PGM_RSRC2:TGID_X_EN: 1
; COMPUTE_PGM_RSRC2:TGID_Y_EN: 0
; COMPUTE_PGM_RSRC2:TGID_Z_EN: 0
; COMPUTE_PGM_RSRC2:TIDIG_COMP_CNT: 1
	.section	.text._ZN2at6native28tensor_kernel_scan_outer_dimIfjZZZNS0_31launch_logcumsumexp_cuda_kernelERKNS_10TensorBaseES4_lENKUlvE_clEvENKUlvE0_clEvEUlffE_EEvPT_PKS8_jjjS8_T1_,"axG",@progbits,_ZN2at6native28tensor_kernel_scan_outer_dimIfjZZZNS0_31launch_logcumsumexp_cuda_kernelERKNS_10TensorBaseES4_lENKUlvE_clEvENKUlvE0_clEvEUlffE_EEvPT_PKS8_jjjS8_T1_,comdat
	.globl	_ZN2at6native28tensor_kernel_scan_outer_dimIfjZZZNS0_31launch_logcumsumexp_cuda_kernelERKNS_10TensorBaseES4_lENKUlvE_clEvENKUlvE0_clEvEUlffE_EEvPT_PKS8_jjjS8_T1_ ; -- Begin function _ZN2at6native28tensor_kernel_scan_outer_dimIfjZZZNS0_31launch_logcumsumexp_cuda_kernelERKNS_10TensorBaseES4_lENKUlvE_clEvENKUlvE0_clEvEUlffE_EEvPT_PKS8_jjjS8_T1_
	.p2align	8
	.type	_ZN2at6native28tensor_kernel_scan_outer_dimIfjZZZNS0_31launch_logcumsumexp_cuda_kernelERKNS_10TensorBaseES4_lENKUlvE_clEvENKUlvE0_clEvEUlffE_EEvPT_PKS8_jjjS8_T1_,@function
_ZN2at6native28tensor_kernel_scan_outer_dimIfjZZZNS0_31launch_logcumsumexp_cuda_kernelERKNS_10TensorBaseES4_lENKUlvE_clEvENKUlvE0_clEvEUlffE_EEvPT_PKS8_jjjS8_T1_: ; @_ZN2at6native28tensor_kernel_scan_outer_dimIfjZZZNS0_31launch_logcumsumexp_cuda_kernelERKNS_10TensorBaseES4_lENKUlvE_clEvENKUlvE0_clEvEUlffE_EEvPT_PKS8_jjjS8_T1_
; %bb.0:
	s_load_dwordx4 s[8:11], s[4:5], 0x10
	s_waitcnt lgkmcnt(0)
	s_cmp_ge_u32 s6, s8
	s_cbranch_scc1 .LBB172_11
; %bb.1:
	s_clause 0x2
	s_load_dword s0, s[4:5], 0x34
	s_load_dword s1, s[4:5], 0x28
	s_load_dwordx4 s[12:15], s[4:5], 0x0
	s_add_u32 s2, s4, 40
	s_addc_u32 s3, s5, 0
	s_mul_i32 s4, s6, s10
	v_mov_b32_e32 v2, 0
	s_mov_b32 s17, 0
	s_mov_b32 s16, s9
	s_mul_i32 s18, s4, s9
	s_mov_b32 s22, 0x3e9b6dac
	s_waitcnt lgkmcnt(0)
	s_and_b32 s20, s0, 0xffff
	s_cmp_lg_u32 s10, 0
	v_mad_u64_u32 v[0:1], null, s7, s20, v[0:1]
	s_mul_i32 s7, s1, s10
	s_cselect_b32 s21, -1, 0
	s_mul_i32 s7, s7, s9
	s_lshl_b64 s[4:5], s[16:17], 2
	s_mov_b32 s16, s18
	v_cmp_gt_u32_e64 s0, s9, v0
	s_branch .LBB172_3
.LBB172_2:                              ;   in Loop: Header=BB172_3 Depth=1
	s_or_b32 exec_lo, exec_lo, s23
	s_add_i32 s6, s1, s6
	s_add_i32 s16, s16, s7
	s_cmp_ge_u32 s6, s8
	s_cbranch_scc1 .LBB172_11
.LBB172_3:                              ; =>This Loop Header: Depth=1
                                        ;     Child Loop BB172_6 Depth 2
                                        ;       Child Loop BB172_9 Depth 3
	s_and_saveexec_b32 s23, s0
	s_cbranch_execz .LBB172_2
; %bb.4:                                ;   in Loop: Header=BB172_3 Depth=1
	s_load_dword s24, s[2:3], 0x4
	v_mov_b32_e32 v1, v0
	s_lshl_b64 s[18:19], s[16:17], 2
	s_mov_b32 s25, 0
	s_waitcnt lgkmcnt(0)
	s_mul_i32 s24, s24, s20
	s_branch .LBB172_6
.LBB172_5:                              ;   in Loop: Header=BB172_6 Depth=2
	v_add_nc_u32_e32 v1, s24, v1
	v_cmp_le_u32_e32 vcc_lo, s9, v1
	s_or_b32 s25, vcc_lo, s25
	s_andn2_b32 exec_lo, exec_lo, s25
	s_cbranch_execz .LBB172_2
.LBB172_6:                              ;   Parent Loop BB172_3 Depth=1
                                        ; =>  This Loop Header: Depth=2
                                        ;       Child Loop BB172_9 Depth 3
	s_andn2_b32 vcc_lo, exec_lo, s21
	s_cbranch_vccnz .LBB172_5
; %bb.7:                                ;   in Loop: Header=BB172_6 Depth=2
	v_lshlrev_b64 v[3:4], 2, v[1:2]
	v_mov_b32_e32 v6, s11
	s_mov_b32 s26, s10
	v_add_co_u32 v3, vcc_lo, s18, v3
	v_add_co_ci_u32_e64 v4, null, s19, v4, vcc_lo
	s_branch .LBB172_9
.LBB172_8:                              ;   in Loop: Header=BB172_9 Depth=3
	s_or_b32 exec_lo, exec_lo, s27
	v_add_co_u32 v7, vcc_lo, s12, v3
	v_add_co_ci_u32_e64 v8, null, s13, v4, vcc_lo
	v_add_co_u32 v3, vcc_lo, v3, s4
	v_add_co_ci_u32_e64 v4, null, s5, v4, vcc_lo
	s_add_i32 s26, s26, -1
	global_store_dword v[7:8], v6, off
	s_cmp_eq_u32 s26, 0
	s_cbranch_scc1 .LBB172_5
.LBB172_9:                              ;   Parent Loop BB172_3 Depth=1
                                        ;     Parent Loop BB172_6 Depth=2
                                        ; =>    This Inner Loop Header: Depth=3
	v_add_co_u32 v7, vcc_lo, s14, v3
	v_add_co_ci_u32_e64 v8, null, s15, v4, vcc_lo
	v_cmp_u_f32_e32 vcc_lo, v6, v6
	global_load_dword v5, v[7:8], off
	v_max_f32_e32 v7, v6, v6
	s_waitcnt vmcnt(0)
	v_max_f32_e32 v8, v5, v5
	v_min_f32_e32 v9, v7, v8
	v_max_f32_e32 v7, v7, v8
	v_cndmask_b32_e32 v8, v9, v6, vcc_lo
	v_cndmask_b32_e32 v9, v7, v6, vcc_lo
	v_cmp_u_f32_e32 vcc_lo, v5, v5
	v_cndmask_b32_e32 v7, v8, v5, vcc_lo
	v_cndmask_b32_e32 v5, v9, v5, vcc_lo
	v_cmp_class_f32_e64 s27, v7, 0x1f8
	v_cmp_neq_f32_e32 vcc_lo, v7, v5
	s_or_b32 s28, vcc_lo, s27
	s_and_saveexec_b32 s27, s28
	s_cbranch_execz .LBB172_8
; %bb.10:                               ;   in Loop: Header=BB172_9 Depth=3
	v_sub_f32_e32 v6, v7, v5
	v_mul_f32_e32 v7, 0x3fb8aa3b, v6
	v_cmp_ngt_f32_e32 vcc_lo, 0xc2ce8ed0, v6
	v_fma_f32 v8, 0x3fb8aa3b, v6, -v7
	v_rndne_f32_e32 v9, v7
	v_fmac_f32_e32 v8, 0x32a5705f, v6
	v_sub_f32_e32 v7, v7, v9
	v_add_f32_e32 v7, v7, v8
	v_cvt_i32_f32_e32 v8, v9
	v_exp_f32_e32 v7, v7
	v_ldexp_f32 v7, v7, v8
	v_cndmask_b32_e32 v7, 0, v7, vcc_lo
	v_cmp_nlt_f32_e32 vcc_lo, 0x42b17218, v6
	v_cndmask_b32_e32 v8, 0x7f800000, v7, vcc_lo
	v_add_f32_e32 v9, 1.0, v8
	v_cvt_f64_f32_e32 v[6:7], v9
	v_frexp_exp_i32_f64_e32 v6, v[6:7]
	v_frexp_mant_f32_e32 v7, v9
	v_cmp_gt_f32_e32 vcc_lo, 0x3f2aaaab, v7
	v_add_f32_e32 v7, -1.0, v9
	v_sub_f32_e32 v11, v7, v9
	v_sub_f32_e32 v7, v8, v7
	v_add_f32_e32 v11, 1.0, v11
	v_add_f32_e32 v7, v7, v11
	v_subrev_co_ci_u32_e64 v6, null, 0, v6, vcc_lo
	v_cmp_neq_f32_e32 vcc_lo, 0x7f800000, v8
	v_sub_nc_u32_e32 v10, 0, v6
	v_cvt_f32_i32_e32 v6, v6
	v_ldexp_f32 v9, v9, v10
	v_ldexp_f32 v7, v7, v10
	v_add_f32_e32 v12, 1.0, v9
	v_add_f32_e32 v10, -1.0, v9
	v_add_f32_e32 v11, -1.0, v12
	v_add_f32_e32 v13, 1.0, v10
	v_sub_f32_e32 v11, v9, v11
	v_sub_f32_e32 v9, v9, v13
	v_add_f32_e32 v11, v7, v11
	v_add_f32_e32 v7, v7, v9
	;; [unrolled: 1-line block ×4, first 2 shown]
	v_rcp_f32_e32 v9, v13
	v_sub_f32_e32 v12, v12, v13
	v_sub_f32_e32 v10, v10, v14
	v_add_f32_e32 v11, v11, v12
	v_add_f32_e32 v7, v7, v10
	v_mul_f32_e32 v15, v14, v9
	v_mul_f32_e32 v16, v13, v15
	v_fma_f32 v12, v15, v13, -v16
	v_fmac_f32_e32 v12, v15, v11
	v_add_f32_e32 v17, v16, v12
	v_sub_f32_e32 v18, v14, v17
	v_sub_f32_e32 v10, v17, v16
	;; [unrolled: 1-line block ×5, first 2 shown]
	v_add_f32_e32 v7, v7, v14
	v_add_f32_e32 v7, v10, v7
	;; [unrolled: 1-line block ×3, first 2 shown]
	v_mul_f32_e32 v12, v9, v10
	v_sub_f32_e32 v17, v18, v10
	v_mul_f32_e32 v14, v13, v12
	v_add_f32_e32 v7, v7, v17
	v_fma_f32 v13, v12, v13, -v14
	v_fmac_f32_e32 v13, v12, v11
	v_add_f32_e32 v11, v14, v13
	v_sub_f32_e32 v16, v10, v11
	v_sub_f32_e32 v14, v11, v14
	;; [unrolled: 1-line block ×5, first 2 shown]
	v_add_f32_e32 v7, v7, v10
	v_add_f32_e32 v10, v15, v12
	;; [unrolled: 1-line block ×3, first 2 shown]
	v_sub_f32_e32 v11, v10, v15
	v_add_f32_e32 v7, v16, v7
	v_sub_f32_e32 v11, v12, v11
	v_mul_f32_e32 v7, v9, v7
	v_add_f32_e32 v7, v11, v7
	v_add_f32_e32 v9, v10, v7
	v_mul_f32_e32 v11, v9, v9
	v_fmaak_f32 v12, s22, v11, 0x3ecc95a3
	v_mul_f32_e32 v13, v9, v11
	v_fmaak_f32 v11, v11, v12, 0x3f2aaada
	v_ldexp_f32 v12, v9, 1
	v_sub_f32_e32 v9, v9, v10
	v_mul_f32_e32 v11, v13, v11
	v_mul_f32_e32 v13, 0x3f317218, v6
	v_sub_f32_e32 v7, v7, v9
	v_add_f32_e32 v10, v12, v11
	v_ldexp_f32 v7, v7, 1
	v_sub_f32_e32 v9, v10, v12
	v_fma_f32 v12, 0x3f317218, v6, -v13
	v_sub_f32_e32 v9, v11, v9
	v_fmac_f32_e32 v12, 0xb102e308, v6
	v_add_f32_e32 v6, v7, v9
	v_add_f32_e32 v7, v13, v12
	;; [unrolled: 1-line block ×3, first 2 shown]
	v_sub_f32_e32 v13, v7, v13
	v_add_f32_e32 v11, v7, v9
	v_sub_f32_e32 v10, v9, v10
	v_sub_f32_e32 v12, v12, v13
	;; [unrolled: 1-line block ×6, first 2 shown]
	v_add_f32_e32 v10, v12, v6
	v_sub_f32_e32 v7, v7, v15
	v_add_f32_e32 v7, v9, v7
	v_sub_f32_e32 v9, v10, v12
	;; [unrolled: 2-line block ×3, first 2 shown]
	v_sub_f32_e32 v6, v6, v9
	v_add_f32_e32 v13, v11, v7
	v_sub_f32_e32 v10, v12, v10
	v_sub_f32_e32 v9, v13, v11
	v_add_f32_e32 v6, v6, v10
	v_sub_f32_e32 v7, v7, v9
	v_add_f32_e32 v6, v6, v7
	v_add_f32_e32 v6, v13, v6
	v_cndmask_b32_e32 v6, 0x7f800000, v6, vcc_lo
	v_cmp_gt_f32_e64 vcc_lo, 0x33800000, |v8|
	v_cndmask_b32_e32 v6, v6, v8, vcc_lo
	v_add_f32_e32 v6, v5, v6
	s_branch .LBB172_8
.LBB172_11:
	s_endpgm
	.section	.rodata,"a",@progbits
	.p2align	6, 0x0
	.amdhsa_kernel _ZN2at6native28tensor_kernel_scan_outer_dimIfjZZZNS0_31launch_logcumsumexp_cuda_kernelERKNS_10TensorBaseES4_lENKUlvE_clEvENKUlvE0_clEvEUlffE_EEvPT_PKS8_jjjS8_T1_
		.amdhsa_group_segment_fixed_size 0
		.amdhsa_private_segment_fixed_size 0
		.amdhsa_kernarg_size 296
		.amdhsa_user_sgpr_count 6
		.amdhsa_user_sgpr_private_segment_buffer 1
		.amdhsa_user_sgpr_dispatch_ptr 0
		.amdhsa_user_sgpr_queue_ptr 0
		.amdhsa_user_sgpr_kernarg_segment_ptr 1
		.amdhsa_user_sgpr_dispatch_id 0
		.amdhsa_user_sgpr_flat_scratch_init 0
		.amdhsa_user_sgpr_private_segment_size 0
		.amdhsa_wavefront_size32 1
		.amdhsa_uses_dynamic_stack 0
		.amdhsa_system_sgpr_private_segment_wavefront_offset 0
		.amdhsa_system_sgpr_workgroup_id_x 1
		.amdhsa_system_sgpr_workgroup_id_y 1
		.amdhsa_system_sgpr_workgroup_id_z 0
		.amdhsa_system_sgpr_workgroup_info 0
		.amdhsa_system_vgpr_workitem_id 0
		.amdhsa_next_free_vgpr 19
		.amdhsa_next_free_sgpr 29
		.amdhsa_reserve_vcc 1
		.amdhsa_reserve_flat_scratch 0
		.amdhsa_float_round_mode_32 0
		.amdhsa_float_round_mode_16_64 0
		.amdhsa_float_denorm_mode_32 3
		.amdhsa_float_denorm_mode_16_64 3
		.amdhsa_dx10_clamp 1
		.amdhsa_ieee_mode 1
		.amdhsa_fp16_overflow 0
		.amdhsa_workgroup_processor_mode 1
		.amdhsa_memory_ordered 1
		.amdhsa_forward_progress 1
		.amdhsa_shared_vgpr_count 0
		.amdhsa_exception_fp_ieee_invalid_op 0
		.amdhsa_exception_fp_denorm_src 0
		.amdhsa_exception_fp_ieee_div_zero 0
		.amdhsa_exception_fp_ieee_overflow 0
		.amdhsa_exception_fp_ieee_underflow 0
		.amdhsa_exception_fp_ieee_inexact 0
		.amdhsa_exception_int_div_zero 0
	.end_amdhsa_kernel
	.section	.text._ZN2at6native28tensor_kernel_scan_outer_dimIfjZZZNS0_31launch_logcumsumexp_cuda_kernelERKNS_10TensorBaseES4_lENKUlvE_clEvENKUlvE0_clEvEUlffE_EEvPT_PKS8_jjjS8_T1_,"axG",@progbits,_ZN2at6native28tensor_kernel_scan_outer_dimIfjZZZNS0_31launch_logcumsumexp_cuda_kernelERKNS_10TensorBaseES4_lENKUlvE_clEvENKUlvE0_clEvEUlffE_EEvPT_PKS8_jjjS8_T1_,comdat
.Lfunc_end172:
	.size	_ZN2at6native28tensor_kernel_scan_outer_dimIfjZZZNS0_31launch_logcumsumexp_cuda_kernelERKNS_10TensorBaseES4_lENKUlvE_clEvENKUlvE0_clEvEUlffE_EEvPT_PKS8_jjjS8_T1_, .Lfunc_end172-_ZN2at6native28tensor_kernel_scan_outer_dimIfjZZZNS0_31launch_logcumsumexp_cuda_kernelERKNS_10TensorBaseES4_lENKUlvE_clEvENKUlvE0_clEvEUlffE_EEvPT_PKS8_jjjS8_T1_
                                        ; -- End function
	.set _ZN2at6native28tensor_kernel_scan_outer_dimIfjZZZNS0_31launch_logcumsumexp_cuda_kernelERKNS_10TensorBaseES4_lENKUlvE_clEvENKUlvE0_clEvEUlffE_EEvPT_PKS8_jjjS8_T1_.num_vgpr, 19
	.set _ZN2at6native28tensor_kernel_scan_outer_dimIfjZZZNS0_31launch_logcumsumexp_cuda_kernelERKNS_10TensorBaseES4_lENKUlvE_clEvENKUlvE0_clEvEUlffE_EEvPT_PKS8_jjjS8_T1_.num_agpr, 0
	.set _ZN2at6native28tensor_kernel_scan_outer_dimIfjZZZNS0_31launch_logcumsumexp_cuda_kernelERKNS_10TensorBaseES4_lENKUlvE_clEvENKUlvE0_clEvEUlffE_EEvPT_PKS8_jjjS8_T1_.numbered_sgpr, 29
	.set _ZN2at6native28tensor_kernel_scan_outer_dimIfjZZZNS0_31launch_logcumsumexp_cuda_kernelERKNS_10TensorBaseES4_lENKUlvE_clEvENKUlvE0_clEvEUlffE_EEvPT_PKS8_jjjS8_T1_.num_named_barrier, 0
	.set _ZN2at6native28tensor_kernel_scan_outer_dimIfjZZZNS0_31launch_logcumsumexp_cuda_kernelERKNS_10TensorBaseES4_lENKUlvE_clEvENKUlvE0_clEvEUlffE_EEvPT_PKS8_jjjS8_T1_.private_seg_size, 0
	.set _ZN2at6native28tensor_kernel_scan_outer_dimIfjZZZNS0_31launch_logcumsumexp_cuda_kernelERKNS_10TensorBaseES4_lENKUlvE_clEvENKUlvE0_clEvEUlffE_EEvPT_PKS8_jjjS8_T1_.uses_vcc, 1
	.set _ZN2at6native28tensor_kernel_scan_outer_dimIfjZZZNS0_31launch_logcumsumexp_cuda_kernelERKNS_10TensorBaseES4_lENKUlvE_clEvENKUlvE0_clEvEUlffE_EEvPT_PKS8_jjjS8_T1_.uses_flat_scratch, 0
	.set _ZN2at6native28tensor_kernel_scan_outer_dimIfjZZZNS0_31launch_logcumsumexp_cuda_kernelERKNS_10TensorBaseES4_lENKUlvE_clEvENKUlvE0_clEvEUlffE_EEvPT_PKS8_jjjS8_T1_.has_dyn_sized_stack, 0
	.set _ZN2at6native28tensor_kernel_scan_outer_dimIfjZZZNS0_31launch_logcumsumexp_cuda_kernelERKNS_10TensorBaseES4_lENKUlvE_clEvENKUlvE0_clEvEUlffE_EEvPT_PKS8_jjjS8_T1_.has_recursion, 0
	.set _ZN2at6native28tensor_kernel_scan_outer_dimIfjZZZNS0_31launch_logcumsumexp_cuda_kernelERKNS_10TensorBaseES4_lENKUlvE_clEvENKUlvE0_clEvEUlffE_EEvPT_PKS8_jjjS8_T1_.has_indirect_call, 0
	.section	.AMDGPU.csdata,"",@progbits
; Kernel info:
; codeLenInByte = 1020
; TotalNumSgprs: 31
; NumVgprs: 19
; ScratchSize: 0
; MemoryBound: 0
; FloatMode: 240
; IeeeMode: 1
; LDSByteSize: 0 bytes/workgroup (compile time only)
; SGPRBlocks: 0
; VGPRBlocks: 2
; NumSGPRsForWavesPerEU: 31
; NumVGPRsForWavesPerEU: 19
; Occupancy: 16
; WaveLimiterHint : 0
; COMPUTE_PGM_RSRC2:SCRATCH_EN: 0
; COMPUTE_PGM_RSRC2:USER_SGPR: 6
; COMPUTE_PGM_RSRC2:TRAP_HANDLER: 0
; COMPUTE_PGM_RSRC2:TGID_X_EN: 1
; COMPUTE_PGM_RSRC2:TGID_Y_EN: 1
; COMPUTE_PGM_RSRC2:TGID_Z_EN: 0
; COMPUTE_PGM_RSRC2:TIDIG_COMP_CNT: 0
	.section	.text._ZN2at6native28tensor_kernel_scan_outer_dimIfmZZZNS0_31launch_logcumsumexp_cuda_kernelERKNS_10TensorBaseES4_lENKUlvE_clEvENKUlvE0_clEvEUlffE_EEvPT_PKS8_jjjS8_T1_,"axG",@progbits,_ZN2at6native28tensor_kernel_scan_outer_dimIfmZZZNS0_31launch_logcumsumexp_cuda_kernelERKNS_10TensorBaseES4_lENKUlvE_clEvENKUlvE0_clEvEUlffE_EEvPT_PKS8_jjjS8_T1_,comdat
	.globl	_ZN2at6native28tensor_kernel_scan_outer_dimIfmZZZNS0_31launch_logcumsumexp_cuda_kernelERKNS_10TensorBaseES4_lENKUlvE_clEvENKUlvE0_clEvEUlffE_EEvPT_PKS8_jjjS8_T1_ ; -- Begin function _ZN2at6native28tensor_kernel_scan_outer_dimIfmZZZNS0_31launch_logcumsumexp_cuda_kernelERKNS_10TensorBaseES4_lENKUlvE_clEvENKUlvE0_clEvEUlffE_EEvPT_PKS8_jjjS8_T1_
	.p2align	8
	.type	_ZN2at6native28tensor_kernel_scan_outer_dimIfmZZZNS0_31launch_logcumsumexp_cuda_kernelERKNS_10TensorBaseES4_lENKUlvE_clEvENKUlvE0_clEvEUlffE_EEvPT_PKS8_jjjS8_T1_,@function
_ZN2at6native28tensor_kernel_scan_outer_dimIfmZZZNS0_31launch_logcumsumexp_cuda_kernelERKNS_10TensorBaseES4_lENKUlvE_clEvENKUlvE0_clEvEUlffE_EEvPT_PKS8_jjjS8_T1_: ; @_ZN2at6native28tensor_kernel_scan_outer_dimIfmZZZNS0_31launch_logcumsumexp_cuda_kernelERKNS_10TensorBaseES4_lENKUlvE_clEvENKUlvE0_clEvEUlffE_EEvPT_PKS8_jjjS8_T1_
; %bb.0:
	s_load_dwordx4 s[8:11], s[4:5], 0x10
	s_waitcnt lgkmcnt(0)
	s_cmp_ge_u32 s6, s8
	s_cbranch_scc1 .LBB173_11
; %bb.1:
	s_clause 0x2
	s_load_dword s0, s[4:5], 0x34
	s_load_dwordx4 s[12:15], s[4:5], 0x0
	s_load_dword s1, s[4:5], 0x28
	s_add_u32 s2, s4, 40
	s_addc_u32 s3, s5, 0
	v_mov_b32_e32 v2, 0
	s_mov_b32 s17, 0
	s_mov_b32 s16, s9
	s_mul_hi_u32 s5, s10, s9
	s_mul_i32 s4, s10, s9
	s_mov_b32 s19, 0x3e9b6dac
	s_waitcnt lgkmcnt(0)
	s_and_b32 s18, s0, 0xffff
	s_cmp_lg_u32 s10, 0
	v_mad_u64_u32 v[0:1], null, s7, s18, v[0:1]
	s_cselect_b32 s7, -1, 0
	s_lshl_b64 s[4:5], s[4:5], 2
	s_lshl_b64 s[16:17], s[16:17], 2
	v_cmp_gt_u32_e64 s0, s9, v0
	s_branch .LBB173_3
.LBB173_2:                              ;   in Loop: Header=BB173_3 Depth=1
	s_or_b32 exec_lo, exec_lo, s20
	s_add_i32 s6, s6, s1
	s_cmp_ge_u32 s6, s8
	s_cbranch_scc1 .LBB173_11
.LBB173_3:                              ; =>This Loop Header: Depth=1
                                        ;     Child Loop BB173_6 Depth 2
                                        ;       Child Loop BB173_9 Depth 3
	s_and_saveexec_b32 s20, s0
	s_cbranch_execz .LBB173_2
; %bb.4:                                ;   in Loop: Header=BB173_3 Depth=1
	s_load_dword s23, s[2:3], 0x4
	v_mov_b32_e32 v1, v0
	s_mul_i32 s22, s5, s6
	s_mul_hi_u32 s24, s4, s6
	s_mul_i32 s21, s4, s6
	s_add_i32 s22, s24, s22
	s_mov_b32 s24, 0
	s_waitcnt lgkmcnt(0)
	s_mul_i32 s23, s23, s18
	s_branch .LBB173_6
.LBB173_5:                              ;   in Loop: Header=BB173_6 Depth=2
	v_add_nc_u32_e32 v1, s23, v1
	v_cmp_le_u32_e32 vcc_lo, s9, v1
	s_or_b32 s24, vcc_lo, s24
	s_andn2_b32 exec_lo, exec_lo, s24
	s_cbranch_execz .LBB173_2
.LBB173_6:                              ;   Parent Loop BB173_3 Depth=1
                                        ; =>  This Loop Header: Depth=2
                                        ;       Child Loop BB173_9 Depth 3
	s_andn2_b32 vcc_lo, exec_lo, s7
	s_cbranch_vccnz .LBB173_5
; %bb.7:                                ;   in Loop: Header=BB173_6 Depth=2
	v_lshlrev_b64 v[3:4], 2, v[1:2]
	v_mov_b32_e32 v6, s11
	s_mov_b32 s25, s10
	v_add_co_u32 v3, vcc_lo, s21, v3
	v_add_co_ci_u32_e64 v4, null, s22, v4, vcc_lo
	s_branch .LBB173_9
.LBB173_8:                              ;   in Loop: Header=BB173_9 Depth=3
	s_or_b32 exec_lo, exec_lo, s26
	v_add_co_u32 v7, vcc_lo, s12, v3
	v_add_co_ci_u32_e64 v8, null, s13, v4, vcc_lo
	v_add_co_u32 v3, vcc_lo, v3, s16
	v_add_co_ci_u32_e64 v4, null, s17, v4, vcc_lo
	s_add_i32 s25, s25, -1
	global_store_dword v[7:8], v6, off
	s_cmp_eq_u32 s25, 0
	s_cbranch_scc1 .LBB173_5
.LBB173_9:                              ;   Parent Loop BB173_3 Depth=1
                                        ;     Parent Loop BB173_6 Depth=2
                                        ; =>    This Inner Loop Header: Depth=3
	v_add_co_u32 v7, vcc_lo, s14, v3
	v_add_co_ci_u32_e64 v8, null, s15, v4, vcc_lo
	v_cmp_u_f32_e32 vcc_lo, v6, v6
	global_load_dword v5, v[7:8], off
	v_max_f32_e32 v7, v6, v6
	s_waitcnt vmcnt(0)
	v_max_f32_e32 v8, v5, v5
	v_min_f32_e32 v9, v7, v8
	v_max_f32_e32 v7, v7, v8
	v_cndmask_b32_e32 v8, v9, v6, vcc_lo
	v_cndmask_b32_e32 v9, v7, v6, vcc_lo
	v_cmp_u_f32_e32 vcc_lo, v5, v5
	v_cndmask_b32_e32 v7, v8, v5, vcc_lo
	v_cndmask_b32_e32 v5, v9, v5, vcc_lo
	v_cmp_class_f32_e64 s26, v7, 0x1f8
	v_cmp_neq_f32_e32 vcc_lo, v7, v5
	s_or_b32 s27, vcc_lo, s26
	s_and_saveexec_b32 s26, s27
	s_cbranch_execz .LBB173_8
; %bb.10:                               ;   in Loop: Header=BB173_9 Depth=3
	v_sub_f32_e32 v6, v7, v5
	v_mul_f32_e32 v7, 0x3fb8aa3b, v6
	v_cmp_ngt_f32_e32 vcc_lo, 0xc2ce8ed0, v6
	v_fma_f32 v8, 0x3fb8aa3b, v6, -v7
	v_rndne_f32_e32 v9, v7
	v_fmac_f32_e32 v8, 0x32a5705f, v6
	v_sub_f32_e32 v7, v7, v9
	v_add_f32_e32 v7, v7, v8
	v_cvt_i32_f32_e32 v8, v9
	v_exp_f32_e32 v7, v7
	v_ldexp_f32 v7, v7, v8
	v_cndmask_b32_e32 v7, 0, v7, vcc_lo
	v_cmp_nlt_f32_e32 vcc_lo, 0x42b17218, v6
	v_cndmask_b32_e32 v8, 0x7f800000, v7, vcc_lo
	v_add_f32_e32 v9, 1.0, v8
	v_cvt_f64_f32_e32 v[6:7], v9
	v_frexp_exp_i32_f64_e32 v6, v[6:7]
	v_frexp_mant_f32_e32 v7, v9
	v_cmp_gt_f32_e32 vcc_lo, 0x3f2aaaab, v7
	v_add_f32_e32 v7, -1.0, v9
	v_sub_f32_e32 v11, v7, v9
	v_sub_f32_e32 v7, v8, v7
	v_add_f32_e32 v11, 1.0, v11
	v_add_f32_e32 v7, v7, v11
	v_subrev_co_ci_u32_e64 v6, null, 0, v6, vcc_lo
	v_cmp_neq_f32_e32 vcc_lo, 0x7f800000, v8
	v_sub_nc_u32_e32 v10, 0, v6
	v_cvt_f32_i32_e32 v6, v6
	v_ldexp_f32 v9, v9, v10
	v_ldexp_f32 v7, v7, v10
	v_add_f32_e32 v12, 1.0, v9
	v_add_f32_e32 v10, -1.0, v9
	v_add_f32_e32 v11, -1.0, v12
	v_add_f32_e32 v13, 1.0, v10
	v_sub_f32_e32 v11, v9, v11
	v_sub_f32_e32 v9, v9, v13
	v_add_f32_e32 v11, v7, v11
	v_add_f32_e32 v7, v7, v9
	;; [unrolled: 1-line block ×4, first 2 shown]
	v_rcp_f32_e32 v9, v13
	v_sub_f32_e32 v12, v12, v13
	v_sub_f32_e32 v10, v10, v14
	v_add_f32_e32 v11, v11, v12
	v_add_f32_e32 v7, v7, v10
	v_mul_f32_e32 v15, v14, v9
	v_mul_f32_e32 v16, v13, v15
	v_fma_f32 v12, v15, v13, -v16
	v_fmac_f32_e32 v12, v15, v11
	v_add_f32_e32 v17, v16, v12
	v_sub_f32_e32 v18, v14, v17
	v_sub_f32_e32 v10, v17, v16
	;; [unrolled: 1-line block ×5, first 2 shown]
	v_add_f32_e32 v7, v7, v14
	v_add_f32_e32 v7, v10, v7
	v_add_f32_e32 v10, v18, v7
	v_mul_f32_e32 v12, v9, v10
	v_sub_f32_e32 v17, v18, v10
	v_mul_f32_e32 v14, v13, v12
	v_add_f32_e32 v7, v7, v17
	v_fma_f32 v13, v12, v13, -v14
	v_fmac_f32_e32 v13, v12, v11
	v_add_f32_e32 v11, v14, v13
	v_sub_f32_e32 v16, v10, v11
	v_sub_f32_e32 v14, v11, v14
	;; [unrolled: 1-line block ×5, first 2 shown]
	v_add_f32_e32 v7, v7, v10
	v_add_f32_e32 v10, v15, v12
	;; [unrolled: 1-line block ×3, first 2 shown]
	v_sub_f32_e32 v11, v10, v15
	v_add_f32_e32 v7, v16, v7
	v_sub_f32_e32 v11, v12, v11
	v_mul_f32_e32 v7, v9, v7
	v_add_f32_e32 v7, v11, v7
	v_add_f32_e32 v9, v10, v7
	v_mul_f32_e32 v11, v9, v9
	v_fmaak_f32 v12, s19, v11, 0x3ecc95a3
	v_mul_f32_e32 v13, v9, v11
	v_fmaak_f32 v11, v11, v12, 0x3f2aaada
	v_ldexp_f32 v12, v9, 1
	v_sub_f32_e32 v9, v9, v10
	v_mul_f32_e32 v11, v13, v11
	v_mul_f32_e32 v13, 0x3f317218, v6
	v_sub_f32_e32 v7, v7, v9
	v_add_f32_e32 v10, v12, v11
	v_ldexp_f32 v7, v7, 1
	v_sub_f32_e32 v9, v10, v12
	v_fma_f32 v12, 0x3f317218, v6, -v13
	v_sub_f32_e32 v9, v11, v9
	v_fmac_f32_e32 v12, 0xb102e308, v6
	v_add_f32_e32 v6, v7, v9
	v_add_f32_e32 v7, v13, v12
	;; [unrolled: 1-line block ×3, first 2 shown]
	v_sub_f32_e32 v13, v7, v13
	v_add_f32_e32 v11, v7, v9
	v_sub_f32_e32 v10, v9, v10
	v_sub_f32_e32 v12, v12, v13
	;; [unrolled: 1-line block ×6, first 2 shown]
	v_add_f32_e32 v10, v12, v6
	v_sub_f32_e32 v7, v7, v15
	v_add_f32_e32 v7, v9, v7
	v_sub_f32_e32 v9, v10, v12
	;; [unrolled: 2-line block ×3, first 2 shown]
	v_sub_f32_e32 v6, v6, v9
	v_add_f32_e32 v13, v11, v7
	v_sub_f32_e32 v10, v12, v10
	v_sub_f32_e32 v9, v13, v11
	v_add_f32_e32 v6, v6, v10
	v_sub_f32_e32 v7, v7, v9
	v_add_f32_e32 v6, v6, v7
	v_add_f32_e32 v6, v13, v6
	v_cndmask_b32_e32 v6, 0x7f800000, v6, vcc_lo
	v_cmp_gt_f32_e64 vcc_lo, 0x33800000, |v8|
	v_cndmask_b32_e32 v6, v6, v8, vcc_lo
	v_add_f32_e32 v6, v5, v6
	s_branch .LBB173_8
.LBB173_11:
	s_endpgm
	.section	.rodata,"a",@progbits
	.p2align	6, 0x0
	.amdhsa_kernel _ZN2at6native28tensor_kernel_scan_outer_dimIfmZZZNS0_31launch_logcumsumexp_cuda_kernelERKNS_10TensorBaseES4_lENKUlvE_clEvENKUlvE0_clEvEUlffE_EEvPT_PKS8_jjjS8_T1_
		.amdhsa_group_segment_fixed_size 0
		.amdhsa_private_segment_fixed_size 0
		.amdhsa_kernarg_size 296
		.amdhsa_user_sgpr_count 6
		.amdhsa_user_sgpr_private_segment_buffer 1
		.amdhsa_user_sgpr_dispatch_ptr 0
		.amdhsa_user_sgpr_queue_ptr 0
		.amdhsa_user_sgpr_kernarg_segment_ptr 1
		.amdhsa_user_sgpr_dispatch_id 0
		.amdhsa_user_sgpr_flat_scratch_init 0
		.amdhsa_user_sgpr_private_segment_size 0
		.amdhsa_wavefront_size32 1
		.amdhsa_uses_dynamic_stack 0
		.amdhsa_system_sgpr_private_segment_wavefront_offset 0
		.amdhsa_system_sgpr_workgroup_id_x 1
		.amdhsa_system_sgpr_workgroup_id_y 1
		.amdhsa_system_sgpr_workgroup_id_z 0
		.amdhsa_system_sgpr_workgroup_info 0
		.amdhsa_system_vgpr_workitem_id 0
		.amdhsa_next_free_vgpr 19
		.amdhsa_next_free_sgpr 28
		.amdhsa_reserve_vcc 1
		.amdhsa_reserve_flat_scratch 0
		.amdhsa_float_round_mode_32 0
		.amdhsa_float_round_mode_16_64 0
		.amdhsa_float_denorm_mode_32 3
		.amdhsa_float_denorm_mode_16_64 3
		.amdhsa_dx10_clamp 1
		.amdhsa_ieee_mode 1
		.amdhsa_fp16_overflow 0
		.amdhsa_workgroup_processor_mode 1
		.amdhsa_memory_ordered 1
		.amdhsa_forward_progress 1
		.amdhsa_shared_vgpr_count 0
		.amdhsa_exception_fp_ieee_invalid_op 0
		.amdhsa_exception_fp_denorm_src 0
		.amdhsa_exception_fp_ieee_div_zero 0
		.amdhsa_exception_fp_ieee_overflow 0
		.amdhsa_exception_fp_ieee_underflow 0
		.amdhsa_exception_fp_ieee_inexact 0
		.amdhsa_exception_int_div_zero 0
	.end_amdhsa_kernel
	.section	.text._ZN2at6native28tensor_kernel_scan_outer_dimIfmZZZNS0_31launch_logcumsumexp_cuda_kernelERKNS_10TensorBaseES4_lENKUlvE_clEvENKUlvE0_clEvEUlffE_EEvPT_PKS8_jjjS8_T1_,"axG",@progbits,_ZN2at6native28tensor_kernel_scan_outer_dimIfmZZZNS0_31launch_logcumsumexp_cuda_kernelERKNS_10TensorBaseES4_lENKUlvE_clEvENKUlvE0_clEvEUlffE_EEvPT_PKS8_jjjS8_T1_,comdat
.Lfunc_end173:
	.size	_ZN2at6native28tensor_kernel_scan_outer_dimIfmZZZNS0_31launch_logcumsumexp_cuda_kernelERKNS_10TensorBaseES4_lENKUlvE_clEvENKUlvE0_clEvEUlffE_EEvPT_PKS8_jjjS8_T1_, .Lfunc_end173-_ZN2at6native28tensor_kernel_scan_outer_dimIfmZZZNS0_31launch_logcumsumexp_cuda_kernelERKNS_10TensorBaseES4_lENKUlvE_clEvENKUlvE0_clEvEUlffE_EEvPT_PKS8_jjjS8_T1_
                                        ; -- End function
	.set _ZN2at6native28tensor_kernel_scan_outer_dimIfmZZZNS0_31launch_logcumsumexp_cuda_kernelERKNS_10TensorBaseES4_lENKUlvE_clEvENKUlvE0_clEvEUlffE_EEvPT_PKS8_jjjS8_T1_.num_vgpr, 19
	.set _ZN2at6native28tensor_kernel_scan_outer_dimIfmZZZNS0_31launch_logcumsumexp_cuda_kernelERKNS_10TensorBaseES4_lENKUlvE_clEvENKUlvE0_clEvEUlffE_EEvPT_PKS8_jjjS8_T1_.num_agpr, 0
	.set _ZN2at6native28tensor_kernel_scan_outer_dimIfmZZZNS0_31launch_logcumsumexp_cuda_kernelERKNS_10TensorBaseES4_lENKUlvE_clEvENKUlvE0_clEvEUlffE_EEvPT_PKS8_jjjS8_T1_.numbered_sgpr, 28
	.set _ZN2at6native28tensor_kernel_scan_outer_dimIfmZZZNS0_31launch_logcumsumexp_cuda_kernelERKNS_10TensorBaseES4_lENKUlvE_clEvENKUlvE0_clEvEUlffE_EEvPT_PKS8_jjjS8_T1_.num_named_barrier, 0
	.set _ZN2at6native28tensor_kernel_scan_outer_dimIfmZZZNS0_31launch_logcumsumexp_cuda_kernelERKNS_10TensorBaseES4_lENKUlvE_clEvENKUlvE0_clEvEUlffE_EEvPT_PKS8_jjjS8_T1_.private_seg_size, 0
	.set _ZN2at6native28tensor_kernel_scan_outer_dimIfmZZZNS0_31launch_logcumsumexp_cuda_kernelERKNS_10TensorBaseES4_lENKUlvE_clEvENKUlvE0_clEvEUlffE_EEvPT_PKS8_jjjS8_T1_.uses_vcc, 1
	.set _ZN2at6native28tensor_kernel_scan_outer_dimIfmZZZNS0_31launch_logcumsumexp_cuda_kernelERKNS_10TensorBaseES4_lENKUlvE_clEvENKUlvE0_clEvEUlffE_EEvPT_PKS8_jjjS8_T1_.uses_flat_scratch, 0
	.set _ZN2at6native28tensor_kernel_scan_outer_dimIfmZZZNS0_31launch_logcumsumexp_cuda_kernelERKNS_10TensorBaseES4_lENKUlvE_clEvENKUlvE0_clEvEUlffE_EEvPT_PKS8_jjjS8_T1_.has_dyn_sized_stack, 0
	.set _ZN2at6native28tensor_kernel_scan_outer_dimIfmZZZNS0_31launch_logcumsumexp_cuda_kernelERKNS_10TensorBaseES4_lENKUlvE_clEvENKUlvE0_clEvEUlffE_EEvPT_PKS8_jjjS8_T1_.has_recursion, 0
	.set _ZN2at6native28tensor_kernel_scan_outer_dimIfmZZZNS0_31launch_logcumsumexp_cuda_kernelERKNS_10TensorBaseES4_lENKUlvE_clEvENKUlvE0_clEvEUlffE_EEvPT_PKS8_jjjS8_T1_.has_indirect_call, 0
	.section	.AMDGPU.csdata,"",@progbits
; Kernel info:
; codeLenInByte = 1020
; TotalNumSgprs: 30
; NumVgprs: 19
; ScratchSize: 0
; MemoryBound: 0
; FloatMode: 240
; IeeeMode: 1
; LDSByteSize: 0 bytes/workgroup (compile time only)
; SGPRBlocks: 0
; VGPRBlocks: 2
; NumSGPRsForWavesPerEU: 30
; NumVGPRsForWavesPerEU: 19
; Occupancy: 16
; WaveLimiterHint : 0
; COMPUTE_PGM_RSRC2:SCRATCH_EN: 0
; COMPUTE_PGM_RSRC2:USER_SGPR: 6
; COMPUTE_PGM_RSRC2:TRAP_HANDLER: 0
; COMPUTE_PGM_RSRC2:TGID_X_EN: 1
; COMPUTE_PGM_RSRC2:TGID_Y_EN: 1
; COMPUTE_PGM_RSRC2:TGID_Z_EN: 0
; COMPUTE_PGM_RSRC2:TIDIG_COMP_CNT: 0
	.section	.text._ZN7rocprim17ROCPRIM_400000_NS6detail31init_lookback_scan_state_kernelINS1_19lookback_scan_stateIN3c107complexIdEELb0ELb0EEENS1_16block_id_wrapperIjLb0EEEEEvT_jT0_jPNSA_10value_typeE,"axG",@progbits,_ZN7rocprim17ROCPRIM_400000_NS6detail31init_lookback_scan_state_kernelINS1_19lookback_scan_stateIN3c107complexIdEELb0ELb0EEENS1_16block_id_wrapperIjLb0EEEEEvT_jT0_jPNSA_10value_typeE,comdat
	.protected	_ZN7rocprim17ROCPRIM_400000_NS6detail31init_lookback_scan_state_kernelINS1_19lookback_scan_stateIN3c107complexIdEELb0ELb0EEENS1_16block_id_wrapperIjLb0EEEEEvT_jT0_jPNSA_10value_typeE ; -- Begin function _ZN7rocprim17ROCPRIM_400000_NS6detail31init_lookback_scan_state_kernelINS1_19lookback_scan_stateIN3c107complexIdEELb0ELb0EEENS1_16block_id_wrapperIjLb0EEEEEvT_jT0_jPNSA_10value_typeE
	.globl	_ZN7rocprim17ROCPRIM_400000_NS6detail31init_lookback_scan_state_kernelINS1_19lookback_scan_stateIN3c107complexIdEELb0ELb0EEENS1_16block_id_wrapperIjLb0EEEEEvT_jT0_jPNSA_10value_typeE
	.p2align	8
	.type	_ZN7rocprim17ROCPRIM_400000_NS6detail31init_lookback_scan_state_kernelINS1_19lookback_scan_stateIN3c107complexIdEELb0ELb0EEENS1_16block_id_wrapperIjLb0EEEEEvT_jT0_jPNSA_10value_typeE,@function
_ZN7rocprim17ROCPRIM_400000_NS6detail31init_lookback_scan_state_kernelINS1_19lookback_scan_stateIN3c107complexIdEELb0ELb0EEENS1_16block_id_wrapperIjLb0EEEEEvT_jT0_jPNSA_10value_typeE: ; @_ZN7rocprim17ROCPRIM_400000_NS6detail31init_lookback_scan_state_kernelINS1_19lookback_scan_stateIN3c107complexIdEELb0ELb0EEENS1_16block_id_wrapperIjLb0EEEEEvT_jT0_jPNSA_10value_typeE
; %bb.0:
	s_clause 0x3
	s_load_dword s0, s[4:5], 0x3c
	s_load_dwordx2 s[10:11], s[4:5], 0x28
	s_load_dwordx2 s[8:9], s[4:5], 0x10
	s_load_dword s12, s[4:5], 0x18
	s_waitcnt lgkmcnt(0)
	s_and_b32 s0, s0, 0xffff
	s_cmp_eq_u64 s[10:11], 0
	v_mad_u64_u32 v[0:1], null, s6, s0, v[0:1]
	s_cbranch_scc1 .LBB174_6
; %bb.1:
	s_load_dword s0, s[4:5], 0x20
	s_mov_b32 s7, 0
	s_mov_b32 s13, exec_lo
	s_waitcnt lgkmcnt(0)
	s_cmp_lt_u32 s0, s12
	s_cselect_b32 s1, s0, 0
	v_cmpx_eq_u32_e64 s1, v0
	s_cbranch_execz .LBB174_5
; %bb.2:
	s_add_i32 s6, s0, 32
	s_load_dwordx4 s[0:3], s[4:5], 0x0
	v_mov_b32_e32 v1, s6
	s_add_u32 s4, s8, s6
	s_addc_u32 s5, s9, 0
	global_load_ubyte v2, v1, s[8:9] glc dlc
	v_mov_b32_e32 v1, 0
	s_waitcnt vmcnt(0)
	v_cmp_ne_u32_sdwa s15, v2, v1 src0_sel:WORD_0 src1_sel:DWORD
	v_readfirstlane_b32 s14, v2
	s_and_b32 vcc_lo, exec_lo, s15
	s_cbranch_vccnz .LBB174_4
.LBB174_3:                              ; =>This Inner Loop Header: Depth=1
	global_load_ubyte v2, v1, s[4:5] glc dlc
	s_waitcnt vmcnt(0)
	v_cmp_eq_u32_sdwa s15, v2, v1 src0_sel:WORD_0 src1_sel:DWORD
	v_readfirstlane_b32 s14, v2
	s_and_b32 vcc_lo, exec_lo, s15
	s_cbranch_vccnz .LBB174_3
.LBB174_4:
	s_and_b32 s4, 0xffff, s14
	v_mov_b32_e32 v5, 0
	s_cmp_eq_u32 s4, 1
	s_waitcnt lgkmcnt(0)
	buffer_gl1_inv
	buffer_gl0_inv
	s_cselect_b32 s3, s1, s3
	s_cselect_b32 s2, s0, s2
	s_lshl_b64 s[0:1], s[6:7], 4
	s_add_u32 s0, s2, s0
	s_addc_u32 s1, s3, s1
	global_load_dwordx4 v[1:4], v5, s[0:1]
	s_waitcnt vmcnt(0)
	global_store_dwordx4 v5, v[1:4], s[10:11]
.LBB174_5:
	s_or_b32 exec_lo, exec_lo, s13
.LBB174_6:
	s_mov_b32 s0, exec_lo
	v_cmpx_gt_u32_e64 s12, v0
	s_cbranch_execz .LBB174_8
; %bb.7:
	v_add_nc_u32_e32 v1, 32, v0
	v_mov_b32_e32 v2, 0
	global_store_byte v1, v2, s[8:9]
.LBB174_8:
	s_or_b32 exec_lo, exec_lo, s0
	s_mov_b32 s0, exec_lo
	v_cmpx_gt_u32_e32 32, v0
	s_cbranch_execz .LBB174_10
; %bb.9:
	v_mov_b32_e32 v1, 0xff
	global_store_byte v0, v1, s[8:9]
.LBB174_10:
	s_endpgm
	.section	.rodata,"a",@progbits
	.p2align	6, 0x0
	.amdhsa_kernel _ZN7rocprim17ROCPRIM_400000_NS6detail31init_lookback_scan_state_kernelINS1_19lookback_scan_stateIN3c107complexIdEELb0ELb0EEENS1_16block_id_wrapperIjLb0EEEEEvT_jT0_jPNSA_10value_typeE
		.amdhsa_group_segment_fixed_size 0
		.amdhsa_private_segment_fixed_size 0
		.amdhsa_kernarg_size 304
		.amdhsa_user_sgpr_count 6
		.amdhsa_user_sgpr_private_segment_buffer 1
		.amdhsa_user_sgpr_dispatch_ptr 0
		.amdhsa_user_sgpr_queue_ptr 0
		.amdhsa_user_sgpr_kernarg_segment_ptr 1
		.amdhsa_user_sgpr_dispatch_id 0
		.amdhsa_user_sgpr_flat_scratch_init 0
		.amdhsa_user_sgpr_private_segment_size 0
		.amdhsa_wavefront_size32 1
		.amdhsa_uses_dynamic_stack 0
		.amdhsa_system_sgpr_private_segment_wavefront_offset 0
		.amdhsa_system_sgpr_workgroup_id_x 1
		.amdhsa_system_sgpr_workgroup_id_y 0
		.amdhsa_system_sgpr_workgroup_id_z 0
		.amdhsa_system_sgpr_workgroup_info 0
		.amdhsa_system_vgpr_workitem_id 0
		.amdhsa_next_free_vgpr 6
		.amdhsa_next_free_sgpr 16
		.amdhsa_reserve_vcc 1
		.amdhsa_reserve_flat_scratch 0
		.amdhsa_float_round_mode_32 0
		.amdhsa_float_round_mode_16_64 0
		.amdhsa_float_denorm_mode_32 3
		.amdhsa_float_denorm_mode_16_64 3
		.amdhsa_dx10_clamp 1
		.amdhsa_ieee_mode 1
		.amdhsa_fp16_overflow 0
		.amdhsa_workgroup_processor_mode 1
		.amdhsa_memory_ordered 1
		.amdhsa_forward_progress 1
		.amdhsa_shared_vgpr_count 0
		.amdhsa_exception_fp_ieee_invalid_op 0
		.amdhsa_exception_fp_denorm_src 0
		.amdhsa_exception_fp_ieee_div_zero 0
		.amdhsa_exception_fp_ieee_overflow 0
		.amdhsa_exception_fp_ieee_underflow 0
		.amdhsa_exception_fp_ieee_inexact 0
		.amdhsa_exception_int_div_zero 0
	.end_amdhsa_kernel
	.section	.text._ZN7rocprim17ROCPRIM_400000_NS6detail31init_lookback_scan_state_kernelINS1_19lookback_scan_stateIN3c107complexIdEELb0ELb0EEENS1_16block_id_wrapperIjLb0EEEEEvT_jT0_jPNSA_10value_typeE,"axG",@progbits,_ZN7rocprim17ROCPRIM_400000_NS6detail31init_lookback_scan_state_kernelINS1_19lookback_scan_stateIN3c107complexIdEELb0ELb0EEENS1_16block_id_wrapperIjLb0EEEEEvT_jT0_jPNSA_10value_typeE,comdat
.Lfunc_end174:
	.size	_ZN7rocprim17ROCPRIM_400000_NS6detail31init_lookback_scan_state_kernelINS1_19lookback_scan_stateIN3c107complexIdEELb0ELb0EEENS1_16block_id_wrapperIjLb0EEEEEvT_jT0_jPNSA_10value_typeE, .Lfunc_end174-_ZN7rocprim17ROCPRIM_400000_NS6detail31init_lookback_scan_state_kernelINS1_19lookback_scan_stateIN3c107complexIdEELb0ELb0EEENS1_16block_id_wrapperIjLb0EEEEEvT_jT0_jPNSA_10value_typeE
                                        ; -- End function
	.set _ZN7rocprim17ROCPRIM_400000_NS6detail31init_lookback_scan_state_kernelINS1_19lookback_scan_stateIN3c107complexIdEELb0ELb0EEENS1_16block_id_wrapperIjLb0EEEEEvT_jT0_jPNSA_10value_typeE.num_vgpr, 6
	.set _ZN7rocprim17ROCPRIM_400000_NS6detail31init_lookback_scan_state_kernelINS1_19lookback_scan_stateIN3c107complexIdEELb0ELb0EEENS1_16block_id_wrapperIjLb0EEEEEvT_jT0_jPNSA_10value_typeE.num_agpr, 0
	.set _ZN7rocprim17ROCPRIM_400000_NS6detail31init_lookback_scan_state_kernelINS1_19lookback_scan_stateIN3c107complexIdEELb0ELb0EEENS1_16block_id_wrapperIjLb0EEEEEvT_jT0_jPNSA_10value_typeE.numbered_sgpr, 16
	.set _ZN7rocprim17ROCPRIM_400000_NS6detail31init_lookback_scan_state_kernelINS1_19lookback_scan_stateIN3c107complexIdEELb0ELb0EEENS1_16block_id_wrapperIjLb0EEEEEvT_jT0_jPNSA_10value_typeE.num_named_barrier, 0
	.set _ZN7rocprim17ROCPRIM_400000_NS6detail31init_lookback_scan_state_kernelINS1_19lookback_scan_stateIN3c107complexIdEELb0ELb0EEENS1_16block_id_wrapperIjLb0EEEEEvT_jT0_jPNSA_10value_typeE.private_seg_size, 0
	.set _ZN7rocprim17ROCPRIM_400000_NS6detail31init_lookback_scan_state_kernelINS1_19lookback_scan_stateIN3c107complexIdEELb0ELb0EEENS1_16block_id_wrapperIjLb0EEEEEvT_jT0_jPNSA_10value_typeE.uses_vcc, 1
	.set _ZN7rocprim17ROCPRIM_400000_NS6detail31init_lookback_scan_state_kernelINS1_19lookback_scan_stateIN3c107complexIdEELb0ELb0EEENS1_16block_id_wrapperIjLb0EEEEEvT_jT0_jPNSA_10value_typeE.uses_flat_scratch, 0
	.set _ZN7rocprim17ROCPRIM_400000_NS6detail31init_lookback_scan_state_kernelINS1_19lookback_scan_stateIN3c107complexIdEELb0ELb0EEENS1_16block_id_wrapperIjLb0EEEEEvT_jT0_jPNSA_10value_typeE.has_dyn_sized_stack, 0
	.set _ZN7rocprim17ROCPRIM_400000_NS6detail31init_lookback_scan_state_kernelINS1_19lookback_scan_stateIN3c107complexIdEELb0ELb0EEENS1_16block_id_wrapperIjLb0EEEEEvT_jT0_jPNSA_10value_typeE.has_recursion, 0
	.set _ZN7rocprim17ROCPRIM_400000_NS6detail31init_lookback_scan_state_kernelINS1_19lookback_scan_stateIN3c107complexIdEELb0ELb0EEENS1_16block_id_wrapperIjLb0EEEEEvT_jT0_jPNSA_10value_typeE.has_indirect_call, 0
	.section	.AMDGPU.csdata,"",@progbits
; Kernel info:
; codeLenInByte = 344
; TotalNumSgprs: 18
; NumVgprs: 6
; ScratchSize: 0
; MemoryBound: 0
; FloatMode: 240
; IeeeMode: 1
; LDSByteSize: 0 bytes/workgroup (compile time only)
; SGPRBlocks: 0
; VGPRBlocks: 0
; NumSGPRsForWavesPerEU: 18
; NumVGPRsForWavesPerEU: 6
; Occupancy: 16
; WaveLimiterHint : 0
; COMPUTE_PGM_RSRC2:SCRATCH_EN: 0
; COMPUTE_PGM_RSRC2:USER_SGPR: 6
; COMPUTE_PGM_RSRC2:TRAP_HANDLER: 0
; COMPUTE_PGM_RSRC2:TGID_X_EN: 1
; COMPUTE_PGM_RSRC2:TGID_Y_EN: 0
; COMPUTE_PGM_RSRC2:TGID_Z_EN: 0
; COMPUTE_PGM_RSRC2:TIDIG_COMP_CNT: 0
	.section	.text._ZN7rocprim17ROCPRIM_400000_NS6detail17trampoline_kernelINS0_14default_configENS1_20scan_config_selectorIN3c107complexIdEEEEZZNS1_9scan_implILNS1_25lookback_scan_determinismE0ELb0ELb0ES3_PKS7_PS7_S7_ZZZN2at6native31launch_logcumsumexp_cuda_kernelERKNSE_10TensorBaseESI_lENKUlvE_clEvENKUlvE1_clEvEUlS7_S7_E_S7_EEDaPvRmT3_T4_T5_mT6_P12ihipStream_tbENKUlT_T0_E_clISt17integral_constantIbLb0EESZ_EEDaSU_SV_EUlSU_E_NS1_11comp_targetILNS1_3genE0ELNS1_11target_archE4294967295ELNS1_3gpuE0ELNS1_3repE0EEENS1_30default_config_static_selectorELNS0_4arch9wavefront6targetE0EEEvT1_,"axG",@progbits,_ZN7rocprim17ROCPRIM_400000_NS6detail17trampoline_kernelINS0_14default_configENS1_20scan_config_selectorIN3c107complexIdEEEEZZNS1_9scan_implILNS1_25lookback_scan_determinismE0ELb0ELb0ES3_PKS7_PS7_S7_ZZZN2at6native31launch_logcumsumexp_cuda_kernelERKNSE_10TensorBaseESI_lENKUlvE_clEvENKUlvE1_clEvEUlS7_S7_E_S7_EEDaPvRmT3_T4_T5_mT6_P12ihipStream_tbENKUlT_T0_E_clISt17integral_constantIbLb0EESZ_EEDaSU_SV_EUlSU_E_NS1_11comp_targetILNS1_3genE0ELNS1_11target_archE4294967295ELNS1_3gpuE0ELNS1_3repE0EEENS1_30default_config_static_selectorELNS0_4arch9wavefront6targetE0EEEvT1_,comdat
	.globl	_ZN7rocprim17ROCPRIM_400000_NS6detail17trampoline_kernelINS0_14default_configENS1_20scan_config_selectorIN3c107complexIdEEEEZZNS1_9scan_implILNS1_25lookback_scan_determinismE0ELb0ELb0ES3_PKS7_PS7_S7_ZZZN2at6native31launch_logcumsumexp_cuda_kernelERKNSE_10TensorBaseESI_lENKUlvE_clEvENKUlvE1_clEvEUlS7_S7_E_S7_EEDaPvRmT3_T4_T5_mT6_P12ihipStream_tbENKUlT_T0_E_clISt17integral_constantIbLb0EESZ_EEDaSU_SV_EUlSU_E_NS1_11comp_targetILNS1_3genE0ELNS1_11target_archE4294967295ELNS1_3gpuE0ELNS1_3repE0EEENS1_30default_config_static_selectorELNS0_4arch9wavefront6targetE0EEEvT1_ ; -- Begin function _ZN7rocprim17ROCPRIM_400000_NS6detail17trampoline_kernelINS0_14default_configENS1_20scan_config_selectorIN3c107complexIdEEEEZZNS1_9scan_implILNS1_25lookback_scan_determinismE0ELb0ELb0ES3_PKS7_PS7_S7_ZZZN2at6native31launch_logcumsumexp_cuda_kernelERKNSE_10TensorBaseESI_lENKUlvE_clEvENKUlvE1_clEvEUlS7_S7_E_S7_EEDaPvRmT3_T4_T5_mT6_P12ihipStream_tbENKUlT_T0_E_clISt17integral_constantIbLb0EESZ_EEDaSU_SV_EUlSU_E_NS1_11comp_targetILNS1_3genE0ELNS1_11target_archE4294967295ELNS1_3gpuE0ELNS1_3repE0EEENS1_30default_config_static_selectorELNS0_4arch9wavefront6targetE0EEEvT1_
	.p2align	8
	.type	_ZN7rocprim17ROCPRIM_400000_NS6detail17trampoline_kernelINS0_14default_configENS1_20scan_config_selectorIN3c107complexIdEEEEZZNS1_9scan_implILNS1_25lookback_scan_determinismE0ELb0ELb0ES3_PKS7_PS7_S7_ZZZN2at6native31launch_logcumsumexp_cuda_kernelERKNSE_10TensorBaseESI_lENKUlvE_clEvENKUlvE1_clEvEUlS7_S7_E_S7_EEDaPvRmT3_T4_T5_mT6_P12ihipStream_tbENKUlT_T0_E_clISt17integral_constantIbLb0EESZ_EEDaSU_SV_EUlSU_E_NS1_11comp_targetILNS1_3genE0ELNS1_11target_archE4294967295ELNS1_3gpuE0ELNS1_3repE0EEENS1_30default_config_static_selectorELNS0_4arch9wavefront6targetE0EEEvT1_,@function
_ZN7rocprim17ROCPRIM_400000_NS6detail17trampoline_kernelINS0_14default_configENS1_20scan_config_selectorIN3c107complexIdEEEEZZNS1_9scan_implILNS1_25lookback_scan_determinismE0ELb0ELb0ES3_PKS7_PS7_S7_ZZZN2at6native31launch_logcumsumexp_cuda_kernelERKNSE_10TensorBaseESI_lENKUlvE_clEvENKUlvE1_clEvEUlS7_S7_E_S7_EEDaPvRmT3_T4_T5_mT6_P12ihipStream_tbENKUlT_T0_E_clISt17integral_constantIbLb0EESZ_EEDaSU_SV_EUlSU_E_NS1_11comp_targetILNS1_3genE0ELNS1_11target_archE4294967295ELNS1_3gpuE0ELNS1_3repE0EEENS1_30default_config_static_selectorELNS0_4arch9wavefront6targetE0EEEvT1_: ; @_ZN7rocprim17ROCPRIM_400000_NS6detail17trampoline_kernelINS0_14default_configENS1_20scan_config_selectorIN3c107complexIdEEEEZZNS1_9scan_implILNS1_25lookback_scan_determinismE0ELb0ELb0ES3_PKS7_PS7_S7_ZZZN2at6native31launch_logcumsumexp_cuda_kernelERKNSE_10TensorBaseESI_lENKUlvE_clEvENKUlvE1_clEvEUlS7_S7_E_S7_EEDaPvRmT3_T4_T5_mT6_P12ihipStream_tbENKUlT_T0_E_clISt17integral_constantIbLb0EESZ_EEDaSU_SV_EUlSU_E_NS1_11comp_targetILNS1_3genE0ELNS1_11target_archE4294967295ELNS1_3gpuE0ELNS1_3repE0EEENS1_30default_config_static_selectorELNS0_4arch9wavefront6targetE0EEEvT1_
; %bb.0:
	.section	.rodata,"a",@progbits
	.p2align	6, 0x0
	.amdhsa_kernel _ZN7rocprim17ROCPRIM_400000_NS6detail17trampoline_kernelINS0_14default_configENS1_20scan_config_selectorIN3c107complexIdEEEEZZNS1_9scan_implILNS1_25lookback_scan_determinismE0ELb0ELb0ES3_PKS7_PS7_S7_ZZZN2at6native31launch_logcumsumexp_cuda_kernelERKNSE_10TensorBaseESI_lENKUlvE_clEvENKUlvE1_clEvEUlS7_S7_E_S7_EEDaPvRmT3_T4_T5_mT6_P12ihipStream_tbENKUlT_T0_E_clISt17integral_constantIbLb0EESZ_EEDaSU_SV_EUlSU_E_NS1_11comp_targetILNS1_3genE0ELNS1_11target_archE4294967295ELNS1_3gpuE0ELNS1_3repE0EEENS1_30default_config_static_selectorELNS0_4arch9wavefront6targetE0EEEvT1_
		.amdhsa_group_segment_fixed_size 0
		.amdhsa_private_segment_fixed_size 0
		.amdhsa_kernarg_size 128
		.amdhsa_user_sgpr_count 6
		.amdhsa_user_sgpr_private_segment_buffer 1
		.amdhsa_user_sgpr_dispatch_ptr 0
		.amdhsa_user_sgpr_queue_ptr 0
		.amdhsa_user_sgpr_kernarg_segment_ptr 1
		.amdhsa_user_sgpr_dispatch_id 0
		.amdhsa_user_sgpr_flat_scratch_init 0
		.amdhsa_user_sgpr_private_segment_size 0
		.amdhsa_wavefront_size32 1
		.amdhsa_uses_dynamic_stack 0
		.amdhsa_system_sgpr_private_segment_wavefront_offset 0
		.amdhsa_system_sgpr_workgroup_id_x 1
		.amdhsa_system_sgpr_workgroup_id_y 0
		.amdhsa_system_sgpr_workgroup_id_z 0
		.amdhsa_system_sgpr_workgroup_info 0
		.amdhsa_system_vgpr_workitem_id 0
		.amdhsa_next_free_vgpr 1
		.amdhsa_next_free_sgpr 1
		.amdhsa_reserve_vcc 0
		.amdhsa_reserve_flat_scratch 0
		.amdhsa_float_round_mode_32 0
		.amdhsa_float_round_mode_16_64 0
		.amdhsa_float_denorm_mode_32 3
		.amdhsa_float_denorm_mode_16_64 3
		.amdhsa_dx10_clamp 1
		.amdhsa_ieee_mode 1
		.amdhsa_fp16_overflow 0
		.amdhsa_workgroup_processor_mode 1
		.amdhsa_memory_ordered 1
		.amdhsa_forward_progress 1
		.amdhsa_shared_vgpr_count 0
		.amdhsa_exception_fp_ieee_invalid_op 0
		.amdhsa_exception_fp_denorm_src 0
		.amdhsa_exception_fp_ieee_div_zero 0
		.amdhsa_exception_fp_ieee_overflow 0
		.amdhsa_exception_fp_ieee_underflow 0
		.amdhsa_exception_fp_ieee_inexact 0
		.amdhsa_exception_int_div_zero 0
	.end_amdhsa_kernel
	.section	.text._ZN7rocprim17ROCPRIM_400000_NS6detail17trampoline_kernelINS0_14default_configENS1_20scan_config_selectorIN3c107complexIdEEEEZZNS1_9scan_implILNS1_25lookback_scan_determinismE0ELb0ELb0ES3_PKS7_PS7_S7_ZZZN2at6native31launch_logcumsumexp_cuda_kernelERKNSE_10TensorBaseESI_lENKUlvE_clEvENKUlvE1_clEvEUlS7_S7_E_S7_EEDaPvRmT3_T4_T5_mT6_P12ihipStream_tbENKUlT_T0_E_clISt17integral_constantIbLb0EESZ_EEDaSU_SV_EUlSU_E_NS1_11comp_targetILNS1_3genE0ELNS1_11target_archE4294967295ELNS1_3gpuE0ELNS1_3repE0EEENS1_30default_config_static_selectorELNS0_4arch9wavefront6targetE0EEEvT1_,"axG",@progbits,_ZN7rocprim17ROCPRIM_400000_NS6detail17trampoline_kernelINS0_14default_configENS1_20scan_config_selectorIN3c107complexIdEEEEZZNS1_9scan_implILNS1_25lookback_scan_determinismE0ELb0ELb0ES3_PKS7_PS7_S7_ZZZN2at6native31launch_logcumsumexp_cuda_kernelERKNSE_10TensorBaseESI_lENKUlvE_clEvENKUlvE1_clEvEUlS7_S7_E_S7_EEDaPvRmT3_T4_T5_mT6_P12ihipStream_tbENKUlT_T0_E_clISt17integral_constantIbLb0EESZ_EEDaSU_SV_EUlSU_E_NS1_11comp_targetILNS1_3genE0ELNS1_11target_archE4294967295ELNS1_3gpuE0ELNS1_3repE0EEENS1_30default_config_static_selectorELNS0_4arch9wavefront6targetE0EEEvT1_,comdat
.Lfunc_end175:
	.size	_ZN7rocprim17ROCPRIM_400000_NS6detail17trampoline_kernelINS0_14default_configENS1_20scan_config_selectorIN3c107complexIdEEEEZZNS1_9scan_implILNS1_25lookback_scan_determinismE0ELb0ELb0ES3_PKS7_PS7_S7_ZZZN2at6native31launch_logcumsumexp_cuda_kernelERKNSE_10TensorBaseESI_lENKUlvE_clEvENKUlvE1_clEvEUlS7_S7_E_S7_EEDaPvRmT3_T4_T5_mT6_P12ihipStream_tbENKUlT_T0_E_clISt17integral_constantIbLb0EESZ_EEDaSU_SV_EUlSU_E_NS1_11comp_targetILNS1_3genE0ELNS1_11target_archE4294967295ELNS1_3gpuE0ELNS1_3repE0EEENS1_30default_config_static_selectorELNS0_4arch9wavefront6targetE0EEEvT1_, .Lfunc_end175-_ZN7rocprim17ROCPRIM_400000_NS6detail17trampoline_kernelINS0_14default_configENS1_20scan_config_selectorIN3c107complexIdEEEEZZNS1_9scan_implILNS1_25lookback_scan_determinismE0ELb0ELb0ES3_PKS7_PS7_S7_ZZZN2at6native31launch_logcumsumexp_cuda_kernelERKNSE_10TensorBaseESI_lENKUlvE_clEvENKUlvE1_clEvEUlS7_S7_E_S7_EEDaPvRmT3_T4_T5_mT6_P12ihipStream_tbENKUlT_T0_E_clISt17integral_constantIbLb0EESZ_EEDaSU_SV_EUlSU_E_NS1_11comp_targetILNS1_3genE0ELNS1_11target_archE4294967295ELNS1_3gpuE0ELNS1_3repE0EEENS1_30default_config_static_selectorELNS0_4arch9wavefront6targetE0EEEvT1_
                                        ; -- End function
	.set _ZN7rocprim17ROCPRIM_400000_NS6detail17trampoline_kernelINS0_14default_configENS1_20scan_config_selectorIN3c107complexIdEEEEZZNS1_9scan_implILNS1_25lookback_scan_determinismE0ELb0ELb0ES3_PKS7_PS7_S7_ZZZN2at6native31launch_logcumsumexp_cuda_kernelERKNSE_10TensorBaseESI_lENKUlvE_clEvENKUlvE1_clEvEUlS7_S7_E_S7_EEDaPvRmT3_T4_T5_mT6_P12ihipStream_tbENKUlT_T0_E_clISt17integral_constantIbLb0EESZ_EEDaSU_SV_EUlSU_E_NS1_11comp_targetILNS1_3genE0ELNS1_11target_archE4294967295ELNS1_3gpuE0ELNS1_3repE0EEENS1_30default_config_static_selectorELNS0_4arch9wavefront6targetE0EEEvT1_.num_vgpr, 0
	.set _ZN7rocprim17ROCPRIM_400000_NS6detail17trampoline_kernelINS0_14default_configENS1_20scan_config_selectorIN3c107complexIdEEEEZZNS1_9scan_implILNS1_25lookback_scan_determinismE0ELb0ELb0ES3_PKS7_PS7_S7_ZZZN2at6native31launch_logcumsumexp_cuda_kernelERKNSE_10TensorBaseESI_lENKUlvE_clEvENKUlvE1_clEvEUlS7_S7_E_S7_EEDaPvRmT3_T4_T5_mT6_P12ihipStream_tbENKUlT_T0_E_clISt17integral_constantIbLb0EESZ_EEDaSU_SV_EUlSU_E_NS1_11comp_targetILNS1_3genE0ELNS1_11target_archE4294967295ELNS1_3gpuE0ELNS1_3repE0EEENS1_30default_config_static_selectorELNS0_4arch9wavefront6targetE0EEEvT1_.num_agpr, 0
	.set _ZN7rocprim17ROCPRIM_400000_NS6detail17trampoline_kernelINS0_14default_configENS1_20scan_config_selectorIN3c107complexIdEEEEZZNS1_9scan_implILNS1_25lookback_scan_determinismE0ELb0ELb0ES3_PKS7_PS7_S7_ZZZN2at6native31launch_logcumsumexp_cuda_kernelERKNSE_10TensorBaseESI_lENKUlvE_clEvENKUlvE1_clEvEUlS7_S7_E_S7_EEDaPvRmT3_T4_T5_mT6_P12ihipStream_tbENKUlT_T0_E_clISt17integral_constantIbLb0EESZ_EEDaSU_SV_EUlSU_E_NS1_11comp_targetILNS1_3genE0ELNS1_11target_archE4294967295ELNS1_3gpuE0ELNS1_3repE0EEENS1_30default_config_static_selectorELNS0_4arch9wavefront6targetE0EEEvT1_.numbered_sgpr, 0
	.set _ZN7rocprim17ROCPRIM_400000_NS6detail17trampoline_kernelINS0_14default_configENS1_20scan_config_selectorIN3c107complexIdEEEEZZNS1_9scan_implILNS1_25lookback_scan_determinismE0ELb0ELb0ES3_PKS7_PS7_S7_ZZZN2at6native31launch_logcumsumexp_cuda_kernelERKNSE_10TensorBaseESI_lENKUlvE_clEvENKUlvE1_clEvEUlS7_S7_E_S7_EEDaPvRmT3_T4_T5_mT6_P12ihipStream_tbENKUlT_T0_E_clISt17integral_constantIbLb0EESZ_EEDaSU_SV_EUlSU_E_NS1_11comp_targetILNS1_3genE0ELNS1_11target_archE4294967295ELNS1_3gpuE0ELNS1_3repE0EEENS1_30default_config_static_selectorELNS0_4arch9wavefront6targetE0EEEvT1_.num_named_barrier, 0
	.set _ZN7rocprim17ROCPRIM_400000_NS6detail17trampoline_kernelINS0_14default_configENS1_20scan_config_selectorIN3c107complexIdEEEEZZNS1_9scan_implILNS1_25lookback_scan_determinismE0ELb0ELb0ES3_PKS7_PS7_S7_ZZZN2at6native31launch_logcumsumexp_cuda_kernelERKNSE_10TensorBaseESI_lENKUlvE_clEvENKUlvE1_clEvEUlS7_S7_E_S7_EEDaPvRmT3_T4_T5_mT6_P12ihipStream_tbENKUlT_T0_E_clISt17integral_constantIbLb0EESZ_EEDaSU_SV_EUlSU_E_NS1_11comp_targetILNS1_3genE0ELNS1_11target_archE4294967295ELNS1_3gpuE0ELNS1_3repE0EEENS1_30default_config_static_selectorELNS0_4arch9wavefront6targetE0EEEvT1_.private_seg_size, 0
	.set _ZN7rocprim17ROCPRIM_400000_NS6detail17trampoline_kernelINS0_14default_configENS1_20scan_config_selectorIN3c107complexIdEEEEZZNS1_9scan_implILNS1_25lookback_scan_determinismE0ELb0ELb0ES3_PKS7_PS7_S7_ZZZN2at6native31launch_logcumsumexp_cuda_kernelERKNSE_10TensorBaseESI_lENKUlvE_clEvENKUlvE1_clEvEUlS7_S7_E_S7_EEDaPvRmT3_T4_T5_mT6_P12ihipStream_tbENKUlT_T0_E_clISt17integral_constantIbLb0EESZ_EEDaSU_SV_EUlSU_E_NS1_11comp_targetILNS1_3genE0ELNS1_11target_archE4294967295ELNS1_3gpuE0ELNS1_3repE0EEENS1_30default_config_static_selectorELNS0_4arch9wavefront6targetE0EEEvT1_.uses_vcc, 0
	.set _ZN7rocprim17ROCPRIM_400000_NS6detail17trampoline_kernelINS0_14default_configENS1_20scan_config_selectorIN3c107complexIdEEEEZZNS1_9scan_implILNS1_25lookback_scan_determinismE0ELb0ELb0ES3_PKS7_PS7_S7_ZZZN2at6native31launch_logcumsumexp_cuda_kernelERKNSE_10TensorBaseESI_lENKUlvE_clEvENKUlvE1_clEvEUlS7_S7_E_S7_EEDaPvRmT3_T4_T5_mT6_P12ihipStream_tbENKUlT_T0_E_clISt17integral_constantIbLb0EESZ_EEDaSU_SV_EUlSU_E_NS1_11comp_targetILNS1_3genE0ELNS1_11target_archE4294967295ELNS1_3gpuE0ELNS1_3repE0EEENS1_30default_config_static_selectorELNS0_4arch9wavefront6targetE0EEEvT1_.uses_flat_scratch, 0
	.set _ZN7rocprim17ROCPRIM_400000_NS6detail17trampoline_kernelINS0_14default_configENS1_20scan_config_selectorIN3c107complexIdEEEEZZNS1_9scan_implILNS1_25lookback_scan_determinismE0ELb0ELb0ES3_PKS7_PS7_S7_ZZZN2at6native31launch_logcumsumexp_cuda_kernelERKNSE_10TensorBaseESI_lENKUlvE_clEvENKUlvE1_clEvEUlS7_S7_E_S7_EEDaPvRmT3_T4_T5_mT6_P12ihipStream_tbENKUlT_T0_E_clISt17integral_constantIbLb0EESZ_EEDaSU_SV_EUlSU_E_NS1_11comp_targetILNS1_3genE0ELNS1_11target_archE4294967295ELNS1_3gpuE0ELNS1_3repE0EEENS1_30default_config_static_selectorELNS0_4arch9wavefront6targetE0EEEvT1_.has_dyn_sized_stack, 0
	.set _ZN7rocprim17ROCPRIM_400000_NS6detail17trampoline_kernelINS0_14default_configENS1_20scan_config_selectorIN3c107complexIdEEEEZZNS1_9scan_implILNS1_25lookback_scan_determinismE0ELb0ELb0ES3_PKS7_PS7_S7_ZZZN2at6native31launch_logcumsumexp_cuda_kernelERKNSE_10TensorBaseESI_lENKUlvE_clEvENKUlvE1_clEvEUlS7_S7_E_S7_EEDaPvRmT3_T4_T5_mT6_P12ihipStream_tbENKUlT_T0_E_clISt17integral_constantIbLb0EESZ_EEDaSU_SV_EUlSU_E_NS1_11comp_targetILNS1_3genE0ELNS1_11target_archE4294967295ELNS1_3gpuE0ELNS1_3repE0EEENS1_30default_config_static_selectorELNS0_4arch9wavefront6targetE0EEEvT1_.has_recursion, 0
	.set _ZN7rocprim17ROCPRIM_400000_NS6detail17trampoline_kernelINS0_14default_configENS1_20scan_config_selectorIN3c107complexIdEEEEZZNS1_9scan_implILNS1_25lookback_scan_determinismE0ELb0ELb0ES3_PKS7_PS7_S7_ZZZN2at6native31launch_logcumsumexp_cuda_kernelERKNSE_10TensorBaseESI_lENKUlvE_clEvENKUlvE1_clEvEUlS7_S7_E_S7_EEDaPvRmT3_T4_T5_mT6_P12ihipStream_tbENKUlT_T0_E_clISt17integral_constantIbLb0EESZ_EEDaSU_SV_EUlSU_E_NS1_11comp_targetILNS1_3genE0ELNS1_11target_archE4294967295ELNS1_3gpuE0ELNS1_3repE0EEENS1_30default_config_static_selectorELNS0_4arch9wavefront6targetE0EEEvT1_.has_indirect_call, 0
	.section	.AMDGPU.csdata,"",@progbits
; Kernel info:
; codeLenInByte = 0
; TotalNumSgprs: 0
; NumVgprs: 0
; ScratchSize: 0
; MemoryBound: 0
; FloatMode: 240
; IeeeMode: 1
; LDSByteSize: 0 bytes/workgroup (compile time only)
; SGPRBlocks: 0
; VGPRBlocks: 0
; NumSGPRsForWavesPerEU: 1
; NumVGPRsForWavesPerEU: 1
; Occupancy: 16
; WaveLimiterHint : 0
; COMPUTE_PGM_RSRC2:SCRATCH_EN: 0
; COMPUTE_PGM_RSRC2:USER_SGPR: 6
; COMPUTE_PGM_RSRC2:TRAP_HANDLER: 0
; COMPUTE_PGM_RSRC2:TGID_X_EN: 1
; COMPUTE_PGM_RSRC2:TGID_Y_EN: 0
; COMPUTE_PGM_RSRC2:TGID_Z_EN: 0
; COMPUTE_PGM_RSRC2:TIDIG_COMP_CNT: 0
	.section	.text._ZN7rocprim17ROCPRIM_400000_NS6detail17trampoline_kernelINS0_14default_configENS1_20scan_config_selectorIN3c107complexIdEEEEZZNS1_9scan_implILNS1_25lookback_scan_determinismE0ELb0ELb0ES3_PKS7_PS7_S7_ZZZN2at6native31launch_logcumsumexp_cuda_kernelERKNSE_10TensorBaseESI_lENKUlvE_clEvENKUlvE1_clEvEUlS7_S7_E_S7_EEDaPvRmT3_T4_T5_mT6_P12ihipStream_tbENKUlT_T0_E_clISt17integral_constantIbLb0EESZ_EEDaSU_SV_EUlSU_E_NS1_11comp_targetILNS1_3genE5ELNS1_11target_archE942ELNS1_3gpuE9ELNS1_3repE0EEENS1_30default_config_static_selectorELNS0_4arch9wavefront6targetE0EEEvT1_,"axG",@progbits,_ZN7rocprim17ROCPRIM_400000_NS6detail17trampoline_kernelINS0_14default_configENS1_20scan_config_selectorIN3c107complexIdEEEEZZNS1_9scan_implILNS1_25lookback_scan_determinismE0ELb0ELb0ES3_PKS7_PS7_S7_ZZZN2at6native31launch_logcumsumexp_cuda_kernelERKNSE_10TensorBaseESI_lENKUlvE_clEvENKUlvE1_clEvEUlS7_S7_E_S7_EEDaPvRmT3_T4_T5_mT6_P12ihipStream_tbENKUlT_T0_E_clISt17integral_constantIbLb0EESZ_EEDaSU_SV_EUlSU_E_NS1_11comp_targetILNS1_3genE5ELNS1_11target_archE942ELNS1_3gpuE9ELNS1_3repE0EEENS1_30default_config_static_selectorELNS0_4arch9wavefront6targetE0EEEvT1_,comdat
	.globl	_ZN7rocprim17ROCPRIM_400000_NS6detail17trampoline_kernelINS0_14default_configENS1_20scan_config_selectorIN3c107complexIdEEEEZZNS1_9scan_implILNS1_25lookback_scan_determinismE0ELb0ELb0ES3_PKS7_PS7_S7_ZZZN2at6native31launch_logcumsumexp_cuda_kernelERKNSE_10TensorBaseESI_lENKUlvE_clEvENKUlvE1_clEvEUlS7_S7_E_S7_EEDaPvRmT3_T4_T5_mT6_P12ihipStream_tbENKUlT_T0_E_clISt17integral_constantIbLb0EESZ_EEDaSU_SV_EUlSU_E_NS1_11comp_targetILNS1_3genE5ELNS1_11target_archE942ELNS1_3gpuE9ELNS1_3repE0EEENS1_30default_config_static_selectorELNS0_4arch9wavefront6targetE0EEEvT1_ ; -- Begin function _ZN7rocprim17ROCPRIM_400000_NS6detail17trampoline_kernelINS0_14default_configENS1_20scan_config_selectorIN3c107complexIdEEEEZZNS1_9scan_implILNS1_25lookback_scan_determinismE0ELb0ELb0ES3_PKS7_PS7_S7_ZZZN2at6native31launch_logcumsumexp_cuda_kernelERKNSE_10TensorBaseESI_lENKUlvE_clEvENKUlvE1_clEvEUlS7_S7_E_S7_EEDaPvRmT3_T4_T5_mT6_P12ihipStream_tbENKUlT_T0_E_clISt17integral_constantIbLb0EESZ_EEDaSU_SV_EUlSU_E_NS1_11comp_targetILNS1_3genE5ELNS1_11target_archE942ELNS1_3gpuE9ELNS1_3repE0EEENS1_30default_config_static_selectorELNS0_4arch9wavefront6targetE0EEEvT1_
	.p2align	8
	.type	_ZN7rocprim17ROCPRIM_400000_NS6detail17trampoline_kernelINS0_14default_configENS1_20scan_config_selectorIN3c107complexIdEEEEZZNS1_9scan_implILNS1_25lookback_scan_determinismE0ELb0ELb0ES3_PKS7_PS7_S7_ZZZN2at6native31launch_logcumsumexp_cuda_kernelERKNSE_10TensorBaseESI_lENKUlvE_clEvENKUlvE1_clEvEUlS7_S7_E_S7_EEDaPvRmT3_T4_T5_mT6_P12ihipStream_tbENKUlT_T0_E_clISt17integral_constantIbLb0EESZ_EEDaSU_SV_EUlSU_E_NS1_11comp_targetILNS1_3genE5ELNS1_11target_archE942ELNS1_3gpuE9ELNS1_3repE0EEENS1_30default_config_static_selectorELNS0_4arch9wavefront6targetE0EEEvT1_,@function
_ZN7rocprim17ROCPRIM_400000_NS6detail17trampoline_kernelINS0_14default_configENS1_20scan_config_selectorIN3c107complexIdEEEEZZNS1_9scan_implILNS1_25lookback_scan_determinismE0ELb0ELb0ES3_PKS7_PS7_S7_ZZZN2at6native31launch_logcumsumexp_cuda_kernelERKNSE_10TensorBaseESI_lENKUlvE_clEvENKUlvE1_clEvEUlS7_S7_E_S7_EEDaPvRmT3_T4_T5_mT6_P12ihipStream_tbENKUlT_T0_E_clISt17integral_constantIbLb0EESZ_EEDaSU_SV_EUlSU_E_NS1_11comp_targetILNS1_3genE5ELNS1_11target_archE942ELNS1_3gpuE9ELNS1_3repE0EEENS1_30default_config_static_selectorELNS0_4arch9wavefront6targetE0EEEvT1_: ; @_ZN7rocprim17ROCPRIM_400000_NS6detail17trampoline_kernelINS0_14default_configENS1_20scan_config_selectorIN3c107complexIdEEEEZZNS1_9scan_implILNS1_25lookback_scan_determinismE0ELb0ELb0ES3_PKS7_PS7_S7_ZZZN2at6native31launch_logcumsumexp_cuda_kernelERKNSE_10TensorBaseESI_lENKUlvE_clEvENKUlvE1_clEvEUlS7_S7_E_S7_EEDaPvRmT3_T4_T5_mT6_P12ihipStream_tbENKUlT_T0_E_clISt17integral_constantIbLb0EESZ_EEDaSU_SV_EUlSU_E_NS1_11comp_targetILNS1_3genE5ELNS1_11target_archE942ELNS1_3gpuE9ELNS1_3repE0EEENS1_30default_config_static_selectorELNS0_4arch9wavefront6targetE0EEEvT1_
; %bb.0:
	.section	.rodata,"a",@progbits
	.p2align	6, 0x0
	.amdhsa_kernel _ZN7rocprim17ROCPRIM_400000_NS6detail17trampoline_kernelINS0_14default_configENS1_20scan_config_selectorIN3c107complexIdEEEEZZNS1_9scan_implILNS1_25lookback_scan_determinismE0ELb0ELb0ES3_PKS7_PS7_S7_ZZZN2at6native31launch_logcumsumexp_cuda_kernelERKNSE_10TensorBaseESI_lENKUlvE_clEvENKUlvE1_clEvEUlS7_S7_E_S7_EEDaPvRmT3_T4_T5_mT6_P12ihipStream_tbENKUlT_T0_E_clISt17integral_constantIbLb0EESZ_EEDaSU_SV_EUlSU_E_NS1_11comp_targetILNS1_3genE5ELNS1_11target_archE942ELNS1_3gpuE9ELNS1_3repE0EEENS1_30default_config_static_selectorELNS0_4arch9wavefront6targetE0EEEvT1_
		.amdhsa_group_segment_fixed_size 0
		.amdhsa_private_segment_fixed_size 0
		.amdhsa_kernarg_size 128
		.amdhsa_user_sgpr_count 6
		.amdhsa_user_sgpr_private_segment_buffer 1
		.amdhsa_user_sgpr_dispatch_ptr 0
		.amdhsa_user_sgpr_queue_ptr 0
		.amdhsa_user_sgpr_kernarg_segment_ptr 1
		.amdhsa_user_sgpr_dispatch_id 0
		.amdhsa_user_sgpr_flat_scratch_init 0
		.amdhsa_user_sgpr_private_segment_size 0
		.amdhsa_wavefront_size32 1
		.amdhsa_uses_dynamic_stack 0
		.amdhsa_system_sgpr_private_segment_wavefront_offset 0
		.amdhsa_system_sgpr_workgroup_id_x 1
		.amdhsa_system_sgpr_workgroup_id_y 0
		.amdhsa_system_sgpr_workgroup_id_z 0
		.amdhsa_system_sgpr_workgroup_info 0
		.amdhsa_system_vgpr_workitem_id 0
		.amdhsa_next_free_vgpr 1
		.amdhsa_next_free_sgpr 1
		.amdhsa_reserve_vcc 0
		.amdhsa_reserve_flat_scratch 0
		.amdhsa_float_round_mode_32 0
		.amdhsa_float_round_mode_16_64 0
		.amdhsa_float_denorm_mode_32 3
		.amdhsa_float_denorm_mode_16_64 3
		.amdhsa_dx10_clamp 1
		.amdhsa_ieee_mode 1
		.amdhsa_fp16_overflow 0
		.amdhsa_workgroup_processor_mode 1
		.amdhsa_memory_ordered 1
		.amdhsa_forward_progress 1
		.amdhsa_shared_vgpr_count 0
		.amdhsa_exception_fp_ieee_invalid_op 0
		.amdhsa_exception_fp_denorm_src 0
		.amdhsa_exception_fp_ieee_div_zero 0
		.amdhsa_exception_fp_ieee_overflow 0
		.amdhsa_exception_fp_ieee_underflow 0
		.amdhsa_exception_fp_ieee_inexact 0
		.amdhsa_exception_int_div_zero 0
	.end_amdhsa_kernel
	.section	.text._ZN7rocprim17ROCPRIM_400000_NS6detail17trampoline_kernelINS0_14default_configENS1_20scan_config_selectorIN3c107complexIdEEEEZZNS1_9scan_implILNS1_25lookback_scan_determinismE0ELb0ELb0ES3_PKS7_PS7_S7_ZZZN2at6native31launch_logcumsumexp_cuda_kernelERKNSE_10TensorBaseESI_lENKUlvE_clEvENKUlvE1_clEvEUlS7_S7_E_S7_EEDaPvRmT3_T4_T5_mT6_P12ihipStream_tbENKUlT_T0_E_clISt17integral_constantIbLb0EESZ_EEDaSU_SV_EUlSU_E_NS1_11comp_targetILNS1_3genE5ELNS1_11target_archE942ELNS1_3gpuE9ELNS1_3repE0EEENS1_30default_config_static_selectorELNS0_4arch9wavefront6targetE0EEEvT1_,"axG",@progbits,_ZN7rocprim17ROCPRIM_400000_NS6detail17trampoline_kernelINS0_14default_configENS1_20scan_config_selectorIN3c107complexIdEEEEZZNS1_9scan_implILNS1_25lookback_scan_determinismE0ELb0ELb0ES3_PKS7_PS7_S7_ZZZN2at6native31launch_logcumsumexp_cuda_kernelERKNSE_10TensorBaseESI_lENKUlvE_clEvENKUlvE1_clEvEUlS7_S7_E_S7_EEDaPvRmT3_T4_T5_mT6_P12ihipStream_tbENKUlT_T0_E_clISt17integral_constantIbLb0EESZ_EEDaSU_SV_EUlSU_E_NS1_11comp_targetILNS1_3genE5ELNS1_11target_archE942ELNS1_3gpuE9ELNS1_3repE0EEENS1_30default_config_static_selectorELNS0_4arch9wavefront6targetE0EEEvT1_,comdat
.Lfunc_end176:
	.size	_ZN7rocprim17ROCPRIM_400000_NS6detail17trampoline_kernelINS0_14default_configENS1_20scan_config_selectorIN3c107complexIdEEEEZZNS1_9scan_implILNS1_25lookback_scan_determinismE0ELb0ELb0ES3_PKS7_PS7_S7_ZZZN2at6native31launch_logcumsumexp_cuda_kernelERKNSE_10TensorBaseESI_lENKUlvE_clEvENKUlvE1_clEvEUlS7_S7_E_S7_EEDaPvRmT3_T4_T5_mT6_P12ihipStream_tbENKUlT_T0_E_clISt17integral_constantIbLb0EESZ_EEDaSU_SV_EUlSU_E_NS1_11comp_targetILNS1_3genE5ELNS1_11target_archE942ELNS1_3gpuE9ELNS1_3repE0EEENS1_30default_config_static_selectorELNS0_4arch9wavefront6targetE0EEEvT1_, .Lfunc_end176-_ZN7rocprim17ROCPRIM_400000_NS6detail17trampoline_kernelINS0_14default_configENS1_20scan_config_selectorIN3c107complexIdEEEEZZNS1_9scan_implILNS1_25lookback_scan_determinismE0ELb0ELb0ES3_PKS7_PS7_S7_ZZZN2at6native31launch_logcumsumexp_cuda_kernelERKNSE_10TensorBaseESI_lENKUlvE_clEvENKUlvE1_clEvEUlS7_S7_E_S7_EEDaPvRmT3_T4_T5_mT6_P12ihipStream_tbENKUlT_T0_E_clISt17integral_constantIbLb0EESZ_EEDaSU_SV_EUlSU_E_NS1_11comp_targetILNS1_3genE5ELNS1_11target_archE942ELNS1_3gpuE9ELNS1_3repE0EEENS1_30default_config_static_selectorELNS0_4arch9wavefront6targetE0EEEvT1_
                                        ; -- End function
	.set _ZN7rocprim17ROCPRIM_400000_NS6detail17trampoline_kernelINS0_14default_configENS1_20scan_config_selectorIN3c107complexIdEEEEZZNS1_9scan_implILNS1_25lookback_scan_determinismE0ELb0ELb0ES3_PKS7_PS7_S7_ZZZN2at6native31launch_logcumsumexp_cuda_kernelERKNSE_10TensorBaseESI_lENKUlvE_clEvENKUlvE1_clEvEUlS7_S7_E_S7_EEDaPvRmT3_T4_T5_mT6_P12ihipStream_tbENKUlT_T0_E_clISt17integral_constantIbLb0EESZ_EEDaSU_SV_EUlSU_E_NS1_11comp_targetILNS1_3genE5ELNS1_11target_archE942ELNS1_3gpuE9ELNS1_3repE0EEENS1_30default_config_static_selectorELNS0_4arch9wavefront6targetE0EEEvT1_.num_vgpr, 0
	.set _ZN7rocprim17ROCPRIM_400000_NS6detail17trampoline_kernelINS0_14default_configENS1_20scan_config_selectorIN3c107complexIdEEEEZZNS1_9scan_implILNS1_25lookback_scan_determinismE0ELb0ELb0ES3_PKS7_PS7_S7_ZZZN2at6native31launch_logcumsumexp_cuda_kernelERKNSE_10TensorBaseESI_lENKUlvE_clEvENKUlvE1_clEvEUlS7_S7_E_S7_EEDaPvRmT3_T4_T5_mT6_P12ihipStream_tbENKUlT_T0_E_clISt17integral_constantIbLb0EESZ_EEDaSU_SV_EUlSU_E_NS1_11comp_targetILNS1_3genE5ELNS1_11target_archE942ELNS1_3gpuE9ELNS1_3repE0EEENS1_30default_config_static_selectorELNS0_4arch9wavefront6targetE0EEEvT1_.num_agpr, 0
	.set _ZN7rocprim17ROCPRIM_400000_NS6detail17trampoline_kernelINS0_14default_configENS1_20scan_config_selectorIN3c107complexIdEEEEZZNS1_9scan_implILNS1_25lookback_scan_determinismE0ELb0ELb0ES3_PKS7_PS7_S7_ZZZN2at6native31launch_logcumsumexp_cuda_kernelERKNSE_10TensorBaseESI_lENKUlvE_clEvENKUlvE1_clEvEUlS7_S7_E_S7_EEDaPvRmT3_T4_T5_mT6_P12ihipStream_tbENKUlT_T0_E_clISt17integral_constantIbLb0EESZ_EEDaSU_SV_EUlSU_E_NS1_11comp_targetILNS1_3genE5ELNS1_11target_archE942ELNS1_3gpuE9ELNS1_3repE0EEENS1_30default_config_static_selectorELNS0_4arch9wavefront6targetE0EEEvT1_.numbered_sgpr, 0
	.set _ZN7rocprim17ROCPRIM_400000_NS6detail17trampoline_kernelINS0_14default_configENS1_20scan_config_selectorIN3c107complexIdEEEEZZNS1_9scan_implILNS1_25lookback_scan_determinismE0ELb0ELb0ES3_PKS7_PS7_S7_ZZZN2at6native31launch_logcumsumexp_cuda_kernelERKNSE_10TensorBaseESI_lENKUlvE_clEvENKUlvE1_clEvEUlS7_S7_E_S7_EEDaPvRmT3_T4_T5_mT6_P12ihipStream_tbENKUlT_T0_E_clISt17integral_constantIbLb0EESZ_EEDaSU_SV_EUlSU_E_NS1_11comp_targetILNS1_3genE5ELNS1_11target_archE942ELNS1_3gpuE9ELNS1_3repE0EEENS1_30default_config_static_selectorELNS0_4arch9wavefront6targetE0EEEvT1_.num_named_barrier, 0
	.set _ZN7rocprim17ROCPRIM_400000_NS6detail17trampoline_kernelINS0_14default_configENS1_20scan_config_selectorIN3c107complexIdEEEEZZNS1_9scan_implILNS1_25lookback_scan_determinismE0ELb0ELb0ES3_PKS7_PS7_S7_ZZZN2at6native31launch_logcumsumexp_cuda_kernelERKNSE_10TensorBaseESI_lENKUlvE_clEvENKUlvE1_clEvEUlS7_S7_E_S7_EEDaPvRmT3_T4_T5_mT6_P12ihipStream_tbENKUlT_T0_E_clISt17integral_constantIbLb0EESZ_EEDaSU_SV_EUlSU_E_NS1_11comp_targetILNS1_3genE5ELNS1_11target_archE942ELNS1_3gpuE9ELNS1_3repE0EEENS1_30default_config_static_selectorELNS0_4arch9wavefront6targetE0EEEvT1_.private_seg_size, 0
	.set _ZN7rocprim17ROCPRIM_400000_NS6detail17trampoline_kernelINS0_14default_configENS1_20scan_config_selectorIN3c107complexIdEEEEZZNS1_9scan_implILNS1_25lookback_scan_determinismE0ELb0ELb0ES3_PKS7_PS7_S7_ZZZN2at6native31launch_logcumsumexp_cuda_kernelERKNSE_10TensorBaseESI_lENKUlvE_clEvENKUlvE1_clEvEUlS7_S7_E_S7_EEDaPvRmT3_T4_T5_mT6_P12ihipStream_tbENKUlT_T0_E_clISt17integral_constantIbLb0EESZ_EEDaSU_SV_EUlSU_E_NS1_11comp_targetILNS1_3genE5ELNS1_11target_archE942ELNS1_3gpuE9ELNS1_3repE0EEENS1_30default_config_static_selectorELNS0_4arch9wavefront6targetE0EEEvT1_.uses_vcc, 0
	.set _ZN7rocprim17ROCPRIM_400000_NS6detail17trampoline_kernelINS0_14default_configENS1_20scan_config_selectorIN3c107complexIdEEEEZZNS1_9scan_implILNS1_25lookback_scan_determinismE0ELb0ELb0ES3_PKS7_PS7_S7_ZZZN2at6native31launch_logcumsumexp_cuda_kernelERKNSE_10TensorBaseESI_lENKUlvE_clEvENKUlvE1_clEvEUlS7_S7_E_S7_EEDaPvRmT3_T4_T5_mT6_P12ihipStream_tbENKUlT_T0_E_clISt17integral_constantIbLb0EESZ_EEDaSU_SV_EUlSU_E_NS1_11comp_targetILNS1_3genE5ELNS1_11target_archE942ELNS1_3gpuE9ELNS1_3repE0EEENS1_30default_config_static_selectorELNS0_4arch9wavefront6targetE0EEEvT1_.uses_flat_scratch, 0
	.set _ZN7rocprim17ROCPRIM_400000_NS6detail17trampoline_kernelINS0_14default_configENS1_20scan_config_selectorIN3c107complexIdEEEEZZNS1_9scan_implILNS1_25lookback_scan_determinismE0ELb0ELb0ES3_PKS7_PS7_S7_ZZZN2at6native31launch_logcumsumexp_cuda_kernelERKNSE_10TensorBaseESI_lENKUlvE_clEvENKUlvE1_clEvEUlS7_S7_E_S7_EEDaPvRmT3_T4_T5_mT6_P12ihipStream_tbENKUlT_T0_E_clISt17integral_constantIbLb0EESZ_EEDaSU_SV_EUlSU_E_NS1_11comp_targetILNS1_3genE5ELNS1_11target_archE942ELNS1_3gpuE9ELNS1_3repE0EEENS1_30default_config_static_selectorELNS0_4arch9wavefront6targetE0EEEvT1_.has_dyn_sized_stack, 0
	.set _ZN7rocprim17ROCPRIM_400000_NS6detail17trampoline_kernelINS0_14default_configENS1_20scan_config_selectorIN3c107complexIdEEEEZZNS1_9scan_implILNS1_25lookback_scan_determinismE0ELb0ELb0ES3_PKS7_PS7_S7_ZZZN2at6native31launch_logcumsumexp_cuda_kernelERKNSE_10TensorBaseESI_lENKUlvE_clEvENKUlvE1_clEvEUlS7_S7_E_S7_EEDaPvRmT3_T4_T5_mT6_P12ihipStream_tbENKUlT_T0_E_clISt17integral_constantIbLb0EESZ_EEDaSU_SV_EUlSU_E_NS1_11comp_targetILNS1_3genE5ELNS1_11target_archE942ELNS1_3gpuE9ELNS1_3repE0EEENS1_30default_config_static_selectorELNS0_4arch9wavefront6targetE0EEEvT1_.has_recursion, 0
	.set _ZN7rocprim17ROCPRIM_400000_NS6detail17trampoline_kernelINS0_14default_configENS1_20scan_config_selectorIN3c107complexIdEEEEZZNS1_9scan_implILNS1_25lookback_scan_determinismE0ELb0ELb0ES3_PKS7_PS7_S7_ZZZN2at6native31launch_logcumsumexp_cuda_kernelERKNSE_10TensorBaseESI_lENKUlvE_clEvENKUlvE1_clEvEUlS7_S7_E_S7_EEDaPvRmT3_T4_T5_mT6_P12ihipStream_tbENKUlT_T0_E_clISt17integral_constantIbLb0EESZ_EEDaSU_SV_EUlSU_E_NS1_11comp_targetILNS1_3genE5ELNS1_11target_archE942ELNS1_3gpuE9ELNS1_3repE0EEENS1_30default_config_static_selectorELNS0_4arch9wavefront6targetE0EEEvT1_.has_indirect_call, 0
	.section	.AMDGPU.csdata,"",@progbits
; Kernel info:
; codeLenInByte = 0
; TotalNumSgprs: 0
; NumVgprs: 0
; ScratchSize: 0
; MemoryBound: 0
; FloatMode: 240
; IeeeMode: 1
; LDSByteSize: 0 bytes/workgroup (compile time only)
; SGPRBlocks: 0
; VGPRBlocks: 0
; NumSGPRsForWavesPerEU: 1
; NumVGPRsForWavesPerEU: 1
; Occupancy: 16
; WaveLimiterHint : 0
; COMPUTE_PGM_RSRC2:SCRATCH_EN: 0
; COMPUTE_PGM_RSRC2:USER_SGPR: 6
; COMPUTE_PGM_RSRC2:TRAP_HANDLER: 0
; COMPUTE_PGM_RSRC2:TGID_X_EN: 1
; COMPUTE_PGM_RSRC2:TGID_Y_EN: 0
; COMPUTE_PGM_RSRC2:TGID_Z_EN: 0
; COMPUTE_PGM_RSRC2:TIDIG_COMP_CNT: 0
	.section	.text._ZN7rocprim17ROCPRIM_400000_NS6detail17trampoline_kernelINS0_14default_configENS1_20scan_config_selectorIN3c107complexIdEEEEZZNS1_9scan_implILNS1_25lookback_scan_determinismE0ELb0ELb0ES3_PKS7_PS7_S7_ZZZN2at6native31launch_logcumsumexp_cuda_kernelERKNSE_10TensorBaseESI_lENKUlvE_clEvENKUlvE1_clEvEUlS7_S7_E_S7_EEDaPvRmT3_T4_T5_mT6_P12ihipStream_tbENKUlT_T0_E_clISt17integral_constantIbLb0EESZ_EEDaSU_SV_EUlSU_E_NS1_11comp_targetILNS1_3genE4ELNS1_11target_archE910ELNS1_3gpuE8ELNS1_3repE0EEENS1_30default_config_static_selectorELNS0_4arch9wavefront6targetE0EEEvT1_,"axG",@progbits,_ZN7rocprim17ROCPRIM_400000_NS6detail17trampoline_kernelINS0_14default_configENS1_20scan_config_selectorIN3c107complexIdEEEEZZNS1_9scan_implILNS1_25lookback_scan_determinismE0ELb0ELb0ES3_PKS7_PS7_S7_ZZZN2at6native31launch_logcumsumexp_cuda_kernelERKNSE_10TensorBaseESI_lENKUlvE_clEvENKUlvE1_clEvEUlS7_S7_E_S7_EEDaPvRmT3_T4_T5_mT6_P12ihipStream_tbENKUlT_T0_E_clISt17integral_constantIbLb0EESZ_EEDaSU_SV_EUlSU_E_NS1_11comp_targetILNS1_3genE4ELNS1_11target_archE910ELNS1_3gpuE8ELNS1_3repE0EEENS1_30default_config_static_selectorELNS0_4arch9wavefront6targetE0EEEvT1_,comdat
	.globl	_ZN7rocprim17ROCPRIM_400000_NS6detail17trampoline_kernelINS0_14default_configENS1_20scan_config_selectorIN3c107complexIdEEEEZZNS1_9scan_implILNS1_25lookback_scan_determinismE0ELb0ELb0ES3_PKS7_PS7_S7_ZZZN2at6native31launch_logcumsumexp_cuda_kernelERKNSE_10TensorBaseESI_lENKUlvE_clEvENKUlvE1_clEvEUlS7_S7_E_S7_EEDaPvRmT3_T4_T5_mT6_P12ihipStream_tbENKUlT_T0_E_clISt17integral_constantIbLb0EESZ_EEDaSU_SV_EUlSU_E_NS1_11comp_targetILNS1_3genE4ELNS1_11target_archE910ELNS1_3gpuE8ELNS1_3repE0EEENS1_30default_config_static_selectorELNS0_4arch9wavefront6targetE0EEEvT1_ ; -- Begin function _ZN7rocprim17ROCPRIM_400000_NS6detail17trampoline_kernelINS0_14default_configENS1_20scan_config_selectorIN3c107complexIdEEEEZZNS1_9scan_implILNS1_25lookback_scan_determinismE0ELb0ELb0ES3_PKS7_PS7_S7_ZZZN2at6native31launch_logcumsumexp_cuda_kernelERKNSE_10TensorBaseESI_lENKUlvE_clEvENKUlvE1_clEvEUlS7_S7_E_S7_EEDaPvRmT3_T4_T5_mT6_P12ihipStream_tbENKUlT_T0_E_clISt17integral_constantIbLb0EESZ_EEDaSU_SV_EUlSU_E_NS1_11comp_targetILNS1_3genE4ELNS1_11target_archE910ELNS1_3gpuE8ELNS1_3repE0EEENS1_30default_config_static_selectorELNS0_4arch9wavefront6targetE0EEEvT1_
	.p2align	8
	.type	_ZN7rocprim17ROCPRIM_400000_NS6detail17trampoline_kernelINS0_14default_configENS1_20scan_config_selectorIN3c107complexIdEEEEZZNS1_9scan_implILNS1_25lookback_scan_determinismE0ELb0ELb0ES3_PKS7_PS7_S7_ZZZN2at6native31launch_logcumsumexp_cuda_kernelERKNSE_10TensorBaseESI_lENKUlvE_clEvENKUlvE1_clEvEUlS7_S7_E_S7_EEDaPvRmT3_T4_T5_mT6_P12ihipStream_tbENKUlT_T0_E_clISt17integral_constantIbLb0EESZ_EEDaSU_SV_EUlSU_E_NS1_11comp_targetILNS1_3genE4ELNS1_11target_archE910ELNS1_3gpuE8ELNS1_3repE0EEENS1_30default_config_static_selectorELNS0_4arch9wavefront6targetE0EEEvT1_,@function
_ZN7rocprim17ROCPRIM_400000_NS6detail17trampoline_kernelINS0_14default_configENS1_20scan_config_selectorIN3c107complexIdEEEEZZNS1_9scan_implILNS1_25lookback_scan_determinismE0ELb0ELb0ES3_PKS7_PS7_S7_ZZZN2at6native31launch_logcumsumexp_cuda_kernelERKNSE_10TensorBaseESI_lENKUlvE_clEvENKUlvE1_clEvEUlS7_S7_E_S7_EEDaPvRmT3_T4_T5_mT6_P12ihipStream_tbENKUlT_T0_E_clISt17integral_constantIbLb0EESZ_EEDaSU_SV_EUlSU_E_NS1_11comp_targetILNS1_3genE4ELNS1_11target_archE910ELNS1_3gpuE8ELNS1_3repE0EEENS1_30default_config_static_selectorELNS0_4arch9wavefront6targetE0EEEvT1_: ; @_ZN7rocprim17ROCPRIM_400000_NS6detail17trampoline_kernelINS0_14default_configENS1_20scan_config_selectorIN3c107complexIdEEEEZZNS1_9scan_implILNS1_25lookback_scan_determinismE0ELb0ELb0ES3_PKS7_PS7_S7_ZZZN2at6native31launch_logcumsumexp_cuda_kernelERKNSE_10TensorBaseESI_lENKUlvE_clEvENKUlvE1_clEvEUlS7_S7_E_S7_EEDaPvRmT3_T4_T5_mT6_P12ihipStream_tbENKUlT_T0_E_clISt17integral_constantIbLb0EESZ_EEDaSU_SV_EUlSU_E_NS1_11comp_targetILNS1_3genE4ELNS1_11target_archE910ELNS1_3gpuE8ELNS1_3repE0EEENS1_30default_config_static_selectorELNS0_4arch9wavefront6targetE0EEEvT1_
; %bb.0:
	.section	.rodata,"a",@progbits
	.p2align	6, 0x0
	.amdhsa_kernel _ZN7rocprim17ROCPRIM_400000_NS6detail17trampoline_kernelINS0_14default_configENS1_20scan_config_selectorIN3c107complexIdEEEEZZNS1_9scan_implILNS1_25lookback_scan_determinismE0ELb0ELb0ES3_PKS7_PS7_S7_ZZZN2at6native31launch_logcumsumexp_cuda_kernelERKNSE_10TensorBaseESI_lENKUlvE_clEvENKUlvE1_clEvEUlS7_S7_E_S7_EEDaPvRmT3_T4_T5_mT6_P12ihipStream_tbENKUlT_T0_E_clISt17integral_constantIbLb0EESZ_EEDaSU_SV_EUlSU_E_NS1_11comp_targetILNS1_3genE4ELNS1_11target_archE910ELNS1_3gpuE8ELNS1_3repE0EEENS1_30default_config_static_selectorELNS0_4arch9wavefront6targetE0EEEvT1_
		.amdhsa_group_segment_fixed_size 0
		.amdhsa_private_segment_fixed_size 0
		.amdhsa_kernarg_size 128
		.amdhsa_user_sgpr_count 6
		.amdhsa_user_sgpr_private_segment_buffer 1
		.amdhsa_user_sgpr_dispatch_ptr 0
		.amdhsa_user_sgpr_queue_ptr 0
		.amdhsa_user_sgpr_kernarg_segment_ptr 1
		.amdhsa_user_sgpr_dispatch_id 0
		.amdhsa_user_sgpr_flat_scratch_init 0
		.amdhsa_user_sgpr_private_segment_size 0
		.amdhsa_wavefront_size32 1
		.amdhsa_uses_dynamic_stack 0
		.amdhsa_system_sgpr_private_segment_wavefront_offset 0
		.amdhsa_system_sgpr_workgroup_id_x 1
		.amdhsa_system_sgpr_workgroup_id_y 0
		.amdhsa_system_sgpr_workgroup_id_z 0
		.amdhsa_system_sgpr_workgroup_info 0
		.amdhsa_system_vgpr_workitem_id 0
		.amdhsa_next_free_vgpr 1
		.amdhsa_next_free_sgpr 1
		.amdhsa_reserve_vcc 0
		.amdhsa_reserve_flat_scratch 0
		.amdhsa_float_round_mode_32 0
		.amdhsa_float_round_mode_16_64 0
		.amdhsa_float_denorm_mode_32 3
		.amdhsa_float_denorm_mode_16_64 3
		.amdhsa_dx10_clamp 1
		.amdhsa_ieee_mode 1
		.amdhsa_fp16_overflow 0
		.amdhsa_workgroup_processor_mode 1
		.amdhsa_memory_ordered 1
		.amdhsa_forward_progress 1
		.amdhsa_shared_vgpr_count 0
		.amdhsa_exception_fp_ieee_invalid_op 0
		.amdhsa_exception_fp_denorm_src 0
		.amdhsa_exception_fp_ieee_div_zero 0
		.amdhsa_exception_fp_ieee_overflow 0
		.amdhsa_exception_fp_ieee_underflow 0
		.amdhsa_exception_fp_ieee_inexact 0
		.amdhsa_exception_int_div_zero 0
	.end_amdhsa_kernel
	.section	.text._ZN7rocprim17ROCPRIM_400000_NS6detail17trampoline_kernelINS0_14default_configENS1_20scan_config_selectorIN3c107complexIdEEEEZZNS1_9scan_implILNS1_25lookback_scan_determinismE0ELb0ELb0ES3_PKS7_PS7_S7_ZZZN2at6native31launch_logcumsumexp_cuda_kernelERKNSE_10TensorBaseESI_lENKUlvE_clEvENKUlvE1_clEvEUlS7_S7_E_S7_EEDaPvRmT3_T4_T5_mT6_P12ihipStream_tbENKUlT_T0_E_clISt17integral_constantIbLb0EESZ_EEDaSU_SV_EUlSU_E_NS1_11comp_targetILNS1_3genE4ELNS1_11target_archE910ELNS1_3gpuE8ELNS1_3repE0EEENS1_30default_config_static_selectorELNS0_4arch9wavefront6targetE0EEEvT1_,"axG",@progbits,_ZN7rocprim17ROCPRIM_400000_NS6detail17trampoline_kernelINS0_14default_configENS1_20scan_config_selectorIN3c107complexIdEEEEZZNS1_9scan_implILNS1_25lookback_scan_determinismE0ELb0ELb0ES3_PKS7_PS7_S7_ZZZN2at6native31launch_logcumsumexp_cuda_kernelERKNSE_10TensorBaseESI_lENKUlvE_clEvENKUlvE1_clEvEUlS7_S7_E_S7_EEDaPvRmT3_T4_T5_mT6_P12ihipStream_tbENKUlT_T0_E_clISt17integral_constantIbLb0EESZ_EEDaSU_SV_EUlSU_E_NS1_11comp_targetILNS1_3genE4ELNS1_11target_archE910ELNS1_3gpuE8ELNS1_3repE0EEENS1_30default_config_static_selectorELNS0_4arch9wavefront6targetE0EEEvT1_,comdat
.Lfunc_end177:
	.size	_ZN7rocprim17ROCPRIM_400000_NS6detail17trampoline_kernelINS0_14default_configENS1_20scan_config_selectorIN3c107complexIdEEEEZZNS1_9scan_implILNS1_25lookback_scan_determinismE0ELb0ELb0ES3_PKS7_PS7_S7_ZZZN2at6native31launch_logcumsumexp_cuda_kernelERKNSE_10TensorBaseESI_lENKUlvE_clEvENKUlvE1_clEvEUlS7_S7_E_S7_EEDaPvRmT3_T4_T5_mT6_P12ihipStream_tbENKUlT_T0_E_clISt17integral_constantIbLb0EESZ_EEDaSU_SV_EUlSU_E_NS1_11comp_targetILNS1_3genE4ELNS1_11target_archE910ELNS1_3gpuE8ELNS1_3repE0EEENS1_30default_config_static_selectorELNS0_4arch9wavefront6targetE0EEEvT1_, .Lfunc_end177-_ZN7rocprim17ROCPRIM_400000_NS6detail17trampoline_kernelINS0_14default_configENS1_20scan_config_selectorIN3c107complexIdEEEEZZNS1_9scan_implILNS1_25lookback_scan_determinismE0ELb0ELb0ES3_PKS7_PS7_S7_ZZZN2at6native31launch_logcumsumexp_cuda_kernelERKNSE_10TensorBaseESI_lENKUlvE_clEvENKUlvE1_clEvEUlS7_S7_E_S7_EEDaPvRmT3_T4_T5_mT6_P12ihipStream_tbENKUlT_T0_E_clISt17integral_constantIbLb0EESZ_EEDaSU_SV_EUlSU_E_NS1_11comp_targetILNS1_3genE4ELNS1_11target_archE910ELNS1_3gpuE8ELNS1_3repE0EEENS1_30default_config_static_selectorELNS0_4arch9wavefront6targetE0EEEvT1_
                                        ; -- End function
	.set _ZN7rocprim17ROCPRIM_400000_NS6detail17trampoline_kernelINS0_14default_configENS1_20scan_config_selectorIN3c107complexIdEEEEZZNS1_9scan_implILNS1_25lookback_scan_determinismE0ELb0ELb0ES3_PKS7_PS7_S7_ZZZN2at6native31launch_logcumsumexp_cuda_kernelERKNSE_10TensorBaseESI_lENKUlvE_clEvENKUlvE1_clEvEUlS7_S7_E_S7_EEDaPvRmT3_T4_T5_mT6_P12ihipStream_tbENKUlT_T0_E_clISt17integral_constantIbLb0EESZ_EEDaSU_SV_EUlSU_E_NS1_11comp_targetILNS1_3genE4ELNS1_11target_archE910ELNS1_3gpuE8ELNS1_3repE0EEENS1_30default_config_static_selectorELNS0_4arch9wavefront6targetE0EEEvT1_.num_vgpr, 0
	.set _ZN7rocprim17ROCPRIM_400000_NS6detail17trampoline_kernelINS0_14default_configENS1_20scan_config_selectorIN3c107complexIdEEEEZZNS1_9scan_implILNS1_25lookback_scan_determinismE0ELb0ELb0ES3_PKS7_PS7_S7_ZZZN2at6native31launch_logcumsumexp_cuda_kernelERKNSE_10TensorBaseESI_lENKUlvE_clEvENKUlvE1_clEvEUlS7_S7_E_S7_EEDaPvRmT3_T4_T5_mT6_P12ihipStream_tbENKUlT_T0_E_clISt17integral_constantIbLb0EESZ_EEDaSU_SV_EUlSU_E_NS1_11comp_targetILNS1_3genE4ELNS1_11target_archE910ELNS1_3gpuE8ELNS1_3repE0EEENS1_30default_config_static_selectorELNS0_4arch9wavefront6targetE0EEEvT1_.num_agpr, 0
	.set _ZN7rocprim17ROCPRIM_400000_NS6detail17trampoline_kernelINS0_14default_configENS1_20scan_config_selectorIN3c107complexIdEEEEZZNS1_9scan_implILNS1_25lookback_scan_determinismE0ELb0ELb0ES3_PKS7_PS7_S7_ZZZN2at6native31launch_logcumsumexp_cuda_kernelERKNSE_10TensorBaseESI_lENKUlvE_clEvENKUlvE1_clEvEUlS7_S7_E_S7_EEDaPvRmT3_T4_T5_mT6_P12ihipStream_tbENKUlT_T0_E_clISt17integral_constantIbLb0EESZ_EEDaSU_SV_EUlSU_E_NS1_11comp_targetILNS1_3genE4ELNS1_11target_archE910ELNS1_3gpuE8ELNS1_3repE0EEENS1_30default_config_static_selectorELNS0_4arch9wavefront6targetE0EEEvT1_.numbered_sgpr, 0
	.set _ZN7rocprim17ROCPRIM_400000_NS6detail17trampoline_kernelINS0_14default_configENS1_20scan_config_selectorIN3c107complexIdEEEEZZNS1_9scan_implILNS1_25lookback_scan_determinismE0ELb0ELb0ES3_PKS7_PS7_S7_ZZZN2at6native31launch_logcumsumexp_cuda_kernelERKNSE_10TensorBaseESI_lENKUlvE_clEvENKUlvE1_clEvEUlS7_S7_E_S7_EEDaPvRmT3_T4_T5_mT6_P12ihipStream_tbENKUlT_T0_E_clISt17integral_constantIbLb0EESZ_EEDaSU_SV_EUlSU_E_NS1_11comp_targetILNS1_3genE4ELNS1_11target_archE910ELNS1_3gpuE8ELNS1_3repE0EEENS1_30default_config_static_selectorELNS0_4arch9wavefront6targetE0EEEvT1_.num_named_barrier, 0
	.set _ZN7rocprim17ROCPRIM_400000_NS6detail17trampoline_kernelINS0_14default_configENS1_20scan_config_selectorIN3c107complexIdEEEEZZNS1_9scan_implILNS1_25lookback_scan_determinismE0ELb0ELb0ES3_PKS7_PS7_S7_ZZZN2at6native31launch_logcumsumexp_cuda_kernelERKNSE_10TensorBaseESI_lENKUlvE_clEvENKUlvE1_clEvEUlS7_S7_E_S7_EEDaPvRmT3_T4_T5_mT6_P12ihipStream_tbENKUlT_T0_E_clISt17integral_constantIbLb0EESZ_EEDaSU_SV_EUlSU_E_NS1_11comp_targetILNS1_3genE4ELNS1_11target_archE910ELNS1_3gpuE8ELNS1_3repE0EEENS1_30default_config_static_selectorELNS0_4arch9wavefront6targetE0EEEvT1_.private_seg_size, 0
	.set _ZN7rocprim17ROCPRIM_400000_NS6detail17trampoline_kernelINS0_14default_configENS1_20scan_config_selectorIN3c107complexIdEEEEZZNS1_9scan_implILNS1_25lookback_scan_determinismE0ELb0ELb0ES3_PKS7_PS7_S7_ZZZN2at6native31launch_logcumsumexp_cuda_kernelERKNSE_10TensorBaseESI_lENKUlvE_clEvENKUlvE1_clEvEUlS7_S7_E_S7_EEDaPvRmT3_T4_T5_mT6_P12ihipStream_tbENKUlT_T0_E_clISt17integral_constantIbLb0EESZ_EEDaSU_SV_EUlSU_E_NS1_11comp_targetILNS1_3genE4ELNS1_11target_archE910ELNS1_3gpuE8ELNS1_3repE0EEENS1_30default_config_static_selectorELNS0_4arch9wavefront6targetE0EEEvT1_.uses_vcc, 0
	.set _ZN7rocprim17ROCPRIM_400000_NS6detail17trampoline_kernelINS0_14default_configENS1_20scan_config_selectorIN3c107complexIdEEEEZZNS1_9scan_implILNS1_25lookback_scan_determinismE0ELb0ELb0ES3_PKS7_PS7_S7_ZZZN2at6native31launch_logcumsumexp_cuda_kernelERKNSE_10TensorBaseESI_lENKUlvE_clEvENKUlvE1_clEvEUlS7_S7_E_S7_EEDaPvRmT3_T4_T5_mT6_P12ihipStream_tbENKUlT_T0_E_clISt17integral_constantIbLb0EESZ_EEDaSU_SV_EUlSU_E_NS1_11comp_targetILNS1_3genE4ELNS1_11target_archE910ELNS1_3gpuE8ELNS1_3repE0EEENS1_30default_config_static_selectorELNS0_4arch9wavefront6targetE0EEEvT1_.uses_flat_scratch, 0
	.set _ZN7rocprim17ROCPRIM_400000_NS6detail17trampoline_kernelINS0_14default_configENS1_20scan_config_selectorIN3c107complexIdEEEEZZNS1_9scan_implILNS1_25lookback_scan_determinismE0ELb0ELb0ES3_PKS7_PS7_S7_ZZZN2at6native31launch_logcumsumexp_cuda_kernelERKNSE_10TensorBaseESI_lENKUlvE_clEvENKUlvE1_clEvEUlS7_S7_E_S7_EEDaPvRmT3_T4_T5_mT6_P12ihipStream_tbENKUlT_T0_E_clISt17integral_constantIbLb0EESZ_EEDaSU_SV_EUlSU_E_NS1_11comp_targetILNS1_3genE4ELNS1_11target_archE910ELNS1_3gpuE8ELNS1_3repE0EEENS1_30default_config_static_selectorELNS0_4arch9wavefront6targetE0EEEvT1_.has_dyn_sized_stack, 0
	.set _ZN7rocprim17ROCPRIM_400000_NS6detail17trampoline_kernelINS0_14default_configENS1_20scan_config_selectorIN3c107complexIdEEEEZZNS1_9scan_implILNS1_25lookback_scan_determinismE0ELb0ELb0ES3_PKS7_PS7_S7_ZZZN2at6native31launch_logcumsumexp_cuda_kernelERKNSE_10TensorBaseESI_lENKUlvE_clEvENKUlvE1_clEvEUlS7_S7_E_S7_EEDaPvRmT3_T4_T5_mT6_P12ihipStream_tbENKUlT_T0_E_clISt17integral_constantIbLb0EESZ_EEDaSU_SV_EUlSU_E_NS1_11comp_targetILNS1_3genE4ELNS1_11target_archE910ELNS1_3gpuE8ELNS1_3repE0EEENS1_30default_config_static_selectorELNS0_4arch9wavefront6targetE0EEEvT1_.has_recursion, 0
	.set _ZN7rocprim17ROCPRIM_400000_NS6detail17trampoline_kernelINS0_14default_configENS1_20scan_config_selectorIN3c107complexIdEEEEZZNS1_9scan_implILNS1_25lookback_scan_determinismE0ELb0ELb0ES3_PKS7_PS7_S7_ZZZN2at6native31launch_logcumsumexp_cuda_kernelERKNSE_10TensorBaseESI_lENKUlvE_clEvENKUlvE1_clEvEUlS7_S7_E_S7_EEDaPvRmT3_T4_T5_mT6_P12ihipStream_tbENKUlT_T0_E_clISt17integral_constantIbLb0EESZ_EEDaSU_SV_EUlSU_E_NS1_11comp_targetILNS1_3genE4ELNS1_11target_archE910ELNS1_3gpuE8ELNS1_3repE0EEENS1_30default_config_static_selectorELNS0_4arch9wavefront6targetE0EEEvT1_.has_indirect_call, 0
	.section	.AMDGPU.csdata,"",@progbits
; Kernel info:
; codeLenInByte = 0
; TotalNumSgprs: 0
; NumVgprs: 0
; ScratchSize: 0
; MemoryBound: 0
; FloatMode: 240
; IeeeMode: 1
; LDSByteSize: 0 bytes/workgroup (compile time only)
; SGPRBlocks: 0
; VGPRBlocks: 0
; NumSGPRsForWavesPerEU: 1
; NumVGPRsForWavesPerEU: 1
; Occupancy: 16
; WaveLimiterHint : 0
; COMPUTE_PGM_RSRC2:SCRATCH_EN: 0
; COMPUTE_PGM_RSRC2:USER_SGPR: 6
; COMPUTE_PGM_RSRC2:TRAP_HANDLER: 0
; COMPUTE_PGM_RSRC2:TGID_X_EN: 1
; COMPUTE_PGM_RSRC2:TGID_Y_EN: 0
; COMPUTE_PGM_RSRC2:TGID_Z_EN: 0
; COMPUTE_PGM_RSRC2:TIDIG_COMP_CNT: 0
	.section	.text._ZN7rocprim17ROCPRIM_400000_NS6detail17trampoline_kernelINS0_14default_configENS1_20scan_config_selectorIN3c107complexIdEEEEZZNS1_9scan_implILNS1_25lookback_scan_determinismE0ELb0ELb0ES3_PKS7_PS7_S7_ZZZN2at6native31launch_logcumsumexp_cuda_kernelERKNSE_10TensorBaseESI_lENKUlvE_clEvENKUlvE1_clEvEUlS7_S7_E_S7_EEDaPvRmT3_T4_T5_mT6_P12ihipStream_tbENKUlT_T0_E_clISt17integral_constantIbLb0EESZ_EEDaSU_SV_EUlSU_E_NS1_11comp_targetILNS1_3genE3ELNS1_11target_archE908ELNS1_3gpuE7ELNS1_3repE0EEENS1_30default_config_static_selectorELNS0_4arch9wavefront6targetE0EEEvT1_,"axG",@progbits,_ZN7rocprim17ROCPRIM_400000_NS6detail17trampoline_kernelINS0_14default_configENS1_20scan_config_selectorIN3c107complexIdEEEEZZNS1_9scan_implILNS1_25lookback_scan_determinismE0ELb0ELb0ES3_PKS7_PS7_S7_ZZZN2at6native31launch_logcumsumexp_cuda_kernelERKNSE_10TensorBaseESI_lENKUlvE_clEvENKUlvE1_clEvEUlS7_S7_E_S7_EEDaPvRmT3_T4_T5_mT6_P12ihipStream_tbENKUlT_T0_E_clISt17integral_constantIbLb0EESZ_EEDaSU_SV_EUlSU_E_NS1_11comp_targetILNS1_3genE3ELNS1_11target_archE908ELNS1_3gpuE7ELNS1_3repE0EEENS1_30default_config_static_selectorELNS0_4arch9wavefront6targetE0EEEvT1_,comdat
	.globl	_ZN7rocprim17ROCPRIM_400000_NS6detail17trampoline_kernelINS0_14default_configENS1_20scan_config_selectorIN3c107complexIdEEEEZZNS1_9scan_implILNS1_25lookback_scan_determinismE0ELb0ELb0ES3_PKS7_PS7_S7_ZZZN2at6native31launch_logcumsumexp_cuda_kernelERKNSE_10TensorBaseESI_lENKUlvE_clEvENKUlvE1_clEvEUlS7_S7_E_S7_EEDaPvRmT3_T4_T5_mT6_P12ihipStream_tbENKUlT_T0_E_clISt17integral_constantIbLb0EESZ_EEDaSU_SV_EUlSU_E_NS1_11comp_targetILNS1_3genE3ELNS1_11target_archE908ELNS1_3gpuE7ELNS1_3repE0EEENS1_30default_config_static_selectorELNS0_4arch9wavefront6targetE0EEEvT1_ ; -- Begin function _ZN7rocprim17ROCPRIM_400000_NS6detail17trampoline_kernelINS0_14default_configENS1_20scan_config_selectorIN3c107complexIdEEEEZZNS1_9scan_implILNS1_25lookback_scan_determinismE0ELb0ELb0ES3_PKS7_PS7_S7_ZZZN2at6native31launch_logcumsumexp_cuda_kernelERKNSE_10TensorBaseESI_lENKUlvE_clEvENKUlvE1_clEvEUlS7_S7_E_S7_EEDaPvRmT3_T4_T5_mT6_P12ihipStream_tbENKUlT_T0_E_clISt17integral_constantIbLb0EESZ_EEDaSU_SV_EUlSU_E_NS1_11comp_targetILNS1_3genE3ELNS1_11target_archE908ELNS1_3gpuE7ELNS1_3repE0EEENS1_30default_config_static_selectorELNS0_4arch9wavefront6targetE0EEEvT1_
	.p2align	8
	.type	_ZN7rocprim17ROCPRIM_400000_NS6detail17trampoline_kernelINS0_14default_configENS1_20scan_config_selectorIN3c107complexIdEEEEZZNS1_9scan_implILNS1_25lookback_scan_determinismE0ELb0ELb0ES3_PKS7_PS7_S7_ZZZN2at6native31launch_logcumsumexp_cuda_kernelERKNSE_10TensorBaseESI_lENKUlvE_clEvENKUlvE1_clEvEUlS7_S7_E_S7_EEDaPvRmT3_T4_T5_mT6_P12ihipStream_tbENKUlT_T0_E_clISt17integral_constantIbLb0EESZ_EEDaSU_SV_EUlSU_E_NS1_11comp_targetILNS1_3genE3ELNS1_11target_archE908ELNS1_3gpuE7ELNS1_3repE0EEENS1_30default_config_static_selectorELNS0_4arch9wavefront6targetE0EEEvT1_,@function
_ZN7rocprim17ROCPRIM_400000_NS6detail17trampoline_kernelINS0_14default_configENS1_20scan_config_selectorIN3c107complexIdEEEEZZNS1_9scan_implILNS1_25lookback_scan_determinismE0ELb0ELb0ES3_PKS7_PS7_S7_ZZZN2at6native31launch_logcumsumexp_cuda_kernelERKNSE_10TensorBaseESI_lENKUlvE_clEvENKUlvE1_clEvEUlS7_S7_E_S7_EEDaPvRmT3_T4_T5_mT6_P12ihipStream_tbENKUlT_T0_E_clISt17integral_constantIbLb0EESZ_EEDaSU_SV_EUlSU_E_NS1_11comp_targetILNS1_3genE3ELNS1_11target_archE908ELNS1_3gpuE7ELNS1_3repE0EEENS1_30default_config_static_selectorELNS0_4arch9wavefront6targetE0EEEvT1_: ; @_ZN7rocprim17ROCPRIM_400000_NS6detail17trampoline_kernelINS0_14default_configENS1_20scan_config_selectorIN3c107complexIdEEEEZZNS1_9scan_implILNS1_25lookback_scan_determinismE0ELb0ELb0ES3_PKS7_PS7_S7_ZZZN2at6native31launch_logcumsumexp_cuda_kernelERKNSE_10TensorBaseESI_lENKUlvE_clEvENKUlvE1_clEvEUlS7_S7_E_S7_EEDaPvRmT3_T4_T5_mT6_P12ihipStream_tbENKUlT_T0_E_clISt17integral_constantIbLb0EESZ_EEDaSU_SV_EUlSU_E_NS1_11comp_targetILNS1_3genE3ELNS1_11target_archE908ELNS1_3gpuE7ELNS1_3repE0EEENS1_30default_config_static_selectorELNS0_4arch9wavefront6targetE0EEEvT1_
; %bb.0:
	.section	.rodata,"a",@progbits
	.p2align	6, 0x0
	.amdhsa_kernel _ZN7rocprim17ROCPRIM_400000_NS6detail17trampoline_kernelINS0_14default_configENS1_20scan_config_selectorIN3c107complexIdEEEEZZNS1_9scan_implILNS1_25lookback_scan_determinismE0ELb0ELb0ES3_PKS7_PS7_S7_ZZZN2at6native31launch_logcumsumexp_cuda_kernelERKNSE_10TensorBaseESI_lENKUlvE_clEvENKUlvE1_clEvEUlS7_S7_E_S7_EEDaPvRmT3_T4_T5_mT6_P12ihipStream_tbENKUlT_T0_E_clISt17integral_constantIbLb0EESZ_EEDaSU_SV_EUlSU_E_NS1_11comp_targetILNS1_3genE3ELNS1_11target_archE908ELNS1_3gpuE7ELNS1_3repE0EEENS1_30default_config_static_selectorELNS0_4arch9wavefront6targetE0EEEvT1_
		.amdhsa_group_segment_fixed_size 0
		.amdhsa_private_segment_fixed_size 0
		.amdhsa_kernarg_size 128
		.amdhsa_user_sgpr_count 6
		.amdhsa_user_sgpr_private_segment_buffer 1
		.amdhsa_user_sgpr_dispatch_ptr 0
		.amdhsa_user_sgpr_queue_ptr 0
		.amdhsa_user_sgpr_kernarg_segment_ptr 1
		.amdhsa_user_sgpr_dispatch_id 0
		.amdhsa_user_sgpr_flat_scratch_init 0
		.amdhsa_user_sgpr_private_segment_size 0
		.amdhsa_wavefront_size32 1
		.amdhsa_uses_dynamic_stack 0
		.amdhsa_system_sgpr_private_segment_wavefront_offset 0
		.amdhsa_system_sgpr_workgroup_id_x 1
		.amdhsa_system_sgpr_workgroup_id_y 0
		.amdhsa_system_sgpr_workgroup_id_z 0
		.amdhsa_system_sgpr_workgroup_info 0
		.amdhsa_system_vgpr_workitem_id 0
		.amdhsa_next_free_vgpr 1
		.amdhsa_next_free_sgpr 1
		.amdhsa_reserve_vcc 0
		.amdhsa_reserve_flat_scratch 0
		.amdhsa_float_round_mode_32 0
		.amdhsa_float_round_mode_16_64 0
		.amdhsa_float_denorm_mode_32 3
		.amdhsa_float_denorm_mode_16_64 3
		.amdhsa_dx10_clamp 1
		.amdhsa_ieee_mode 1
		.amdhsa_fp16_overflow 0
		.amdhsa_workgroup_processor_mode 1
		.amdhsa_memory_ordered 1
		.amdhsa_forward_progress 1
		.amdhsa_shared_vgpr_count 0
		.amdhsa_exception_fp_ieee_invalid_op 0
		.amdhsa_exception_fp_denorm_src 0
		.amdhsa_exception_fp_ieee_div_zero 0
		.amdhsa_exception_fp_ieee_overflow 0
		.amdhsa_exception_fp_ieee_underflow 0
		.amdhsa_exception_fp_ieee_inexact 0
		.amdhsa_exception_int_div_zero 0
	.end_amdhsa_kernel
	.section	.text._ZN7rocprim17ROCPRIM_400000_NS6detail17trampoline_kernelINS0_14default_configENS1_20scan_config_selectorIN3c107complexIdEEEEZZNS1_9scan_implILNS1_25lookback_scan_determinismE0ELb0ELb0ES3_PKS7_PS7_S7_ZZZN2at6native31launch_logcumsumexp_cuda_kernelERKNSE_10TensorBaseESI_lENKUlvE_clEvENKUlvE1_clEvEUlS7_S7_E_S7_EEDaPvRmT3_T4_T5_mT6_P12ihipStream_tbENKUlT_T0_E_clISt17integral_constantIbLb0EESZ_EEDaSU_SV_EUlSU_E_NS1_11comp_targetILNS1_3genE3ELNS1_11target_archE908ELNS1_3gpuE7ELNS1_3repE0EEENS1_30default_config_static_selectorELNS0_4arch9wavefront6targetE0EEEvT1_,"axG",@progbits,_ZN7rocprim17ROCPRIM_400000_NS6detail17trampoline_kernelINS0_14default_configENS1_20scan_config_selectorIN3c107complexIdEEEEZZNS1_9scan_implILNS1_25lookback_scan_determinismE0ELb0ELb0ES3_PKS7_PS7_S7_ZZZN2at6native31launch_logcumsumexp_cuda_kernelERKNSE_10TensorBaseESI_lENKUlvE_clEvENKUlvE1_clEvEUlS7_S7_E_S7_EEDaPvRmT3_T4_T5_mT6_P12ihipStream_tbENKUlT_T0_E_clISt17integral_constantIbLb0EESZ_EEDaSU_SV_EUlSU_E_NS1_11comp_targetILNS1_3genE3ELNS1_11target_archE908ELNS1_3gpuE7ELNS1_3repE0EEENS1_30default_config_static_selectorELNS0_4arch9wavefront6targetE0EEEvT1_,comdat
.Lfunc_end178:
	.size	_ZN7rocprim17ROCPRIM_400000_NS6detail17trampoline_kernelINS0_14default_configENS1_20scan_config_selectorIN3c107complexIdEEEEZZNS1_9scan_implILNS1_25lookback_scan_determinismE0ELb0ELb0ES3_PKS7_PS7_S7_ZZZN2at6native31launch_logcumsumexp_cuda_kernelERKNSE_10TensorBaseESI_lENKUlvE_clEvENKUlvE1_clEvEUlS7_S7_E_S7_EEDaPvRmT3_T4_T5_mT6_P12ihipStream_tbENKUlT_T0_E_clISt17integral_constantIbLb0EESZ_EEDaSU_SV_EUlSU_E_NS1_11comp_targetILNS1_3genE3ELNS1_11target_archE908ELNS1_3gpuE7ELNS1_3repE0EEENS1_30default_config_static_selectorELNS0_4arch9wavefront6targetE0EEEvT1_, .Lfunc_end178-_ZN7rocprim17ROCPRIM_400000_NS6detail17trampoline_kernelINS0_14default_configENS1_20scan_config_selectorIN3c107complexIdEEEEZZNS1_9scan_implILNS1_25lookback_scan_determinismE0ELb0ELb0ES3_PKS7_PS7_S7_ZZZN2at6native31launch_logcumsumexp_cuda_kernelERKNSE_10TensorBaseESI_lENKUlvE_clEvENKUlvE1_clEvEUlS7_S7_E_S7_EEDaPvRmT3_T4_T5_mT6_P12ihipStream_tbENKUlT_T0_E_clISt17integral_constantIbLb0EESZ_EEDaSU_SV_EUlSU_E_NS1_11comp_targetILNS1_3genE3ELNS1_11target_archE908ELNS1_3gpuE7ELNS1_3repE0EEENS1_30default_config_static_selectorELNS0_4arch9wavefront6targetE0EEEvT1_
                                        ; -- End function
	.set _ZN7rocprim17ROCPRIM_400000_NS6detail17trampoline_kernelINS0_14default_configENS1_20scan_config_selectorIN3c107complexIdEEEEZZNS1_9scan_implILNS1_25lookback_scan_determinismE0ELb0ELb0ES3_PKS7_PS7_S7_ZZZN2at6native31launch_logcumsumexp_cuda_kernelERKNSE_10TensorBaseESI_lENKUlvE_clEvENKUlvE1_clEvEUlS7_S7_E_S7_EEDaPvRmT3_T4_T5_mT6_P12ihipStream_tbENKUlT_T0_E_clISt17integral_constantIbLb0EESZ_EEDaSU_SV_EUlSU_E_NS1_11comp_targetILNS1_3genE3ELNS1_11target_archE908ELNS1_3gpuE7ELNS1_3repE0EEENS1_30default_config_static_selectorELNS0_4arch9wavefront6targetE0EEEvT1_.num_vgpr, 0
	.set _ZN7rocprim17ROCPRIM_400000_NS6detail17trampoline_kernelINS0_14default_configENS1_20scan_config_selectorIN3c107complexIdEEEEZZNS1_9scan_implILNS1_25lookback_scan_determinismE0ELb0ELb0ES3_PKS7_PS7_S7_ZZZN2at6native31launch_logcumsumexp_cuda_kernelERKNSE_10TensorBaseESI_lENKUlvE_clEvENKUlvE1_clEvEUlS7_S7_E_S7_EEDaPvRmT3_T4_T5_mT6_P12ihipStream_tbENKUlT_T0_E_clISt17integral_constantIbLb0EESZ_EEDaSU_SV_EUlSU_E_NS1_11comp_targetILNS1_3genE3ELNS1_11target_archE908ELNS1_3gpuE7ELNS1_3repE0EEENS1_30default_config_static_selectorELNS0_4arch9wavefront6targetE0EEEvT1_.num_agpr, 0
	.set _ZN7rocprim17ROCPRIM_400000_NS6detail17trampoline_kernelINS0_14default_configENS1_20scan_config_selectorIN3c107complexIdEEEEZZNS1_9scan_implILNS1_25lookback_scan_determinismE0ELb0ELb0ES3_PKS7_PS7_S7_ZZZN2at6native31launch_logcumsumexp_cuda_kernelERKNSE_10TensorBaseESI_lENKUlvE_clEvENKUlvE1_clEvEUlS7_S7_E_S7_EEDaPvRmT3_T4_T5_mT6_P12ihipStream_tbENKUlT_T0_E_clISt17integral_constantIbLb0EESZ_EEDaSU_SV_EUlSU_E_NS1_11comp_targetILNS1_3genE3ELNS1_11target_archE908ELNS1_3gpuE7ELNS1_3repE0EEENS1_30default_config_static_selectorELNS0_4arch9wavefront6targetE0EEEvT1_.numbered_sgpr, 0
	.set _ZN7rocprim17ROCPRIM_400000_NS6detail17trampoline_kernelINS0_14default_configENS1_20scan_config_selectorIN3c107complexIdEEEEZZNS1_9scan_implILNS1_25lookback_scan_determinismE0ELb0ELb0ES3_PKS7_PS7_S7_ZZZN2at6native31launch_logcumsumexp_cuda_kernelERKNSE_10TensorBaseESI_lENKUlvE_clEvENKUlvE1_clEvEUlS7_S7_E_S7_EEDaPvRmT3_T4_T5_mT6_P12ihipStream_tbENKUlT_T0_E_clISt17integral_constantIbLb0EESZ_EEDaSU_SV_EUlSU_E_NS1_11comp_targetILNS1_3genE3ELNS1_11target_archE908ELNS1_3gpuE7ELNS1_3repE0EEENS1_30default_config_static_selectorELNS0_4arch9wavefront6targetE0EEEvT1_.num_named_barrier, 0
	.set _ZN7rocprim17ROCPRIM_400000_NS6detail17trampoline_kernelINS0_14default_configENS1_20scan_config_selectorIN3c107complexIdEEEEZZNS1_9scan_implILNS1_25lookback_scan_determinismE0ELb0ELb0ES3_PKS7_PS7_S7_ZZZN2at6native31launch_logcumsumexp_cuda_kernelERKNSE_10TensorBaseESI_lENKUlvE_clEvENKUlvE1_clEvEUlS7_S7_E_S7_EEDaPvRmT3_T4_T5_mT6_P12ihipStream_tbENKUlT_T0_E_clISt17integral_constantIbLb0EESZ_EEDaSU_SV_EUlSU_E_NS1_11comp_targetILNS1_3genE3ELNS1_11target_archE908ELNS1_3gpuE7ELNS1_3repE0EEENS1_30default_config_static_selectorELNS0_4arch9wavefront6targetE0EEEvT1_.private_seg_size, 0
	.set _ZN7rocprim17ROCPRIM_400000_NS6detail17trampoline_kernelINS0_14default_configENS1_20scan_config_selectorIN3c107complexIdEEEEZZNS1_9scan_implILNS1_25lookback_scan_determinismE0ELb0ELb0ES3_PKS7_PS7_S7_ZZZN2at6native31launch_logcumsumexp_cuda_kernelERKNSE_10TensorBaseESI_lENKUlvE_clEvENKUlvE1_clEvEUlS7_S7_E_S7_EEDaPvRmT3_T4_T5_mT6_P12ihipStream_tbENKUlT_T0_E_clISt17integral_constantIbLb0EESZ_EEDaSU_SV_EUlSU_E_NS1_11comp_targetILNS1_3genE3ELNS1_11target_archE908ELNS1_3gpuE7ELNS1_3repE0EEENS1_30default_config_static_selectorELNS0_4arch9wavefront6targetE0EEEvT1_.uses_vcc, 0
	.set _ZN7rocprim17ROCPRIM_400000_NS6detail17trampoline_kernelINS0_14default_configENS1_20scan_config_selectorIN3c107complexIdEEEEZZNS1_9scan_implILNS1_25lookback_scan_determinismE0ELb0ELb0ES3_PKS7_PS7_S7_ZZZN2at6native31launch_logcumsumexp_cuda_kernelERKNSE_10TensorBaseESI_lENKUlvE_clEvENKUlvE1_clEvEUlS7_S7_E_S7_EEDaPvRmT3_T4_T5_mT6_P12ihipStream_tbENKUlT_T0_E_clISt17integral_constantIbLb0EESZ_EEDaSU_SV_EUlSU_E_NS1_11comp_targetILNS1_3genE3ELNS1_11target_archE908ELNS1_3gpuE7ELNS1_3repE0EEENS1_30default_config_static_selectorELNS0_4arch9wavefront6targetE0EEEvT1_.uses_flat_scratch, 0
	.set _ZN7rocprim17ROCPRIM_400000_NS6detail17trampoline_kernelINS0_14default_configENS1_20scan_config_selectorIN3c107complexIdEEEEZZNS1_9scan_implILNS1_25lookback_scan_determinismE0ELb0ELb0ES3_PKS7_PS7_S7_ZZZN2at6native31launch_logcumsumexp_cuda_kernelERKNSE_10TensorBaseESI_lENKUlvE_clEvENKUlvE1_clEvEUlS7_S7_E_S7_EEDaPvRmT3_T4_T5_mT6_P12ihipStream_tbENKUlT_T0_E_clISt17integral_constantIbLb0EESZ_EEDaSU_SV_EUlSU_E_NS1_11comp_targetILNS1_3genE3ELNS1_11target_archE908ELNS1_3gpuE7ELNS1_3repE0EEENS1_30default_config_static_selectorELNS0_4arch9wavefront6targetE0EEEvT1_.has_dyn_sized_stack, 0
	.set _ZN7rocprim17ROCPRIM_400000_NS6detail17trampoline_kernelINS0_14default_configENS1_20scan_config_selectorIN3c107complexIdEEEEZZNS1_9scan_implILNS1_25lookback_scan_determinismE0ELb0ELb0ES3_PKS7_PS7_S7_ZZZN2at6native31launch_logcumsumexp_cuda_kernelERKNSE_10TensorBaseESI_lENKUlvE_clEvENKUlvE1_clEvEUlS7_S7_E_S7_EEDaPvRmT3_T4_T5_mT6_P12ihipStream_tbENKUlT_T0_E_clISt17integral_constantIbLb0EESZ_EEDaSU_SV_EUlSU_E_NS1_11comp_targetILNS1_3genE3ELNS1_11target_archE908ELNS1_3gpuE7ELNS1_3repE0EEENS1_30default_config_static_selectorELNS0_4arch9wavefront6targetE0EEEvT1_.has_recursion, 0
	.set _ZN7rocprim17ROCPRIM_400000_NS6detail17trampoline_kernelINS0_14default_configENS1_20scan_config_selectorIN3c107complexIdEEEEZZNS1_9scan_implILNS1_25lookback_scan_determinismE0ELb0ELb0ES3_PKS7_PS7_S7_ZZZN2at6native31launch_logcumsumexp_cuda_kernelERKNSE_10TensorBaseESI_lENKUlvE_clEvENKUlvE1_clEvEUlS7_S7_E_S7_EEDaPvRmT3_T4_T5_mT6_P12ihipStream_tbENKUlT_T0_E_clISt17integral_constantIbLb0EESZ_EEDaSU_SV_EUlSU_E_NS1_11comp_targetILNS1_3genE3ELNS1_11target_archE908ELNS1_3gpuE7ELNS1_3repE0EEENS1_30default_config_static_selectorELNS0_4arch9wavefront6targetE0EEEvT1_.has_indirect_call, 0
	.section	.AMDGPU.csdata,"",@progbits
; Kernel info:
; codeLenInByte = 0
; TotalNumSgprs: 0
; NumVgprs: 0
; ScratchSize: 0
; MemoryBound: 0
; FloatMode: 240
; IeeeMode: 1
; LDSByteSize: 0 bytes/workgroup (compile time only)
; SGPRBlocks: 0
; VGPRBlocks: 0
; NumSGPRsForWavesPerEU: 1
; NumVGPRsForWavesPerEU: 1
; Occupancy: 16
; WaveLimiterHint : 0
; COMPUTE_PGM_RSRC2:SCRATCH_EN: 0
; COMPUTE_PGM_RSRC2:USER_SGPR: 6
; COMPUTE_PGM_RSRC2:TRAP_HANDLER: 0
; COMPUTE_PGM_RSRC2:TGID_X_EN: 1
; COMPUTE_PGM_RSRC2:TGID_Y_EN: 0
; COMPUTE_PGM_RSRC2:TGID_Z_EN: 0
; COMPUTE_PGM_RSRC2:TIDIG_COMP_CNT: 0
	.section	.text._ZN7rocprim17ROCPRIM_400000_NS6detail17trampoline_kernelINS0_14default_configENS1_20scan_config_selectorIN3c107complexIdEEEEZZNS1_9scan_implILNS1_25lookback_scan_determinismE0ELb0ELb0ES3_PKS7_PS7_S7_ZZZN2at6native31launch_logcumsumexp_cuda_kernelERKNSE_10TensorBaseESI_lENKUlvE_clEvENKUlvE1_clEvEUlS7_S7_E_S7_EEDaPvRmT3_T4_T5_mT6_P12ihipStream_tbENKUlT_T0_E_clISt17integral_constantIbLb0EESZ_EEDaSU_SV_EUlSU_E_NS1_11comp_targetILNS1_3genE2ELNS1_11target_archE906ELNS1_3gpuE6ELNS1_3repE0EEENS1_30default_config_static_selectorELNS0_4arch9wavefront6targetE0EEEvT1_,"axG",@progbits,_ZN7rocprim17ROCPRIM_400000_NS6detail17trampoline_kernelINS0_14default_configENS1_20scan_config_selectorIN3c107complexIdEEEEZZNS1_9scan_implILNS1_25lookback_scan_determinismE0ELb0ELb0ES3_PKS7_PS7_S7_ZZZN2at6native31launch_logcumsumexp_cuda_kernelERKNSE_10TensorBaseESI_lENKUlvE_clEvENKUlvE1_clEvEUlS7_S7_E_S7_EEDaPvRmT3_T4_T5_mT6_P12ihipStream_tbENKUlT_T0_E_clISt17integral_constantIbLb0EESZ_EEDaSU_SV_EUlSU_E_NS1_11comp_targetILNS1_3genE2ELNS1_11target_archE906ELNS1_3gpuE6ELNS1_3repE0EEENS1_30default_config_static_selectorELNS0_4arch9wavefront6targetE0EEEvT1_,comdat
	.globl	_ZN7rocprim17ROCPRIM_400000_NS6detail17trampoline_kernelINS0_14default_configENS1_20scan_config_selectorIN3c107complexIdEEEEZZNS1_9scan_implILNS1_25lookback_scan_determinismE0ELb0ELb0ES3_PKS7_PS7_S7_ZZZN2at6native31launch_logcumsumexp_cuda_kernelERKNSE_10TensorBaseESI_lENKUlvE_clEvENKUlvE1_clEvEUlS7_S7_E_S7_EEDaPvRmT3_T4_T5_mT6_P12ihipStream_tbENKUlT_T0_E_clISt17integral_constantIbLb0EESZ_EEDaSU_SV_EUlSU_E_NS1_11comp_targetILNS1_3genE2ELNS1_11target_archE906ELNS1_3gpuE6ELNS1_3repE0EEENS1_30default_config_static_selectorELNS0_4arch9wavefront6targetE0EEEvT1_ ; -- Begin function _ZN7rocprim17ROCPRIM_400000_NS6detail17trampoline_kernelINS0_14default_configENS1_20scan_config_selectorIN3c107complexIdEEEEZZNS1_9scan_implILNS1_25lookback_scan_determinismE0ELb0ELb0ES3_PKS7_PS7_S7_ZZZN2at6native31launch_logcumsumexp_cuda_kernelERKNSE_10TensorBaseESI_lENKUlvE_clEvENKUlvE1_clEvEUlS7_S7_E_S7_EEDaPvRmT3_T4_T5_mT6_P12ihipStream_tbENKUlT_T0_E_clISt17integral_constantIbLb0EESZ_EEDaSU_SV_EUlSU_E_NS1_11comp_targetILNS1_3genE2ELNS1_11target_archE906ELNS1_3gpuE6ELNS1_3repE0EEENS1_30default_config_static_selectorELNS0_4arch9wavefront6targetE0EEEvT1_
	.p2align	8
	.type	_ZN7rocprim17ROCPRIM_400000_NS6detail17trampoline_kernelINS0_14default_configENS1_20scan_config_selectorIN3c107complexIdEEEEZZNS1_9scan_implILNS1_25lookback_scan_determinismE0ELb0ELb0ES3_PKS7_PS7_S7_ZZZN2at6native31launch_logcumsumexp_cuda_kernelERKNSE_10TensorBaseESI_lENKUlvE_clEvENKUlvE1_clEvEUlS7_S7_E_S7_EEDaPvRmT3_T4_T5_mT6_P12ihipStream_tbENKUlT_T0_E_clISt17integral_constantIbLb0EESZ_EEDaSU_SV_EUlSU_E_NS1_11comp_targetILNS1_3genE2ELNS1_11target_archE906ELNS1_3gpuE6ELNS1_3repE0EEENS1_30default_config_static_selectorELNS0_4arch9wavefront6targetE0EEEvT1_,@function
_ZN7rocprim17ROCPRIM_400000_NS6detail17trampoline_kernelINS0_14default_configENS1_20scan_config_selectorIN3c107complexIdEEEEZZNS1_9scan_implILNS1_25lookback_scan_determinismE0ELb0ELb0ES3_PKS7_PS7_S7_ZZZN2at6native31launch_logcumsumexp_cuda_kernelERKNSE_10TensorBaseESI_lENKUlvE_clEvENKUlvE1_clEvEUlS7_S7_E_S7_EEDaPvRmT3_T4_T5_mT6_P12ihipStream_tbENKUlT_T0_E_clISt17integral_constantIbLb0EESZ_EEDaSU_SV_EUlSU_E_NS1_11comp_targetILNS1_3genE2ELNS1_11target_archE906ELNS1_3gpuE6ELNS1_3repE0EEENS1_30default_config_static_selectorELNS0_4arch9wavefront6targetE0EEEvT1_: ; @_ZN7rocprim17ROCPRIM_400000_NS6detail17trampoline_kernelINS0_14default_configENS1_20scan_config_selectorIN3c107complexIdEEEEZZNS1_9scan_implILNS1_25lookback_scan_determinismE0ELb0ELb0ES3_PKS7_PS7_S7_ZZZN2at6native31launch_logcumsumexp_cuda_kernelERKNSE_10TensorBaseESI_lENKUlvE_clEvENKUlvE1_clEvEUlS7_S7_E_S7_EEDaPvRmT3_T4_T5_mT6_P12ihipStream_tbENKUlT_T0_E_clISt17integral_constantIbLb0EESZ_EEDaSU_SV_EUlSU_E_NS1_11comp_targetILNS1_3genE2ELNS1_11target_archE906ELNS1_3gpuE6ELNS1_3repE0EEENS1_30default_config_static_selectorELNS0_4arch9wavefront6targetE0EEEvT1_
; %bb.0:
	.section	.rodata,"a",@progbits
	.p2align	6, 0x0
	.amdhsa_kernel _ZN7rocprim17ROCPRIM_400000_NS6detail17trampoline_kernelINS0_14default_configENS1_20scan_config_selectorIN3c107complexIdEEEEZZNS1_9scan_implILNS1_25lookback_scan_determinismE0ELb0ELb0ES3_PKS7_PS7_S7_ZZZN2at6native31launch_logcumsumexp_cuda_kernelERKNSE_10TensorBaseESI_lENKUlvE_clEvENKUlvE1_clEvEUlS7_S7_E_S7_EEDaPvRmT3_T4_T5_mT6_P12ihipStream_tbENKUlT_T0_E_clISt17integral_constantIbLb0EESZ_EEDaSU_SV_EUlSU_E_NS1_11comp_targetILNS1_3genE2ELNS1_11target_archE906ELNS1_3gpuE6ELNS1_3repE0EEENS1_30default_config_static_selectorELNS0_4arch9wavefront6targetE0EEEvT1_
		.amdhsa_group_segment_fixed_size 0
		.amdhsa_private_segment_fixed_size 0
		.amdhsa_kernarg_size 128
		.amdhsa_user_sgpr_count 6
		.amdhsa_user_sgpr_private_segment_buffer 1
		.amdhsa_user_sgpr_dispatch_ptr 0
		.amdhsa_user_sgpr_queue_ptr 0
		.amdhsa_user_sgpr_kernarg_segment_ptr 1
		.amdhsa_user_sgpr_dispatch_id 0
		.amdhsa_user_sgpr_flat_scratch_init 0
		.amdhsa_user_sgpr_private_segment_size 0
		.amdhsa_wavefront_size32 1
		.amdhsa_uses_dynamic_stack 0
		.amdhsa_system_sgpr_private_segment_wavefront_offset 0
		.amdhsa_system_sgpr_workgroup_id_x 1
		.amdhsa_system_sgpr_workgroup_id_y 0
		.amdhsa_system_sgpr_workgroup_id_z 0
		.amdhsa_system_sgpr_workgroup_info 0
		.amdhsa_system_vgpr_workitem_id 0
		.amdhsa_next_free_vgpr 1
		.amdhsa_next_free_sgpr 1
		.amdhsa_reserve_vcc 0
		.amdhsa_reserve_flat_scratch 0
		.amdhsa_float_round_mode_32 0
		.amdhsa_float_round_mode_16_64 0
		.amdhsa_float_denorm_mode_32 3
		.amdhsa_float_denorm_mode_16_64 3
		.amdhsa_dx10_clamp 1
		.amdhsa_ieee_mode 1
		.amdhsa_fp16_overflow 0
		.amdhsa_workgroup_processor_mode 1
		.amdhsa_memory_ordered 1
		.amdhsa_forward_progress 1
		.amdhsa_shared_vgpr_count 0
		.amdhsa_exception_fp_ieee_invalid_op 0
		.amdhsa_exception_fp_denorm_src 0
		.amdhsa_exception_fp_ieee_div_zero 0
		.amdhsa_exception_fp_ieee_overflow 0
		.amdhsa_exception_fp_ieee_underflow 0
		.amdhsa_exception_fp_ieee_inexact 0
		.amdhsa_exception_int_div_zero 0
	.end_amdhsa_kernel
	.section	.text._ZN7rocprim17ROCPRIM_400000_NS6detail17trampoline_kernelINS0_14default_configENS1_20scan_config_selectorIN3c107complexIdEEEEZZNS1_9scan_implILNS1_25lookback_scan_determinismE0ELb0ELb0ES3_PKS7_PS7_S7_ZZZN2at6native31launch_logcumsumexp_cuda_kernelERKNSE_10TensorBaseESI_lENKUlvE_clEvENKUlvE1_clEvEUlS7_S7_E_S7_EEDaPvRmT3_T4_T5_mT6_P12ihipStream_tbENKUlT_T0_E_clISt17integral_constantIbLb0EESZ_EEDaSU_SV_EUlSU_E_NS1_11comp_targetILNS1_3genE2ELNS1_11target_archE906ELNS1_3gpuE6ELNS1_3repE0EEENS1_30default_config_static_selectorELNS0_4arch9wavefront6targetE0EEEvT1_,"axG",@progbits,_ZN7rocprim17ROCPRIM_400000_NS6detail17trampoline_kernelINS0_14default_configENS1_20scan_config_selectorIN3c107complexIdEEEEZZNS1_9scan_implILNS1_25lookback_scan_determinismE0ELb0ELb0ES3_PKS7_PS7_S7_ZZZN2at6native31launch_logcumsumexp_cuda_kernelERKNSE_10TensorBaseESI_lENKUlvE_clEvENKUlvE1_clEvEUlS7_S7_E_S7_EEDaPvRmT3_T4_T5_mT6_P12ihipStream_tbENKUlT_T0_E_clISt17integral_constantIbLb0EESZ_EEDaSU_SV_EUlSU_E_NS1_11comp_targetILNS1_3genE2ELNS1_11target_archE906ELNS1_3gpuE6ELNS1_3repE0EEENS1_30default_config_static_selectorELNS0_4arch9wavefront6targetE0EEEvT1_,comdat
.Lfunc_end179:
	.size	_ZN7rocprim17ROCPRIM_400000_NS6detail17trampoline_kernelINS0_14default_configENS1_20scan_config_selectorIN3c107complexIdEEEEZZNS1_9scan_implILNS1_25lookback_scan_determinismE0ELb0ELb0ES3_PKS7_PS7_S7_ZZZN2at6native31launch_logcumsumexp_cuda_kernelERKNSE_10TensorBaseESI_lENKUlvE_clEvENKUlvE1_clEvEUlS7_S7_E_S7_EEDaPvRmT3_T4_T5_mT6_P12ihipStream_tbENKUlT_T0_E_clISt17integral_constantIbLb0EESZ_EEDaSU_SV_EUlSU_E_NS1_11comp_targetILNS1_3genE2ELNS1_11target_archE906ELNS1_3gpuE6ELNS1_3repE0EEENS1_30default_config_static_selectorELNS0_4arch9wavefront6targetE0EEEvT1_, .Lfunc_end179-_ZN7rocprim17ROCPRIM_400000_NS6detail17trampoline_kernelINS0_14default_configENS1_20scan_config_selectorIN3c107complexIdEEEEZZNS1_9scan_implILNS1_25lookback_scan_determinismE0ELb0ELb0ES3_PKS7_PS7_S7_ZZZN2at6native31launch_logcumsumexp_cuda_kernelERKNSE_10TensorBaseESI_lENKUlvE_clEvENKUlvE1_clEvEUlS7_S7_E_S7_EEDaPvRmT3_T4_T5_mT6_P12ihipStream_tbENKUlT_T0_E_clISt17integral_constantIbLb0EESZ_EEDaSU_SV_EUlSU_E_NS1_11comp_targetILNS1_3genE2ELNS1_11target_archE906ELNS1_3gpuE6ELNS1_3repE0EEENS1_30default_config_static_selectorELNS0_4arch9wavefront6targetE0EEEvT1_
                                        ; -- End function
	.set _ZN7rocprim17ROCPRIM_400000_NS6detail17trampoline_kernelINS0_14default_configENS1_20scan_config_selectorIN3c107complexIdEEEEZZNS1_9scan_implILNS1_25lookback_scan_determinismE0ELb0ELb0ES3_PKS7_PS7_S7_ZZZN2at6native31launch_logcumsumexp_cuda_kernelERKNSE_10TensorBaseESI_lENKUlvE_clEvENKUlvE1_clEvEUlS7_S7_E_S7_EEDaPvRmT3_T4_T5_mT6_P12ihipStream_tbENKUlT_T0_E_clISt17integral_constantIbLb0EESZ_EEDaSU_SV_EUlSU_E_NS1_11comp_targetILNS1_3genE2ELNS1_11target_archE906ELNS1_3gpuE6ELNS1_3repE0EEENS1_30default_config_static_selectorELNS0_4arch9wavefront6targetE0EEEvT1_.num_vgpr, 0
	.set _ZN7rocprim17ROCPRIM_400000_NS6detail17trampoline_kernelINS0_14default_configENS1_20scan_config_selectorIN3c107complexIdEEEEZZNS1_9scan_implILNS1_25lookback_scan_determinismE0ELb0ELb0ES3_PKS7_PS7_S7_ZZZN2at6native31launch_logcumsumexp_cuda_kernelERKNSE_10TensorBaseESI_lENKUlvE_clEvENKUlvE1_clEvEUlS7_S7_E_S7_EEDaPvRmT3_T4_T5_mT6_P12ihipStream_tbENKUlT_T0_E_clISt17integral_constantIbLb0EESZ_EEDaSU_SV_EUlSU_E_NS1_11comp_targetILNS1_3genE2ELNS1_11target_archE906ELNS1_3gpuE6ELNS1_3repE0EEENS1_30default_config_static_selectorELNS0_4arch9wavefront6targetE0EEEvT1_.num_agpr, 0
	.set _ZN7rocprim17ROCPRIM_400000_NS6detail17trampoline_kernelINS0_14default_configENS1_20scan_config_selectorIN3c107complexIdEEEEZZNS1_9scan_implILNS1_25lookback_scan_determinismE0ELb0ELb0ES3_PKS7_PS7_S7_ZZZN2at6native31launch_logcumsumexp_cuda_kernelERKNSE_10TensorBaseESI_lENKUlvE_clEvENKUlvE1_clEvEUlS7_S7_E_S7_EEDaPvRmT3_T4_T5_mT6_P12ihipStream_tbENKUlT_T0_E_clISt17integral_constantIbLb0EESZ_EEDaSU_SV_EUlSU_E_NS1_11comp_targetILNS1_3genE2ELNS1_11target_archE906ELNS1_3gpuE6ELNS1_3repE0EEENS1_30default_config_static_selectorELNS0_4arch9wavefront6targetE0EEEvT1_.numbered_sgpr, 0
	.set _ZN7rocprim17ROCPRIM_400000_NS6detail17trampoline_kernelINS0_14default_configENS1_20scan_config_selectorIN3c107complexIdEEEEZZNS1_9scan_implILNS1_25lookback_scan_determinismE0ELb0ELb0ES3_PKS7_PS7_S7_ZZZN2at6native31launch_logcumsumexp_cuda_kernelERKNSE_10TensorBaseESI_lENKUlvE_clEvENKUlvE1_clEvEUlS7_S7_E_S7_EEDaPvRmT3_T4_T5_mT6_P12ihipStream_tbENKUlT_T0_E_clISt17integral_constantIbLb0EESZ_EEDaSU_SV_EUlSU_E_NS1_11comp_targetILNS1_3genE2ELNS1_11target_archE906ELNS1_3gpuE6ELNS1_3repE0EEENS1_30default_config_static_selectorELNS0_4arch9wavefront6targetE0EEEvT1_.num_named_barrier, 0
	.set _ZN7rocprim17ROCPRIM_400000_NS6detail17trampoline_kernelINS0_14default_configENS1_20scan_config_selectorIN3c107complexIdEEEEZZNS1_9scan_implILNS1_25lookback_scan_determinismE0ELb0ELb0ES3_PKS7_PS7_S7_ZZZN2at6native31launch_logcumsumexp_cuda_kernelERKNSE_10TensorBaseESI_lENKUlvE_clEvENKUlvE1_clEvEUlS7_S7_E_S7_EEDaPvRmT3_T4_T5_mT6_P12ihipStream_tbENKUlT_T0_E_clISt17integral_constantIbLb0EESZ_EEDaSU_SV_EUlSU_E_NS1_11comp_targetILNS1_3genE2ELNS1_11target_archE906ELNS1_3gpuE6ELNS1_3repE0EEENS1_30default_config_static_selectorELNS0_4arch9wavefront6targetE0EEEvT1_.private_seg_size, 0
	.set _ZN7rocprim17ROCPRIM_400000_NS6detail17trampoline_kernelINS0_14default_configENS1_20scan_config_selectorIN3c107complexIdEEEEZZNS1_9scan_implILNS1_25lookback_scan_determinismE0ELb0ELb0ES3_PKS7_PS7_S7_ZZZN2at6native31launch_logcumsumexp_cuda_kernelERKNSE_10TensorBaseESI_lENKUlvE_clEvENKUlvE1_clEvEUlS7_S7_E_S7_EEDaPvRmT3_T4_T5_mT6_P12ihipStream_tbENKUlT_T0_E_clISt17integral_constantIbLb0EESZ_EEDaSU_SV_EUlSU_E_NS1_11comp_targetILNS1_3genE2ELNS1_11target_archE906ELNS1_3gpuE6ELNS1_3repE0EEENS1_30default_config_static_selectorELNS0_4arch9wavefront6targetE0EEEvT1_.uses_vcc, 0
	.set _ZN7rocprim17ROCPRIM_400000_NS6detail17trampoline_kernelINS0_14default_configENS1_20scan_config_selectorIN3c107complexIdEEEEZZNS1_9scan_implILNS1_25lookback_scan_determinismE0ELb0ELb0ES3_PKS7_PS7_S7_ZZZN2at6native31launch_logcumsumexp_cuda_kernelERKNSE_10TensorBaseESI_lENKUlvE_clEvENKUlvE1_clEvEUlS7_S7_E_S7_EEDaPvRmT3_T4_T5_mT6_P12ihipStream_tbENKUlT_T0_E_clISt17integral_constantIbLb0EESZ_EEDaSU_SV_EUlSU_E_NS1_11comp_targetILNS1_3genE2ELNS1_11target_archE906ELNS1_3gpuE6ELNS1_3repE0EEENS1_30default_config_static_selectorELNS0_4arch9wavefront6targetE0EEEvT1_.uses_flat_scratch, 0
	.set _ZN7rocprim17ROCPRIM_400000_NS6detail17trampoline_kernelINS0_14default_configENS1_20scan_config_selectorIN3c107complexIdEEEEZZNS1_9scan_implILNS1_25lookback_scan_determinismE0ELb0ELb0ES3_PKS7_PS7_S7_ZZZN2at6native31launch_logcumsumexp_cuda_kernelERKNSE_10TensorBaseESI_lENKUlvE_clEvENKUlvE1_clEvEUlS7_S7_E_S7_EEDaPvRmT3_T4_T5_mT6_P12ihipStream_tbENKUlT_T0_E_clISt17integral_constantIbLb0EESZ_EEDaSU_SV_EUlSU_E_NS1_11comp_targetILNS1_3genE2ELNS1_11target_archE906ELNS1_3gpuE6ELNS1_3repE0EEENS1_30default_config_static_selectorELNS0_4arch9wavefront6targetE0EEEvT1_.has_dyn_sized_stack, 0
	.set _ZN7rocprim17ROCPRIM_400000_NS6detail17trampoline_kernelINS0_14default_configENS1_20scan_config_selectorIN3c107complexIdEEEEZZNS1_9scan_implILNS1_25lookback_scan_determinismE0ELb0ELb0ES3_PKS7_PS7_S7_ZZZN2at6native31launch_logcumsumexp_cuda_kernelERKNSE_10TensorBaseESI_lENKUlvE_clEvENKUlvE1_clEvEUlS7_S7_E_S7_EEDaPvRmT3_T4_T5_mT6_P12ihipStream_tbENKUlT_T0_E_clISt17integral_constantIbLb0EESZ_EEDaSU_SV_EUlSU_E_NS1_11comp_targetILNS1_3genE2ELNS1_11target_archE906ELNS1_3gpuE6ELNS1_3repE0EEENS1_30default_config_static_selectorELNS0_4arch9wavefront6targetE0EEEvT1_.has_recursion, 0
	.set _ZN7rocprim17ROCPRIM_400000_NS6detail17trampoline_kernelINS0_14default_configENS1_20scan_config_selectorIN3c107complexIdEEEEZZNS1_9scan_implILNS1_25lookback_scan_determinismE0ELb0ELb0ES3_PKS7_PS7_S7_ZZZN2at6native31launch_logcumsumexp_cuda_kernelERKNSE_10TensorBaseESI_lENKUlvE_clEvENKUlvE1_clEvEUlS7_S7_E_S7_EEDaPvRmT3_T4_T5_mT6_P12ihipStream_tbENKUlT_T0_E_clISt17integral_constantIbLb0EESZ_EEDaSU_SV_EUlSU_E_NS1_11comp_targetILNS1_3genE2ELNS1_11target_archE906ELNS1_3gpuE6ELNS1_3repE0EEENS1_30default_config_static_selectorELNS0_4arch9wavefront6targetE0EEEvT1_.has_indirect_call, 0
	.section	.AMDGPU.csdata,"",@progbits
; Kernel info:
; codeLenInByte = 0
; TotalNumSgprs: 0
; NumVgprs: 0
; ScratchSize: 0
; MemoryBound: 0
; FloatMode: 240
; IeeeMode: 1
; LDSByteSize: 0 bytes/workgroup (compile time only)
; SGPRBlocks: 0
; VGPRBlocks: 0
; NumSGPRsForWavesPerEU: 1
; NumVGPRsForWavesPerEU: 1
; Occupancy: 16
; WaveLimiterHint : 0
; COMPUTE_PGM_RSRC2:SCRATCH_EN: 0
; COMPUTE_PGM_RSRC2:USER_SGPR: 6
; COMPUTE_PGM_RSRC2:TRAP_HANDLER: 0
; COMPUTE_PGM_RSRC2:TGID_X_EN: 1
; COMPUTE_PGM_RSRC2:TGID_Y_EN: 0
; COMPUTE_PGM_RSRC2:TGID_Z_EN: 0
; COMPUTE_PGM_RSRC2:TIDIG_COMP_CNT: 0
	.section	.text._ZN7rocprim17ROCPRIM_400000_NS6detail17trampoline_kernelINS0_14default_configENS1_20scan_config_selectorIN3c107complexIdEEEEZZNS1_9scan_implILNS1_25lookback_scan_determinismE0ELb0ELb0ES3_PKS7_PS7_S7_ZZZN2at6native31launch_logcumsumexp_cuda_kernelERKNSE_10TensorBaseESI_lENKUlvE_clEvENKUlvE1_clEvEUlS7_S7_E_S7_EEDaPvRmT3_T4_T5_mT6_P12ihipStream_tbENKUlT_T0_E_clISt17integral_constantIbLb0EESZ_EEDaSU_SV_EUlSU_E_NS1_11comp_targetILNS1_3genE10ELNS1_11target_archE1201ELNS1_3gpuE5ELNS1_3repE0EEENS1_30default_config_static_selectorELNS0_4arch9wavefront6targetE0EEEvT1_,"axG",@progbits,_ZN7rocprim17ROCPRIM_400000_NS6detail17trampoline_kernelINS0_14default_configENS1_20scan_config_selectorIN3c107complexIdEEEEZZNS1_9scan_implILNS1_25lookback_scan_determinismE0ELb0ELb0ES3_PKS7_PS7_S7_ZZZN2at6native31launch_logcumsumexp_cuda_kernelERKNSE_10TensorBaseESI_lENKUlvE_clEvENKUlvE1_clEvEUlS7_S7_E_S7_EEDaPvRmT3_T4_T5_mT6_P12ihipStream_tbENKUlT_T0_E_clISt17integral_constantIbLb0EESZ_EEDaSU_SV_EUlSU_E_NS1_11comp_targetILNS1_3genE10ELNS1_11target_archE1201ELNS1_3gpuE5ELNS1_3repE0EEENS1_30default_config_static_selectorELNS0_4arch9wavefront6targetE0EEEvT1_,comdat
	.globl	_ZN7rocprim17ROCPRIM_400000_NS6detail17trampoline_kernelINS0_14default_configENS1_20scan_config_selectorIN3c107complexIdEEEEZZNS1_9scan_implILNS1_25lookback_scan_determinismE0ELb0ELb0ES3_PKS7_PS7_S7_ZZZN2at6native31launch_logcumsumexp_cuda_kernelERKNSE_10TensorBaseESI_lENKUlvE_clEvENKUlvE1_clEvEUlS7_S7_E_S7_EEDaPvRmT3_T4_T5_mT6_P12ihipStream_tbENKUlT_T0_E_clISt17integral_constantIbLb0EESZ_EEDaSU_SV_EUlSU_E_NS1_11comp_targetILNS1_3genE10ELNS1_11target_archE1201ELNS1_3gpuE5ELNS1_3repE0EEENS1_30default_config_static_selectorELNS0_4arch9wavefront6targetE0EEEvT1_ ; -- Begin function _ZN7rocprim17ROCPRIM_400000_NS6detail17trampoline_kernelINS0_14default_configENS1_20scan_config_selectorIN3c107complexIdEEEEZZNS1_9scan_implILNS1_25lookback_scan_determinismE0ELb0ELb0ES3_PKS7_PS7_S7_ZZZN2at6native31launch_logcumsumexp_cuda_kernelERKNSE_10TensorBaseESI_lENKUlvE_clEvENKUlvE1_clEvEUlS7_S7_E_S7_EEDaPvRmT3_T4_T5_mT6_P12ihipStream_tbENKUlT_T0_E_clISt17integral_constantIbLb0EESZ_EEDaSU_SV_EUlSU_E_NS1_11comp_targetILNS1_3genE10ELNS1_11target_archE1201ELNS1_3gpuE5ELNS1_3repE0EEENS1_30default_config_static_selectorELNS0_4arch9wavefront6targetE0EEEvT1_
	.p2align	8
	.type	_ZN7rocprim17ROCPRIM_400000_NS6detail17trampoline_kernelINS0_14default_configENS1_20scan_config_selectorIN3c107complexIdEEEEZZNS1_9scan_implILNS1_25lookback_scan_determinismE0ELb0ELb0ES3_PKS7_PS7_S7_ZZZN2at6native31launch_logcumsumexp_cuda_kernelERKNSE_10TensorBaseESI_lENKUlvE_clEvENKUlvE1_clEvEUlS7_S7_E_S7_EEDaPvRmT3_T4_T5_mT6_P12ihipStream_tbENKUlT_T0_E_clISt17integral_constantIbLb0EESZ_EEDaSU_SV_EUlSU_E_NS1_11comp_targetILNS1_3genE10ELNS1_11target_archE1201ELNS1_3gpuE5ELNS1_3repE0EEENS1_30default_config_static_selectorELNS0_4arch9wavefront6targetE0EEEvT1_,@function
_ZN7rocprim17ROCPRIM_400000_NS6detail17trampoline_kernelINS0_14default_configENS1_20scan_config_selectorIN3c107complexIdEEEEZZNS1_9scan_implILNS1_25lookback_scan_determinismE0ELb0ELb0ES3_PKS7_PS7_S7_ZZZN2at6native31launch_logcumsumexp_cuda_kernelERKNSE_10TensorBaseESI_lENKUlvE_clEvENKUlvE1_clEvEUlS7_S7_E_S7_EEDaPvRmT3_T4_T5_mT6_P12ihipStream_tbENKUlT_T0_E_clISt17integral_constantIbLb0EESZ_EEDaSU_SV_EUlSU_E_NS1_11comp_targetILNS1_3genE10ELNS1_11target_archE1201ELNS1_3gpuE5ELNS1_3repE0EEENS1_30default_config_static_selectorELNS0_4arch9wavefront6targetE0EEEvT1_: ; @_ZN7rocprim17ROCPRIM_400000_NS6detail17trampoline_kernelINS0_14default_configENS1_20scan_config_selectorIN3c107complexIdEEEEZZNS1_9scan_implILNS1_25lookback_scan_determinismE0ELb0ELb0ES3_PKS7_PS7_S7_ZZZN2at6native31launch_logcumsumexp_cuda_kernelERKNSE_10TensorBaseESI_lENKUlvE_clEvENKUlvE1_clEvEUlS7_S7_E_S7_EEDaPvRmT3_T4_T5_mT6_P12ihipStream_tbENKUlT_T0_E_clISt17integral_constantIbLb0EESZ_EEDaSU_SV_EUlSU_E_NS1_11comp_targetILNS1_3genE10ELNS1_11target_archE1201ELNS1_3gpuE5ELNS1_3repE0EEENS1_30default_config_static_selectorELNS0_4arch9wavefront6targetE0EEEvT1_
; %bb.0:
	.section	.rodata,"a",@progbits
	.p2align	6, 0x0
	.amdhsa_kernel _ZN7rocprim17ROCPRIM_400000_NS6detail17trampoline_kernelINS0_14default_configENS1_20scan_config_selectorIN3c107complexIdEEEEZZNS1_9scan_implILNS1_25lookback_scan_determinismE0ELb0ELb0ES3_PKS7_PS7_S7_ZZZN2at6native31launch_logcumsumexp_cuda_kernelERKNSE_10TensorBaseESI_lENKUlvE_clEvENKUlvE1_clEvEUlS7_S7_E_S7_EEDaPvRmT3_T4_T5_mT6_P12ihipStream_tbENKUlT_T0_E_clISt17integral_constantIbLb0EESZ_EEDaSU_SV_EUlSU_E_NS1_11comp_targetILNS1_3genE10ELNS1_11target_archE1201ELNS1_3gpuE5ELNS1_3repE0EEENS1_30default_config_static_selectorELNS0_4arch9wavefront6targetE0EEEvT1_
		.amdhsa_group_segment_fixed_size 0
		.amdhsa_private_segment_fixed_size 0
		.amdhsa_kernarg_size 128
		.amdhsa_user_sgpr_count 6
		.amdhsa_user_sgpr_private_segment_buffer 1
		.amdhsa_user_sgpr_dispatch_ptr 0
		.amdhsa_user_sgpr_queue_ptr 0
		.amdhsa_user_sgpr_kernarg_segment_ptr 1
		.amdhsa_user_sgpr_dispatch_id 0
		.amdhsa_user_sgpr_flat_scratch_init 0
		.amdhsa_user_sgpr_private_segment_size 0
		.amdhsa_wavefront_size32 1
		.amdhsa_uses_dynamic_stack 0
		.amdhsa_system_sgpr_private_segment_wavefront_offset 0
		.amdhsa_system_sgpr_workgroup_id_x 1
		.amdhsa_system_sgpr_workgroup_id_y 0
		.amdhsa_system_sgpr_workgroup_id_z 0
		.amdhsa_system_sgpr_workgroup_info 0
		.amdhsa_system_vgpr_workitem_id 0
		.amdhsa_next_free_vgpr 1
		.amdhsa_next_free_sgpr 1
		.amdhsa_reserve_vcc 0
		.amdhsa_reserve_flat_scratch 0
		.amdhsa_float_round_mode_32 0
		.amdhsa_float_round_mode_16_64 0
		.amdhsa_float_denorm_mode_32 3
		.amdhsa_float_denorm_mode_16_64 3
		.amdhsa_dx10_clamp 1
		.amdhsa_ieee_mode 1
		.amdhsa_fp16_overflow 0
		.amdhsa_workgroup_processor_mode 1
		.amdhsa_memory_ordered 1
		.amdhsa_forward_progress 1
		.amdhsa_shared_vgpr_count 0
		.amdhsa_exception_fp_ieee_invalid_op 0
		.amdhsa_exception_fp_denorm_src 0
		.amdhsa_exception_fp_ieee_div_zero 0
		.amdhsa_exception_fp_ieee_overflow 0
		.amdhsa_exception_fp_ieee_underflow 0
		.amdhsa_exception_fp_ieee_inexact 0
		.amdhsa_exception_int_div_zero 0
	.end_amdhsa_kernel
	.section	.text._ZN7rocprim17ROCPRIM_400000_NS6detail17trampoline_kernelINS0_14default_configENS1_20scan_config_selectorIN3c107complexIdEEEEZZNS1_9scan_implILNS1_25lookback_scan_determinismE0ELb0ELb0ES3_PKS7_PS7_S7_ZZZN2at6native31launch_logcumsumexp_cuda_kernelERKNSE_10TensorBaseESI_lENKUlvE_clEvENKUlvE1_clEvEUlS7_S7_E_S7_EEDaPvRmT3_T4_T5_mT6_P12ihipStream_tbENKUlT_T0_E_clISt17integral_constantIbLb0EESZ_EEDaSU_SV_EUlSU_E_NS1_11comp_targetILNS1_3genE10ELNS1_11target_archE1201ELNS1_3gpuE5ELNS1_3repE0EEENS1_30default_config_static_selectorELNS0_4arch9wavefront6targetE0EEEvT1_,"axG",@progbits,_ZN7rocprim17ROCPRIM_400000_NS6detail17trampoline_kernelINS0_14default_configENS1_20scan_config_selectorIN3c107complexIdEEEEZZNS1_9scan_implILNS1_25lookback_scan_determinismE0ELb0ELb0ES3_PKS7_PS7_S7_ZZZN2at6native31launch_logcumsumexp_cuda_kernelERKNSE_10TensorBaseESI_lENKUlvE_clEvENKUlvE1_clEvEUlS7_S7_E_S7_EEDaPvRmT3_T4_T5_mT6_P12ihipStream_tbENKUlT_T0_E_clISt17integral_constantIbLb0EESZ_EEDaSU_SV_EUlSU_E_NS1_11comp_targetILNS1_3genE10ELNS1_11target_archE1201ELNS1_3gpuE5ELNS1_3repE0EEENS1_30default_config_static_selectorELNS0_4arch9wavefront6targetE0EEEvT1_,comdat
.Lfunc_end180:
	.size	_ZN7rocprim17ROCPRIM_400000_NS6detail17trampoline_kernelINS0_14default_configENS1_20scan_config_selectorIN3c107complexIdEEEEZZNS1_9scan_implILNS1_25lookback_scan_determinismE0ELb0ELb0ES3_PKS7_PS7_S7_ZZZN2at6native31launch_logcumsumexp_cuda_kernelERKNSE_10TensorBaseESI_lENKUlvE_clEvENKUlvE1_clEvEUlS7_S7_E_S7_EEDaPvRmT3_T4_T5_mT6_P12ihipStream_tbENKUlT_T0_E_clISt17integral_constantIbLb0EESZ_EEDaSU_SV_EUlSU_E_NS1_11comp_targetILNS1_3genE10ELNS1_11target_archE1201ELNS1_3gpuE5ELNS1_3repE0EEENS1_30default_config_static_selectorELNS0_4arch9wavefront6targetE0EEEvT1_, .Lfunc_end180-_ZN7rocprim17ROCPRIM_400000_NS6detail17trampoline_kernelINS0_14default_configENS1_20scan_config_selectorIN3c107complexIdEEEEZZNS1_9scan_implILNS1_25lookback_scan_determinismE0ELb0ELb0ES3_PKS7_PS7_S7_ZZZN2at6native31launch_logcumsumexp_cuda_kernelERKNSE_10TensorBaseESI_lENKUlvE_clEvENKUlvE1_clEvEUlS7_S7_E_S7_EEDaPvRmT3_T4_T5_mT6_P12ihipStream_tbENKUlT_T0_E_clISt17integral_constantIbLb0EESZ_EEDaSU_SV_EUlSU_E_NS1_11comp_targetILNS1_3genE10ELNS1_11target_archE1201ELNS1_3gpuE5ELNS1_3repE0EEENS1_30default_config_static_selectorELNS0_4arch9wavefront6targetE0EEEvT1_
                                        ; -- End function
	.set _ZN7rocprim17ROCPRIM_400000_NS6detail17trampoline_kernelINS0_14default_configENS1_20scan_config_selectorIN3c107complexIdEEEEZZNS1_9scan_implILNS1_25lookback_scan_determinismE0ELb0ELb0ES3_PKS7_PS7_S7_ZZZN2at6native31launch_logcumsumexp_cuda_kernelERKNSE_10TensorBaseESI_lENKUlvE_clEvENKUlvE1_clEvEUlS7_S7_E_S7_EEDaPvRmT3_T4_T5_mT6_P12ihipStream_tbENKUlT_T0_E_clISt17integral_constantIbLb0EESZ_EEDaSU_SV_EUlSU_E_NS1_11comp_targetILNS1_3genE10ELNS1_11target_archE1201ELNS1_3gpuE5ELNS1_3repE0EEENS1_30default_config_static_selectorELNS0_4arch9wavefront6targetE0EEEvT1_.num_vgpr, 0
	.set _ZN7rocprim17ROCPRIM_400000_NS6detail17trampoline_kernelINS0_14default_configENS1_20scan_config_selectorIN3c107complexIdEEEEZZNS1_9scan_implILNS1_25lookback_scan_determinismE0ELb0ELb0ES3_PKS7_PS7_S7_ZZZN2at6native31launch_logcumsumexp_cuda_kernelERKNSE_10TensorBaseESI_lENKUlvE_clEvENKUlvE1_clEvEUlS7_S7_E_S7_EEDaPvRmT3_T4_T5_mT6_P12ihipStream_tbENKUlT_T0_E_clISt17integral_constantIbLb0EESZ_EEDaSU_SV_EUlSU_E_NS1_11comp_targetILNS1_3genE10ELNS1_11target_archE1201ELNS1_3gpuE5ELNS1_3repE0EEENS1_30default_config_static_selectorELNS0_4arch9wavefront6targetE0EEEvT1_.num_agpr, 0
	.set _ZN7rocprim17ROCPRIM_400000_NS6detail17trampoline_kernelINS0_14default_configENS1_20scan_config_selectorIN3c107complexIdEEEEZZNS1_9scan_implILNS1_25lookback_scan_determinismE0ELb0ELb0ES3_PKS7_PS7_S7_ZZZN2at6native31launch_logcumsumexp_cuda_kernelERKNSE_10TensorBaseESI_lENKUlvE_clEvENKUlvE1_clEvEUlS7_S7_E_S7_EEDaPvRmT3_T4_T5_mT6_P12ihipStream_tbENKUlT_T0_E_clISt17integral_constantIbLb0EESZ_EEDaSU_SV_EUlSU_E_NS1_11comp_targetILNS1_3genE10ELNS1_11target_archE1201ELNS1_3gpuE5ELNS1_3repE0EEENS1_30default_config_static_selectorELNS0_4arch9wavefront6targetE0EEEvT1_.numbered_sgpr, 0
	.set _ZN7rocprim17ROCPRIM_400000_NS6detail17trampoline_kernelINS0_14default_configENS1_20scan_config_selectorIN3c107complexIdEEEEZZNS1_9scan_implILNS1_25lookback_scan_determinismE0ELb0ELb0ES3_PKS7_PS7_S7_ZZZN2at6native31launch_logcumsumexp_cuda_kernelERKNSE_10TensorBaseESI_lENKUlvE_clEvENKUlvE1_clEvEUlS7_S7_E_S7_EEDaPvRmT3_T4_T5_mT6_P12ihipStream_tbENKUlT_T0_E_clISt17integral_constantIbLb0EESZ_EEDaSU_SV_EUlSU_E_NS1_11comp_targetILNS1_3genE10ELNS1_11target_archE1201ELNS1_3gpuE5ELNS1_3repE0EEENS1_30default_config_static_selectorELNS0_4arch9wavefront6targetE0EEEvT1_.num_named_barrier, 0
	.set _ZN7rocprim17ROCPRIM_400000_NS6detail17trampoline_kernelINS0_14default_configENS1_20scan_config_selectorIN3c107complexIdEEEEZZNS1_9scan_implILNS1_25lookback_scan_determinismE0ELb0ELb0ES3_PKS7_PS7_S7_ZZZN2at6native31launch_logcumsumexp_cuda_kernelERKNSE_10TensorBaseESI_lENKUlvE_clEvENKUlvE1_clEvEUlS7_S7_E_S7_EEDaPvRmT3_T4_T5_mT6_P12ihipStream_tbENKUlT_T0_E_clISt17integral_constantIbLb0EESZ_EEDaSU_SV_EUlSU_E_NS1_11comp_targetILNS1_3genE10ELNS1_11target_archE1201ELNS1_3gpuE5ELNS1_3repE0EEENS1_30default_config_static_selectorELNS0_4arch9wavefront6targetE0EEEvT1_.private_seg_size, 0
	.set _ZN7rocprim17ROCPRIM_400000_NS6detail17trampoline_kernelINS0_14default_configENS1_20scan_config_selectorIN3c107complexIdEEEEZZNS1_9scan_implILNS1_25lookback_scan_determinismE0ELb0ELb0ES3_PKS7_PS7_S7_ZZZN2at6native31launch_logcumsumexp_cuda_kernelERKNSE_10TensorBaseESI_lENKUlvE_clEvENKUlvE1_clEvEUlS7_S7_E_S7_EEDaPvRmT3_T4_T5_mT6_P12ihipStream_tbENKUlT_T0_E_clISt17integral_constantIbLb0EESZ_EEDaSU_SV_EUlSU_E_NS1_11comp_targetILNS1_3genE10ELNS1_11target_archE1201ELNS1_3gpuE5ELNS1_3repE0EEENS1_30default_config_static_selectorELNS0_4arch9wavefront6targetE0EEEvT1_.uses_vcc, 0
	.set _ZN7rocprim17ROCPRIM_400000_NS6detail17trampoline_kernelINS0_14default_configENS1_20scan_config_selectorIN3c107complexIdEEEEZZNS1_9scan_implILNS1_25lookback_scan_determinismE0ELb0ELb0ES3_PKS7_PS7_S7_ZZZN2at6native31launch_logcumsumexp_cuda_kernelERKNSE_10TensorBaseESI_lENKUlvE_clEvENKUlvE1_clEvEUlS7_S7_E_S7_EEDaPvRmT3_T4_T5_mT6_P12ihipStream_tbENKUlT_T0_E_clISt17integral_constantIbLb0EESZ_EEDaSU_SV_EUlSU_E_NS1_11comp_targetILNS1_3genE10ELNS1_11target_archE1201ELNS1_3gpuE5ELNS1_3repE0EEENS1_30default_config_static_selectorELNS0_4arch9wavefront6targetE0EEEvT1_.uses_flat_scratch, 0
	.set _ZN7rocprim17ROCPRIM_400000_NS6detail17trampoline_kernelINS0_14default_configENS1_20scan_config_selectorIN3c107complexIdEEEEZZNS1_9scan_implILNS1_25lookback_scan_determinismE0ELb0ELb0ES3_PKS7_PS7_S7_ZZZN2at6native31launch_logcumsumexp_cuda_kernelERKNSE_10TensorBaseESI_lENKUlvE_clEvENKUlvE1_clEvEUlS7_S7_E_S7_EEDaPvRmT3_T4_T5_mT6_P12ihipStream_tbENKUlT_T0_E_clISt17integral_constantIbLb0EESZ_EEDaSU_SV_EUlSU_E_NS1_11comp_targetILNS1_3genE10ELNS1_11target_archE1201ELNS1_3gpuE5ELNS1_3repE0EEENS1_30default_config_static_selectorELNS0_4arch9wavefront6targetE0EEEvT1_.has_dyn_sized_stack, 0
	.set _ZN7rocprim17ROCPRIM_400000_NS6detail17trampoline_kernelINS0_14default_configENS1_20scan_config_selectorIN3c107complexIdEEEEZZNS1_9scan_implILNS1_25lookback_scan_determinismE0ELb0ELb0ES3_PKS7_PS7_S7_ZZZN2at6native31launch_logcumsumexp_cuda_kernelERKNSE_10TensorBaseESI_lENKUlvE_clEvENKUlvE1_clEvEUlS7_S7_E_S7_EEDaPvRmT3_T4_T5_mT6_P12ihipStream_tbENKUlT_T0_E_clISt17integral_constantIbLb0EESZ_EEDaSU_SV_EUlSU_E_NS1_11comp_targetILNS1_3genE10ELNS1_11target_archE1201ELNS1_3gpuE5ELNS1_3repE0EEENS1_30default_config_static_selectorELNS0_4arch9wavefront6targetE0EEEvT1_.has_recursion, 0
	.set _ZN7rocprim17ROCPRIM_400000_NS6detail17trampoline_kernelINS0_14default_configENS1_20scan_config_selectorIN3c107complexIdEEEEZZNS1_9scan_implILNS1_25lookback_scan_determinismE0ELb0ELb0ES3_PKS7_PS7_S7_ZZZN2at6native31launch_logcumsumexp_cuda_kernelERKNSE_10TensorBaseESI_lENKUlvE_clEvENKUlvE1_clEvEUlS7_S7_E_S7_EEDaPvRmT3_T4_T5_mT6_P12ihipStream_tbENKUlT_T0_E_clISt17integral_constantIbLb0EESZ_EEDaSU_SV_EUlSU_E_NS1_11comp_targetILNS1_3genE10ELNS1_11target_archE1201ELNS1_3gpuE5ELNS1_3repE0EEENS1_30default_config_static_selectorELNS0_4arch9wavefront6targetE0EEEvT1_.has_indirect_call, 0
	.section	.AMDGPU.csdata,"",@progbits
; Kernel info:
; codeLenInByte = 0
; TotalNumSgprs: 0
; NumVgprs: 0
; ScratchSize: 0
; MemoryBound: 0
; FloatMode: 240
; IeeeMode: 1
; LDSByteSize: 0 bytes/workgroup (compile time only)
; SGPRBlocks: 0
; VGPRBlocks: 0
; NumSGPRsForWavesPerEU: 1
; NumVGPRsForWavesPerEU: 1
; Occupancy: 16
; WaveLimiterHint : 0
; COMPUTE_PGM_RSRC2:SCRATCH_EN: 0
; COMPUTE_PGM_RSRC2:USER_SGPR: 6
; COMPUTE_PGM_RSRC2:TRAP_HANDLER: 0
; COMPUTE_PGM_RSRC2:TGID_X_EN: 1
; COMPUTE_PGM_RSRC2:TGID_Y_EN: 0
; COMPUTE_PGM_RSRC2:TGID_Z_EN: 0
; COMPUTE_PGM_RSRC2:TIDIG_COMP_CNT: 0
	.section	.text._ZN7rocprim17ROCPRIM_400000_NS6detail17trampoline_kernelINS0_14default_configENS1_20scan_config_selectorIN3c107complexIdEEEEZZNS1_9scan_implILNS1_25lookback_scan_determinismE0ELb0ELb0ES3_PKS7_PS7_S7_ZZZN2at6native31launch_logcumsumexp_cuda_kernelERKNSE_10TensorBaseESI_lENKUlvE_clEvENKUlvE1_clEvEUlS7_S7_E_S7_EEDaPvRmT3_T4_T5_mT6_P12ihipStream_tbENKUlT_T0_E_clISt17integral_constantIbLb0EESZ_EEDaSU_SV_EUlSU_E_NS1_11comp_targetILNS1_3genE10ELNS1_11target_archE1200ELNS1_3gpuE4ELNS1_3repE0EEENS1_30default_config_static_selectorELNS0_4arch9wavefront6targetE0EEEvT1_,"axG",@progbits,_ZN7rocprim17ROCPRIM_400000_NS6detail17trampoline_kernelINS0_14default_configENS1_20scan_config_selectorIN3c107complexIdEEEEZZNS1_9scan_implILNS1_25lookback_scan_determinismE0ELb0ELb0ES3_PKS7_PS7_S7_ZZZN2at6native31launch_logcumsumexp_cuda_kernelERKNSE_10TensorBaseESI_lENKUlvE_clEvENKUlvE1_clEvEUlS7_S7_E_S7_EEDaPvRmT3_T4_T5_mT6_P12ihipStream_tbENKUlT_T0_E_clISt17integral_constantIbLb0EESZ_EEDaSU_SV_EUlSU_E_NS1_11comp_targetILNS1_3genE10ELNS1_11target_archE1200ELNS1_3gpuE4ELNS1_3repE0EEENS1_30default_config_static_selectorELNS0_4arch9wavefront6targetE0EEEvT1_,comdat
	.globl	_ZN7rocprim17ROCPRIM_400000_NS6detail17trampoline_kernelINS0_14default_configENS1_20scan_config_selectorIN3c107complexIdEEEEZZNS1_9scan_implILNS1_25lookback_scan_determinismE0ELb0ELb0ES3_PKS7_PS7_S7_ZZZN2at6native31launch_logcumsumexp_cuda_kernelERKNSE_10TensorBaseESI_lENKUlvE_clEvENKUlvE1_clEvEUlS7_S7_E_S7_EEDaPvRmT3_T4_T5_mT6_P12ihipStream_tbENKUlT_T0_E_clISt17integral_constantIbLb0EESZ_EEDaSU_SV_EUlSU_E_NS1_11comp_targetILNS1_3genE10ELNS1_11target_archE1200ELNS1_3gpuE4ELNS1_3repE0EEENS1_30default_config_static_selectorELNS0_4arch9wavefront6targetE0EEEvT1_ ; -- Begin function _ZN7rocprim17ROCPRIM_400000_NS6detail17trampoline_kernelINS0_14default_configENS1_20scan_config_selectorIN3c107complexIdEEEEZZNS1_9scan_implILNS1_25lookback_scan_determinismE0ELb0ELb0ES3_PKS7_PS7_S7_ZZZN2at6native31launch_logcumsumexp_cuda_kernelERKNSE_10TensorBaseESI_lENKUlvE_clEvENKUlvE1_clEvEUlS7_S7_E_S7_EEDaPvRmT3_T4_T5_mT6_P12ihipStream_tbENKUlT_T0_E_clISt17integral_constantIbLb0EESZ_EEDaSU_SV_EUlSU_E_NS1_11comp_targetILNS1_3genE10ELNS1_11target_archE1200ELNS1_3gpuE4ELNS1_3repE0EEENS1_30default_config_static_selectorELNS0_4arch9wavefront6targetE0EEEvT1_
	.p2align	8
	.type	_ZN7rocprim17ROCPRIM_400000_NS6detail17trampoline_kernelINS0_14default_configENS1_20scan_config_selectorIN3c107complexIdEEEEZZNS1_9scan_implILNS1_25lookback_scan_determinismE0ELb0ELb0ES3_PKS7_PS7_S7_ZZZN2at6native31launch_logcumsumexp_cuda_kernelERKNSE_10TensorBaseESI_lENKUlvE_clEvENKUlvE1_clEvEUlS7_S7_E_S7_EEDaPvRmT3_T4_T5_mT6_P12ihipStream_tbENKUlT_T0_E_clISt17integral_constantIbLb0EESZ_EEDaSU_SV_EUlSU_E_NS1_11comp_targetILNS1_3genE10ELNS1_11target_archE1200ELNS1_3gpuE4ELNS1_3repE0EEENS1_30default_config_static_selectorELNS0_4arch9wavefront6targetE0EEEvT1_,@function
_ZN7rocprim17ROCPRIM_400000_NS6detail17trampoline_kernelINS0_14default_configENS1_20scan_config_selectorIN3c107complexIdEEEEZZNS1_9scan_implILNS1_25lookback_scan_determinismE0ELb0ELb0ES3_PKS7_PS7_S7_ZZZN2at6native31launch_logcumsumexp_cuda_kernelERKNSE_10TensorBaseESI_lENKUlvE_clEvENKUlvE1_clEvEUlS7_S7_E_S7_EEDaPvRmT3_T4_T5_mT6_P12ihipStream_tbENKUlT_T0_E_clISt17integral_constantIbLb0EESZ_EEDaSU_SV_EUlSU_E_NS1_11comp_targetILNS1_3genE10ELNS1_11target_archE1200ELNS1_3gpuE4ELNS1_3repE0EEENS1_30default_config_static_selectorELNS0_4arch9wavefront6targetE0EEEvT1_: ; @_ZN7rocprim17ROCPRIM_400000_NS6detail17trampoline_kernelINS0_14default_configENS1_20scan_config_selectorIN3c107complexIdEEEEZZNS1_9scan_implILNS1_25lookback_scan_determinismE0ELb0ELb0ES3_PKS7_PS7_S7_ZZZN2at6native31launch_logcumsumexp_cuda_kernelERKNSE_10TensorBaseESI_lENKUlvE_clEvENKUlvE1_clEvEUlS7_S7_E_S7_EEDaPvRmT3_T4_T5_mT6_P12ihipStream_tbENKUlT_T0_E_clISt17integral_constantIbLb0EESZ_EEDaSU_SV_EUlSU_E_NS1_11comp_targetILNS1_3genE10ELNS1_11target_archE1200ELNS1_3gpuE4ELNS1_3repE0EEENS1_30default_config_static_selectorELNS0_4arch9wavefront6targetE0EEEvT1_
; %bb.0:
	.section	.rodata,"a",@progbits
	.p2align	6, 0x0
	.amdhsa_kernel _ZN7rocprim17ROCPRIM_400000_NS6detail17trampoline_kernelINS0_14default_configENS1_20scan_config_selectorIN3c107complexIdEEEEZZNS1_9scan_implILNS1_25lookback_scan_determinismE0ELb0ELb0ES3_PKS7_PS7_S7_ZZZN2at6native31launch_logcumsumexp_cuda_kernelERKNSE_10TensorBaseESI_lENKUlvE_clEvENKUlvE1_clEvEUlS7_S7_E_S7_EEDaPvRmT3_T4_T5_mT6_P12ihipStream_tbENKUlT_T0_E_clISt17integral_constantIbLb0EESZ_EEDaSU_SV_EUlSU_E_NS1_11comp_targetILNS1_3genE10ELNS1_11target_archE1200ELNS1_3gpuE4ELNS1_3repE0EEENS1_30default_config_static_selectorELNS0_4arch9wavefront6targetE0EEEvT1_
		.amdhsa_group_segment_fixed_size 0
		.amdhsa_private_segment_fixed_size 0
		.amdhsa_kernarg_size 128
		.amdhsa_user_sgpr_count 6
		.amdhsa_user_sgpr_private_segment_buffer 1
		.amdhsa_user_sgpr_dispatch_ptr 0
		.amdhsa_user_sgpr_queue_ptr 0
		.amdhsa_user_sgpr_kernarg_segment_ptr 1
		.amdhsa_user_sgpr_dispatch_id 0
		.amdhsa_user_sgpr_flat_scratch_init 0
		.amdhsa_user_sgpr_private_segment_size 0
		.amdhsa_wavefront_size32 1
		.amdhsa_uses_dynamic_stack 0
		.amdhsa_system_sgpr_private_segment_wavefront_offset 0
		.amdhsa_system_sgpr_workgroup_id_x 1
		.amdhsa_system_sgpr_workgroup_id_y 0
		.amdhsa_system_sgpr_workgroup_id_z 0
		.amdhsa_system_sgpr_workgroup_info 0
		.amdhsa_system_vgpr_workitem_id 0
		.amdhsa_next_free_vgpr 1
		.amdhsa_next_free_sgpr 1
		.amdhsa_reserve_vcc 0
		.amdhsa_reserve_flat_scratch 0
		.amdhsa_float_round_mode_32 0
		.amdhsa_float_round_mode_16_64 0
		.amdhsa_float_denorm_mode_32 3
		.amdhsa_float_denorm_mode_16_64 3
		.amdhsa_dx10_clamp 1
		.amdhsa_ieee_mode 1
		.amdhsa_fp16_overflow 0
		.amdhsa_workgroup_processor_mode 1
		.amdhsa_memory_ordered 1
		.amdhsa_forward_progress 1
		.amdhsa_shared_vgpr_count 0
		.amdhsa_exception_fp_ieee_invalid_op 0
		.amdhsa_exception_fp_denorm_src 0
		.amdhsa_exception_fp_ieee_div_zero 0
		.amdhsa_exception_fp_ieee_overflow 0
		.amdhsa_exception_fp_ieee_underflow 0
		.amdhsa_exception_fp_ieee_inexact 0
		.amdhsa_exception_int_div_zero 0
	.end_amdhsa_kernel
	.section	.text._ZN7rocprim17ROCPRIM_400000_NS6detail17trampoline_kernelINS0_14default_configENS1_20scan_config_selectorIN3c107complexIdEEEEZZNS1_9scan_implILNS1_25lookback_scan_determinismE0ELb0ELb0ES3_PKS7_PS7_S7_ZZZN2at6native31launch_logcumsumexp_cuda_kernelERKNSE_10TensorBaseESI_lENKUlvE_clEvENKUlvE1_clEvEUlS7_S7_E_S7_EEDaPvRmT3_T4_T5_mT6_P12ihipStream_tbENKUlT_T0_E_clISt17integral_constantIbLb0EESZ_EEDaSU_SV_EUlSU_E_NS1_11comp_targetILNS1_3genE10ELNS1_11target_archE1200ELNS1_3gpuE4ELNS1_3repE0EEENS1_30default_config_static_selectorELNS0_4arch9wavefront6targetE0EEEvT1_,"axG",@progbits,_ZN7rocprim17ROCPRIM_400000_NS6detail17trampoline_kernelINS0_14default_configENS1_20scan_config_selectorIN3c107complexIdEEEEZZNS1_9scan_implILNS1_25lookback_scan_determinismE0ELb0ELb0ES3_PKS7_PS7_S7_ZZZN2at6native31launch_logcumsumexp_cuda_kernelERKNSE_10TensorBaseESI_lENKUlvE_clEvENKUlvE1_clEvEUlS7_S7_E_S7_EEDaPvRmT3_T4_T5_mT6_P12ihipStream_tbENKUlT_T0_E_clISt17integral_constantIbLb0EESZ_EEDaSU_SV_EUlSU_E_NS1_11comp_targetILNS1_3genE10ELNS1_11target_archE1200ELNS1_3gpuE4ELNS1_3repE0EEENS1_30default_config_static_selectorELNS0_4arch9wavefront6targetE0EEEvT1_,comdat
.Lfunc_end181:
	.size	_ZN7rocprim17ROCPRIM_400000_NS6detail17trampoline_kernelINS0_14default_configENS1_20scan_config_selectorIN3c107complexIdEEEEZZNS1_9scan_implILNS1_25lookback_scan_determinismE0ELb0ELb0ES3_PKS7_PS7_S7_ZZZN2at6native31launch_logcumsumexp_cuda_kernelERKNSE_10TensorBaseESI_lENKUlvE_clEvENKUlvE1_clEvEUlS7_S7_E_S7_EEDaPvRmT3_T4_T5_mT6_P12ihipStream_tbENKUlT_T0_E_clISt17integral_constantIbLb0EESZ_EEDaSU_SV_EUlSU_E_NS1_11comp_targetILNS1_3genE10ELNS1_11target_archE1200ELNS1_3gpuE4ELNS1_3repE0EEENS1_30default_config_static_selectorELNS0_4arch9wavefront6targetE0EEEvT1_, .Lfunc_end181-_ZN7rocprim17ROCPRIM_400000_NS6detail17trampoline_kernelINS0_14default_configENS1_20scan_config_selectorIN3c107complexIdEEEEZZNS1_9scan_implILNS1_25lookback_scan_determinismE0ELb0ELb0ES3_PKS7_PS7_S7_ZZZN2at6native31launch_logcumsumexp_cuda_kernelERKNSE_10TensorBaseESI_lENKUlvE_clEvENKUlvE1_clEvEUlS7_S7_E_S7_EEDaPvRmT3_T4_T5_mT6_P12ihipStream_tbENKUlT_T0_E_clISt17integral_constantIbLb0EESZ_EEDaSU_SV_EUlSU_E_NS1_11comp_targetILNS1_3genE10ELNS1_11target_archE1200ELNS1_3gpuE4ELNS1_3repE0EEENS1_30default_config_static_selectorELNS0_4arch9wavefront6targetE0EEEvT1_
                                        ; -- End function
	.set _ZN7rocprim17ROCPRIM_400000_NS6detail17trampoline_kernelINS0_14default_configENS1_20scan_config_selectorIN3c107complexIdEEEEZZNS1_9scan_implILNS1_25lookback_scan_determinismE0ELb0ELb0ES3_PKS7_PS7_S7_ZZZN2at6native31launch_logcumsumexp_cuda_kernelERKNSE_10TensorBaseESI_lENKUlvE_clEvENKUlvE1_clEvEUlS7_S7_E_S7_EEDaPvRmT3_T4_T5_mT6_P12ihipStream_tbENKUlT_T0_E_clISt17integral_constantIbLb0EESZ_EEDaSU_SV_EUlSU_E_NS1_11comp_targetILNS1_3genE10ELNS1_11target_archE1200ELNS1_3gpuE4ELNS1_3repE0EEENS1_30default_config_static_selectorELNS0_4arch9wavefront6targetE0EEEvT1_.num_vgpr, 0
	.set _ZN7rocprim17ROCPRIM_400000_NS6detail17trampoline_kernelINS0_14default_configENS1_20scan_config_selectorIN3c107complexIdEEEEZZNS1_9scan_implILNS1_25lookback_scan_determinismE0ELb0ELb0ES3_PKS7_PS7_S7_ZZZN2at6native31launch_logcumsumexp_cuda_kernelERKNSE_10TensorBaseESI_lENKUlvE_clEvENKUlvE1_clEvEUlS7_S7_E_S7_EEDaPvRmT3_T4_T5_mT6_P12ihipStream_tbENKUlT_T0_E_clISt17integral_constantIbLb0EESZ_EEDaSU_SV_EUlSU_E_NS1_11comp_targetILNS1_3genE10ELNS1_11target_archE1200ELNS1_3gpuE4ELNS1_3repE0EEENS1_30default_config_static_selectorELNS0_4arch9wavefront6targetE0EEEvT1_.num_agpr, 0
	.set _ZN7rocprim17ROCPRIM_400000_NS6detail17trampoline_kernelINS0_14default_configENS1_20scan_config_selectorIN3c107complexIdEEEEZZNS1_9scan_implILNS1_25lookback_scan_determinismE0ELb0ELb0ES3_PKS7_PS7_S7_ZZZN2at6native31launch_logcumsumexp_cuda_kernelERKNSE_10TensorBaseESI_lENKUlvE_clEvENKUlvE1_clEvEUlS7_S7_E_S7_EEDaPvRmT3_T4_T5_mT6_P12ihipStream_tbENKUlT_T0_E_clISt17integral_constantIbLb0EESZ_EEDaSU_SV_EUlSU_E_NS1_11comp_targetILNS1_3genE10ELNS1_11target_archE1200ELNS1_3gpuE4ELNS1_3repE0EEENS1_30default_config_static_selectorELNS0_4arch9wavefront6targetE0EEEvT1_.numbered_sgpr, 0
	.set _ZN7rocprim17ROCPRIM_400000_NS6detail17trampoline_kernelINS0_14default_configENS1_20scan_config_selectorIN3c107complexIdEEEEZZNS1_9scan_implILNS1_25lookback_scan_determinismE0ELb0ELb0ES3_PKS7_PS7_S7_ZZZN2at6native31launch_logcumsumexp_cuda_kernelERKNSE_10TensorBaseESI_lENKUlvE_clEvENKUlvE1_clEvEUlS7_S7_E_S7_EEDaPvRmT3_T4_T5_mT6_P12ihipStream_tbENKUlT_T0_E_clISt17integral_constantIbLb0EESZ_EEDaSU_SV_EUlSU_E_NS1_11comp_targetILNS1_3genE10ELNS1_11target_archE1200ELNS1_3gpuE4ELNS1_3repE0EEENS1_30default_config_static_selectorELNS0_4arch9wavefront6targetE0EEEvT1_.num_named_barrier, 0
	.set _ZN7rocprim17ROCPRIM_400000_NS6detail17trampoline_kernelINS0_14default_configENS1_20scan_config_selectorIN3c107complexIdEEEEZZNS1_9scan_implILNS1_25lookback_scan_determinismE0ELb0ELb0ES3_PKS7_PS7_S7_ZZZN2at6native31launch_logcumsumexp_cuda_kernelERKNSE_10TensorBaseESI_lENKUlvE_clEvENKUlvE1_clEvEUlS7_S7_E_S7_EEDaPvRmT3_T4_T5_mT6_P12ihipStream_tbENKUlT_T0_E_clISt17integral_constantIbLb0EESZ_EEDaSU_SV_EUlSU_E_NS1_11comp_targetILNS1_3genE10ELNS1_11target_archE1200ELNS1_3gpuE4ELNS1_3repE0EEENS1_30default_config_static_selectorELNS0_4arch9wavefront6targetE0EEEvT1_.private_seg_size, 0
	.set _ZN7rocprim17ROCPRIM_400000_NS6detail17trampoline_kernelINS0_14default_configENS1_20scan_config_selectorIN3c107complexIdEEEEZZNS1_9scan_implILNS1_25lookback_scan_determinismE0ELb0ELb0ES3_PKS7_PS7_S7_ZZZN2at6native31launch_logcumsumexp_cuda_kernelERKNSE_10TensorBaseESI_lENKUlvE_clEvENKUlvE1_clEvEUlS7_S7_E_S7_EEDaPvRmT3_T4_T5_mT6_P12ihipStream_tbENKUlT_T0_E_clISt17integral_constantIbLb0EESZ_EEDaSU_SV_EUlSU_E_NS1_11comp_targetILNS1_3genE10ELNS1_11target_archE1200ELNS1_3gpuE4ELNS1_3repE0EEENS1_30default_config_static_selectorELNS0_4arch9wavefront6targetE0EEEvT1_.uses_vcc, 0
	.set _ZN7rocprim17ROCPRIM_400000_NS6detail17trampoline_kernelINS0_14default_configENS1_20scan_config_selectorIN3c107complexIdEEEEZZNS1_9scan_implILNS1_25lookback_scan_determinismE0ELb0ELb0ES3_PKS7_PS7_S7_ZZZN2at6native31launch_logcumsumexp_cuda_kernelERKNSE_10TensorBaseESI_lENKUlvE_clEvENKUlvE1_clEvEUlS7_S7_E_S7_EEDaPvRmT3_T4_T5_mT6_P12ihipStream_tbENKUlT_T0_E_clISt17integral_constantIbLb0EESZ_EEDaSU_SV_EUlSU_E_NS1_11comp_targetILNS1_3genE10ELNS1_11target_archE1200ELNS1_3gpuE4ELNS1_3repE0EEENS1_30default_config_static_selectorELNS0_4arch9wavefront6targetE0EEEvT1_.uses_flat_scratch, 0
	.set _ZN7rocprim17ROCPRIM_400000_NS6detail17trampoline_kernelINS0_14default_configENS1_20scan_config_selectorIN3c107complexIdEEEEZZNS1_9scan_implILNS1_25lookback_scan_determinismE0ELb0ELb0ES3_PKS7_PS7_S7_ZZZN2at6native31launch_logcumsumexp_cuda_kernelERKNSE_10TensorBaseESI_lENKUlvE_clEvENKUlvE1_clEvEUlS7_S7_E_S7_EEDaPvRmT3_T4_T5_mT6_P12ihipStream_tbENKUlT_T0_E_clISt17integral_constantIbLb0EESZ_EEDaSU_SV_EUlSU_E_NS1_11comp_targetILNS1_3genE10ELNS1_11target_archE1200ELNS1_3gpuE4ELNS1_3repE0EEENS1_30default_config_static_selectorELNS0_4arch9wavefront6targetE0EEEvT1_.has_dyn_sized_stack, 0
	.set _ZN7rocprim17ROCPRIM_400000_NS6detail17trampoline_kernelINS0_14default_configENS1_20scan_config_selectorIN3c107complexIdEEEEZZNS1_9scan_implILNS1_25lookback_scan_determinismE0ELb0ELb0ES3_PKS7_PS7_S7_ZZZN2at6native31launch_logcumsumexp_cuda_kernelERKNSE_10TensorBaseESI_lENKUlvE_clEvENKUlvE1_clEvEUlS7_S7_E_S7_EEDaPvRmT3_T4_T5_mT6_P12ihipStream_tbENKUlT_T0_E_clISt17integral_constantIbLb0EESZ_EEDaSU_SV_EUlSU_E_NS1_11comp_targetILNS1_3genE10ELNS1_11target_archE1200ELNS1_3gpuE4ELNS1_3repE0EEENS1_30default_config_static_selectorELNS0_4arch9wavefront6targetE0EEEvT1_.has_recursion, 0
	.set _ZN7rocprim17ROCPRIM_400000_NS6detail17trampoline_kernelINS0_14default_configENS1_20scan_config_selectorIN3c107complexIdEEEEZZNS1_9scan_implILNS1_25lookback_scan_determinismE0ELb0ELb0ES3_PKS7_PS7_S7_ZZZN2at6native31launch_logcumsumexp_cuda_kernelERKNSE_10TensorBaseESI_lENKUlvE_clEvENKUlvE1_clEvEUlS7_S7_E_S7_EEDaPvRmT3_T4_T5_mT6_P12ihipStream_tbENKUlT_T0_E_clISt17integral_constantIbLb0EESZ_EEDaSU_SV_EUlSU_E_NS1_11comp_targetILNS1_3genE10ELNS1_11target_archE1200ELNS1_3gpuE4ELNS1_3repE0EEENS1_30default_config_static_selectorELNS0_4arch9wavefront6targetE0EEEvT1_.has_indirect_call, 0
	.section	.AMDGPU.csdata,"",@progbits
; Kernel info:
; codeLenInByte = 0
; TotalNumSgprs: 0
; NumVgprs: 0
; ScratchSize: 0
; MemoryBound: 0
; FloatMode: 240
; IeeeMode: 1
; LDSByteSize: 0 bytes/workgroup (compile time only)
; SGPRBlocks: 0
; VGPRBlocks: 0
; NumSGPRsForWavesPerEU: 1
; NumVGPRsForWavesPerEU: 1
; Occupancy: 16
; WaveLimiterHint : 0
; COMPUTE_PGM_RSRC2:SCRATCH_EN: 0
; COMPUTE_PGM_RSRC2:USER_SGPR: 6
; COMPUTE_PGM_RSRC2:TRAP_HANDLER: 0
; COMPUTE_PGM_RSRC2:TGID_X_EN: 1
; COMPUTE_PGM_RSRC2:TGID_Y_EN: 0
; COMPUTE_PGM_RSRC2:TGID_Z_EN: 0
; COMPUTE_PGM_RSRC2:TIDIG_COMP_CNT: 0
	.section	.text._ZN7rocprim17ROCPRIM_400000_NS6detail17trampoline_kernelINS0_14default_configENS1_20scan_config_selectorIN3c107complexIdEEEEZZNS1_9scan_implILNS1_25lookback_scan_determinismE0ELb0ELb0ES3_PKS7_PS7_S7_ZZZN2at6native31launch_logcumsumexp_cuda_kernelERKNSE_10TensorBaseESI_lENKUlvE_clEvENKUlvE1_clEvEUlS7_S7_E_S7_EEDaPvRmT3_T4_T5_mT6_P12ihipStream_tbENKUlT_T0_E_clISt17integral_constantIbLb0EESZ_EEDaSU_SV_EUlSU_E_NS1_11comp_targetILNS1_3genE9ELNS1_11target_archE1100ELNS1_3gpuE3ELNS1_3repE0EEENS1_30default_config_static_selectorELNS0_4arch9wavefront6targetE0EEEvT1_,"axG",@progbits,_ZN7rocprim17ROCPRIM_400000_NS6detail17trampoline_kernelINS0_14default_configENS1_20scan_config_selectorIN3c107complexIdEEEEZZNS1_9scan_implILNS1_25lookback_scan_determinismE0ELb0ELb0ES3_PKS7_PS7_S7_ZZZN2at6native31launch_logcumsumexp_cuda_kernelERKNSE_10TensorBaseESI_lENKUlvE_clEvENKUlvE1_clEvEUlS7_S7_E_S7_EEDaPvRmT3_T4_T5_mT6_P12ihipStream_tbENKUlT_T0_E_clISt17integral_constantIbLb0EESZ_EEDaSU_SV_EUlSU_E_NS1_11comp_targetILNS1_3genE9ELNS1_11target_archE1100ELNS1_3gpuE3ELNS1_3repE0EEENS1_30default_config_static_selectorELNS0_4arch9wavefront6targetE0EEEvT1_,comdat
	.globl	_ZN7rocprim17ROCPRIM_400000_NS6detail17trampoline_kernelINS0_14default_configENS1_20scan_config_selectorIN3c107complexIdEEEEZZNS1_9scan_implILNS1_25lookback_scan_determinismE0ELb0ELb0ES3_PKS7_PS7_S7_ZZZN2at6native31launch_logcumsumexp_cuda_kernelERKNSE_10TensorBaseESI_lENKUlvE_clEvENKUlvE1_clEvEUlS7_S7_E_S7_EEDaPvRmT3_T4_T5_mT6_P12ihipStream_tbENKUlT_T0_E_clISt17integral_constantIbLb0EESZ_EEDaSU_SV_EUlSU_E_NS1_11comp_targetILNS1_3genE9ELNS1_11target_archE1100ELNS1_3gpuE3ELNS1_3repE0EEENS1_30default_config_static_selectorELNS0_4arch9wavefront6targetE0EEEvT1_ ; -- Begin function _ZN7rocprim17ROCPRIM_400000_NS6detail17trampoline_kernelINS0_14default_configENS1_20scan_config_selectorIN3c107complexIdEEEEZZNS1_9scan_implILNS1_25lookback_scan_determinismE0ELb0ELb0ES3_PKS7_PS7_S7_ZZZN2at6native31launch_logcumsumexp_cuda_kernelERKNSE_10TensorBaseESI_lENKUlvE_clEvENKUlvE1_clEvEUlS7_S7_E_S7_EEDaPvRmT3_T4_T5_mT6_P12ihipStream_tbENKUlT_T0_E_clISt17integral_constantIbLb0EESZ_EEDaSU_SV_EUlSU_E_NS1_11comp_targetILNS1_3genE9ELNS1_11target_archE1100ELNS1_3gpuE3ELNS1_3repE0EEENS1_30default_config_static_selectorELNS0_4arch9wavefront6targetE0EEEvT1_
	.p2align	8
	.type	_ZN7rocprim17ROCPRIM_400000_NS6detail17trampoline_kernelINS0_14default_configENS1_20scan_config_selectorIN3c107complexIdEEEEZZNS1_9scan_implILNS1_25lookback_scan_determinismE0ELb0ELb0ES3_PKS7_PS7_S7_ZZZN2at6native31launch_logcumsumexp_cuda_kernelERKNSE_10TensorBaseESI_lENKUlvE_clEvENKUlvE1_clEvEUlS7_S7_E_S7_EEDaPvRmT3_T4_T5_mT6_P12ihipStream_tbENKUlT_T0_E_clISt17integral_constantIbLb0EESZ_EEDaSU_SV_EUlSU_E_NS1_11comp_targetILNS1_3genE9ELNS1_11target_archE1100ELNS1_3gpuE3ELNS1_3repE0EEENS1_30default_config_static_selectorELNS0_4arch9wavefront6targetE0EEEvT1_,@function
_ZN7rocprim17ROCPRIM_400000_NS6detail17trampoline_kernelINS0_14default_configENS1_20scan_config_selectorIN3c107complexIdEEEEZZNS1_9scan_implILNS1_25lookback_scan_determinismE0ELb0ELb0ES3_PKS7_PS7_S7_ZZZN2at6native31launch_logcumsumexp_cuda_kernelERKNSE_10TensorBaseESI_lENKUlvE_clEvENKUlvE1_clEvEUlS7_S7_E_S7_EEDaPvRmT3_T4_T5_mT6_P12ihipStream_tbENKUlT_T0_E_clISt17integral_constantIbLb0EESZ_EEDaSU_SV_EUlSU_E_NS1_11comp_targetILNS1_3genE9ELNS1_11target_archE1100ELNS1_3gpuE3ELNS1_3repE0EEENS1_30default_config_static_selectorELNS0_4arch9wavefront6targetE0EEEvT1_: ; @_ZN7rocprim17ROCPRIM_400000_NS6detail17trampoline_kernelINS0_14default_configENS1_20scan_config_selectorIN3c107complexIdEEEEZZNS1_9scan_implILNS1_25lookback_scan_determinismE0ELb0ELb0ES3_PKS7_PS7_S7_ZZZN2at6native31launch_logcumsumexp_cuda_kernelERKNSE_10TensorBaseESI_lENKUlvE_clEvENKUlvE1_clEvEUlS7_S7_E_S7_EEDaPvRmT3_T4_T5_mT6_P12ihipStream_tbENKUlT_T0_E_clISt17integral_constantIbLb0EESZ_EEDaSU_SV_EUlSU_E_NS1_11comp_targetILNS1_3genE9ELNS1_11target_archE1100ELNS1_3gpuE3ELNS1_3repE0EEENS1_30default_config_static_selectorELNS0_4arch9wavefront6targetE0EEEvT1_
; %bb.0:
	.section	.rodata,"a",@progbits
	.p2align	6, 0x0
	.amdhsa_kernel _ZN7rocprim17ROCPRIM_400000_NS6detail17trampoline_kernelINS0_14default_configENS1_20scan_config_selectorIN3c107complexIdEEEEZZNS1_9scan_implILNS1_25lookback_scan_determinismE0ELb0ELb0ES3_PKS7_PS7_S7_ZZZN2at6native31launch_logcumsumexp_cuda_kernelERKNSE_10TensorBaseESI_lENKUlvE_clEvENKUlvE1_clEvEUlS7_S7_E_S7_EEDaPvRmT3_T4_T5_mT6_P12ihipStream_tbENKUlT_T0_E_clISt17integral_constantIbLb0EESZ_EEDaSU_SV_EUlSU_E_NS1_11comp_targetILNS1_3genE9ELNS1_11target_archE1100ELNS1_3gpuE3ELNS1_3repE0EEENS1_30default_config_static_selectorELNS0_4arch9wavefront6targetE0EEEvT1_
		.amdhsa_group_segment_fixed_size 0
		.amdhsa_private_segment_fixed_size 0
		.amdhsa_kernarg_size 128
		.amdhsa_user_sgpr_count 6
		.amdhsa_user_sgpr_private_segment_buffer 1
		.amdhsa_user_sgpr_dispatch_ptr 0
		.amdhsa_user_sgpr_queue_ptr 0
		.amdhsa_user_sgpr_kernarg_segment_ptr 1
		.amdhsa_user_sgpr_dispatch_id 0
		.amdhsa_user_sgpr_flat_scratch_init 0
		.amdhsa_user_sgpr_private_segment_size 0
		.amdhsa_wavefront_size32 1
		.amdhsa_uses_dynamic_stack 0
		.amdhsa_system_sgpr_private_segment_wavefront_offset 0
		.amdhsa_system_sgpr_workgroup_id_x 1
		.amdhsa_system_sgpr_workgroup_id_y 0
		.amdhsa_system_sgpr_workgroup_id_z 0
		.amdhsa_system_sgpr_workgroup_info 0
		.amdhsa_system_vgpr_workitem_id 0
		.amdhsa_next_free_vgpr 1
		.amdhsa_next_free_sgpr 1
		.amdhsa_reserve_vcc 0
		.amdhsa_reserve_flat_scratch 0
		.amdhsa_float_round_mode_32 0
		.amdhsa_float_round_mode_16_64 0
		.amdhsa_float_denorm_mode_32 3
		.amdhsa_float_denorm_mode_16_64 3
		.amdhsa_dx10_clamp 1
		.amdhsa_ieee_mode 1
		.amdhsa_fp16_overflow 0
		.amdhsa_workgroup_processor_mode 1
		.amdhsa_memory_ordered 1
		.amdhsa_forward_progress 1
		.amdhsa_shared_vgpr_count 0
		.amdhsa_exception_fp_ieee_invalid_op 0
		.amdhsa_exception_fp_denorm_src 0
		.amdhsa_exception_fp_ieee_div_zero 0
		.amdhsa_exception_fp_ieee_overflow 0
		.amdhsa_exception_fp_ieee_underflow 0
		.amdhsa_exception_fp_ieee_inexact 0
		.amdhsa_exception_int_div_zero 0
	.end_amdhsa_kernel
	.section	.text._ZN7rocprim17ROCPRIM_400000_NS6detail17trampoline_kernelINS0_14default_configENS1_20scan_config_selectorIN3c107complexIdEEEEZZNS1_9scan_implILNS1_25lookback_scan_determinismE0ELb0ELb0ES3_PKS7_PS7_S7_ZZZN2at6native31launch_logcumsumexp_cuda_kernelERKNSE_10TensorBaseESI_lENKUlvE_clEvENKUlvE1_clEvEUlS7_S7_E_S7_EEDaPvRmT3_T4_T5_mT6_P12ihipStream_tbENKUlT_T0_E_clISt17integral_constantIbLb0EESZ_EEDaSU_SV_EUlSU_E_NS1_11comp_targetILNS1_3genE9ELNS1_11target_archE1100ELNS1_3gpuE3ELNS1_3repE0EEENS1_30default_config_static_selectorELNS0_4arch9wavefront6targetE0EEEvT1_,"axG",@progbits,_ZN7rocprim17ROCPRIM_400000_NS6detail17trampoline_kernelINS0_14default_configENS1_20scan_config_selectorIN3c107complexIdEEEEZZNS1_9scan_implILNS1_25lookback_scan_determinismE0ELb0ELb0ES3_PKS7_PS7_S7_ZZZN2at6native31launch_logcumsumexp_cuda_kernelERKNSE_10TensorBaseESI_lENKUlvE_clEvENKUlvE1_clEvEUlS7_S7_E_S7_EEDaPvRmT3_T4_T5_mT6_P12ihipStream_tbENKUlT_T0_E_clISt17integral_constantIbLb0EESZ_EEDaSU_SV_EUlSU_E_NS1_11comp_targetILNS1_3genE9ELNS1_11target_archE1100ELNS1_3gpuE3ELNS1_3repE0EEENS1_30default_config_static_selectorELNS0_4arch9wavefront6targetE0EEEvT1_,comdat
.Lfunc_end182:
	.size	_ZN7rocprim17ROCPRIM_400000_NS6detail17trampoline_kernelINS0_14default_configENS1_20scan_config_selectorIN3c107complexIdEEEEZZNS1_9scan_implILNS1_25lookback_scan_determinismE0ELb0ELb0ES3_PKS7_PS7_S7_ZZZN2at6native31launch_logcumsumexp_cuda_kernelERKNSE_10TensorBaseESI_lENKUlvE_clEvENKUlvE1_clEvEUlS7_S7_E_S7_EEDaPvRmT3_T4_T5_mT6_P12ihipStream_tbENKUlT_T0_E_clISt17integral_constantIbLb0EESZ_EEDaSU_SV_EUlSU_E_NS1_11comp_targetILNS1_3genE9ELNS1_11target_archE1100ELNS1_3gpuE3ELNS1_3repE0EEENS1_30default_config_static_selectorELNS0_4arch9wavefront6targetE0EEEvT1_, .Lfunc_end182-_ZN7rocprim17ROCPRIM_400000_NS6detail17trampoline_kernelINS0_14default_configENS1_20scan_config_selectorIN3c107complexIdEEEEZZNS1_9scan_implILNS1_25lookback_scan_determinismE0ELb0ELb0ES3_PKS7_PS7_S7_ZZZN2at6native31launch_logcumsumexp_cuda_kernelERKNSE_10TensorBaseESI_lENKUlvE_clEvENKUlvE1_clEvEUlS7_S7_E_S7_EEDaPvRmT3_T4_T5_mT6_P12ihipStream_tbENKUlT_T0_E_clISt17integral_constantIbLb0EESZ_EEDaSU_SV_EUlSU_E_NS1_11comp_targetILNS1_3genE9ELNS1_11target_archE1100ELNS1_3gpuE3ELNS1_3repE0EEENS1_30default_config_static_selectorELNS0_4arch9wavefront6targetE0EEEvT1_
                                        ; -- End function
	.set _ZN7rocprim17ROCPRIM_400000_NS6detail17trampoline_kernelINS0_14default_configENS1_20scan_config_selectorIN3c107complexIdEEEEZZNS1_9scan_implILNS1_25lookback_scan_determinismE0ELb0ELb0ES3_PKS7_PS7_S7_ZZZN2at6native31launch_logcumsumexp_cuda_kernelERKNSE_10TensorBaseESI_lENKUlvE_clEvENKUlvE1_clEvEUlS7_S7_E_S7_EEDaPvRmT3_T4_T5_mT6_P12ihipStream_tbENKUlT_T0_E_clISt17integral_constantIbLb0EESZ_EEDaSU_SV_EUlSU_E_NS1_11comp_targetILNS1_3genE9ELNS1_11target_archE1100ELNS1_3gpuE3ELNS1_3repE0EEENS1_30default_config_static_selectorELNS0_4arch9wavefront6targetE0EEEvT1_.num_vgpr, 0
	.set _ZN7rocprim17ROCPRIM_400000_NS6detail17trampoline_kernelINS0_14default_configENS1_20scan_config_selectorIN3c107complexIdEEEEZZNS1_9scan_implILNS1_25lookback_scan_determinismE0ELb0ELb0ES3_PKS7_PS7_S7_ZZZN2at6native31launch_logcumsumexp_cuda_kernelERKNSE_10TensorBaseESI_lENKUlvE_clEvENKUlvE1_clEvEUlS7_S7_E_S7_EEDaPvRmT3_T4_T5_mT6_P12ihipStream_tbENKUlT_T0_E_clISt17integral_constantIbLb0EESZ_EEDaSU_SV_EUlSU_E_NS1_11comp_targetILNS1_3genE9ELNS1_11target_archE1100ELNS1_3gpuE3ELNS1_3repE0EEENS1_30default_config_static_selectorELNS0_4arch9wavefront6targetE0EEEvT1_.num_agpr, 0
	.set _ZN7rocprim17ROCPRIM_400000_NS6detail17trampoline_kernelINS0_14default_configENS1_20scan_config_selectorIN3c107complexIdEEEEZZNS1_9scan_implILNS1_25lookback_scan_determinismE0ELb0ELb0ES3_PKS7_PS7_S7_ZZZN2at6native31launch_logcumsumexp_cuda_kernelERKNSE_10TensorBaseESI_lENKUlvE_clEvENKUlvE1_clEvEUlS7_S7_E_S7_EEDaPvRmT3_T4_T5_mT6_P12ihipStream_tbENKUlT_T0_E_clISt17integral_constantIbLb0EESZ_EEDaSU_SV_EUlSU_E_NS1_11comp_targetILNS1_3genE9ELNS1_11target_archE1100ELNS1_3gpuE3ELNS1_3repE0EEENS1_30default_config_static_selectorELNS0_4arch9wavefront6targetE0EEEvT1_.numbered_sgpr, 0
	.set _ZN7rocprim17ROCPRIM_400000_NS6detail17trampoline_kernelINS0_14default_configENS1_20scan_config_selectorIN3c107complexIdEEEEZZNS1_9scan_implILNS1_25lookback_scan_determinismE0ELb0ELb0ES3_PKS7_PS7_S7_ZZZN2at6native31launch_logcumsumexp_cuda_kernelERKNSE_10TensorBaseESI_lENKUlvE_clEvENKUlvE1_clEvEUlS7_S7_E_S7_EEDaPvRmT3_T4_T5_mT6_P12ihipStream_tbENKUlT_T0_E_clISt17integral_constantIbLb0EESZ_EEDaSU_SV_EUlSU_E_NS1_11comp_targetILNS1_3genE9ELNS1_11target_archE1100ELNS1_3gpuE3ELNS1_3repE0EEENS1_30default_config_static_selectorELNS0_4arch9wavefront6targetE0EEEvT1_.num_named_barrier, 0
	.set _ZN7rocprim17ROCPRIM_400000_NS6detail17trampoline_kernelINS0_14default_configENS1_20scan_config_selectorIN3c107complexIdEEEEZZNS1_9scan_implILNS1_25lookback_scan_determinismE0ELb0ELb0ES3_PKS7_PS7_S7_ZZZN2at6native31launch_logcumsumexp_cuda_kernelERKNSE_10TensorBaseESI_lENKUlvE_clEvENKUlvE1_clEvEUlS7_S7_E_S7_EEDaPvRmT3_T4_T5_mT6_P12ihipStream_tbENKUlT_T0_E_clISt17integral_constantIbLb0EESZ_EEDaSU_SV_EUlSU_E_NS1_11comp_targetILNS1_3genE9ELNS1_11target_archE1100ELNS1_3gpuE3ELNS1_3repE0EEENS1_30default_config_static_selectorELNS0_4arch9wavefront6targetE0EEEvT1_.private_seg_size, 0
	.set _ZN7rocprim17ROCPRIM_400000_NS6detail17trampoline_kernelINS0_14default_configENS1_20scan_config_selectorIN3c107complexIdEEEEZZNS1_9scan_implILNS1_25lookback_scan_determinismE0ELb0ELb0ES3_PKS7_PS7_S7_ZZZN2at6native31launch_logcumsumexp_cuda_kernelERKNSE_10TensorBaseESI_lENKUlvE_clEvENKUlvE1_clEvEUlS7_S7_E_S7_EEDaPvRmT3_T4_T5_mT6_P12ihipStream_tbENKUlT_T0_E_clISt17integral_constantIbLb0EESZ_EEDaSU_SV_EUlSU_E_NS1_11comp_targetILNS1_3genE9ELNS1_11target_archE1100ELNS1_3gpuE3ELNS1_3repE0EEENS1_30default_config_static_selectorELNS0_4arch9wavefront6targetE0EEEvT1_.uses_vcc, 0
	.set _ZN7rocprim17ROCPRIM_400000_NS6detail17trampoline_kernelINS0_14default_configENS1_20scan_config_selectorIN3c107complexIdEEEEZZNS1_9scan_implILNS1_25lookback_scan_determinismE0ELb0ELb0ES3_PKS7_PS7_S7_ZZZN2at6native31launch_logcumsumexp_cuda_kernelERKNSE_10TensorBaseESI_lENKUlvE_clEvENKUlvE1_clEvEUlS7_S7_E_S7_EEDaPvRmT3_T4_T5_mT6_P12ihipStream_tbENKUlT_T0_E_clISt17integral_constantIbLb0EESZ_EEDaSU_SV_EUlSU_E_NS1_11comp_targetILNS1_3genE9ELNS1_11target_archE1100ELNS1_3gpuE3ELNS1_3repE0EEENS1_30default_config_static_selectorELNS0_4arch9wavefront6targetE0EEEvT1_.uses_flat_scratch, 0
	.set _ZN7rocprim17ROCPRIM_400000_NS6detail17trampoline_kernelINS0_14default_configENS1_20scan_config_selectorIN3c107complexIdEEEEZZNS1_9scan_implILNS1_25lookback_scan_determinismE0ELb0ELb0ES3_PKS7_PS7_S7_ZZZN2at6native31launch_logcumsumexp_cuda_kernelERKNSE_10TensorBaseESI_lENKUlvE_clEvENKUlvE1_clEvEUlS7_S7_E_S7_EEDaPvRmT3_T4_T5_mT6_P12ihipStream_tbENKUlT_T0_E_clISt17integral_constantIbLb0EESZ_EEDaSU_SV_EUlSU_E_NS1_11comp_targetILNS1_3genE9ELNS1_11target_archE1100ELNS1_3gpuE3ELNS1_3repE0EEENS1_30default_config_static_selectorELNS0_4arch9wavefront6targetE0EEEvT1_.has_dyn_sized_stack, 0
	.set _ZN7rocprim17ROCPRIM_400000_NS6detail17trampoline_kernelINS0_14default_configENS1_20scan_config_selectorIN3c107complexIdEEEEZZNS1_9scan_implILNS1_25lookback_scan_determinismE0ELb0ELb0ES3_PKS7_PS7_S7_ZZZN2at6native31launch_logcumsumexp_cuda_kernelERKNSE_10TensorBaseESI_lENKUlvE_clEvENKUlvE1_clEvEUlS7_S7_E_S7_EEDaPvRmT3_T4_T5_mT6_P12ihipStream_tbENKUlT_T0_E_clISt17integral_constantIbLb0EESZ_EEDaSU_SV_EUlSU_E_NS1_11comp_targetILNS1_3genE9ELNS1_11target_archE1100ELNS1_3gpuE3ELNS1_3repE0EEENS1_30default_config_static_selectorELNS0_4arch9wavefront6targetE0EEEvT1_.has_recursion, 0
	.set _ZN7rocprim17ROCPRIM_400000_NS6detail17trampoline_kernelINS0_14default_configENS1_20scan_config_selectorIN3c107complexIdEEEEZZNS1_9scan_implILNS1_25lookback_scan_determinismE0ELb0ELb0ES3_PKS7_PS7_S7_ZZZN2at6native31launch_logcumsumexp_cuda_kernelERKNSE_10TensorBaseESI_lENKUlvE_clEvENKUlvE1_clEvEUlS7_S7_E_S7_EEDaPvRmT3_T4_T5_mT6_P12ihipStream_tbENKUlT_T0_E_clISt17integral_constantIbLb0EESZ_EEDaSU_SV_EUlSU_E_NS1_11comp_targetILNS1_3genE9ELNS1_11target_archE1100ELNS1_3gpuE3ELNS1_3repE0EEENS1_30default_config_static_selectorELNS0_4arch9wavefront6targetE0EEEvT1_.has_indirect_call, 0
	.section	.AMDGPU.csdata,"",@progbits
; Kernel info:
; codeLenInByte = 0
; TotalNumSgprs: 0
; NumVgprs: 0
; ScratchSize: 0
; MemoryBound: 0
; FloatMode: 240
; IeeeMode: 1
; LDSByteSize: 0 bytes/workgroup (compile time only)
; SGPRBlocks: 0
; VGPRBlocks: 0
; NumSGPRsForWavesPerEU: 1
; NumVGPRsForWavesPerEU: 1
; Occupancy: 16
; WaveLimiterHint : 0
; COMPUTE_PGM_RSRC2:SCRATCH_EN: 0
; COMPUTE_PGM_RSRC2:USER_SGPR: 6
; COMPUTE_PGM_RSRC2:TRAP_HANDLER: 0
; COMPUTE_PGM_RSRC2:TGID_X_EN: 1
; COMPUTE_PGM_RSRC2:TGID_Y_EN: 0
; COMPUTE_PGM_RSRC2:TGID_Z_EN: 0
; COMPUTE_PGM_RSRC2:TIDIG_COMP_CNT: 0
	.text
	.p2align	2                               ; -- Begin function _ZZZZN2at6native31launch_logcumsumexp_cuda_kernelERKNS_10TensorBaseES3_lENKUlvE_clEvENKUlvE1_clEvENKUlN3c107complexIdEES8_E_clES8_S8_
	.type	_ZZZZN2at6native31launch_logcumsumexp_cuda_kernelERKNS_10TensorBaseES3_lENKUlvE_clEvENKUlvE1_clEvENKUlN3c107complexIdEES8_E_clES8_S8_,@function
_ZZZZN2at6native31launch_logcumsumexp_cuda_kernelERKNS_10TensorBaseES3_lENKUlvE_clEvENKUlvE1_clEvENKUlN3c107complexIdEES8_E_clES8_S8_: ; @_ZZZZN2at6native31launch_logcumsumexp_cuda_kernelERKNS_10TensorBaseES3_lENKUlvE_clEvENKUlvE1_clEvENKUlN3c107complexIdEES8_E_clES8_S8_
; %bb.0:
	s_waitcnt vmcnt(0) expcnt(0) lgkmcnt(0)
	v_cmp_o_f64_e32 vcc_lo, v[4:5], v[6:7]
	v_mov_b32_e32 v9, v7
	v_mov_b32_e32 v11, v5
	;; [unrolled: 1-line block ×4, first 2 shown]
	s_and_saveexec_b32 s6, vcc_lo
	s_cbranch_execz .LBB183_2
; %bb.1:
	v_cmp_u_f64_e64 s4, v[0:1], v[2:3]
	v_cmp_lt_f64_e64 s5, v[0:1], v[4:5]
	s_or_b32 s4, s5, s4
	v_cndmask_b32_e64 v11, v5, v1, s4
	v_cndmask_b32_e64 v10, v4, v0, s4
	;; [unrolled: 1-line block ×4, first 2 shown]
.LBB183_2:
	s_or_b32 exec_lo, exec_lo, s6
	s_and_saveexec_b32 s5, vcc_lo
	s_cbranch_execz .LBB183_4
; %bb.3:
	v_cmp_u_f64_e32 vcc_lo, v[0:1], v[2:3]
	v_cmp_ge_f64_e64 s4, v[0:1], v[4:5]
	s_or_b32 vcc_lo, s4, vcc_lo
	v_cndmask_b32_e32 v5, v5, v1, vcc_lo
	v_cndmask_b32_e32 v4, v4, v0, vcc_lo
	;; [unrolled: 1-line block ×4, first 2 shown]
.LBB183_4:
	s_or_b32 exec_lo, exec_lo, s5
	v_mov_b32_e32 v0, 0
	v_mov_b32_e32 v2, 0
	v_mov_b32_e32 v1, 0x7ff80000
	v_mov_b32_e32 v3, 0x7ff80000
	s_mov_b32 s24, exec_lo
	v_cmpx_o_f64_e32 v[10:11], v[8:9]
	s_cbranch_execz .LBB183_48
; %bb.5:
	v_cmp_class_f64_e64 s4, v[10:11], 0x1f8
	v_cmp_neq_f64_e32 vcc_lo, v[10:11], v[4:5]
	s_or_b32 s4, s4, vcc_lo
	s_and_saveexec_b32 s5, s4
	s_xor_b32 s14, exec_lo, s5
	s_cbranch_execz .LBB183_21
; %bb.6:
	v_add_f64 v[0:1], v[8:9], -v[6:7]
                                        ; implicit-def: $vgpr24
                                        ; implicit-def: $vgpr2_vgpr3
                                        ; implicit-def: $vgpr8_vgpr9
	v_cmp_ngt_f64_e64 s4, 0x41d00000, |v[0:1]|
	v_trig_preop_f64 v[20:21], |v[0:1]|, 0
	v_trig_preop_f64 v[18:19], |v[0:1]|, 1
	v_ldexp_f64 v[22:23], |v[0:1]|, 0xffffff80
	v_trig_preop_f64 v[16:17], |v[0:1]|, 2
	v_and_b32_e32 v26, 0x7fffffff, v1
	s_and_saveexec_b32 s5, s4
	s_xor_b32 s5, exec_lo, s5
	s_cbranch_execz .LBB183_8
; %bb.7:
	v_cmp_le_f64_e64 vcc_lo, 0x7b000000, |v[0:1]|
	v_mov_b32_e32 v37, 0
	s_mov_b32 s6, 0x54442d18
	s_mov_b32 s7, 0x3ff921fb
	s_mov_b32 s8, 0x33145c07
	s_mov_b32 s9, 0x3c91a626
	v_cndmask_b32_e32 v3, v26, v23, vcc_lo
	v_cndmask_b32_e32 v2, v0, v22, vcc_lo
	v_mul_f64 v[8:9], v[20:21], v[2:3]
	v_mul_f64 v[12:13], v[18:19], v[2:3]
	;; [unrolled: 1-line block ×3, first 2 shown]
	v_fma_f64 v[14:15], v[20:21], v[2:3], -v[8:9]
	v_fma_f64 v[35:36], v[18:19], v[2:3], -v[12:13]
	;; [unrolled: 1-line block ×3, first 2 shown]
	v_add_f64 v[24:25], v[12:13], v[14:15]
	v_add_f64 v[27:28], v[24:25], -v[12:13]
	v_add_f64 v[31:32], v[8:9], v[24:25]
	v_add_f64 v[29:30], v[24:25], -v[27:28]
	v_add_f64 v[14:15], v[14:15], -v[27:28]
	v_ldexp_f64 v[27:28], v[31:32], -2
	v_add_f64 v[8:9], v[31:32], -v[8:9]
	v_add_f64 v[12:13], v[12:13], -v[29:30]
	v_add_f64 v[29:30], v[33:34], v[35:36]
	v_cmp_neq_f64_e64 vcc_lo, 0x7ff00000, |v[27:28]|
	v_add_f64 v[8:9], v[24:25], -v[8:9]
	v_add_f64 v[12:13], v[14:15], v[12:13]
	v_fract_f64_e32 v[14:15], v[27:28]
	v_add_f64 v[24:25], v[29:30], v[12:13]
	v_ldexp_f64 v[14:15], v[14:15], 2
	v_add_f64 v[27:28], v[8:9], v[24:25]
	v_cndmask_b32_e32 v15, 0, v15, vcc_lo
	v_cndmask_b32_e32 v14, 0, v14, vcc_lo
	v_add_f64 v[31:32], v[27:28], v[14:15]
	v_add_f64 v[8:9], v[27:28], -v[8:9]
	v_cmp_gt_f64_e32 vcc_lo, 0, v[31:32]
	v_add_f64 v[31:32], v[29:30], -v[33:34]
	v_add_f64 v[8:9], v[24:25], -v[8:9]
	v_cndmask_b32_e64 v38, 0, 0x40100000, vcc_lo
	v_add_f64 v[50:51], v[29:30], -v[31:32]
	v_add_f64 v[31:32], v[35:36], -v[31:32]
	v_add_f64 v[14:15], v[14:15], v[37:38]
	v_add_f64 v[38:39], v[24:25], -v[29:30]
	v_add_f64 v[35:36], v[33:34], -v[50:51]
	v_add_f64 v[48:49], v[27:28], v[14:15]
	;; [unrolled: 3-line block ×3, first 2 shown]
	v_cvt_i32_f64_e32 v48, v[48:49]
	v_add_f64 v[29:30], v[29:30], -v[52:53]
	v_cvt_f64_i32_e32 v[38:39], v48
	v_add_f64 v[12:13], v[12:13], v[29:30]
	v_add_f64 v[14:15], v[14:15], -v[38:39]
	v_add_f64 v[12:13], v[31:32], v[12:13]
	v_add_f64 v[29:30], v[27:28], v[14:15]
	;; [unrolled: 1-line block ×3, first 2 shown]
	v_add_f64 v[12:13], v[29:30], -v[14:15]
	v_cmp_le_f64_e32 vcc_lo, 0.5, v[29:30]
	v_add_f64 v[2:3], v[8:9], v[2:3]
	v_add_f64 v[8:9], v[27:28], -v[12:13]
	v_cndmask_b32_e64 v38, 0, 0x3ff00000, vcc_lo
	v_add_co_ci_u32_e64 v24, null, 0, v48, vcc_lo
	v_add_f64 v[2:3], v[2:3], v[8:9]
	v_add_f64 v[8:9], v[29:30], -v[37:38]
	v_add_f64 v[12:13], v[8:9], v[2:3]
	v_mul_f64 v[14:15], v[12:13], s[6:7]
	v_add_f64 v[8:9], v[12:13], -v[8:9]
	v_fma_f64 v[27:28], v[12:13], s[6:7], -v[14:15]
	v_add_f64 v[2:3], v[2:3], -v[8:9]
	v_fma_f64 v[8:9], v[12:13], s[8:9], v[27:28]
	v_fma_f64 v[8:9], v[2:3], s[6:7], v[8:9]
	v_add_f64 v[2:3], v[14:15], v[8:9]
	v_add_f64 v[12:13], v[2:3], -v[14:15]
	v_add_f64 v[8:9], v[8:9], -v[12:13]
	s_andn2_saveexec_b32 s5, s5
	s_cbranch_execz .LBB183_10
	s_branch .LBB183_9
.LBB183_8:
	s_andn2_saveexec_b32 s5, s5
	s_cbranch_execz .LBB183_10
.LBB183_9:
	s_mov_b32 s6, 0x6dc9c883
	s_mov_b32 s7, 0x3fe45f30
	;; [unrolled: 1-line block ×3, first 2 shown]
	v_mul_f64 v[2:3], |v[0:1]|, s[6:7]
	s_mov_b32 s6, 0x54442d18
	s_mov_b32 s7, 0xbff921fb
	;; [unrolled: 1-line block ×3, first 2 shown]
	v_rndne_f64_e32 v[12:13], v[2:3]
	v_fma_f64 v[2:3], v[12:13], s[6:7], |v[0:1]|
	v_mul_f64 v[8:9], v[12:13], s[8:9]
	s_mov_b32 s6, 0x252049c0
	s_mov_b32 s7, 0xb97b839a
	v_fma_f64 v[24:25], v[12:13], s[8:9], v[2:3]
	v_add_f64 v[14:15], v[2:3], v[8:9]
	s_mov_b32 s9, 0x3c91a626
	v_add_f64 v[2:3], v[2:3], -v[14:15]
	v_add_f64 v[14:15], v[14:15], -v[24:25]
	v_add_f64 v[2:3], v[2:3], v[8:9]
	v_fma_f64 v[8:9], v[12:13], s[8:9], v[8:9]
	v_add_f64 v[2:3], v[14:15], v[2:3]
	v_add_f64 v[2:3], v[2:3], -v[8:9]
	v_fma_f64 v[8:9], v[12:13], s[6:7], v[2:3]
	v_add_f64 v[2:3], v[24:25], v[8:9]
	v_add_f64 v[14:15], v[2:3], -v[24:25]
	v_cvt_i32_f64_e32 v24, v[12:13]
	v_add_f64 v[8:9], v[8:9], -v[14:15]
.LBB183_10:
	s_or_b32 exec_lo, exec_lo, s5
                                        ; implicit-def: $vgpr25
                                        ; implicit-def: $vgpr12_vgpr13
                                        ; implicit-def: $vgpr14_vgpr15
	s_and_saveexec_b32 s5, s4
	s_xor_b32 s4, exec_lo, s5
	s_cbranch_execz .LBB183_12
; %bb.11:
	v_cmp_le_f64_e64 vcc_lo, 0x7b000000, |v[0:1]|
	v_mov_b32_e32 v35, 0
	s_mov_b32 s6, 0x54442d18
	s_mov_b32 s7, 0x3ff921fb
	;; [unrolled: 1-line block ×4, first 2 shown]
	v_cndmask_b32_e32 v13, v26, v23, vcc_lo
	v_cndmask_b32_e32 v12, v0, v22, vcc_lo
	v_mul_f64 v[14:15], v[20:21], v[12:13]
	v_mul_f64 v[22:23], v[18:19], v[12:13]
	;; [unrolled: 1-line block ×3, first 2 shown]
	v_fma_f64 v[20:21], v[20:21], v[12:13], -v[14:15]
	v_fma_f64 v[18:19], v[18:19], v[12:13], -v[22:23]
	;; [unrolled: 1-line block ×3, first 2 shown]
	v_add_f64 v[25:26], v[22:23], v[20:21]
	v_add_f64 v[27:28], v[25:26], -v[22:23]
	v_add_f64 v[31:32], v[14:15], v[25:26]
	v_add_f64 v[29:30], v[25:26], -v[27:28]
	v_add_f64 v[20:21], v[20:21], -v[27:28]
	v_ldexp_f64 v[27:28], v[31:32], -2
	v_add_f64 v[14:15], v[31:32], -v[14:15]
	v_add_f64 v[22:23], v[22:23], -v[29:30]
	v_add_f64 v[29:30], v[33:34], v[18:19]
	v_cmp_neq_f64_e64 vcc_lo, 0x7ff00000, |v[27:28]|
	v_add_f64 v[14:15], v[25:26], -v[14:15]
	v_add_f64 v[20:21], v[20:21], v[22:23]
	v_fract_f64_e32 v[22:23], v[27:28]
	v_add_f64 v[25:26], v[29:30], v[20:21]
	v_ldexp_f64 v[22:23], v[22:23], 2
	v_add_f64 v[27:28], v[14:15], v[25:26]
	v_cndmask_b32_e32 v23, 0, v23, vcc_lo
	v_cndmask_b32_e32 v22, 0, v22, vcc_lo
	v_add_f64 v[31:32], v[27:28], v[22:23]
	v_add_f64 v[14:15], v[27:28], -v[14:15]
	v_cmp_gt_f64_e32 vcc_lo, 0, v[31:32]
	v_add_f64 v[31:32], v[29:30], -v[33:34]
	v_add_f64 v[14:15], v[25:26], -v[14:15]
	v_cndmask_b32_e64 v36, 0, 0x40100000, vcc_lo
	v_add_f64 v[48:49], v[29:30], -v[31:32]
	v_add_f64 v[18:19], v[18:19], -v[31:32]
	v_add_f64 v[22:23], v[22:23], v[35:36]
	v_add_f64 v[36:37], v[25:26], -v[29:30]
	v_add_f64 v[31:32], v[33:34], -v[48:49]
	v_add_f64 v[38:39], v[27:28], v[22:23]
	;; [unrolled: 3-line block ×3, first 2 shown]
	v_cvt_i32_f64_e32 v38, v[38:39]
	v_add_f64 v[29:30], v[29:30], -v[50:51]
	v_cvt_f64_i32_e32 v[36:37], v38
	v_add_f64 v[20:21], v[20:21], v[29:30]
	v_add_f64 v[22:23], v[22:23], -v[36:37]
	v_add_f64 v[16:17], v[18:19], v[20:21]
	v_add_f64 v[18:19], v[27:28], v[22:23]
	;; [unrolled: 1-line block ×3, first 2 shown]
	v_add_f64 v[16:17], v[18:19], -v[22:23]
	v_cmp_le_f64_e32 vcc_lo, 0.5, v[18:19]
	v_add_f64 v[12:13], v[14:15], v[12:13]
	v_add_f64 v[14:15], v[27:28], -v[16:17]
	v_cndmask_b32_e64 v36, 0, 0x3ff00000, vcc_lo
	v_add_co_ci_u32_e64 v25, null, 0, v38, vcc_lo
	v_add_f64 v[12:13], v[12:13], v[14:15]
	v_add_f64 v[14:15], v[18:19], -v[35:36]
	v_add_f64 v[16:17], v[14:15], v[12:13]
	v_mul_f64 v[18:19], v[16:17], s[6:7]
	v_add_f64 v[14:15], v[16:17], -v[14:15]
	v_fma_f64 v[20:21], v[16:17], s[6:7], -v[18:19]
	v_add_f64 v[12:13], v[12:13], -v[14:15]
	v_fma_f64 v[14:15], v[16:17], s[8:9], v[20:21]
	v_fma_f64 v[14:15], v[12:13], s[6:7], v[14:15]
	v_add_f64 v[12:13], v[18:19], v[14:15]
	v_add_f64 v[16:17], v[12:13], -v[18:19]
	v_add_f64 v[14:15], v[14:15], -v[16:17]
	s_andn2_saveexec_b32 s4, s4
	s_cbranch_execnz .LBB183_13
	s_branch .LBB183_14
.LBB183_12:
	s_andn2_saveexec_b32 s4, s4
	s_cbranch_execz .LBB183_14
.LBB183_13:
	s_mov_b32 s6, 0x6dc9c883
	s_mov_b32 s7, 0x3fe45f30
	;; [unrolled: 1-line block ×3, first 2 shown]
	v_mul_f64 v[12:13], |v[0:1]|, s[6:7]
	s_mov_b32 s6, 0x54442d18
	s_mov_b32 s7, 0xbff921fb
	;; [unrolled: 1-line block ×3, first 2 shown]
	v_rndne_f64_e32 v[16:17], v[12:13]
	v_fma_f64 v[12:13], v[16:17], s[6:7], |v[0:1]|
	v_mul_f64 v[14:15], v[16:17], s[8:9]
	s_mov_b32 s6, 0x252049c0
	s_mov_b32 s7, 0xb97b839a
	v_cvt_i32_f64_e32 v25, v[16:17]
	v_fma_f64 v[20:21], v[16:17], s[8:9], v[12:13]
	v_add_f64 v[18:19], v[12:13], v[14:15]
	s_mov_b32 s9, 0x3c91a626
	v_add_f64 v[12:13], v[12:13], -v[18:19]
	v_add_f64 v[18:19], v[18:19], -v[20:21]
	v_add_f64 v[12:13], v[12:13], v[14:15]
	v_fma_f64 v[14:15], v[16:17], s[8:9], v[14:15]
	v_add_f64 v[12:13], v[18:19], v[12:13]
	v_add_f64 v[12:13], v[12:13], -v[14:15]
	v_fma_f64 v[14:15], v[16:17], s[6:7], v[12:13]
	v_add_f64 v[12:13], v[20:21], v[14:15]
	v_add_f64 v[18:19], v[12:13], -v[20:21]
	v_add_f64 v[14:15], v[14:15], -v[18:19]
.LBB183_14:
	s_or_b32 exec_lo, exec_lo, s4
	v_add_f64 v[10:11], v[10:11], -v[4:5]
	s_mov_b32 s4, 0x652b82fe
	s_mov_b32 s5, 0x3ff71547
	;; [unrolled: 1-line block ×8, first 2 shown]
	v_mul_f64 v[22:23], v[2:3], v[2:3]
	v_mul_f64 v[26:27], v[12:13], v[12:13]
	s_mov_b32 s12, 0x1852b7b0
	s_mov_b32 s13, 0x3f56c16c
	;; [unrolled: 1-line block ×8, first 2 shown]
	v_mul_f64 v[52:53], v[8:9], 0.5
	v_mul_f64 v[66:67], v[14:15], 0.5
	v_mul_f64 v[16:17], v[10:11], s[4:5]
	s_mov_b32 s4, 0xfca7ab0c
	s_mov_b32 s5, 0x3e928af3
	v_mul_f64 v[32:33], v[22:23], 0.5
	v_fma_f64 v[34:35], v[22:23], s[20:21], s[18:19]
	v_mul_f64 v[36:37], v[26:27], 0.5
	v_fma_f64 v[38:39], v[26:27], s[20:21], s[18:19]
	v_mul_f64 v[54:55], v[2:3], -v[22:23]
	s_mov_b32 s18, 0x55555511
	s_mov_b32 s20, 0x19f4ec90
	;; [unrolled: 1-line block ×4, first 2 shown]
	v_mul_f64 v[68:69], v[12:13], -v[26:27]
	v_rndne_f64_e32 v[16:17], v[16:17]
	v_add_f64 v[48:49], -v[32:33], 1.0
	v_add_f64 v[50:51], -v[36:37], 1.0
	v_fma_f64 v[18:19], v[16:17], s[10:11], v[10:11]
	v_add_f64 v[64:65], -v[48:49], 1.0
	v_add_f64 v[70:71], -v[50:51], 1.0
	v_fma_f64 v[18:19], v[16:17], s[8:9], v[18:19]
	v_add_f64 v[32:33], v[64:65], -v[32:33]
	v_add_f64 v[36:37], v[70:71], -v[36:37]
	v_fma_f64 v[20:21], v[18:19], s[6:7], s[4:5]
	s_mov_b32 s4, 0x623fde64
	s_mov_b32 s5, 0x3ec71dee
	;; [unrolled: 1-line block ×4, first 2 shown]
	v_fma_f64 v[32:33], v[2:3], -v[8:9], v[32:33]
	v_fma_f64 v[20:21], v[18:19], v[20:21], s[4:5]
	s_mov_b32 s4, 0x7c89e6b0
	s_mov_b32 s5, 0x3efa0199
	v_fma_f64 v[20:21], v[18:19], v[20:21], s[4:5]
	s_mov_b32 s4, 0x14761f6e
	s_mov_b32 s5, 0x3f2a01a0
	;; [unrolled: 3-line block ×3, first 2 shown]
	v_fma_f64 v[28:29], v[22:23], s[6:7], s[4:5]
	v_fma_f64 v[30:31], v[26:27], s[6:7], s[4:5]
	s_mov_b32 s4, 0x796cde01
	s_mov_b32 s5, 0x3ec71de3
	;; [unrolled: 1-line block ×4, first 2 shown]
	v_fma_f64 v[34:35], v[22:23], v[34:35], s[6:7]
	v_fma_f64 v[38:39], v[26:27], v[38:39], s[6:7]
	s_mov_b32 s6, 0x16c16967
	s_mov_b32 s7, 0xbf56c16c
	v_fma_f64 v[20:21], v[18:19], v[20:21], s[12:13]
	s_mov_b32 s13, 0x3fa55555
	s_mov_b32 s12, 0x555502a1
	v_fma_f64 v[28:29], v[22:23], v[28:29], s[4:5]
	v_fma_f64 v[30:31], v[26:27], v[30:31], s[4:5]
	s_mov_b32 s4, 0x19e83e5c
	s_mov_b32 s5, 0xbf2a01a0
	v_fma_f64 v[34:35], v[22:23], v[34:35], s[20:21]
	v_fma_f64 v[38:39], v[26:27], v[38:39], s[20:21]
	;; [unrolled: 1-line block ×3, first 2 shown]
	s_mov_b32 s16, 0x11110bb3
	v_fma_f64 v[28:29], v[22:23], v[28:29], s[4:5]
	v_fma_f64 v[30:31], v[26:27], v[30:31], s[4:5]
	s_mov_b32 s4, 11
	s_mov_b32 s5, 0x3fe00000
	v_fma_f64 v[34:35], v[22:23], v[34:35], s[6:7]
	v_fma_f64 v[38:39], v[26:27], v[38:39], s[6:7]
	v_cmp_ngt_f64_e64 s6, 0xc090cc00, v[10:11]
	v_fma_f64 v[20:21], v[18:19], v[20:21], s[12:13]
	s_mov_b32 s12, 0x55555555
	v_fma_f64 v[28:29], v[22:23], v[28:29], s[16:17]
	v_fma_f64 v[30:31], v[26:27], v[30:31], s[16:17]
	;; [unrolled: 1-line block ×6, first 2 shown]
	v_mul_f64 v[52:53], v[22:23], v[22:23]
	v_fma_f64 v[20:21], v[18:19], v[20:21], s[4:5]
	s_mov_b32 s5, 0xbfc55555
	s_mov_b32 s4, s12
	v_fma_f64 v[8:9], v[22:23], v[28:29], -v[8:9]
	v_mul_f64 v[22:23], v[26:27], v[26:27]
	v_fma_f64 v[28:29], v[12:13], -v[14:15], v[36:37]
	v_fma_f64 v[36:37], v[26:27], v[38:39], s[12:13]
	v_fma_f64 v[14:15], v[26:27], v[30:31], -v[14:15]
	v_fma_f64 v[26:27], v[52:53], v[34:35], v[32:33]
	v_cvt_i32_f64_e32 v30, v[16:17]
	v_fma_f64 v[20:21], v[18:19], v[20:21], 1.0
	v_fma_f64 v[8:9], v[54:55], s[4:5], v[8:9]
	v_fma_f64 v[14:15], v[68:69], s[4:5], v[14:15]
	v_cmp_nlt_f64_e64 s5, 0x40900000, v[10:11]
	v_cmp_class_f64_e64 s4, v[0:1], 0x1f8
	v_lshlrev_b32_e32 v0, 30, v25
	v_and_b32_e32 v11, 1, v25
	v_lshlrev_b32_e32 v10, 30, v24
	v_xor_b32_e32 v0, v0, v1
	v_cmp_eq_u32_e64 s7, 0, v11
	v_and_b32_e32 v1, 0x80000000, v10
	v_and_b32_e32 v0, 0x80000000, v0
	v_fma_f64 v[16:17], v[18:19], v[20:21], 1.0
	v_fma_f64 v[18:19], v[22:23], v[36:37], v[28:29]
	v_add_f64 v[20:21], v[48:49], v[26:27]
	v_and_b32_e32 v22, 1, v24
	v_add_f64 v[2:3], v[2:3], -v[8:9]
	v_add_f64 v[12:13], v[12:13], -v[14:15]
	v_cmp_eq_u32_e32 vcc_lo, 0, v22
	v_ldexp_f64 v[8:9], v[16:17], v30
	v_add_f64 v[16:17], v[50:51], v[18:19]
	v_xor_b32_e32 v3, 0x80000000, v3
	v_cndmask_b32_e32 v2, v2, v20, vcc_lo
	v_cndmask_b32_e32 v3, v3, v21, vcc_lo
	s_and_b32 vcc_lo, s6, s5
	v_cndmask_b32_e64 v2, 0, v2, s4
	v_xor_b32_e32 v1, v3, v1
	v_cndmask_b32_e64 v3, 0x7ff80000, v1, s4
	v_cndmask_b32_e64 v9, 0x7ff00000, v9, s5
	v_cndmask_b32_e64 v11, v17, v13, s7
	v_cndmask_b32_e64 v10, v16, v12, s7
	v_cndmask_b32_e32 v8, 0, v8, vcc_lo
	v_cndmask_b32_e64 v9, 0, v9, s6
	v_xor_b32_e32 v11, v11, v0
	v_cndmask_b32_e64 v0, 0, v10, s4
	v_cndmask_b32_e64 v1, 0x7ff80000, v11, s4
	v_mul_f64 v[10:11], v[8:9], v[2:3]
	v_fma_f64 v[2:3], v[8:9], v[2:3], 1.0
	v_mul_f64 v[0:1], v[8:9], v[0:1]
	v_cmp_class_f64_e64 s6, v[10:11], 0x204
	v_cmp_class_f64_e64 s16, v[2:3], 0x204
	v_max_f64 v[12:13], |v[10:11]|, |v[0:1]|
	v_cmp_class_f64_e64 s15, v[0:1], 0x204
	v_max_f64 v[8:9], |v[2:3]|, |v[0:1]|
	v_cmp_u_f64_e64 s4, v[2:3], v[0:1]
	v_frexp_exp_i32_f64_e32 v20, v[12:13]
	s_or_b32 s6, s6, s15
	v_sub_nc_u32_e32 v14, 0, v20
	v_ldexp_f64 v[12:13], |v[0:1]|, v14
	v_ldexp_f64 v[14:15], |v[10:11]|, v14
	v_mul_f64 v[12:13], v[12:13], v[12:13]
	v_fma_f64 v[12:13], v[14:15], v[14:15], v[12:13]
	v_rsq_f64_e32 v[14:15], v[12:13]
	v_cmp_eq_f64_e32 vcc_lo, 0, v[12:13]
	v_mul_f64 v[16:17], v[12:13], v[14:15]
	v_mul_f64 v[14:15], v[14:15], 0.5
	v_fma_f64 v[18:19], -v[14:15], v[16:17], 0.5
	v_fma_f64 v[16:17], v[16:17], v[18:19], v[16:17]
	v_fma_f64 v[14:15], v[14:15], v[18:19], v[14:15]
	v_fma_f64 v[18:19], -v[16:17], v[16:17], v[12:13]
	v_fma_f64 v[14:15], v[18:19], v[14:15], v[16:17]
	v_cndmask_b32_e32 v13, v15, v13, vcc_lo
	v_cndmask_b32_e32 v12, v14, v12, vcc_lo
	v_cmp_u_f64_e32 vcc_lo, v[10:11], v[0:1]
	v_ldexp_f64 v[12:13], v[12:13], v20
	s_or_b32 s6, s6, vcc_lo
	v_cmp_ngt_f64_e64 s5, 0.5, v[12:13]
	s_or_b32 s5, s6, s5
	s_and_saveexec_b32 s6, s5
	s_xor_b32 s5, exec_lo, s6
	s_cbranch_execz .LBB183_16
; %bb.15:
	v_frexp_exp_i32_f64_e32 v18, v[8:9]
	s_or_b32 s6, s16, s15
	s_mov_b32 s13, 0x3fe55555
	s_mov_b32 s18, 0xbf559e2b
	;; [unrolled: 1-line block ×5, first 2 shown]
	v_sub_nc_u32_e32 v12, 0, v18
	v_ldexp_f64 v[10:11], |v[0:1]|, v12
	v_ldexp_f64 v[12:13], |v[2:3]|, v12
	v_mul_f64 v[10:11], v[10:11], v[10:11]
	v_fma_f64 v[10:11], v[12:13], v[12:13], v[10:11]
	v_rsq_f64_e32 v[12:13], v[10:11]
	v_cmp_eq_f64_e32 vcc_lo, 0, v[10:11]
	v_mul_f64 v[14:15], v[10:11], v[12:13]
	v_mul_f64 v[12:13], v[12:13], 0.5
	v_fma_f64 v[16:17], -v[12:13], v[14:15], 0.5
	v_fma_f64 v[14:15], v[14:15], v[16:17], v[14:15]
	v_fma_f64 v[12:13], v[12:13], v[16:17], v[12:13]
	v_fma_f64 v[16:17], -v[14:15], v[14:15], v[10:11]
	v_fma_f64 v[12:13], v[16:17], v[12:13], v[14:15]
	v_cndmask_b32_e32 v11, v13, v11, vcc_lo
	v_cndmask_b32_e32 v10, v12, v10, vcc_lo
	v_ldexp_f64 v[10:11], v[10:11], v18
	v_cndmask_b32_e64 v11, v11, 0x7ff80000, s4
	v_cndmask_b32_e64 v12, v11, 0x7ff00000, s6
	s_or_b32 s6, s6, s4
	v_cndmask_b32_e64 v11, v10, 0, s6
	s_mov_b32 s6, 0x6b47b09a
	s_mov_b32 s7, 0x3fc38538
	v_frexp_mant_f64_e32 v[13:14], v[11:12]
	v_cmp_gt_f64_e32 vcc_lo, s[12:13], v[13:14]
	s_mov_b32 s12, 0x55555780
	v_cndmask_b32_e64 v10, 0, 1, vcc_lo
	v_ldexp_f64 v[13:14], v[13:14], v10
	v_frexp_exp_i32_f64_e32 v10, v[11:12]
	v_add_f64 v[15:16], v[13:14], 1.0
	v_add_f64 v[21:22], v[13:14], -1.0
	v_subrev_co_ci_u32_e64 v10, null, 0, v10, vcc_lo
	v_cmp_class_f64_e64 vcc_lo, v[11:12], 0x204
	v_rcp_f64_e32 v[17:18], v[15:16]
	v_add_f64 v[23:24], v[15:16], -1.0
	v_add_f64 v[13:14], v[13:14], -v[23:24]
	v_fma_f64 v[19:20], -v[15:16], v[17:18], 1.0
	v_fma_f64 v[17:18], v[19:20], v[17:18], v[17:18]
	v_fma_f64 v[19:20], -v[15:16], v[17:18], 1.0
	v_fma_f64 v[17:18], v[19:20], v[17:18], v[17:18]
	v_mul_f64 v[19:20], v[21:22], v[17:18]
	v_mul_f64 v[25:26], v[15:16], v[19:20]
	v_fma_f64 v[15:16], v[19:20], v[15:16], -v[25:26]
	v_fma_f64 v[13:14], v[19:20], v[13:14], v[15:16]
	v_add_f64 v[15:16], v[25:26], v[13:14]
	v_add_f64 v[23:24], v[21:22], -v[15:16]
	v_add_f64 v[25:26], v[15:16], -v[25:26]
	v_add_f64 v[21:22], v[21:22], -v[23:24]
	v_add_f64 v[13:14], v[25:26], -v[13:14]
	v_add_f64 v[15:16], v[21:22], -v[15:16]
	v_add_f64 v[13:14], v[13:14], v[15:16]
	v_add_f64 v[13:14], v[23:24], v[13:14]
	v_mul_f64 v[13:14], v[17:18], v[13:14]
	v_add_f64 v[15:16], v[19:20], v[13:14]
	v_mul_f64 v[17:18], v[15:16], v[15:16]
	v_fma_f64 v[21:22], v[17:18], s[18:19], s[6:7]
	s_mov_b32 s6, 0xd7f4df2e
	s_mov_b32 s7, 0x3fc7474d
	v_mul_f64 v[23:24], v[15:16], v[17:18]
	v_fma_f64 v[21:22], v[17:18], v[21:22], s[6:7]
	s_mov_b32 s6, 0x16291751
	s_mov_b32 s7, 0x3fcc71c0
	v_fma_f64 v[21:22], v[17:18], v[21:22], s[6:7]
	s_mov_b32 s6, 0x9b27acf1
	s_mov_b32 s7, 0x3fd24924
	;; [unrolled: 3-line block ×3, first 2 shown]
	v_fma_f64 v[21:22], v[17:18], v[21:22], s[6:7]
	v_fma_f64 v[17:18], v[17:18], v[21:22], s[12:13]
	v_ldexp_f64 v[21:22], v[15:16], 1
	v_add_f64 v[15:16], v[15:16], -v[19:20]
	v_mul_f64 v[17:18], v[23:24], v[17:18]
	v_cvt_f64_i32_e32 v[23:24], v10
	v_add_f64 v[13:14], v[13:14], -v[15:16]
	v_add_f64 v[19:20], v[21:22], v[17:18]
	v_mul_f64 v[25:26], v[23:24], s[10:11]
	v_ldexp_f64 v[13:14], v[13:14], 1
	v_add_f64 v[15:16], v[19:20], -v[21:22]
	v_fma_f64 v[21:22], v[23:24], s[10:11], -v[25:26]
	v_add_f64 v[15:16], v[17:18], -v[15:16]
	v_fma_f64 v[17:18], v[23:24], s[8:9], v[21:22]
	v_add_f64 v[13:14], v[13:14], v[15:16]
	v_add_f64 v[15:16], v[25:26], v[17:18]
	;; [unrolled: 1-line block ×3, first 2 shown]
	v_add_f64 v[25:26], v[15:16], -v[25:26]
	v_add_f64 v[23:24], v[15:16], v[21:22]
	v_add_f64 v[19:20], v[21:22], -v[19:20]
	v_add_f64 v[17:18], v[17:18], -v[25:26]
	;; [unrolled: 1-line block ×6, first 2 shown]
	v_add_f64 v[21:22], v[17:18], v[13:14]
	v_add_f64 v[15:16], v[15:16], -v[29:30]
	v_add_f64 v[15:16], v[19:20], v[15:16]
	v_add_f64 v[19:20], v[21:22], -v[17:18]
	;; [unrolled: 2-line block ×3, first 2 shown]
	v_add_f64 v[13:14], v[13:14], -v[19:20]
	v_add_f64 v[25:26], v[23:24], v[15:16]
	v_add_f64 v[17:18], v[17:18], -v[21:22]
	v_add_f64 v[19:20], v[25:26], -v[23:24]
	v_add_f64 v[13:14], v[13:14], v[17:18]
	v_add_f64 v[15:16], v[15:16], -v[19:20]
	v_add_f64 v[13:14], v[13:14], v[15:16]
	v_add_f64 v[13:14], v[25:26], v[13:14]
	v_cndmask_b32_e32 v10, v13, v11, vcc_lo
	v_cndmask_b32_e32 v13, v14, v12, vcc_lo
	v_cmp_ngt_f64_e32 vcc_lo, 0, v[11:12]
	v_cndmask_b32_e32 v13, 0x7ff80000, v13, vcc_lo
	v_cmp_nge_f64_e32 vcc_lo, 0, v[11:12]
	v_cndmask_b32_e32 v10, 0, v10, vcc_lo
	v_cmp_neq_f64_e32 vcc_lo, 0, v[11:12]
	v_cndmask_b32_e32 v11, 0xfff00000, v13, vcc_lo
.LBB183_16:
	s_andn2_saveexec_b32 s8, s5
	s_cbranch_execz .LBB183_20
; %bb.17:
	v_add_f64 v[12:13], v[10:11], 2.0
	v_mul_f64 v[14:15], v[0:1], v[0:1]
	s_mov_b32 s9, exec_lo
	v_fma_f64 v[12:13], v[10:11], v[12:13], v[14:15]
	v_cmpx_neq_f64_e32 0, v[12:13]
	s_cbranch_execz .LBB183_19
; %bb.18:
	v_add_f64 v[10:11], v[12:13], 1.0
	s_mov_b32 s7, 0x3fe55555
	s_mov_b32 s6, 0x55555555
	;; [unrolled: 1-line block ×6, first 2 shown]
	v_cmp_neq_f64_e64 s5, 0x7ff00000, v[12:13]
	v_frexp_mant_f64_e32 v[14:15], v[10:11]
	v_frexp_exp_i32_f64_e32 v18, v[10:11]
	v_add_f64 v[16:17], v[10:11], -1.0
	v_cmp_gt_f64_e32 vcc_lo, s[6:7], v[14:15]
	s_mov_b32 s6, 0x55555780
	v_add_f64 v[14:15], v[16:17], -v[10:11]
	v_add_f64 v[16:17], v[12:13], -v[16:17]
	v_subrev_co_ci_u32_e64 v34, null, 0, v18, vcc_lo
	v_add_f64 v[14:15], v[14:15], 1.0
	v_cmp_nge_f64_e32 vcc_lo, -1.0, v[12:13]
	v_sub_nc_u32_e32 v20, 0, v34
	v_ldexp_f64 v[10:11], v[10:11], v20
	v_add_f64 v[14:15], v[16:17], v[14:15]
	s_and_b32 vcc_lo, vcc_lo, s5
	v_add_f64 v[18:19], v[10:11], 1.0
	v_add_f64 v[24:25], v[10:11], -1.0
	v_ldexp_f64 v[14:15], v[14:15], v20
	v_add_f64 v[16:17], v[18:19], -1.0
	v_add_f64 v[26:27], v[24:25], 1.0
	v_add_f64 v[16:17], v[10:11], -v[16:17]
	v_add_f64 v[10:11], v[10:11], -v[26:27]
	v_add_f64 v[16:17], v[14:15], v[16:17]
	v_add_f64 v[10:11], v[14:15], v[10:11]
	;; [unrolled: 1-line block ×4, first 2 shown]
	v_rcp_f64_e32 v[22:23], v[20:21]
	v_add_f64 v[18:19], v[20:21], -v[18:19]
	v_add_f64 v[24:25], v[26:27], -v[24:25]
	;; [unrolled: 1-line block ×3, first 2 shown]
	v_fma_f64 v[28:29], -v[20:21], v[22:23], 1.0
	v_add_f64 v[10:11], v[10:11], -v[24:25]
	v_fma_f64 v[22:23], v[28:29], v[22:23], v[22:23]
	v_fma_f64 v[14:15], -v[20:21], v[22:23], 1.0
	v_fma_f64 v[14:15], v[14:15], v[22:23], v[22:23]
	v_mul_f64 v[22:23], v[26:27], v[14:15]
	v_mul_f64 v[28:29], v[20:21], v[22:23]
	v_fma_f64 v[18:19], v[22:23], v[20:21], -v[28:29]
	v_fma_f64 v[18:19], v[22:23], v[16:17], v[18:19]
	v_add_f64 v[30:31], v[28:29], v[18:19]
	v_add_f64 v[32:33], v[26:27], -v[30:31]
	v_add_f64 v[24:25], v[30:31], -v[28:29]
	;; [unrolled: 1-line block ×5, first 2 shown]
	v_add_f64 v[10:11], v[10:11], v[26:27]
	v_add_f64 v[10:11], v[18:19], v[10:11]
	;; [unrolled: 1-line block ×3, first 2 shown]
	v_mul_f64 v[24:25], v[14:15], v[18:19]
	v_add_f64 v[30:31], v[32:33], -v[18:19]
	v_mul_f64 v[26:27], v[20:21], v[24:25]
	v_add_f64 v[10:11], v[10:11], v[30:31]
	v_fma_f64 v[20:21], v[24:25], v[20:21], -v[26:27]
	v_fma_f64 v[16:17], v[24:25], v[16:17], v[20:21]
	v_add_f64 v[20:21], v[26:27], v[16:17]
	v_add_f64 v[28:29], v[18:19], -v[20:21]
	v_add_f64 v[26:27], v[20:21], -v[26:27]
	;; [unrolled: 1-line block ×5, first 2 shown]
	v_add_f64 v[10:11], v[10:11], v[18:19]
	v_add_f64 v[18:19], v[22:23], v[24:25]
	;; [unrolled: 1-line block ×3, first 2 shown]
	v_add_f64 v[16:17], v[18:19], -v[22:23]
	v_add_f64 v[10:11], v[28:29], v[10:11]
	v_add_f64 v[16:17], v[24:25], -v[16:17]
	v_mul_f64 v[10:11], v[14:15], v[10:11]
	v_add_f64 v[10:11], v[16:17], v[10:11]
	v_add_f64 v[14:15], v[18:19], v[10:11]
	v_mul_f64 v[16:17], v[14:15], v[14:15]
	v_fma_f64 v[20:21], v[16:17], s[12:13], s[10:11]
	s_mov_b32 s10, 0xd7f4df2e
	s_mov_b32 s11, 0x3fc7474d
	v_mul_f64 v[22:23], v[14:15], v[16:17]
	v_fma_f64 v[20:21], v[16:17], v[20:21], s[10:11]
	s_mov_b32 s10, 0x16291751
	s_mov_b32 s11, 0x3fcc71c0
	v_fma_f64 v[20:21], v[16:17], v[20:21], s[10:11]
	s_mov_b32 s10, 0x9b27acf1
	s_mov_b32 s11, 0x3fd24924
	;; [unrolled: 3-line block ×3, first 2 shown]
	v_fma_f64 v[20:21], v[16:17], v[20:21], s[10:11]
	v_fma_f64 v[16:17], v[16:17], v[20:21], s[6:7]
	v_ldexp_f64 v[20:21], v[14:15], 1
	v_add_f64 v[14:15], v[14:15], -v[18:19]
	s_mov_b32 s6, 0xfefa39ef
	s_mov_b32 s7, 0x3fe62e42
	v_mul_f64 v[16:17], v[22:23], v[16:17]
	v_cvt_f64_i32_e32 v[22:23], v34
	v_add_f64 v[10:11], v[10:11], -v[14:15]
	v_add_f64 v[18:19], v[20:21], v[16:17]
	v_mul_f64 v[24:25], v[22:23], s[6:7]
	v_ldexp_f64 v[10:11], v[10:11], 1
	v_add_f64 v[14:15], v[18:19], -v[20:21]
	v_fma_f64 v[20:21], v[22:23], s[6:7], -v[24:25]
	s_mov_b32 s6, 0x3b39803f
	s_mov_b32 s7, 0x3c7abc9e
	v_add_f64 v[14:15], v[16:17], -v[14:15]
	v_fma_f64 v[16:17], v[22:23], s[6:7], v[20:21]
	v_cmp_ngt_f64_e64 s6, -1.0, v[12:13]
	v_add_f64 v[10:11], v[10:11], v[14:15]
	v_add_f64 v[14:15], v[24:25], v[16:17]
	v_add_f64 v[20:21], v[18:19], v[10:11]
	v_add_f64 v[24:25], v[14:15], -v[24:25]
	v_add_f64 v[22:23], v[14:15], v[20:21]
	v_add_f64 v[18:19], v[20:21], -v[18:19]
	v_add_f64 v[16:17], v[16:17], -v[24:25]
	;; [unrolled: 1-line block ×6, first 2 shown]
	v_add_f64 v[20:21], v[16:17], v[10:11]
	v_add_f64 v[14:15], v[14:15], -v[28:29]
	v_add_f64 v[14:15], v[18:19], v[14:15]
	v_add_f64 v[18:19], v[20:21], -v[16:17]
	;; [unrolled: 2-line block ×3, first 2 shown]
	v_add_f64 v[10:11], v[10:11], -v[18:19]
	v_add_f64 v[24:25], v[22:23], v[14:15]
	v_add_f64 v[16:17], v[16:17], -v[20:21]
	v_add_f64 v[18:19], v[24:25], -v[22:23]
	v_add_f64 v[10:11], v[10:11], v[16:17]
	v_add_f64 v[14:15], v[14:15], -v[18:19]
	v_add_f64 v[10:11], v[10:11], v[14:15]
	v_add_f64 v[10:11], v[24:25], v[10:11]
	v_mul_f64 v[10:11], v[10:11], 0.5
	v_cndmask_b32_e32 v10, 0, v10, vcc_lo
	v_cmp_neq_f64_e32 vcc_lo, -1.0, v[12:13]
	v_cndmask_b32_e64 v11, 0x7ff00000, v11, s5
	v_cndmask_b32_e64 v11, 0x7ff80000, v11, s6
	v_cndmask_b32_e32 v11, 0xfff00000, v11, vcc_lo
.LBB183_19:
	s_or_b32 exec_lo, exec_lo, s9
.LBB183_20:
	s_or_b32 exec_lo, exec_lo, s8
	v_max_f64 v[12:13], |v[0:1]|, |v[0:1]|
	v_max_f64 v[14:15], |v[2:3]|, |v[2:3]|
	s_mov_b32 s6, 0xbd3237f4
	s_mov_b32 s8, 0xb5e68a13
	;; [unrolled: 1-line block ×4, first 2 shown]
	v_cmp_eq_f64_e64 s5, 0, v[0:1]
	v_add_f64 v[10:11], v[4:5], v[10:11]
	v_min_f64 v[12:13], v[14:15], v[12:13]
	v_div_scale_f64 v[14:15], null, v[8:9], v[8:9], v[12:13]
	v_div_scale_f64 v[20:21], vcc_lo, v[12:13], v[8:9], v[12:13]
	v_rcp_f64_e32 v[16:17], v[14:15]
	v_fma_f64 v[18:19], -v[14:15], v[16:17], 1.0
	v_fma_f64 v[16:17], v[16:17], v[18:19], v[16:17]
	v_fma_f64 v[18:19], -v[14:15], v[16:17], 1.0
	v_fma_f64 v[16:17], v[16:17], v[18:19], v[16:17]
	v_mul_f64 v[18:19], v[20:21], v[16:17]
	v_fma_f64 v[14:15], -v[14:15], v[18:19], v[20:21]
	v_div_fmas_f64 v[14:15], v[14:15], v[16:17], v[18:19]
	v_cmp_lt_f64_e64 vcc_lo, |v[2:3]|, |v[0:1]|
	v_mov_b32_e32 v0, 0x4002d97c
	v_mov_b32_e32 v2, 0x7f3321d2
	v_div_fixup_f64 v[8:9], v[14:15], v[8:9], v[12:13]
	v_mul_f64 v[12:13], v[8:9], v[8:9]
	v_fma_f64 v[14:15], v[12:13], s[8:9], s[6:7]
	s_mov_b32 s6, 0x69efb384
	s_mov_b32 s7, 0x3f4b2bb0
	v_fma_f64 v[14:15], v[12:13], v[14:15], s[6:7]
	s_mov_b32 s6, 0xaf56de9b
	s_mov_b32 s7, 0xbf67952d
	v_fma_f64 v[14:15], v[12:13], v[14:15], s[6:7]
	s_mov_b32 s6, 0xa595c56f
	s_mov_b32 s7, 0x3f7d6d43
	v_fma_f64 v[14:15], v[12:13], v[14:15], s[6:7]
	s_mov_b32 s6, 0xa57d9582
	s_mov_b32 s7, 0xbf8c6ea4
	v_fma_f64 v[14:15], v[12:13], v[14:15], s[6:7]
	s_mov_b32 s6, 0x5f08b19f
	s_mov_b32 s7, 0x3f967e29
	v_fma_f64 v[14:15], v[12:13], v[14:15], s[6:7]
	s_mov_b32 s6, 0xfc27006a
	s_mov_b32 s7, 0xbf9e9ae6
	v_fma_f64 v[14:15], v[12:13], v[14:15], s[6:7]
	s_mov_b32 s6, 0x5711927a
	s_mov_b32 s7, 0x3fa2c15b
	v_fma_f64 v[14:15], v[12:13], v[14:15], s[6:7]
	s_mov_b32 s6, 0xe82d3ff0
	s_mov_b32 s7, 0xbfa59976
	v_fma_f64 v[14:15], v[12:13], v[14:15], s[6:7]
	s_mov_b32 s6, 0x6ef28734
	s_mov_b32 s7, 0x3fa82d5d
	v_fma_f64 v[14:15], v[12:13], v[14:15], s[6:7]
	s_mov_b32 s6, 0x6a214619
	s_mov_b32 s7, 0xbfaae5ce
	v_fma_f64 v[14:15], v[12:13], v[14:15], s[6:7]
	s_mov_b32 s6, 0x8427b883
	s_mov_b32 s7, 0x3fae1bb4
	v_fma_f64 v[14:15], v[12:13], v[14:15], s[6:7]
	s_mov_b32 s6, 0x8b207f05
	s_mov_b32 s7, 0xbfb110e4
	v_fma_f64 v[14:15], v[12:13], v[14:15], s[6:7]
	s_mov_b32 s6, 0x57b87036
	s_mov_b32 s7, 0x3fb3b136
	v_fma_f64 v[14:15], v[12:13], v[14:15], s[6:7]
	s_mov_b32 s6, 0x19378e4f
	s_mov_b32 s7, 0xbfb745d1
	v_fma_f64 v[14:15], v[12:13], v[14:15], s[6:7]
	s_mov_b32 s6, 0x17e1913c
	s_mov_b32 s7, 0x3fbc71c7
	v_fma_f64 v[14:15], v[12:13], v[14:15], s[6:7]
	s_mov_b32 s6, 0x92376b7d
	s_mov_b32 s7, 0xbfc24924
	v_fma_f64 v[14:15], v[12:13], v[14:15], s[6:7]
	s_mov_b32 s6, 0x999952cc
	s_mov_b32 s7, 0x3fc99999
	v_fma_f64 v[14:15], v[12:13], v[14:15], s[6:7]
	s_mov_b32 s6, 0x55555523
	s_mov_b32 s7, 0xbfd55555
	v_fma_f64 v[14:15], v[12:13], v[14:15], s[6:7]
	s_mov_b32 s6, 0x54442d18
	s_mov_b32 s7, 0x3ff921fb
	v_mul_f64 v[12:13], v[12:13], v[14:15]
	v_ashrrev_i32_e32 v14, 31, v3
	v_fma_f64 v[8:9], v[8:9], v[12:13], v[8:9]
	v_add_f64 v[12:13], -v[8:9], s[6:7]
	s_mov_b32 s7, 0x400921fb
	v_cndmask_b32_e32 v9, v9, v13, vcc_lo
	v_cndmask_b32_e32 v8, v8, v12, vcc_lo
	v_cmp_gt_i32_e32 vcc_lo, 0, v3
	v_and_b32_e32 v3, 0x54442d18, v14
	v_add_f64 v[12:13], -v[8:9], s[6:7]
	v_cndmask_b32_e32 v0, 0x3fe921fb, v0, vcc_lo
	v_cndmask_b32_e32 v2, 0x54442d18, v2, vcc_lo
	;; [unrolled: 1-line block ×3, first 2 shown]
	v_and_b32_e32 v12, 0x400921fb, v14
	v_cndmask_b32_e32 v9, v9, v13, vcc_lo
	s_and_b32 vcc_lo, s16, s15
	v_cndmask_b32_e64 v3, v8, v3, s5
	v_cndmask_b32_e64 v8, v9, v12, s5
	v_cndmask_b32_e32 v2, v3, v2, vcc_lo
	v_cndmask_b32_e32 v0, v8, v0, vcc_lo
	v_cndmask_b32_e64 v3, v0, 0x7ff80000, s4
	v_cndmask_b32_e64 v0, v2, 0, s4
	v_bfi_b32 v1, 0x7fffffff, v3, v1
	v_add_f64 v[8:9], v[6:7], v[0:1]
                                        ; implicit-def: $vgpr6_vgpr7
.LBB183_21:
	s_andn2_saveexec_b32 s25, s14
	s_cbranch_execz .LBB183_47
; %bb.22:
	s_mov_b32 s26, exec_lo
	v_cmpx_ngt_f64_e32 0, v[10:11]
	s_cbranch_execz .LBB183_46
; %bb.23:
	v_cmp_ngt_f64_e64 s4, 0x41d00000, |v[8:9]|
	v_trig_preop_f64 v[16:17], |v[8:9]|, 0
	v_trig_preop_f64 v[14:15], |v[8:9]|, 1
	v_ldexp_f64 v[18:19], |v[8:9]|, 0xffffff80
	v_trig_preop_f64 v[12:13], |v[8:9]|, 2
	v_and_b32_e32 v20, 0x7fffffff, v9
                                        ; implicit-def: $vgpr28
                                        ; implicit-def: $vgpr0_vgpr1
                                        ; implicit-def: $vgpr2_vgpr3
	s_and_saveexec_b32 s5, s4
	s_xor_b32 s5, exec_lo, s5
	s_cbranch_execz .LBB183_25
; %bb.24:
	v_cmp_le_f64_e64 vcc_lo, 0x7b000000, |v[8:9]|
	v_mov_b32_e32 v33, 0
	s_mov_b32 s6, 0x54442d18
	s_mov_b32 s7, 0x3ff921fb
	;; [unrolled: 1-line block ×4, first 2 shown]
	v_cndmask_b32_e32 v1, v20, v19, vcc_lo
	v_cndmask_b32_e32 v0, v8, v18, vcc_lo
	v_mul_f64 v[2:3], v[16:17], v[0:1]
	v_mul_f64 v[4:5], v[14:15], v[0:1]
	;; [unrolled: 1-line block ×3, first 2 shown]
	v_fma_f64 v[10:11], v[16:17], v[0:1], -v[2:3]
	v_fma_f64 v[31:32], v[14:15], v[0:1], -v[4:5]
	;; [unrolled: 1-line block ×3, first 2 shown]
	v_add_f64 v[21:22], v[4:5], v[10:11]
	v_add_f64 v[23:24], v[21:22], -v[4:5]
	v_add_f64 v[27:28], v[2:3], v[21:22]
	v_add_f64 v[25:26], v[21:22], -v[23:24]
	v_add_f64 v[10:11], v[10:11], -v[23:24]
	v_ldexp_f64 v[23:24], v[27:28], -2
	v_add_f64 v[2:3], v[27:28], -v[2:3]
	v_add_f64 v[4:5], v[4:5], -v[25:26]
	v_add_f64 v[25:26], v[29:30], v[31:32]
	v_cmp_neq_f64_e64 vcc_lo, 0x7ff00000, |v[23:24]|
	v_add_f64 v[2:3], v[21:22], -v[2:3]
	v_add_f64 v[4:5], v[10:11], v[4:5]
	v_fract_f64_e32 v[10:11], v[23:24]
	v_add_f64 v[21:22], v[25:26], v[4:5]
	v_ldexp_f64 v[10:11], v[10:11], 2
	v_add_f64 v[23:24], v[2:3], v[21:22]
	v_cndmask_b32_e32 v11, 0, v11, vcc_lo
	v_cndmask_b32_e32 v10, 0, v10, vcc_lo
	v_add_f64 v[27:28], v[23:24], v[10:11]
	v_add_f64 v[2:3], v[23:24], -v[2:3]
	v_cmp_gt_f64_e32 vcc_lo, 0, v[27:28]
	v_add_f64 v[27:28], v[25:26], -v[29:30]
	v_add_f64 v[2:3], v[21:22], -v[2:3]
	v_cndmask_b32_e64 v34, 0, 0x40100000, vcc_lo
	v_add_f64 v[38:39], v[25:26], -v[27:28]
	v_add_f64 v[27:28], v[31:32], -v[27:28]
	v_add_f64 v[10:11], v[10:11], v[33:34]
	v_add_f64 v[34:35], v[21:22], -v[25:26]
	v_add_f64 v[31:32], v[29:30], -v[38:39]
	v_add_f64 v[36:37], v[23:24], v[10:11]
	;; [unrolled: 3-line block ×3, first 2 shown]
	v_cvt_i32_f64_e32 v36, v[36:37]
	v_add_f64 v[25:26], v[25:26], -v[48:49]
	v_cvt_f64_i32_e32 v[34:35], v36
	v_add_f64 v[4:5], v[4:5], v[25:26]
	v_add_f64 v[10:11], v[10:11], -v[34:35]
	v_add_f64 v[4:5], v[27:28], v[4:5]
	v_add_f64 v[25:26], v[23:24], v[10:11]
	;; [unrolled: 1-line block ×3, first 2 shown]
	v_add_f64 v[4:5], v[25:26], -v[10:11]
	v_cmp_le_f64_e32 vcc_lo, 0.5, v[25:26]
	v_add_f64 v[0:1], v[2:3], v[0:1]
	v_add_f64 v[2:3], v[23:24], -v[4:5]
	v_cndmask_b32_e64 v34, 0, 0x3ff00000, vcc_lo
	v_add_co_ci_u32_e64 v28, null, 0, v36, vcc_lo
	v_add_f64 v[0:1], v[0:1], v[2:3]
	v_add_f64 v[2:3], v[25:26], -v[33:34]
	v_add_f64 v[4:5], v[2:3], v[0:1]
	v_mul_f64 v[10:11], v[4:5], s[6:7]
	v_add_f64 v[2:3], v[4:5], -v[2:3]
	v_fma_f64 v[21:22], v[4:5], s[6:7], -v[10:11]
	v_add_f64 v[0:1], v[0:1], -v[2:3]
	v_fma_f64 v[2:3], v[4:5], s[8:9], v[21:22]
	v_fma_f64 v[2:3], v[0:1], s[6:7], v[2:3]
	v_add_f64 v[0:1], v[10:11], v[2:3]
	v_add_f64 v[4:5], v[0:1], -v[10:11]
	v_add_f64 v[2:3], v[2:3], -v[4:5]
	s_andn2_saveexec_b32 s5, s5
	s_cbranch_execz .LBB183_27
	s_branch .LBB183_26
.LBB183_25:
	s_andn2_saveexec_b32 s5, s5
	s_cbranch_execz .LBB183_27
.LBB183_26:
	s_mov_b32 s6, 0x6dc9c883
	s_mov_b32 s7, 0x3fe45f30
	;; [unrolled: 1-line block ×3, first 2 shown]
	v_mul_f64 v[0:1], |v[8:9]|, s[6:7]
	s_mov_b32 s6, 0x54442d18
	s_mov_b32 s7, 0xbff921fb
	;; [unrolled: 1-line block ×3, first 2 shown]
	v_rndne_f64_e32 v[4:5], v[0:1]
	v_fma_f64 v[0:1], v[4:5], s[6:7], |v[8:9]|
	v_mul_f64 v[2:3], v[4:5], s[8:9]
	s_mov_b32 s6, 0x252049c0
	s_mov_b32 s7, 0xb97b839a
	v_cvt_i32_f64_e32 v28, v[4:5]
	v_fma_f64 v[21:22], v[4:5], s[8:9], v[0:1]
	v_add_f64 v[10:11], v[0:1], v[2:3]
	s_mov_b32 s9, 0x3c91a626
	v_add_f64 v[0:1], v[0:1], -v[10:11]
	v_add_f64 v[10:11], v[10:11], -v[21:22]
	v_add_f64 v[0:1], v[0:1], v[2:3]
	v_fma_f64 v[2:3], v[4:5], s[8:9], v[2:3]
	v_add_f64 v[0:1], v[10:11], v[0:1]
	v_add_f64 v[0:1], v[0:1], -v[2:3]
	v_fma_f64 v[2:3], v[4:5], s[6:7], v[0:1]
	v_add_f64 v[0:1], v[21:22], v[2:3]
	v_add_f64 v[10:11], v[0:1], -v[21:22]
	v_add_f64 v[2:3], v[2:3], -v[10:11]
.LBB183_27:
	s_or_b32 exec_lo, exec_lo, s5
                                        ; implicit-def: $vgpr29
                                        ; implicit-def: $vgpr4_vgpr5
                                        ; implicit-def: $vgpr10_vgpr11
	s_and_saveexec_b32 s5, s4
	s_xor_b32 s4, exec_lo, s5
	s_cbranch_execz .LBB183_29
; %bb.28:
	v_cmp_le_f64_e64 vcc_lo, 0x7b000000, |v[8:9]|
	v_mov_b32_e32 v31, 0
	s_mov_b32 s6, 0x54442d18
	s_mov_b32 s7, 0x3ff921fb
	s_mov_b32 s8, 0x33145c07
	s_mov_b32 s9, 0x3c91a626
	v_cndmask_b32_e32 v5, v20, v19, vcc_lo
	v_cndmask_b32_e32 v4, v8, v18, vcc_lo
	v_mul_f64 v[10:11], v[16:17], v[4:5]
	v_mul_f64 v[18:19], v[14:15], v[4:5]
	;; [unrolled: 1-line block ×3, first 2 shown]
	v_fma_f64 v[16:17], v[16:17], v[4:5], -v[10:11]
	v_fma_f64 v[14:15], v[14:15], v[4:5], -v[18:19]
	;; [unrolled: 1-line block ×3, first 2 shown]
	v_add_f64 v[20:21], v[18:19], v[16:17]
	v_add_f64 v[22:23], v[20:21], -v[18:19]
	v_add_f64 v[26:27], v[10:11], v[20:21]
	v_add_f64 v[24:25], v[20:21], -v[22:23]
	v_add_f64 v[16:17], v[16:17], -v[22:23]
	v_ldexp_f64 v[22:23], v[26:27], -2
	v_add_f64 v[10:11], v[26:27], -v[10:11]
	v_add_f64 v[18:19], v[18:19], -v[24:25]
	v_add_f64 v[24:25], v[29:30], v[14:15]
	v_cmp_neq_f64_e64 vcc_lo, 0x7ff00000, |v[22:23]|
	v_add_f64 v[10:11], v[20:21], -v[10:11]
	v_add_f64 v[16:17], v[16:17], v[18:19]
	v_fract_f64_e32 v[18:19], v[22:23]
	v_add_f64 v[20:21], v[24:25], v[16:17]
	v_ldexp_f64 v[18:19], v[18:19], 2
	v_add_f64 v[22:23], v[10:11], v[20:21]
	v_cndmask_b32_e32 v19, 0, v19, vcc_lo
	v_cndmask_b32_e32 v18, 0, v18, vcc_lo
	v_add_f64 v[26:27], v[22:23], v[18:19]
	v_add_f64 v[10:11], v[22:23], -v[10:11]
	v_cmp_gt_f64_e32 vcc_lo, 0, v[26:27]
	v_add_f64 v[26:27], v[24:25], -v[29:30]
	v_add_f64 v[10:11], v[20:21], -v[10:11]
	v_cndmask_b32_e64 v32, 0, 0x40100000, vcc_lo
	v_add_f64 v[36:37], v[24:25], -v[26:27]
	v_add_f64 v[14:15], v[14:15], -v[26:27]
	v_add_f64 v[18:19], v[18:19], v[31:32]
	v_add_f64 v[32:33], v[20:21], -v[24:25]
	v_add_f64 v[26:27], v[29:30], -v[36:37]
	v_add_f64 v[34:35], v[22:23], v[18:19]
	;; [unrolled: 3-line block ×3, first 2 shown]
	v_cvt_i32_f64_e32 v34, v[34:35]
	v_add_f64 v[24:25], v[24:25], -v[38:39]
	v_cvt_f64_i32_e32 v[32:33], v34
	v_add_f64 v[16:17], v[16:17], v[24:25]
	v_add_f64 v[18:19], v[18:19], -v[32:33]
	v_add_f64 v[12:13], v[14:15], v[16:17]
	v_add_f64 v[14:15], v[22:23], v[18:19]
	;; [unrolled: 1-line block ×3, first 2 shown]
	v_add_f64 v[12:13], v[14:15], -v[18:19]
	v_cmp_le_f64_e32 vcc_lo, 0.5, v[14:15]
	v_add_f64 v[4:5], v[10:11], v[4:5]
	v_add_f64 v[10:11], v[22:23], -v[12:13]
	v_cndmask_b32_e64 v32, 0, 0x3ff00000, vcc_lo
	v_add_co_ci_u32_e64 v29, null, 0, v34, vcc_lo
	v_add_f64 v[4:5], v[4:5], v[10:11]
	v_add_f64 v[10:11], v[14:15], -v[31:32]
	v_add_f64 v[12:13], v[10:11], v[4:5]
	v_mul_f64 v[14:15], v[12:13], s[6:7]
	v_add_f64 v[10:11], v[12:13], -v[10:11]
	v_fma_f64 v[16:17], v[12:13], s[6:7], -v[14:15]
	v_add_f64 v[4:5], v[4:5], -v[10:11]
	v_fma_f64 v[10:11], v[12:13], s[8:9], v[16:17]
	v_fma_f64 v[10:11], v[4:5], s[6:7], v[10:11]
	v_add_f64 v[4:5], v[14:15], v[10:11]
	v_add_f64 v[12:13], v[4:5], -v[14:15]
	v_add_f64 v[10:11], v[10:11], -v[12:13]
	s_andn2_saveexec_b32 s4, s4
	s_cbranch_execnz .LBB183_30
	s_branch .LBB183_31
.LBB183_29:
	s_andn2_saveexec_b32 s4, s4
	s_cbranch_execz .LBB183_31
.LBB183_30:
	s_mov_b32 s6, 0x6dc9c883
	s_mov_b32 s7, 0x3fe45f30
	;; [unrolled: 1-line block ×3, first 2 shown]
	v_mul_f64 v[4:5], |v[8:9]|, s[6:7]
	s_mov_b32 s6, 0x54442d18
	s_mov_b32 s7, 0xbff921fb
	;; [unrolled: 1-line block ×3, first 2 shown]
	v_rndne_f64_e32 v[12:13], v[4:5]
	v_fma_f64 v[4:5], v[12:13], s[6:7], |v[8:9]|
	v_mul_f64 v[10:11], v[12:13], s[8:9]
	s_mov_b32 s6, 0x252049c0
	s_mov_b32 s7, 0xb97b839a
	v_cvt_i32_f64_e32 v29, v[12:13]
	v_fma_f64 v[16:17], v[12:13], s[8:9], v[4:5]
	v_add_f64 v[14:15], v[4:5], v[10:11]
	s_mov_b32 s9, 0x3c91a626
	v_add_f64 v[4:5], v[4:5], -v[14:15]
	v_add_f64 v[14:15], v[14:15], -v[16:17]
	v_add_f64 v[4:5], v[4:5], v[10:11]
	v_fma_f64 v[10:11], v[12:13], s[8:9], v[10:11]
	v_add_f64 v[4:5], v[14:15], v[4:5]
	v_add_f64 v[4:5], v[4:5], -v[10:11]
	v_fma_f64 v[10:11], v[12:13], s[6:7], v[4:5]
	v_add_f64 v[4:5], v[16:17], v[10:11]
	v_add_f64 v[14:15], v[4:5], -v[16:17]
	v_add_f64 v[10:11], v[10:11], -v[14:15]
.LBB183_31:
	s_or_b32 exec_lo, exec_lo, s4
	v_cmp_ngt_f64_e64 s4, 0x41d00000, |v[6:7]|
	v_trig_preop_f64 v[24:25], |v[6:7]|, 0
	v_trig_preop_f64 v[22:23], |v[6:7]|, 1
	v_ldexp_f64 v[26:27], |v[6:7]|, 0xffffff80
	v_trig_preop_f64 v[20:21], |v[6:7]|, 2
	v_and_b32_e32 v32, 0x7fffffff, v7
                                        ; implicit-def: $vgpr30
                                        ; implicit-def: $vgpr12_vgpr13
                                        ; implicit-def: $vgpr14_vgpr15
	s_and_saveexec_b32 s5, s4
	s_xor_b32 s5, exec_lo, s5
	s_cbranch_execz .LBB183_33
; %bb.32:
	v_cmp_le_f64_e64 vcc_lo, 0x7b000000, |v[6:7]|
	v_mov_b32_e32 v52, 0
	s_mov_b32 s6, 0x54442d18
	s_mov_b32 s7, 0x3ff921fb
	;; [unrolled: 1-line block ×4, first 2 shown]
	v_cndmask_b32_e32 v13, v32, v27, vcc_lo
	v_cndmask_b32_e32 v12, v6, v26, vcc_lo
	v_mul_f64 v[14:15], v[24:25], v[12:13]
	v_mul_f64 v[16:17], v[22:23], v[12:13]
	;; [unrolled: 1-line block ×3, first 2 shown]
	v_fma_f64 v[18:19], v[24:25], v[12:13], -v[14:15]
	v_fma_f64 v[50:51], v[22:23], v[12:13], -v[16:17]
	;; [unrolled: 1-line block ×3, first 2 shown]
	v_add_f64 v[30:31], v[16:17], v[18:19]
	v_add_f64 v[33:34], v[30:31], -v[16:17]
	v_add_f64 v[37:38], v[14:15], v[30:31]
	v_add_f64 v[35:36], v[30:31], -v[33:34]
	v_add_f64 v[18:19], v[18:19], -v[33:34]
	v_ldexp_f64 v[33:34], v[37:38], -2
	v_add_f64 v[14:15], v[37:38], -v[14:15]
	v_add_f64 v[16:17], v[16:17], -v[35:36]
	v_add_f64 v[35:36], v[48:49], v[50:51]
	v_cmp_neq_f64_e64 vcc_lo, 0x7ff00000, |v[33:34]|
	v_add_f64 v[14:15], v[30:31], -v[14:15]
	v_add_f64 v[16:17], v[18:19], v[16:17]
	v_fract_f64_e32 v[18:19], v[33:34]
	v_add_f64 v[30:31], v[35:36], v[16:17]
	v_ldexp_f64 v[18:19], v[18:19], 2
	v_add_f64 v[33:34], v[14:15], v[30:31]
	v_cndmask_b32_e32 v19, 0, v19, vcc_lo
	v_cndmask_b32_e32 v18, 0, v18, vcc_lo
	v_add_f64 v[37:38], v[33:34], v[18:19]
	v_add_f64 v[14:15], v[33:34], -v[14:15]
	v_cmp_gt_f64_e32 vcc_lo, 0, v[37:38]
	v_add_f64 v[37:38], v[35:36], -v[48:49]
	v_add_f64 v[14:15], v[30:31], -v[14:15]
	v_cndmask_b32_e64 v53, 0, 0x40100000, vcc_lo
	v_add_f64 v[66:67], v[35:36], -v[37:38]
	v_add_f64 v[37:38], v[50:51], -v[37:38]
	v_add_f64 v[18:19], v[18:19], v[52:53]
	v_add_f64 v[53:54], v[30:31], -v[35:36]
	v_add_f64 v[50:51], v[48:49], -v[66:67]
	v_add_f64 v[64:65], v[33:34], v[18:19]
	;; [unrolled: 3-line block ×3, first 2 shown]
	v_cvt_i32_f64_e32 v39, v[64:65]
	v_add_f64 v[35:36], v[35:36], -v[68:69]
	v_cvt_f64_i32_e32 v[53:54], v39
	v_add_f64 v[16:17], v[16:17], v[35:36]
	v_add_f64 v[18:19], v[18:19], -v[53:54]
	v_add_f64 v[16:17], v[37:38], v[16:17]
	v_add_f64 v[35:36], v[33:34], v[18:19]
	;; [unrolled: 1-line block ×3, first 2 shown]
	v_add_f64 v[16:17], v[35:36], -v[18:19]
	v_cmp_le_f64_e32 vcc_lo, 0.5, v[35:36]
	v_add_f64 v[12:13], v[14:15], v[12:13]
	v_add_f64 v[14:15], v[33:34], -v[16:17]
	v_cndmask_b32_e64 v53, 0, 0x3ff00000, vcc_lo
	v_add_co_ci_u32_e64 v30, null, 0, v39, vcc_lo
	v_add_f64 v[12:13], v[12:13], v[14:15]
	v_add_f64 v[14:15], v[35:36], -v[52:53]
	v_add_f64 v[16:17], v[14:15], v[12:13]
	v_mul_f64 v[18:19], v[16:17], s[6:7]
	v_add_f64 v[14:15], v[16:17], -v[14:15]
	v_fma_f64 v[33:34], v[16:17], s[6:7], -v[18:19]
	v_add_f64 v[12:13], v[12:13], -v[14:15]
	v_fma_f64 v[14:15], v[16:17], s[8:9], v[33:34]
	v_fma_f64 v[14:15], v[12:13], s[6:7], v[14:15]
	v_add_f64 v[12:13], v[18:19], v[14:15]
	v_add_f64 v[16:17], v[12:13], -v[18:19]
	v_add_f64 v[14:15], v[14:15], -v[16:17]
	s_andn2_saveexec_b32 s5, s5
	s_cbranch_execz .LBB183_35
	s_branch .LBB183_34
.LBB183_33:
	s_andn2_saveexec_b32 s5, s5
	s_cbranch_execz .LBB183_35
.LBB183_34:
	s_mov_b32 s6, 0x6dc9c883
	s_mov_b32 s7, 0x3fe45f30
	;; [unrolled: 1-line block ×3, first 2 shown]
	v_mul_f64 v[12:13], |v[6:7]|, s[6:7]
	s_mov_b32 s6, 0x54442d18
	s_mov_b32 s7, 0xbff921fb
	;; [unrolled: 1-line block ×3, first 2 shown]
	v_rndne_f64_e32 v[16:17], v[12:13]
	v_fma_f64 v[12:13], v[16:17], s[6:7], |v[6:7]|
	v_mul_f64 v[14:15], v[16:17], s[8:9]
	s_mov_b32 s6, 0x252049c0
	s_mov_b32 s7, 0xb97b839a
	v_fma_f64 v[30:31], v[16:17], s[8:9], v[12:13]
	v_add_f64 v[18:19], v[12:13], v[14:15]
	s_mov_b32 s9, 0x3c91a626
	v_add_f64 v[12:13], v[12:13], -v[18:19]
	v_add_f64 v[18:19], v[18:19], -v[30:31]
	v_add_f64 v[12:13], v[12:13], v[14:15]
	v_fma_f64 v[14:15], v[16:17], s[8:9], v[14:15]
	v_add_f64 v[12:13], v[18:19], v[12:13]
	v_add_f64 v[12:13], v[12:13], -v[14:15]
	v_fma_f64 v[14:15], v[16:17], s[6:7], v[12:13]
	v_add_f64 v[12:13], v[30:31], v[14:15]
	v_add_f64 v[18:19], v[12:13], -v[30:31]
	v_cvt_i32_f64_e32 v30, v[16:17]
	v_add_f64 v[14:15], v[14:15], -v[18:19]
.LBB183_35:
	s_or_b32 exec_lo, exec_lo, s5
                                        ; implicit-def: $vgpr31
                                        ; implicit-def: $vgpr16_vgpr17
                                        ; implicit-def: $vgpr18_vgpr19
	s_and_saveexec_b32 s5, s4
	s_xor_b32 s4, exec_lo, s5
	s_cbranch_execz .LBB183_37
; %bb.36:
	v_cmp_le_f64_e64 vcc_lo, 0x7b000000, |v[6:7]|
	v_mov_b32_e32 v50, 0
	s_mov_b32 s6, 0x54442d18
	s_mov_b32 s7, 0x3ff921fb
	;; [unrolled: 1-line block ×4, first 2 shown]
	v_cndmask_b32_e32 v17, v32, v27, vcc_lo
	v_cndmask_b32_e32 v16, v6, v26, vcc_lo
	v_mul_f64 v[18:19], v[24:25], v[16:17]
	v_mul_f64 v[26:27], v[22:23], v[16:17]
	;; [unrolled: 1-line block ×3, first 2 shown]
	v_fma_f64 v[24:25], v[24:25], v[16:17], -v[18:19]
	v_fma_f64 v[22:23], v[22:23], v[16:17], -v[26:27]
	;; [unrolled: 1-line block ×3, first 2 shown]
	v_add_f64 v[31:32], v[26:27], v[24:25]
	v_add_f64 v[33:34], v[31:32], -v[26:27]
	v_add_f64 v[37:38], v[18:19], v[31:32]
	v_add_f64 v[35:36], v[31:32], -v[33:34]
	v_add_f64 v[24:25], v[24:25], -v[33:34]
	v_ldexp_f64 v[33:34], v[37:38], -2
	v_add_f64 v[18:19], v[37:38], -v[18:19]
	v_add_f64 v[26:27], v[26:27], -v[35:36]
	v_add_f64 v[35:36], v[48:49], v[22:23]
	v_cmp_neq_f64_e64 vcc_lo, 0x7ff00000, |v[33:34]|
	v_add_f64 v[18:19], v[31:32], -v[18:19]
	v_add_f64 v[24:25], v[24:25], v[26:27]
	v_fract_f64_e32 v[26:27], v[33:34]
	v_add_f64 v[31:32], v[35:36], v[24:25]
	v_ldexp_f64 v[26:27], v[26:27], 2
	v_add_f64 v[33:34], v[18:19], v[31:32]
	v_cndmask_b32_e32 v27, 0, v27, vcc_lo
	v_cndmask_b32_e32 v26, 0, v26, vcc_lo
	v_add_f64 v[37:38], v[33:34], v[26:27]
	v_add_f64 v[18:19], v[33:34], -v[18:19]
	v_cmp_gt_f64_e32 vcc_lo, 0, v[37:38]
	v_add_f64 v[37:38], v[35:36], -v[48:49]
	v_add_f64 v[18:19], v[31:32], -v[18:19]
	v_cndmask_b32_e64 v51, 0, 0x40100000, vcc_lo
	v_add_f64 v[64:65], v[35:36], -v[37:38]
	v_add_f64 v[22:23], v[22:23], -v[37:38]
	v_add_f64 v[26:27], v[26:27], v[50:51]
	v_add_f64 v[51:52], v[31:32], -v[35:36]
	v_add_f64 v[37:38], v[48:49], -v[64:65]
	v_add_f64 v[53:54], v[33:34], v[26:27]
	;; [unrolled: 3-line block ×3, first 2 shown]
	v_cvt_i32_f64_e32 v39, v[53:54]
	v_add_f64 v[35:36], v[35:36], -v[66:67]
	v_cvt_f64_i32_e32 v[51:52], v39
	v_add_f64 v[24:25], v[24:25], v[35:36]
	v_add_f64 v[26:27], v[26:27], -v[51:52]
	v_add_f64 v[20:21], v[22:23], v[24:25]
	v_add_f64 v[22:23], v[33:34], v[26:27]
	;; [unrolled: 1-line block ×3, first 2 shown]
	v_add_f64 v[20:21], v[22:23], -v[26:27]
	v_cmp_le_f64_e32 vcc_lo, 0.5, v[22:23]
	v_add_f64 v[16:17], v[18:19], v[16:17]
	v_add_f64 v[18:19], v[33:34], -v[20:21]
	v_cndmask_b32_e64 v51, 0, 0x3ff00000, vcc_lo
	v_add_co_ci_u32_e64 v31, null, 0, v39, vcc_lo
	v_add_f64 v[16:17], v[16:17], v[18:19]
	v_add_f64 v[18:19], v[22:23], -v[50:51]
	v_add_f64 v[20:21], v[18:19], v[16:17]
	v_mul_f64 v[22:23], v[20:21], s[6:7]
	v_add_f64 v[18:19], v[20:21], -v[18:19]
	v_fma_f64 v[24:25], v[20:21], s[6:7], -v[22:23]
	v_add_f64 v[16:17], v[16:17], -v[18:19]
	v_fma_f64 v[18:19], v[20:21], s[8:9], v[24:25]
	v_fma_f64 v[18:19], v[16:17], s[6:7], v[18:19]
	v_add_f64 v[16:17], v[22:23], v[18:19]
	v_add_f64 v[20:21], v[16:17], -v[22:23]
	v_add_f64 v[18:19], v[18:19], -v[20:21]
	s_andn2_saveexec_b32 s4, s4
	s_cbranch_execnz .LBB183_38
	s_branch .LBB183_39
.LBB183_37:
	s_andn2_saveexec_b32 s4, s4
	s_cbranch_execz .LBB183_39
.LBB183_38:
	s_mov_b32 s6, 0x6dc9c883
	s_mov_b32 s7, 0x3fe45f30
	;; [unrolled: 1-line block ×3, first 2 shown]
	v_mul_f64 v[16:17], |v[6:7]|, s[6:7]
	s_mov_b32 s6, 0x54442d18
	s_mov_b32 s7, 0xbff921fb
	;; [unrolled: 1-line block ×3, first 2 shown]
	v_rndne_f64_e32 v[20:21], v[16:17]
	v_fma_f64 v[16:17], v[20:21], s[6:7], |v[6:7]|
	v_mul_f64 v[18:19], v[20:21], s[8:9]
	s_mov_b32 s6, 0x252049c0
	s_mov_b32 s7, 0xb97b839a
	v_cvt_i32_f64_e32 v31, v[20:21]
	v_fma_f64 v[24:25], v[20:21], s[8:9], v[16:17]
	v_add_f64 v[22:23], v[16:17], v[18:19]
	s_mov_b32 s9, 0x3c91a626
	v_add_f64 v[16:17], v[16:17], -v[22:23]
	v_add_f64 v[22:23], v[22:23], -v[24:25]
	v_add_f64 v[16:17], v[16:17], v[18:19]
	v_fma_f64 v[18:19], v[20:21], s[8:9], v[18:19]
	v_add_f64 v[16:17], v[22:23], v[16:17]
	v_add_f64 v[16:17], v[16:17], -v[18:19]
	v_fma_f64 v[18:19], v[20:21], s[6:7], v[16:17]
	v_add_f64 v[16:17], v[24:25], v[18:19]
	v_add_f64 v[22:23], v[16:17], -v[24:25]
	v_add_f64 v[18:19], v[18:19], -v[22:23]
.LBB183_39:
	s_or_b32 exec_lo, exec_lo, s4
	v_mul_f64 v[20:21], v[0:1], v[0:1]
	s_mov_b32 s8, 0xb42fdfa7
	s_mov_b32 s12, 0xf9a43bb8
	;; [unrolled: 1-line block ×16, first 2 shown]
	v_mul_f64 v[34:35], v[4:5], v[4:5]
	v_mul_f64 v[36:37], v[12:13], v[12:13]
	s_mov_b32 s28, 0x11110bb3
	s_mov_b32 s22, 0x16c16967
	;; [unrolled: 1-line block ×3, first 2 shown]
	v_fma_f64 v[22:23], v[20:21], s[12:13], s[8:9]
	v_fma_f64 v[24:25], v[20:21], s[6:7], s[4:5]
	v_mul_f64 v[26:27], v[20:21], 0.5
	s_mov_b32 s23, 0xbf56c16c
	v_mul_f64 v[48:49], v[2:3], 0.5
	v_mul_f64 v[50:51], v[0:1], -v[20:21]
	v_mul_f64 v[54:55], v[16:17], v[16:17]
	s_mov_b32 s10, 0x55555555
	s_mov_b32 s41, 0x3fa55555
	;; [unrolled: 1-line block ×3, first 2 shown]
	v_mul_f64 v[70:71], v[20:21], v[20:21]
	s_mov_b32 s11, 0xbfc55555
	v_mul_f64 v[52:53], v[34:35], 0.5
	v_mul_f64 v[64:65], v[36:37], 0.5
	v_fma_f64 v[66:67], v[34:35], s[12:13], s[8:9]
	v_fma_f64 v[80:81], v[36:37], s[12:13], s[8:9]
	;; [unrolled: 1-line block ×4, first 2 shown]
	v_add_f64 v[32:33], -v[26:27], 1.0
	v_mul_f64 v[84:85], v[16:17], -v[54:55]
	v_add_f64 v[68:69], -v[64:65], 1.0
	v_fma_f64 v[66:67], v[34:35], v[66:67], s[16:17]
	v_fma_f64 v[80:81], v[36:37], v[80:81], s[16:17]
	;; [unrolled: 1-line block ×4, first 2 shown]
	v_add_f64 v[38:39], -v[32:33], 1.0
	v_fma_f64 v[66:67], v[34:35], v[66:67], s[18:19]
	v_fma_f64 v[80:81], v[36:37], v[80:81], s[18:19]
	;; [unrolled: 1-line block ×4, first 2 shown]
	v_add_f64 v[26:27], v[38:39], -v[26:27]
	v_add_f64 v[38:39], -v[52:53], 1.0
	v_fma_f64 v[66:67], v[34:35], v[66:67], s[28:29]
	v_fma_f64 v[80:81], v[36:37], v[80:81], s[28:29]
	v_fma_f64 v[22:23], v[50:51], v[22:23], v[48:49]
	v_mul_f64 v[48:49], v[54:55], 0.5
	v_fma_f64 v[24:25], v[20:21], v[24:25], s[40:41]
	v_fma_f64 v[26:27], v[0:1], -v[2:3], v[26:27]
	v_add_f64 v[82:83], -v[38:39], 1.0
	v_fma_f64 v[2:3], v[20:21], v[22:23], -v[2:3]
	v_add_f64 v[20:21], -v[48:49], 1.0
	v_add_f64 v[22:23], -v[68:69], 1.0
	v_fma_f64 v[24:25], v[70:71], v[24:25], v[26:27]
	v_fma_f64 v[26:27], v[54:55], s[12:13], s[8:9]
	v_mul_f64 v[70:71], v[10:11], 0.5
	v_add_f64 v[52:53], v[82:83], -v[52:53]
	v_fma_f64 v[2:3], v[50:51], s[10:11], v[2:3]
	v_add_f64 v[82:83], -v[20:21], 1.0
	v_add_f64 v[22:23], v[22:23], -v[64:65]
	v_mul_f64 v[64:65], v[4:5], -v[34:35]
	v_fma_f64 v[26:27], v[54:55], v[26:27], s[16:17]
	v_add_f64 v[24:25], v[32:33], v[24:25]
	v_fma_f64 v[52:53], v[4:5], -v[10:11], v[52:53]
	v_and_b32_e32 v32, 1, v30
	v_add_f64 v[0:1], v[0:1], -v[2:3]
	v_add_f64 v[48:49], v[82:83], -v[48:49]
	v_mul_f64 v[82:83], v[14:15], 0.5
	v_fma_f64 v[66:67], v[64:65], v[66:67], v[70:71]
	v_mul_f64 v[70:71], v[12:13], -v[36:37]
	v_fma_f64 v[26:27], v[54:55], v[26:27], s[18:19]
	v_fma_f64 v[22:23], v[12:13], -v[14:15], v[22:23]
	v_fma_f64 v[48:49], v[16:17], -v[18:19], v[48:49]
	v_fma_f64 v[10:11], v[34:35], v[66:67], -v[10:11]
	v_fma_f64 v[80:81], v[70:71], v[80:81], v[82:83]
	v_mul_f64 v[82:83], v[18:19], 0.5
	v_fma_f64 v[26:27], v[54:55], v[26:27], s[28:29]
	v_fma_f64 v[66:67], v[36:37], s[6:7], s[4:5]
	;; [unrolled: 1-line block ×3, first 2 shown]
	v_fma_f64 v[14:15], v[36:37], v[80:81], -v[14:15]
	v_fma_f64 v[80:81], v[34:35], s[6:7], s[4:5]
	v_fma_f64 v[26:27], v[84:85], v[26:27], v[82:83]
	;; [unrolled: 1-line block ×3, first 2 shown]
	v_add_f64 v[4:5], v[4:5], -v[10:11]
	v_fma_f64 v[14:15], v[70:71], s[10:11], v[14:15]
	v_fma_f64 v[80:81], v[34:35], v[80:81], s[14:15]
	v_fma_f64 v[18:19], v[54:55], v[26:27], -v[18:19]
	v_fma_f64 v[26:27], v[54:55], s[6:7], s[4:5]
	v_fma_f64 v[66:67], v[36:37], v[66:67], s[20:21]
	v_cmp_class_f64_e64 s4, v[8:9], 0x1f8
	v_cmp_class_f64_e64 s6, v[6:7], 0x1f8
	v_cmp_eq_u32_e64 s5, 0, v32
	v_xor_b32_e32 v5, 0x80000000, v5
	v_add_f64 v[12:13], v[12:13], -v[14:15]
	v_fma_f64 v[80:81], v[34:35], v[80:81], s[20:21]
	v_fma_f64 v[18:19], v[84:85], s[10:11], v[18:19]
	;; [unrolled: 1-line block ×5, first 2 shown]
	v_add_f64 v[14:15], v[16:17], -v[18:19]
	v_fma_f64 v[26:27], v[54:55], v[26:27], s[20:21]
	v_fma_f64 v[66:67], v[36:37], v[66:67], s[40:41]
	v_mul_f64 v[36:37], v[36:37], v[36:37]
	v_lshlrev_b32_e32 v18, 30, v30
	v_lshlrev_b32_e32 v19, 30, v31
	v_xor_b32_e32 v18, v18, v7
	v_and_b32_e32 v19, 0x80000000, v19
	v_and_b32_e32 v7, 0x80000000, v18
	v_fma_f64 v[80:81], v[34:35], v[80:81], s[40:41]
	v_mul_f64 v[34:35], v[34:35], v[34:35]
	v_fma_f64 v[26:27], v[54:55], v[26:27], s[22:23]
	v_xor_b32_e32 v8, 0x80000000, v15
	v_fma_f64 v[22:23], v[36:37], v[66:67], v[22:23]
	v_fma_f64 v[34:35], v[34:35], v[80:81], v[52:53]
	v_fma_f64 v[26:27], v[54:55], v[26:27], s[40:41]
	v_mul_f64 v[54:55], v[54:55], v[54:55]
	v_add_f64 v[2:3], v[68:69], v[22:23]
	v_and_b32_e32 v22, 1, v28
	v_lshlrev_b32_e32 v23, 30, v28
	v_and_b32_e32 v28, 1, v29
	v_lshlrev_b32_e32 v29, 30, v29
	v_cmp_eq_u32_e32 vcc_lo, 0, v22
	v_cmp_eq_u32_e64 s7, 0, v28
	v_cndmask_b32_e32 v1, v25, v1, vcc_lo
	v_cndmask_b32_e32 v0, v24, v0, vcc_lo
	v_cndmask_b32_e64 v0, 0, v0, s4
	v_add_f64 v[10:11], v[38:39], v[34:35]
	v_fma_f64 v[26:27], v[54:55], v[26:27], v[48:49]
	v_cndmask_b32_e64 v3, v3, v13, s5
	v_cndmask_b32_e64 v2, v2, v12, s5
	v_xor_b32_e32 v3, v3, v7
	v_cndmask_b32_e64 v2, 0, v2, s6
	v_cndmask_b32_e64 v3, 0x7ff80000, v3, s6
	;; [unrolled: 1-line block ×4, first 2 shown]
	v_add_f64 v[16:17], v[20:21], v[26:27]
	v_and_b32_e32 v20, 1, v31
	v_xor_b32_e32 v21, v23, v9
	v_and_b32_e32 v23, 0x80000000, v29
	v_cndmask_b32_e64 v4, 0, v4, s4
	v_cmp_eq_u32_e64 s8, 0, v20
	v_and_b32_e32 v6, 0x80000000, v21
	v_xor_b32_e32 v5, v5, v23
	v_xor_b32_e32 v1, v1, v6
	v_cndmask_b32_e64 v5, 0x7ff80000, v5, s4
	v_cndmask_b32_e64 v1, 0x7ff80000, v1, s4
	v_cmp_neq_f64_e32 vcc_lo, 0, v[4:5]
	v_cndmask_b32_e64 v6, v8, v17, s8
	v_cndmask_b32_e64 v9, v14, v16, s8
	v_cmp_neq_f64_e64 s4, 0, v[0:1]
	v_xor_b32_e32 v7, v6, v19
	v_cndmask_b32_e64 v6, 0, v9, s6
	v_mul_f64 v[8:9], 0x7ff00000, v[4:5]
	v_mul_f64 v[4:5], 0x7ff00000, v[0:1]
	v_cndmask_b32_e64 v7, 0x7ff80000, v7, s6
	v_cmp_neq_f64_e64 s6, 0, v[2:3]
	v_mul_f64 v[0:1], 0x7ff00000, v[6:7]
	v_cmp_neq_f64_e64 s5, 0, v[6:7]
	v_mul_f64 v[6:7], 0x7ff00000, v[2:3]
	v_cndmask_b32_e32 v3, 0, v9, vcc_lo
	v_cndmask_b32_e32 v2, 0, v8, vcc_lo
	v_cndmask_b32_e64 v5, 0, v5, s4
	v_cndmask_b32_e64 v4, 0, v4, s4
	;; [unrolled: 1-line block ×6, first 2 shown]
	v_add_f64 v[2:3], v[2:3], v[0:1]
	v_add_f64 v[0:1], v[4:5], v[6:7]
	v_add_f64 v[10:11], v[2:3], -1.0
	v_max_f64 v[4:5], |v[0:1]|, |v[0:1]|
	v_cmp_class_f64_e64 s8, v[0:1], 0x204
	v_cmp_class_f64_e64 s6, v[10:11], 0x204
	v_max_f64 v[2:3], |v[10:11]|, v[4:5]
	s_or_b32 s6, s8, s6
	v_frexp_exp_i32_f64_e32 v14, v[2:3]
	v_sub_nc_u32_e32 v6, 0, v14
	v_ldexp_f64 v[2:3], |v[0:1]|, v6
	v_ldexp_f64 v[6:7], |v[10:11]|, v6
	v_mul_f64 v[2:3], v[2:3], v[2:3]
	v_fma_f64 v[2:3], v[6:7], v[6:7], v[2:3]
	v_rsq_f64_e32 v[6:7], v[2:3]
	v_cmp_eq_f64_e32 vcc_lo, 0, v[2:3]
	v_mul_f64 v[8:9], v[2:3], v[6:7]
	v_mul_f64 v[6:7], v[6:7], 0.5
	v_fma_f64 v[12:13], -v[6:7], v[8:9], 0.5
	v_fma_f64 v[8:9], v[8:9], v[12:13], v[8:9]
	v_fma_f64 v[6:7], v[6:7], v[12:13], v[6:7]
	v_fma_f64 v[12:13], -v[8:9], v[8:9], v[2:3]
	v_fma_f64 v[6:7], v[12:13], v[6:7], v[8:9]
	v_cndmask_b32_e32 v7, v7, v3, vcc_lo
	v_cndmask_b32_e32 v6, v6, v2, vcc_lo
	v_add_f64 v[2:3], v[10:11], 1.0
	v_cmp_u_f64_e32 vcc_lo, v[10:11], v[0:1]
	v_ldexp_f64 v[8:9], v[6:7], v14
	v_max_f64 v[6:7], |v[2:3]|, v[4:5]
	v_cmp_u_f64_e64 s4, v[2:3], v[0:1]
	v_cmp_class_f64_e64 s9, v[2:3], 0x204
	s_or_b32 s6, s6, vcc_lo
	v_cmp_ngt_f64_e64 s5, 0.5, v[8:9]
	s_or_b32 s5, s6, s5
	s_and_saveexec_b32 s6, s5
	s_xor_b32 s5, exec_lo, s6
	s_cbranch_execz .LBB183_41
; %bb.40:
	v_frexp_exp_i32_f64_e32 v16, v[6:7]
	s_or_b32 s6, s8, s9
	s_mov_b32 s11, 0x3fe55555
	s_mov_b32 s12, 0xbf559e2b
	;; [unrolled: 1-line block ×3, first 2 shown]
	v_sub_nc_u32_e32 v10, 0, v16
	v_ldexp_f64 v[8:9], |v[0:1]|, v10
	v_ldexp_f64 v[10:11], |v[2:3]|, v10
	v_mul_f64 v[8:9], v[8:9], v[8:9]
	v_fma_f64 v[8:9], v[10:11], v[10:11], v[8:9]
	v_rsq_f64_e32 v[10:11], v[8:9]
	v_cmp_eq_f64_e32 vcc_lo, 0, v[8:9]
	v_mul_f64 v[12:13], v[8:9], v[10:11]
	v_mul_f64 v[10:11], v[10:11], 0.5
	v_fma_f64 v[14:15], -v[10:11], v[12:13], 0.5
	v_fma_f64 v[12:13], v[12:13], v[14:15], v[12:13]
	v_fma_f64 v[10:11], v[10:11], v[14:15], v[10:11]
	v_fma_f64 v[14:15], -v[12:13], v[12:13], v[8:9]
	v_fma_f64 v[10:11], v[14:15], v[10:11], v[12:13]
	v_cndmask_b32_e32 v9, v11, v9, vcc_lo
	v_cndmask_b32_e32 v8, v10, v8, vcc_lo
	v_ldexp_f64 v[8:9], v[8:9], v16
	v_cndmask_b32_e64 v9, v9, 0x7ff80000, s4
	v_cndmask_b32_e64 v9, v9, 0x7ff00000, s6
	s_or_b32 s6, s6, s4
	v_cndmask_b32_e64 v8, v8, 0, s6
	s_mov_b32 s6, 0x6b47b09a
	s_mov_b32 s7, 0x3fc38538
	v_frexp_mant_f64_e32 v[10:11], v[8:9]
	v_cmp_gt_f64_e32 vcc_lo, s[10:11], v[10:11]
	s_mov_b32 s10, 0x55555780
	v_cndmask_b32_e64 v12, 0, 1, vcc_lo
	v_ldexp_f64 v[10:11], v[10:11], v12
	v_add_f64 v[12:13], v[10:11], 1.0
	v_add_f64 v[18:19], v[10:11], -1.0
	v_rcp_f64_e32 v[14:15], v[12:13]
	v_add_f64 v[20:21], v[12:13], -1.0
	v_add_f64 v[10:11], v[10:11], -v[20:21]
	v_fma_f64 v[16:17], -v[12:13], v[14:15], 1.0
	v_fma_f64 v[14:15], v[16:17], v[14:15], v[14:15]
	v_fma_f64 v[16:17], -v[12:13], v[14:15], 1.0
	v_fma_f64 v[14:15], v[16:17], v[14:15], v[14:15]
	v_mul_f64 v[16:17], v[18:19], v[14:15]
	v_mul_f64 v[22:23], v[12:13], v[16:17]
	v_fma_f64 v[12:13], v[16:17], v[12:13], -v[22:23]
	v_fma_f64 v[10:11], v[16:17], v[10:11], v[12:13]
	v_add_f64 v[12:13], v[22:23], v[10:11]
	v_add_f64 v[20:21], v[18:19], -v[12:13]
	v_add_f64 v[22:23], v[12:13], -v[22:23]
	;; [unrolled: 1-line block ×4, first 2 shown]
	v_frexp_exp_i32_f64_e32 v22, v[8:9]
	v_add_f64 v[12:13], v[18:19], -v[12:13]
	v_add_f64 v[10:11], v[10:11], v[12:13]
	v_add_f64 v[10:11], v[20:21], v[10:11]
	v_mul_f64 v[10:11], v[14:15], v[10:11]
	v_add_f64 v[12:13], v[16:17], v[10:11]
	v_mul_f64 v[14:15], v[12:13], v[12:13]
	v_fma_f64 v[18:19], v[14:15], s[12:13], s[6:7]
	s_mov_b32 s6, 0xd7f4df2e
	s_mov_b32 s7, 0x3fc7474d
	v_mul_f64 v[20:21], v[12:13], v[14:15]
	v_fma_f64 v[18:19], v[14:15], v[18:19], s[6:7]
	s_mov_b32 s6, 0x16291751
	s_mov_b32 s7, 0x3fcc71c0
	v_fma_f64 v[18:19], v[14:15], v[18:19], s[6:7]
	s_mov_b32 s6, 0x9b27acf1
	s_mov_b32 s7, 0x3fd24924
	;; [unrolled: 3-line block ×4, first 2 shown]
	v_fma_f64 v[14:15], v[14:15], v[18:19], s[10:11]
	v_ldexp_f64 v[18:19], v[12:13], 1
	v_add_f64 v[12:13], v[12:13], -v[16:17]
	v_mul_f64 v[14:15], v[20:21], v[14:15]
	v_subrev_co_ci_u32_e64 v20, null, 0, v22, vcc_lo
	v_add_f64 v[10:11], v[10:11], -v[12:13]
	v_cmp_class_f64_e64 vcc_lo, v[8:9], 0x204
	v_cvt_f64_i32_e32 v[20:21], v20
	v_add_f64 v[16:17], v[18:19], v[14:15]
	v_ldexp_f64 v[10:11], v[10:11], 1
	v_mul_f64 v[22:23], v[20:21], s[6:7]
	v_add_f64 v[12:13], v[16:17], -v[18:19]
	v_fma_f64 v[18:19], v[20:21], s[6:7], -v[22:23]
	s_mov_b32 s6, 0x3b39803f
	s_mov_b32 s7, 0x3c7abc9e
	v_add_f64 v[12:13], v[14:15], -v[12:13]
	v_fma_f64 v[14:15], v[20:21], s[6:7], v[18:19]
	v_add_f64 v[10:11], v[10:11], v[12:13]
	v_add_f64 v[12:13], v[22:23], v[14:15]
	v_add_f64 v[18:19], v[16:17], v[10:11]
	v_add_f64 v[22:23], v[12:13], -v[22:23]
	v_add_f64 v[20:21], v[12:13], v[18:19]
	v_add_f64 v[16:17], v[18:19], -v[16:17]
	v_add_f64 v[14:15], v[14:15], -v[22:23]
	v_add_f64 v[24:25], v[20:21], -v[12:13]
	v_add_f64 v[10:11], v[10:11], -v[16:17]
	v_add_f64 v[26:27], v[20:21], -v[24:25]
	v_add_f64 v[16:17], v[18:19], -v[24:25]
	v_add_f64 v[18:19], v[14:15], v[10:11]
	v_add_f64 v[12:13], v[12:13], -v[26:27]
	v_add_f64 v[12:13], v[16:17], v[12:13]
	v_add_f64 v[16:17], v[18:19], -v[14:15]
	v_add_f64 v[12:13], v[18:19], v[12:13]
	v_add_f64 v[18:19], v[18:19], -v[16:17]
	v_add_f64 v[10:11], v[10:11], -v[16:17]
	v_add_f64 v[22:23], v[20:21], v[12:13]
	v_add_f64 v[14:15], v[14:15], -v[18:19]
	v_add_f64 v[16:17], v[22:23], -v[20:21]
	v_add_f64 v[10:11], v[10:11], v[14:15]
	v_add_f64 v[12:13], v[12:13], -v[16:17]
	v_add_f64 v[10:11], v[10:11], v[12:13]
	v_add_f64 v[10:11], v[22:23], v[10:11]
	v_cndmask_b32_e32 v10, v10, v8, vcc_lo
	v_cndmask_b32_e32 v11, v11, v9, vcc_lo
	v_cmp_ngt_f64_e32 vcc_lo, 0, v[8:9]
	v_cndmask_b32_e32 v11, 0x7ff80000, v11, vcc_lo
	v_cmp_nge_f64_e32 vcc_lo, 0, v[8:9]
	v_cndmask_b32_e32 v10, 0, v10, vcc_lo
	v_cmp_neq_f64_e32 vcc_lo, 0, v[8:9]
	v_cndmask_b32_e32 v11, 0xfff00000, v11, vcc_lo
.LBB183_41:
	s_andn2_saveexec_b32 s10, s5
	s_cbranch_execz .LBB183_45
; %bb.42:
	v_add_f64 v[8:9], v[10:11], 2.0
	s_mov_b32 s11, exec_lo
	v_mul_f64 v[8:9], v[10:11], v[8:9]
	v_fma_f64 v[8:9], v[0:1], v[0:1], v[8:9]
	v_cmpx_neq_f64_e32 0, v[8:9]
	s_cbranch_execz .LBB183_44
; %bb.43:
	v_add_f64 v[10:11], v[8:9], 1.0
	s_mov_b32 s7, 0x3fe55555
	s_mov_b32 s6, 0x55555555
	;; [unrolled: 1-line block ×6, first 2 shown]
	v_cmp_neq_f64_e64 s5, 0x7ff00000, v[8:9]
	v_frexp_mant_f64_e32 v[12:13], v[10:11]
	v_frexp_exp_i32_f64_e32 v16, v[10:11]
	v_add_f64 v[14:15], v[10:11], -1.0
	v_cmp_gt_f64_e32 vcc_lo, s[6:7], v[12:13]
	s_mov_b32 s6, 0x55555780
	v_add_f64 v[12:13], v[14:15], -v[10:11]
	v_add_f64 v[14:15], v[8:9], -v[14:15]
	v_subrev_co_ci_u32_e64 v32, null, 0, v16, vcc_lo
	v_add_f64 v[12:13], v[12:13], 1.0
	v_cmp_nge_f64_e32 vcc_lo, -1.0, v[8:9]
	v_sub_nc_u32_e32 v18, 0, v32
	v_ldexp_f64 v[10:11], v[10:11], v18
	v_add_f64 v[12:13], v[14:15], v[12:13]
	s_and_b32 vcc_lo, vcc_lo, s5
	v_add_f64 v[16:17], v[10:11], 1.0
	v_add_f64 v[22:23], v[10:11], -1.0
	v_ldexp_f64 v[12:13], v[12:13], v18
	v_add_f64 v[14:15], v[16:17], -1.0
	v_add_f64 v[24:25], v[22:23], 1.0
	v_add_f64 v[14:15], v[10:11], -v[14:15]
	v_add_f64 v[10:11], v[10:11], -v[24:25]
	v_add_f64 v[14:15], v[12:13], v[14:15]
	v_add_f64 v[10:11], v[12:13], v[10:11]
	;; [unrolled: 1-line block ×4, first 2 shown]
	v_rcp_f64_e32 v[20:21], v[18:19]
	v_add_f64 v[16:17], v[18:19], -v[16:17]
	v_add_f64 v[22:23], v[24:25], -v[22:23]
	;; [unrolled: 1-line block ×3, first 2 shown]
	v_fma_f64 v[26:27], -v[18:19], v[20:21], 1.0
	v_add_f64 v[10:11], v[10:11], -v[22:23]
	v_fma_f64 v[20:21], v[26:27], v[20:21], v[20:21]
	v_fma_f64 v[12:13], -v[18:19], v[20:21], 1.0
	v_fma_f64 v[12:13], v[12:13], v[20:21], v[20:21]
	v_mul_f64 v[20:21], v[24:25], v[12:13]
	v_mul_f64 v[26:27], v[18:19], v[20:21]
	v_fma_f64 v[16:17], v[20:21], v[18:19], -v[26:27]
	v_fma_f64 v[16:17], v[20:21], v[14:15], v[16:17]
	v_add_f64 v[28:29], v[26:27], v[16:17]
	v_add_f64 v[30:31], v[24:25], -v[28:29]
	v_add_f64 v[22:23], v[28:29], -v[26:27]
	;; [unrolled: 1-line block ×5, first 2 shown]
	v_add_f64 v[10:11], v[10:11], v[24:25]
	v_add_f64 v[10:11], v[16:17], v[10:11]
	;; [unrolled: 1-line block ×3, first 2 shown]
	v_mul_f64 v[22:23], v[12:13], v[16:17]
	v_add_f64 v[28:29], v[30:31], -v[16:17]
	v_mul_f64 v[24:25], v[18:19], v[22:23]
	v_add_f64 v[10:11], v[10:11], v[28:29]
	v_fma_f64 v[18:19], v[22:23], v[18:19], -v[24:25]
	v_fma_f64 v[14:15], v[22:23], v[14:15], v[18:19]
	v_add_f64 v[18:19], v[24:25], v[14:15]
	v_add_f64 v[26:27], v[16:17], -v[18:19]
	v_add_f64 v[24:25], v[18:19], -v[24:25]
	v_add_f64 v[16:17], v[16:17], -v[26:27]
	v_add_f64 v[14:15], v[24:25], -v[14:15]
	v_add_f64 v[16:17], v[16:17], -v[18:19]
	v_add_f64 v[10:11], v[10:11], v[16:17]
	v_add_f64 v[16:17], v[20:21], v[22:23]
	;; [unrolled: 1-line block ×3, first 2 shown]
	v_add_f64 v[14:15], v[16:17], -v[20:21]
	v_add_f64 v[10:11], v[26:27], v[10:11]
	v_add_f64 v[14:15], v[22:23], -v[14:15]
	v_mul_f64 v[10:11], v[12:13], v[10:11]
	v_add_f64 v[10:11], v[14:15], v[10:11]
	v_add_f64 v[12:13], v[16:17], v[10:11]
	v_mul_f64 v[14:15], v[12:13], v[12:13]
	v_fma_f64 v[18:19], v[14:15], s[14:15], s[12:13]
	s_mov_b32 s12, 0xd7f4df2e
	s_mov_b32 s13, 0x3fc7474d
	v_mul_f64 v[20:21], v[12:13], v[14:15]
	v_fma_f64 v[18:19], v[14:15], v[18:19], s[12:13]
	s_mov_b32 s12, 0x16291751
	s_mov_b32 s13, 0x3fcc71c0
	v_fma_f64 v[18:19], v[14:15], v[18:19], s[12:13]
	s_mov_b32 s12, 0x9b27acf1
	s_mov_b32 s13, 0x3fd24924
	v_fma_f64 v[18:19], v[14:15], v[18:19], s[12:13]
	s_mov_b32 s12, 0x998ef7b6
	s_mov_b32 s13, 0x3fd99999
	v_fma_f64 v[18:19], v[14:15], v[18:19], s[12:13]
	v_fma_f64 v[14:15], v[14:15], v[18:19], s[6:7]
	v_ldexp_f64 v[18:19], v[12:13], 1
	v_add_f64 v[12:13], v[12:13], -v[16:17]
	s_mov_b32 s6, 0xfefa39ef
	s_mov_b32 s7, 0x3fe62e42
	v_mul_f64 v[14:15], v[20:21], v[14:15]
	v_cvt_f64_i32_e32 v[20:21], v32
	v_add_f64 v[10:11], v[10:11], -v[12:13]
	v_add_f64 v[16:17], v[18:19], v[14:15]
	v_mul_f64 v[22:23], v[20:21], s[6:7]
	v_ldexp_f64 v[10:11], v[10:11], 1
	v_add_f64 v[12:13], v[16:17], -v[18:19]
	v_fma_f64 v[18:19], v[20:21], s[6:7], -v[22:23]
	s_mov_b32 s6, 0x3b39803f
	s_mov_b32 s7, 0x3c7abc9e
	v_add_f64 v[12:13], v[14:15], -v[12:13]
	v_fma_f64 v[14:15], v[20:21], s[6:7], v[18:19]
	v_cmp_ngt_f64_e64 s6, -1.0, v[8:9]
	v_add_f64 v[10:11], v[10:11], v[12:13]
	v_add_f64 v[12:13], v[22:23], v[14:15]
	v_add_f64 v[18:19], v[16:17], v[10:11]
	v_add_f64 v[22:23], v[12:13], -v[22:23]
	v_add_f64 v[20:21], v[12:13], v[18:19]
	v_add_f64 v[16:17], v[18:19], -v[16:17]
	v_add_f64 v[14:15], v[14:15], -v[22:23]
	;; [unrolled: 1-line block ×6, first 2 shown]
	v_add_f64 v[18:19], v[14:15], v[10:11]
	v_add_f64 v[12:13], v[12:13], -v[26:27]
	v_add_f64 v[12:13], v[16:17], v[12:13]
	v_add_f64 v[16:17], v[18:19], -v[14:15]
	v_add_f64 v[12:13], v[18:19], v[12:13]
	v_add_f64 v[18:19], v[18:19], -v[16:17]
	v_add_f64 v[10:11], v[10:11], -v[16:17]
	v_add_f64 v[22:23], v[20:21], v[12:13]
	v_add_f64 v[14:15], v[14:15], -v[18:19]
	v_add_f64 v[16:17], v[22:23], -v[20:21]
	v_add_f64 v[10:11], v[10:11], v[14:15]
	v_add_f64 v[12:13], v[12:13], -v[16:17]
	v_add_f64 v[10:11], v[10:11], v[12:13]
	v_add_f64 v[10:11], v[22:23], v[10:11]
	v_mul_f64 v[10:11], v[10:11], 0.5
	v_cndmask_b32_e32 v10, 0, v10, vcc_lo
	v_cmp_neq_f64_e32 vcc_lo, -1.0, v[8:9]
	v_cndmask_b32_e64 v11, 0x7ff00000, v11, s5
	v_cndmask_b32_e64 v11, 0x7ff80000, v11, s6
	v_cndmask_b32_e32 v11, 0xfff00000, v11, vcc_lo
.LBB183_44:
	s_or_b32 exec_lo, exec_lo, s11
.LBB183_45:
	s_or_b32 exec_lo, exec_lo, s10
	v_max_f64 v[8:9], |v[2:3]|, |v[2:3]|
	s_mov_b32 s6, 0xbd3237f4
	s_mov_b32 s10, 0xb5e68a13
	;; [unrolled: 1-line block ×4, first 2 shown]
	v_cmp_eq_f64_e64 s5, 0, v[0:1]
	v_min_f64 v[4:5], v[8:9], v[4:5]
	v_div_scale_f64 v[8:9], null, v[6:7], v[6:7], v[4:5]
	v_div_scale_f64 v[16:17], vcc_lo, v[4:5], v[6:7], v[4:5]
	v_rcp_f64_e32 v[12:13], v[8:9]
	v_fma_f64 v[14:15], -v[8:9], v[12:13], 1.0
	v_fma_f64 v[12:13], v[12:13], v[14:15], v[12:13]
	v_fma_f64 v[14:15], -v[8:9], v[12:13], 1.0
	v_fma_f64 v[12:13], v[12:13], v[14:15], v[12:13]
	v_mul_f64 v[14:15], v[16:17], v[12:13]
	v_fma_f64 v[8:9], -v[8:9], v[14:15], v[16:17]
	v_div_fmas_f64 v[8:9], v[8:9], v[12:13], v[14:15]
	v_cmp_lt_f64_e64 vcc_lo, |v[2:3]|, |v[0:1]|
	v_mov_b32_e32 v0, 0x4002d97c
	v_mov_b32_e32 v2, 0x7f3321d2
	v_div_fixup_f64 v[4:5], v[8:9], v[6:7], v[4:5]
	v_mul_f64 v[6:7], v[4:5], v[4:5]
	v_fma_f64 v[8:9], v[6:7], s[10:11], s[6:7]
	s_mov_b32 s6, 0x69efb384
	s_mov_b32 s7, 0x3f4b2bb0
	v_fma_f64 v[8:9], v[6:7], v[8:9], s[6:7]
	s_mov_b32 s6, 0xaf56de9b
	s_mov_b32 s7, 0xbf67952d
	;; [unrolled: 3-line block ×19, first 2 shown]
	v_mul_f64 v[6:7], v[6:7], v[8:9]
	v_ashrrev_i32_e32 v8, 31, v3
	v_fma_f64 v[4:5], v[4:5], v[6:7], v[4:5]
	v_add_f64 v[6:7], -v[4:5], s[6:7]
	s_mov_b32 s7, 0x400921fb
	v_cndmask_b32_e32 v5, v5, v7, vcc_lo
	v_cndmask_b32_e32 v4, v4, v6, vcc_lo
	v_cmp_gt_i32_e32 vcc_lo, 0, v3
	v_and_b32_e32 v3, 0x54442d18, v8
	v_add_f64 v[6:7], -v[4:5], s[6:7]
	v_cndmask_b32_e32 v0, 0x3fe921fb, v0, vcc_lo
	v_cndmask_b32_e32 v2, 0x54442d18, v2, vcc_lo
	;; [unrolled: 1-line block ×3, first 2 shown]
	v_and_b32_e32 v6, 0x400921fb, v8
	v_cndmask_b32_e32 v5, v5, v7, vcc_lo
	s_and_b32 vcc_lo, s8, s9
	v_cndmask_b32_e64 v3, v4, v3, s5
	v_cndmask_b32_e64 v4, v5, v6, s5
	v_cndmask_b32_e32 v2, v3, v2, vcc_lo
	v_cndmask_b32_e32 v0, v4, v0, vcc_lo
	v_cndmask_b32_e64 v8, v2, 0, s4
	v_cndmask_b32_e64 v0, v0, 0x7ff80000, s4
	v_bfi_b32 v9, 0x7fffffff, v0, v1
.LBB183_46:
	s_or_b32 exec_lo, exec_lo, s26
.LBB183_47:
	s_or_b32 exec_lo, exec_lo, s25
	v_mov_b32_e32 v0, v10
	v_mov_b32_e32 v2, v8
	;; [unrolled: 1-line block ×4, first 2 shown]
.LBB183_48:
	s_or_b32 exec_lo, exec_lo, s24
	s_setpc_b64 s[30:31]
.Lfunc_end183:
	.size	_ZZZZN2at6native31launch_logcumsumexp_cuda_kernelERKNS_10TensorBaseES3_lENKUlvE_clEvENKUlvE1_clEvENKUlN3c107complexIdEES8_E_clES8_S8_, .Lfunc_end183-_ZZZZN2at6native31launch_logcumsumexp_cuda_kernelERKNS_10TensorBaseES3_lENKUlvE_clEvENKUlvE1_clEvENKUlN3c107complexIdEES8_E_clES8_S8_
                                        ; -- End function
	.set .L_ZZZZN2at6native31launch_logcumsumexp_cuda_kernelERKNS_10TensorBaseES3_lENKUlvE_clEvENKUlvE1_clEvENKUlN3c107complexIdEES8_E_clES8_S8_.num_vgpr, 86
	.set .L_ZZZZN2at6native31launch_logcumsumexp_cuda_kernelERKNS_10TensorBaseES3_lENKUlvE_clEvENKUlvE1_clEvENKUlN3c107complexIdEES8_E_clES8_S8_.num_agpr, 0
	.set .L_ZZZZN2at6native31launch_logcumsumexp_cuda_kernelERKNS_10TensorBaseES3_lENKUlvE_clEvENKUlvE1_clEvENKUlN3c107complexIdEES8_E_clES8_S8_.numbered_sgpr, 42
	.set .L_ZZZZN2at6native31launch_logcumsumexp_cuda_kernelERKNS_10TensorBaseES3_lENKUlvE_clEvENKUlvE1_clEvENKUlN3c107complexIdEES8_E_clES8_S8_.num_named_barrier, 0
	.set .L_ZZZZN2at6native31launch_logcumsumexp_cuda_kernelERKNS_10TensorBaseES3_lENKUlvE_clEvENKUlvE1_clEvENKUlN3c107complexIdEES8_E_clES8_S8_.private_seg_size, 0
	.set .L_ZZZZN2at6native31launch_logcumsumexp_cuda_kernelERKNS_10TensorBaseES3_lENKUlvE_clEvENKUlvE1_clEvENKUlN3c107complexIdEES8_E_clES8_S8_.uses_vcc, 1
	.set .L_ZZZZN2at6native31launch_logcumsumexp_cuda_kernelERKNS_10TensorBaseES3_lENKUlvE_clEvENKUlvE1_clEvENKUlN3c107complexIdEES8_E_clES8_S8_.uses_flat_scratch, 0
	.set .L_ZZZZN2at6native31launch_logcumsumexp_cuda_kernelERKNS_10TensorBaseES3_lENKUlvE_clEvENKUlvE1_clEvENKUlN3c107complexIdEES8_E_clES8_S8_.has_dyn_sized_stack, 0
	.set .L_ZZZZN2at6native31launch_logcumsumexp_cuda_kernelERKNS_10TensorBaseES3_lENKUlvE_clEvENKUlvE1_clEvENKUlN3c107complexIdEES8_E_clES8_S8_.has_recursion, 0
	.set .L_ZZZZN2at6native31launch_logcumsumexp_cuda_kernelERKNS_10TensorBaseES3_lENKUlvE_clEvENKUlvE1_clEvENKUlN3c107complexIdEES8_E_clES8_S8_.has_indirect_call, 0
	.section	.AMDGPU.csdata,"",@progbits
; Function info:
; codeLenInByte = 13888
; TotalNumSgprs: 44
; NumVgprs: 86
; ScratchSize: 0
; MemoryBound: 0
	.section	.text._ZN7rocprim17ROCPRIM_400000_NS6detail17trampoline_kernelINS0_14default_configENS1_20scan_config_selectorIN3c107complexIdEEEEZZNS1_9scan_implILNS1_25lookback_scan_determinismE0ELb0ELb0ES3_PKS7_PS7_S7_ZZZN2at6native31launch_logcumsumexp_cuda_kernelERKNSE_10TensorBaseESI_lENKUlvE_clEvENKUlvE1_clEvEUlS7_S7_E_S7_EEDaPvRmT3_T4_T5_mT6_P12ihipStream_tbENKUlT_T0_E_clISt17integral_constantIbLb0EESZ_EEDaSU_SV_EUlSU_E_NS1_11comp_targetILNS1_3genE8ELNS1_11target_archE1030ELNS1_3gpuE2ELNS1_3repE0EEENS1_30default_config_static_selectorELNS0_4arch9wavefront6targetE0EEEvT1_,"axG",@progbits,_ZN7rocprim17ROCPRIM_400000_NS6detail17trampoline_kernelINS0_14default_configENS1_20scan_config_selectorIN3c107complexIdEEEEZZNS1_9scan_implILNS1_25lookback_scan_determinismE0ELb0ELb0ES3_PKS7_PS7_S7_ZZZN2at6native31launch_logcumsumexp_cuda_kernelERKNSE_10TensorBaseESI_lENKUlvE_clEvENKUlvE1_clEvEUlS7_S7_E_S7_EEDaPvRmT3_T4_T5_mT6_P12ihipStream_tbENKUlT_T0_E_clISt17integral_constantIbLb0EESZ_EEDaSU_SV_EUlSU_E_NS1_11comp_targetILNS1_3genE8ELNS1_11target_archE1030ELNS1_3gpuE2ELNS1_3repE0EEENS1_30default_config_static_selectorELNS0_4arch9wavefront6targetE0EEEvT1_,comdat
	.globl	_ZN7rocprim17ROCPRIM_400000_NS6detail17trampoline_kernelINS0_14default_configENS1_20scan_config_selectorIN3c107complexIdEEEEZZNS1_9scan_implILNS1_25lookback_scan_determinismE0ELb0ELb0ES3_PKS7_PS7_S7_ZZZN2at6native31launch_logcumsumexp_cuda_kernelERKNSE_10TensorBaseESI_lENKUlvE_clEvENKUlvE1_clEvEUlS7_S7_E_S7_EEDaPvRmT3_T4_T5_mT6_P12ihipStream_tbENKUlT_T0_E_clISt17integral_constantIbLb0EESZ_EEDaSU_SV_EUlSU_E_NS1_11comp_targetILNS1_3genE8ELNS1_11target_archE1030ELNS1_3gpuE2ELNS1_3repE0EEENS1_30default_config_static_selectorELNS0_4arch9wavefront6targetE0EEEvT1_ ; -- Begin function _ZN7rocprim17ROCPRIM_400000_NS6detail17trampoline_kernelINS0_14default_configENS1_20scan_config_selectorIN3c107complexIdEEEEZZNS1_9scan_implILNS1_25lookback_scan_determinismE0ELb0ELb0ES3_PKS7_PS7_S7_ZZZN2at6native31launch_logcumsumexp_cuda_kernelERKNSE_10TensorBaseESI_lENKUlvE_clEvENKUlvE1_clEvEUlS7_S7_E_S7_EEDaPvRmT3_T4_T5_mT6_P12ihipStream_tbENKUlT_T0_E_clISt17integral_constantIbLb0EESZ_EEDaSU_SV_EUlSU_E_NS1_11comp_targetILNS1_3genE8ELNS1_11target_archE1030ELNS1_3gpuE2ELNS1_3repE0EEENS1_30default_config_static_selectorELNS0_4arch9wavefront6targetE0EEEvT1_
	.p2align	8
	.type	_ZN7rocprim17ROCPRIM_400000_NS6detail17trampoline_kernelINS0_14default_configENS1_20scan_config_selectorIN3c107complexIdEEEEZZNS1_9scan_implILNS1_25lookback_scan_determinismE0ELb0ELb0ES3_PKS7_PS7_S7_ZZZN2at6native31launch_logcumsumexp_cuda_kernelERKNSE_10TensorBaseESI_lENKUlvE_clEvENKUlvE1_clEvEUlS7_S7_E_S7_EEDaPvRmT3_T4_T5_mT6_P12ihipStream_tbENKUlT_T0_E_clISt17integral_constantIbLb0EESZ_EEDaSU_SV_EUlSU_E_NS1_11comp_targetILNS1_3genE8ELNS1_11target_archE1030ELNS1_3gpuE2ELNS1_3repE0EEENS1_30default_config_static_selectorELNS0_4arch9wavefront6targetE0EEEvT1_,@function
_ZN7rocprim17ROCPRIM_400000_NS6detail17trampoline_kernelINS0_14default_configENS1_20scan_config_selectorIN3c107complexIdEEEEZZNS1_9scan_implILNS1_25lookback_scan_determinismE0ELb0ELb0ES3_PKS7_PS7_S7_ZZZN2at6native31launch_logcumsumexp_cuda_kernelERKNSE_10TensorBaseESI_lENKUlvE_clEvENKUlvE1_clEvEUlS7_S7_E_S7_EEDaPvRmT3_T4_T5_mT6_P12ihipStream_tbENKUlT_T0_E_clISt17integral_constantIbLb0EESZ_EEDaSU_SV_EUlSU_E_NS1_11comp_targetILNS1_3genE8ELNS1_11target_archE1030ELNS1_3gpuE2ELNS1_3repE0EEENS1_30default_config_static_selectorELNS0_4arch9wavefront6targetE0EEEvT1_: ; @_ZN7rocprim17ROCPRIM_400000_NS6detail17trampoline_kernelINS0_14default_configENS1_20scan_config_selectorIN3c107complexIdEEEEZZNS1_9scan_implILNS1_25lookback_scan_determinismE0ELb0ELb0ES3_PKS7_PS7_S7_ZZZN2at6native31launch_logcumsumexp_cuda_kernelERKNSE_10TensorBaseESI_lENKUlvE_clEvENKUlvE1_clEvEUlS7_S7_E_S7_EEDaPvRmT3_T4_T5_mT6_P12ihipStream_tbENKUlT_T0_E_clISt17integral_constantIbLb0EESZ_EEDaSU_SV_EUlSU_E_NS1_11comp_targetILNS1_3genE8ELNS1_11target_archE1030ELNS1_3gpuE2ELNS1_3repE0EEENS1_30default_config_static_selectorELNS0_4arch9wavefront6targetE0EEEvT1_
; %bb.0:
	s_mov_b64 s[34:35], s[4:5]
	s_clause 0x3
	s_load_dwordx8 s[44:51], s[4:5], 0x0
	s_load_dword s4, s[4:5], 0x50
	s_load_dwordx4 s[60:63], s[34:35], 0x38
	s_load_dwordx2 s[42:43], s[34:35], 0x48
	s_add_u32 s0, s0, s7
	s_addc_u32 s1, s1, 0
	s_mov_b32 s27, s6
	v_mov_b32_e32 v76, v0
	s_mov_b32 s5, 0
	s_mov_b32 s32, 0
	v_lshlrev_b32_e32 v86, 4, v76
	v_lshrrev_b32_e32 v87, 1, v76
	v_or_b32_e32 v79, 0x100, v76
	s_waitcnt lgkmcnt(0)
	s_lshl_b64 s[38:39], s[46:47], 4
	s_add_u32 s6, s44, s38
	s_addc_u32 s7, s45, s39
	s_add_i32 s8, s4, -1
	s_lshl_b32 s4, s27, 9
	s_lshl_b32 s9, s8, 9
	s_sub_u32 s50, s50, s9
	s_subb_u32 s51, s51, 0
	s_cmp_lg_u32 s27, s8
	s_cselect_b32 s64, -1, 0
	s_lshl_b64 s[44:45], s[4:5], 4
	s_mov_b32 s5, -1
	s_add_u32 s6, s6, s44
	s_addc_u32 s7, s7, s45
	s_and_b32 vcc_lo, exec_lo, s64
	s_cbranch_vccz .LBB184_2
; %bb.1:
	v_add_co_u32 v0, s4, s6, v86
	v_add_co_ci_u32_e64 v1, null, s7, 0, s4
	v_lshrrev_b32_e32 v8, 1, v79
	v_add_co_u32 v4, vcc_lo, 0x1000, v0
	v_add_co_ci_u32_e64 v5, null, 0, v1, vcc_lo
	v_and_b32_e32 v9, 0x70, v87
	v_and_b32_e32 v8, 0xf0, v8
	s_clause 0x1
	global_load_dwordx4 v[0:3], v86, s[6:7]
	global_load_dwordx4 v[4:7], v[4:5], off
	s_mov_b32 s5, 0
	v_add_nc_u32_e32 v9, v9, v86
	v_add_nc_u32_e32 v8, v8, v86
	s_waitcnt vmcnt(1)
	ds_write_b128 v9, v[0:3]
	s_waitcnt vmcnt(0)
	ds_write_b128 v8, v[4:7] offset:4096
	s_waitcnt lgkmcnt(0)
	s_barrier
.LBB184_2:
	v_cmp_gt_u32_e64 s4, s50, v76
	s_andn2_b32 vcc_lo, exec_lo, s5
	s_cbranch_vccnz .LBB184_8
; %bb.3:
	s_load_dwordx4 s[8:11], s[6:7], 0x0
	s_waitcnt lgkmcnt(0)
	v_mov_b32_e32 v2, s10
	v_mov_b32_e32 v0, s8
	;; [unrolled: 1-line block ×4, first 2 shown]
	s_and_saveexec_b32 s5, s4
	s_cbranch_execz .LBB184_5
; %bb.4:
	global_load_dwordx4 v[0:3], v86, s[6:7]
.LBB184_5:
	s_or_b32 exec_lo, exec_lo, s5
	v_mov_b32_e32 v6, s10
	v_mov_b32_e32 v4, s8
	;; [unrolled: 1-line block ×4, first 2 shown]
	s_mov_b32 s4, exec_lo
	v_cmpx_gt_u32_e64 s50, v79
	s_cbranch_execz .LBB184_7
; %bb.6:
	v_lshlrev_b32_e32 v4, 4, v79
	global_load_dwordx4 v[4:7], v4, s[6:7]
.LBB184_7:
	s_or_b32 exec_lo, exec_lo, s4
	v_lshrrev_b32_e32 v8, 1, v79
	v_and_b32_e32 v9, 0x70, v87
	v_and_b32_e32 v8, 0xf0, v8
	v_add_nc_u32_e32 v9, v9, v86
	v_add_nc_u32_e32 v8, v8, v86
	s_waitcnt vmcnt(0)
	ds_write_b128 v9, v[0:3]
	ds_write_b128 v8, v[4:7] offset:4096
	s_waitcnt lgkmcnt(0)
	s_barrier
.LBB184_8:
	v_and_b32_e32 v0, 0xf0, v76
	v_lshlrev_b32_e32 v1, 5, v76
	buffer_gl0_inv
	s_cmp_lg_u32 s27, 0
	v_add_nc_u32_e32 v88, v0, v1
	ds_read_b128 v[40:43], v88
	ds_read_b128 v[44:47], v88 offset:16
	s_waitcnt lgkmcnt(0)
	s_barrier
	buffer_gl0_inv
	s_cbranch_scc0 .LBB184_58
; %bb.9:
	v_mov_b32_e32 v0, v40
	v_mov_b32_e32 v1, v41
	;; [unrolled: 1-line block ×8, first 2 shown]
	s_getpc_b64 s[46:47]
	s_add_u32 s46, s46, _ZZZZN2at6native31launch_logcumsumexp_cuda_kernelERKNS_10TensorBaseES3_lENKUlvE_clEvENKUlvE1_clEvENKUlN3c107complexIdEES8_E_clES8_S8_@rel32@lo+4
	s_addc_u32 s47, s47, _ZZZZN2at6native31launch_logcumsumexp_cuda_kernelERKNS_10TensorBaseES3_lENKUlvE_clEvENKUlvE1_clEvENKUlN3c107complexIdEES8_E_clES8_S8_@rel32@hi+12
	s_swappc_b64 s[30:31], s[46:47]
	v_mov_b32_e32 v56, v0
	v_and_b32_e32 v0, 0x70, v87
	v_mov_b32_e32 v57, v1
	v_mov_b32_e32 v58, v2
	;; [unrolled: 1-line block ×3, first 2 shown]
	v_cmp_gt_u32_e64 s37, 32, v76
	v_lshl_add_u32 v0, v76, 4, v0
	ds_write_b128 v0, v[56:59]
	s_waitcnt lgkmcnt(0)
	s_waitcnt_vscnt null, 0x0
	s_barrier
	buffer_gl0_inv
	s_and_saveexec_b32 s33, s37
	s_cbranch_execz .LBB184_21
; %bb.10:
	v_lshlrev_b32_e32 v0, 2, v76
	v_lshlrev_b32_e32 v1, 7, v76
	v_and_b32_e32 v0, 0x3f0, v0
	v_add_nc_u32_e32 v72, v0, v1
	ds_read_b128 v[60:63], v72
	ds_read_b128 v[4:7], v72 offset:16
	s_waitcnt lgkmcnt(1)
	v_mov_b32_e32 v0, v60
	v_mov_b32_e32 v1, v61
	;; [unrolled: 1-line block ×4, first 2 shown]
	s_swappc_b64 s[30:31], s[46:47]
	ds_read_b128 v[4:7], v72 offset:32
	s_swappc_b64 s[30:31], s[46:47]
	ds_read_b128 v[4:7], v72 offset:48
	;; [unrolled: 2-line block ×6, first 2 shown]
	s_swappc_b64 s[30:31], s[46:47]
	v_mov_b32_e32 v4, v0
	v_mov_b32_e32 v5, v1
	;; [unrolled: 1-line block ×4, first 2 shown]
	v_mbcnt_lo_u32_b32 v73, -1, 0
	v_mov_b32_dpp v0, v4 row_shr:1 row_mask:0xf bank_mask:0xf
	v_mov_b32_dpp v1, v5 row_shr:1 row_mask:0xf bank_mask:0xf
	;; [unrolled: 1-line block ×4, first 2 shown]
	v_and_b32_e32 v74, 15, v73
	s_mov_b32 s36, exec_lo
	v_cmpx_ne_u32_e32 0, v74
	s_cbranch_execz .LBB184_12
; %bb.11:
	s_getpc_b64 s[4:5]
	s_add_u32 s4, s4, _ZZZZN2at6native31launch_logcumsumexp_cuda_kernelERKNS_10TensorBaseES3_lENKUlvE_clEvENKUlvE1_clEvENKUlN3c107complexIdEES8_E_clES8_S8_@rel32@lo+4
	s_addc_u32 s5, s5, _ZZZZN2at6native31launch_logcumsumexp_cuda_kernelERKNS_10TensorBaseES3_lENKUlvE_clEvENKUlvE1_clEvENKUlN3c107complexIdEES8_E_clES8_S8_@rel32@hi+12
	s_swappc_b64 s[30:31], s[4:5]
	v_mov_b32_e32 v4, v0
	v_mov_b32_e32 v5, v1
	v_mov_b32_e32 v6, v2
	v_mov_b32_e32 v7, v3
.LBB184_12:
	s_or_b32 exec_lo, exec_lo, s36
	v_mov_b32_dpp v0, v4 row_shr:2 row_mask:0xf bank_mask:0xf
	v_mov_b32_dpp v1, v5 row_shr:2 row_mask:0xf bank_mask:0xf
	v_mov_b32_dpp v2, v6 row_shr:2 row_mask:0xf bank_mask:0xf
	v_mov_b32_dpp v3, v7 row_shr:2 row_mask:0xf bank_mask:0xf
	s_mov_b32 s36, exec_lo
	v_cmpx_lt_u32_e32 1, v74
	s_cbranch_execz .LBB184_14
; %bb.13:
	s_getpc_b64 s[4:5]
	s_add_u32 s4, s4, _ZZZZN2at6native31launch_logcumsumexp_cuda_kernelERKNS_10TensorBaseES3_lENKUlvE_clEvENKUlvE1_clEvENKUlN3c107complexIdEES8_E_clES8_S8_@rel32@lo+4
	s_addc_u32 s5, s5, _ZZZZN2at6native31launch_logcumsumexp_cuda_kernelERKNS_10TensorBaseES3_lENKUlvE_clEvENKUlvE1_clEvENKUlN3c107complexIdEES8_E_clES8_S8_@rel32@hi+12
	s_swappc_b64 s[30:31], s[4:5]
	v_mov_b32_e32 v4, v0
	v_mov_b32_e32 v5, v1
	v_mov_b32_e32 v6, v2
	v_mov_b32_e32 v7, v3
.LBB184_14:
	s_or_b32 exec_lo, exec_lo, s36
	v_mov_b32_dpp v0, v4 row_shr:4 row_mask:0xf bank_mask:0xf
	v_mov_b32_dpp v1, v5 row_shr:4 row_mask:0xf bank_mask:0xf
	v_mov_b32_dpp v2, v6 row_shr:4 row_mask:0xf bank_mask:0xf
	v_mov_b32_dpp v3, v7 row_shr:4 row_mask:0xf bank_mask:0xf
	s_mov_b32 s36, exec_lo
	v_cmpx_lt_u32_e32 3, v74
	;; [unrolled: 18-line block ×3, first 2 shown]
	s_cbranch_execz .LBB184_18
; %bb.17:
	s_getpc_b64 s[4:5]
	s_add_u32 s4, s4, _ZZZZN2at6native31launch_logcumsumexp_cuda_kernelERKNS_10TensorBaseES3_lENKUlvE_clEvENKUlvE1_clEvENKUlN3c107complexIdEES8_E_clES8_S8_@rel32@lo+4
	s_addc_u32 s5, s5, _ZZZZN2at6native31launch_logcumsumexp_cuda_kernelERKNS_10TensorBaseES3_lENKUlvE_clEvENKUlvE1_clEvENKUlN3c107complexIdEES8_E_clES8_S8_@rel32@hi+12
	s_swappc_b64 s[30:31], s[4:5]
	v_mov_b32_e32 v4, v0
	v_mov_b32_e32 v5, v1
	v_mov_b32_e32 v6, v2
	v_mov_b32_e32 v7, v3
.LBB184_18:
	s_or_b32 exec_lo, exec_lo, s36
	ds_swizzle_b32 v0, v4 offset:swizzle(BROADCAST,32,15)
	ds_swizzle_b32 v1, v5 offset:swizzle(BROADCAST,32,15)
	ds_swizzle_b32 v2, v6 offset:swizzle(BROADCAST,32,15)
	ds_swizzle_b32 v3, v7 offset:swizzle(BROADCAST,32,15)
	v_and_b32_e32 v8, 16, v73
	s_mov_b32 s36, exec_lo
	v_cmpx_ne_u32_e32 0, v8
	s_cbranch_execz .LBB184_20
; %bb.19:
	s_getpc_b64 s[4:5]
	s_add_u32 s4, s4, _ZZZZN2at6native31launch_logcumsumexp_cuda_kernelERKNS_10TensorBaseES3_lENKUlvE_clEvENKUlvE1_clEvENKUlN3c107complexIdEES8_E_clES8_S8_@rel32@lo+4
	s_addc_u32 s5, s5, _ZZZZN2at6native31launch_logcumsumexp_cuda_kernelERKNS_10TensorBaseES3_lENKUlvE_clEvENKUlvE1_clEvENKUlN3c107complexIdEES8_E_clES8_S8_@rel32@hi+12
	s_swappc_b64 s[30:31], s[4:5]
	v_mov_b32_e32 v4, v0
	v_mov_b32_e32 v5, v1
	;; [unrolled: 1-line block ×4, first 2 shown]
.LBB184_20:
	s_or_b32 exec_lo, exec_lo, s36
	s_waitcnt lgkmcnt(3)
	v_add_nc_u32_e32 v0, -1, v73
	s_getpc_b64 s[46:47]
	s_add_u32 s46, s46, _ZZZZN2at6native31launch_logcumsumexp_cuda_kernelERKNS_10TensorBaseES3_lENKUlvE_clEvENKUlvE1_clEvENKUlN3c107complexIdEES8_E_clES8_S8_@rel32@lo+4
	s_addc_u32 s47, s47, _ZZZZN2at6native31launch_logcumsumexp_cuda_kernelERKNS_10TensorBaseES3_lENKUlvE_clEvENKUlvE1_clEvENKUlN3c107complexIdEES8_E_clES8_S8_@rel32@hi+12
	v_cmp_gt_i32_e32 vcc_lo, 0, v0
	v_cndmask_b32_e32 v0, v0, v73, vcc_lo
	s_waitcnt lgkmcnt(0)
	v_lshlrev_b32_e32 v3, 2, v0
	ds_bpermute_b32 v0, v3, v4
	ds_bpermute_b32 v1, v3, v5
	;; [unrolled: 1-line block ×4, first 2 shown]
	v_mov_b32_e32 v4, v60
	v_mov_b32_e32 v5, v61
	;; [unrolled: 1-line block ×4, first 2 shown]
	s_swappc_b64 s[30:31], s[46:47]
	v_cmp_eq_u32_e32 vcc_lo, 0, v76
	; wave barrier
	v_cndmask_b32_e32 v3, v3, v59, vcc_lo
	v_cndmask_b32_e32 v2, v2, v58, vcc_lo
	;; [unrolled: 1-line block ×4, first 2 shown]
	ds_write_b128 v72, v[0:3]
	; wave barrier
	ds_read_b128 v[4:7], v72 offset:16
	s_swappc_b64 s[30:31], s[46:47]
	ds_read_b128 v[4:7], v72 offset:32
	ds_write_b128 v72, v[0:3] offset:16
	s_swappc_b64 s[30:31], s[46:47]
	ds_read_b128 v[4:7], v72 offset:48
	ds_write_b128 v72, v[0:3] offset:32
	;; [unrolled: 3-line block ×6, first 2 shown]
	s_swappc_b64 s[30:31], s[46:47]
	ds_write_b128 v72, v[0:3] offset:112
.LBB184_21:
	s_or_b32 exec_lo, exec_lo, s33
	v_cmp_eq_u32_e64 s36, 0, v76
	v_cmp_ne_u32_e64 s33, 0, v76
	s_waitcnt lgkmcnt(0)
	s_waitcnt_vscnt null, 0x0
	s_barrier
	buffer_gl0_inv
	s_and_saveexec_b32 s4, s33
	s_cbranch_execz .LBB184_23
; %bb.22:
	v_add_nc_u32_e32 v0, -1, v76
	v_lshrrev_b32_e32 v1, 1, v0
	v_and_b32_e32 v1, 0x7ffffff0, v1
	v_lshl_add_u32 v0, v0, 4, v1
	ds_read_b128 v[56:59], v0
.LBB184_23:
	s_or_b32 exec_lo, exec_lo, s4
	s_and_saveexec_b32 s46, s37
	s_cbranch_execz .LBB184_63
; %bb.24:
	v_mov_b32_e32 v1, 0
	v_mbcnt_lo_u32_b32 v89, -1, 0
	s_mov_b32 s5, 0
	ds_read_b128 v[60:63], v1 offset:4192
	v_cmp_eq_u32_e64 s37, 0, v89
	s_and_saveexec_b32 s6, s37
	s_cbranch_execz .LBB184_26
; %bb.25:
	s_add_i32 s4, s27, 32
	v_mov_b32_e32 v0, 1
	s_lshl_b64 s[8:9], s[4:5], 4
	v_mov_b32_e32 v2, s4
	s_add_u32 s4, s60, s8
	s_addc_u32 s5, s61, s9
	s_waitcnt lgkmcnt(0)
	global_store_dwordx4 v1, v[60:63], s[4:5]
	s_waitcnt_vscnt null, 0x0
	buffer_gl1_inv
	buffer_gl0_inv
	global_store_byte v2, v0, s[42:43]
.LBB184_26:
	s_or_b32 exec_lo, exec_lo, s6
	v_xad_u32 v77, v89, -1, s27
	s_mov_b32 s4, exec_lo
	v_add_nc_u32_e32 v0, 32, v77
	global_load_ubyte v90, v0, s[42:43] glc dlc
	s_waitcnt vmcnt(0)
	v_cmpx_eq_u16_e32 0, v90
	s_cbranch_execz .LBB184_30
; %bb.27:
	v_add_co_u32 v2, s5, s42, v0
	v_add_co_ci_u32_e64 v3, null, s43, 0, s5
	s_mov_b32 s5, 0
.LBB184_28:                             ; =>This Inner Loop Header: Depth=1
	global_load_ubyte v90, v[2:3], off glc dlc
	s_waitcnt vmcnt(0)
	v_cmp_ne_u16_e32 vcc_lo, 0, v90
	s_or_b32 s5, vcc_lo, s5
	s_andn2_b32 exec_lo, exec_lo, s5
	s_cbranch_execnz .LBB184_28
; %bb.29:
	s_or_b32 exec_lo, exec_lo, s5
.LBB184_30:
	s_or_b32 exec_lo, exec_lo, s4
	v_cmp_eq_u16_e32 vcc_lo, 1, v90
	v_mov_b32_e32 v3, s60
	v_mov_b32_e32 v2, s61
	v_lshlrev_b64 v[0:1], 4, v[0:1]
	s_waitcnt lgkmcnt(0)
	s_waitcnt_vscnt null, 0x0
	buffer_gl1_inv
	buffer_gl0_inv
	v_lshlrev_b32_e64 v92, v89, -1
	v_cndmask_b32_e32 v3, s62, v3, vcc_lo
	v_cndmask_b32_e32 v2, s63, v2, vcc_lo
	s_mov_b32 s47, exec_lo
	v_add_co_u32 v0, vcc_lo, v3, v0
	v_add_co_ci_u32_e64 v1, null, v2, v1, vcc_lo
	v_cmp_ne_u32_e32 vcc_lo, 31, v89
	global_load_dwordx4 v[4:7], v[0:1], off
	v_add_co_ci_u32_e64 v0, null, 0, v89, vcc_lo
	v_cmp_eq_u16_e32 vcc_lo, 2, v90
	v_lshlrev_b32_e32 v91, 2, v0
	v_and_or_b32 v8, vcc_lo, v92, 0x80000000
	v_ffbl_b32_e32 v72, v8
	s_waitcnt vmcnt(0)
	ds_bpermute_b32 v0, v91, v4
	ds_bpermute_b32 v1, v91, v5
	;; [unrolled: 1-line block ×4, first 2 shown]
	v_cmpx_lt_u32_e64 v89, v72
	s_cbranch_execz .LBB184_32
; %bb.31:
	s_getpc_b64 s[4:5]
	s_add_u32 s4, s4, _ZZZZN2at6native31launch_logcumsumexp_cuda_kernelERKNS_10TensorBaseES3_lENKUlvE_clEvENKUlvE1_clEvENKUlN3c107complexIdEES8_E_clES8_S8_@rel32@lo+4
	s_addc_u32 s5, s5, _ZZZZN2at6native31launch_logcumsumexp_cuda_kernelERKNS_10TensorBaseES3_lENKUlvE_clEvENKUlvE1_clEvENKUlN3c107complexIdEES8_E_clES8_S8_@rel32@hi+12
	s_swappc_b64 s[30:31], s[4:5]
	v_mov_b32_e32 v4, v0
	v_mov_b32_e32 v5, v1
	v_mov_b32_e32 v6, v2
	v_mov_b32_e32 v7, v3
.LBB184_32:
	s_or_b32 exec_lo, exec_lo, s47
	v_cmp_gt_u32_e32 vcc_lo, 30, v89
	v_add_nc_u32_e32 v94, 2, v89
	s_mov_b32 s47, exec_lo
	s_waitcnt lgkmcnt(3)
	v_cndmask_b32_e64 v0, 0, 2, vcc_lo
	v_add_lshl_u32 v93, v0, v89, 2
	ds_bpermute_b32 v0, v93, v4
	s_waitcnt lgkmcnt(3)
	ds_bpermute_b32 v1, v93, v5
	s_waitcnt lgkmcnt(3)
	ds_bpermute_b32 v2, v93, v6
	s_waitcnt lgkmcnt(3)
	ds_bpermute_b32 v3, v93, v7
	v_cmpx_le_u32_e64 v94, v72
	s_cbranch_execz .LBB184_34
; %bb.33:
	s_getpc_b64 s[4:5]
	s_add_u32 s4, s4, _ZZZZN2at6native31launch_logcumsumexp_cuda_kernelERKNS_10TensorBaseES3_lENKUlvE_clEvENKUlvE1_clEvENKUlN3c107complexIdEES8_E_clES8_S8_@rel32@lo+4
	s_addc_u32 s5, s5, _ZZZZN2at6native31launch_logcumsumexp_cuda_kernelERKNS_10TensorBaseES3_lENKUlvE_clEvENKUlvE1_clEvENKUlN3c107complexIdEES8_E_clES8_S8_@rel32@hi+12
	s_swappc_b64 s[30:31], s[4:5]
	v_mov_b32_e32 v4, v0
	v_mov_b32_e32 v5, v1
	v_mov_b32_e32 v6, v2
	v_mov_b32_e32 v7, v3
.LBB184_34:
	s_or_b32 exec_lo, exec_lo, s47
	v_cmp_gt_u32_e32 vcc_lo, 28, v89
	v_add_nc_u32_e32 v96, 4, v89
	s_mov_b32 s47, exec_lo
	s_waitcnt lgkmcnt(3)
	v_cndmask_b32_e64 v0, 0, 4, vcc_lo
	v_add_lshl_u32 v95, v0, v89, 2
	ds_bpermute_b32 v0, v95, v4
	s_waitcnt lgkmcnt(3)
	ds_bpermute_b32 v1, v95, v5
	s_waitcnt lgkmcnt(3)
	ds_bpermute_b32 v2, v95, v6
	s_waitcnt lgkmcnt(3)
	ds_bpermute_b32 v3, v95, v7
	v_cmpx_le_u32_e64 v96, v72
	;; [unrolled: 26-line block ×3, first 2 shown]
	s_cbranch_execz .LBB184_38
; %bb.37:
	s_getpc_b64 s[4:5]
	s_add_u32 s4, s4, _ZZZZN2at6native31launch_logcumsumexp_cuda_kernelERKNS_10TensorBaseES3_lENKUlvE_clEvENKUlvE1_clEvENKUlN3c107complexIdEES8_E_clES8_S8_@rel32@lo+4
	s_addc_u32 s5, s5, _ZZZZN2at6native31launch_logcumsumexp_cuda_kernelERKNS_10TensorBaseES3_lENKUlvE_clEvENKUlvE1_clEvENKUlN3c107complexIdEES8_E_clES8_S8_@rel32@hi+12
	s_swappc_b64 s[30:31], s[4:5]
	v_mov_b32_e32 v4, v0
	v_mov_b32_e32 v5, v1
	;; [unrolled: 1-line block ×4, first 2 shown]
.LBB184_38:
	s_or_b32 exec_lo, exec_lo, s47
	v_lshl_or_b32 v99, v89, 2, 64
	v_add_nc_u32_e32 v100, 16, v89
	s_mov_b32 s47, exec_lo
	s_waitcnt lgkmcnt(3)
	ds_bpermute_b32 v0, v99, v4
	s_waitcnt lgkmcnt(3)
	ds_bpermute_b32 v1, v99, v5
	;; [unrolled: 2-line block ×4, first 2 shown]
	v_cmpx_le_u32_e64 v100, v72
	s_cbranch_execz .LBB184_40
; %bb.39:
	s_getpc_b64 s[4:5]
	s_add_u32 s4, s4, _ZZZZN2at6native31launch_logcumsumexp_cuda_kernelERKNS_10TensorBaseES3_lENKUlvE_clEvENKUlvE1_clEvENKUlN3c107complexIdEES8_E_clES8_S8_@rel32@lo+4
	s_addc_u32 s5, s5, _ZZZZN2at6native31launch_logcumsumexp_cuda_kernelERKNS_10TensorBaseES3_lENKUlvE_clEvENKUlvE1_clEvENKUlN3c107complexIdEES8_E_clES8_S8_@rel32@hi+12
	s_swappc_b64 s[30:31], s[4:5]
	v_mov_b32_e32 v4, v0
	v_mov_b32_e32 v5, v1
	;; [unrolled: 1-line block ×4, first 2 shown]
.LBB184_40:
	s_or_b32 exec_lo, exec_lo, s47
	v_mov_b32_e32 v78, 0
	v_mov_b32_e32 v101, 2
	s_branch .LBB184_43
.LBB184_41:                             ;   in Loop: Header=BB184_43 Depth=1
	s_or_b32 exec_lo, exec_lo, s47
	s_waitcnt lgkmcnt(3)
	v_mov_b32_e32 v0, v4
	s_waitcnt lgkmcnt(2)
	v_mov_b32_e32 v1, v5
	;; [unrolled: 2-line block ×4, first 2 shown]
	v_mov_b32_e32 v4, v72
	v_mov_b32_e32 v5, v73
	;; [unrolled: 1-line block ×4, first 2 shown]
	s_getpc_b64 s[4:5]
	s_add_u32 s4, s4, _ZZZZN2at6native31launch_logcumsumexp_cuda_kernelERKNS_10TensorBaseES3_lENKUlvE_clEvENKUlvE1_clEvENKUlN3c107complexIdEES8_E_clES8_S8_@rel32@lo+4
	s_addc_u32 s5, s5, _ZZZZN2at6native31launch_logcumsumexp_cuda_kernelERKNS_10TensorBaseES3_lENKUlvE_clEvENKUlvE1_clEvENKUlN3c107complexIdEES8_E_clES8_S8_@rel32@hi+12
	v_subrev_nc_u32_e32 v77, 32, v77
	s_swappc_b64 s[30:31], s[4:5]
	v_mov_b32_e32 v4, v0
	v_mov_b32_e32 v5, v1
	;; [unrolled: 1-line block ×4, first 2 shown]
	s_mov_b32 s4, 0
.LBB184_42:                             ;   in Loop: Header=BB184_43 Depth=1
	s_and_b32 vcc_lo, exec_lo, s4
	s_cbranch_vccnz .LBB184_59
.LBB184_43:                             ; =>This Loop Header: Depth=1
                                        ;     Child Loop BB184_46 Depth 2
	v_cmp_ne_u16_sdwa s4, v90, v101 src0_sel:BYTE_0 src1_sel:DWORD
	v_mov_b32_e32 v75, v7
	v_mov_b32_e32 v73, v5
	;; [unrolled: 1-line block ×4, first 2 shown]
	s_cmp_lg_u32 s4, exec_lo
	s_mov_b32 s4, -1
                                        ; implicit-def: $vgpr6_vgpr7
                                        ; implicit-def: $vgpr90
	s_cbranch_scc1 .LBB184_42
; %bb.44:                               ;   in Loop: Header=BB184_43 Depth=1
	global_load_ubyte v90, v77, s[42:43] glc dlc
	s_mov_b32 s4, exec_lo
	s_waitcnt vmcnt(0)
	v_cmpx_eq_u16_e32 0, v90
	s_cbranch_execz .LBB184_48
; %bb.45:                               ;   in Loop: Header=BB184_43 Depth=1
	s_waitcnt lgkmcnt(3)
	v_add_co_u32 v0, s5, s42, v77
	s_waitcnt lgkmcnt(2)
	v_add_co_ci_u32_e64 v1, null, s43, 0, s5
	s_mov_b32 s5, 0
.LBB184_46:                             ;   Parent Loop BB184_43 Depth=1
                                        ; =>  This Inner Loop Header: Depth=2
	global_load_ubyte v90, v[0:1], off glc dlc
	s_waitcnt vmcnt(0)
	v_cmp_ne_u16_e32 vcc_lo, 0, v90
	s_or_b32 s5, vcc_lo, s5
	s_andn2_b32 exec_lo, exec_lo, s5
	s_cbranch_execnz .LBB184_46
; %bb.47:                               ;   in Loop: Header=BB184_43 Depth=1
	s_or_b32 exec_lo, exec_lo, s5
.LBB184_48:                             ;   in Loop: Header=BB184_43 Depth=1
	s_or_b32 exec_lo, exec_lo, s4
	v_cmp_eq_u16_e32 vcc_lo, 1, v90
	s_waitcnt lgkmcnt(0)
	v_mov_b32_e32 v3, s60
	v_mov_b32_e32 v2, s61
	v_lshlrev_b64 v[0:1], 4, v[77:78]
	s_waitcnt_vscnt null, 0x0
	buffer_gl1_inv
	buffer_gl0_inv
	s_mov_b32 s47, exec_lo
	v_cndmask_b32_e32 v3, s62, v3, vcc_lo
	v_cndmask_b32_e32 v2, s63, v2, vcc_lo
	v_add_co_u32 v0, vcc_lo, v3, v0
	v_add_co_ci_u32_e64 v1, null, v2, v1, vcc_lo
	v_cmp_eq_u16_e32 vcc_lo, 2, v90
	global_load_dwordx4 v[4:7], v[0:1], off
	v_and_or_b32 v8, vcc_lo, v92, 0x80000000
	v_ffbl_b32_e32 v102, v8
	s_waitcnt vmcnt(0)
	ds_bpermute_b32 v0, v91, v4
	ds_bpermute_b32 v1, v91, v5
	;; [unrolled: 1-line block ×4, first 2 shown]
	v_cmpx_lt_u32_e64 v89, v102
	s_cbranch_execz .LBB184_50
; %bb.49:                               ;   in Loop: Header=BB184_43 Depth=1
	s_getpc_b64 s[4:5]
	s_add_u32 s4, s4, _ZZZZN2at6native31launch_logcumsumexp_cuda_kernelERKNS_10TensorBaseES3_lENKUlvE_clEvENKUlvE1_clEvENKUlN3c107complexIdEES8_E_clES8_S8_@rel32@lo+4
	s_addc_u32 s5, s5, _ZZZZN2at6native31launch_logcumsumexp_cuda_kernelERKNS_10TensorBaseES3_lENKUlvE_clEvENKUlvE1_clEvENKUlN3c107complexIdEES8_E_clES8_S8_@rel32@hi+12
	s_swappc_b64 s[30:31], s[4:5]
	v_mov_b32_e32 v4, v0
	v_mov_b32_e32 v5, v1
	v_mov_b32_e32 v6, v2
	v_mov_b32_e32 v7, v3
.LBB184_50:                             ;   in Loop: Header=BB184_43 Depth=1
	s_or_b32 exec_lo, exec_lo, s47
	s_waitcnt lgkmcnt(3)
	ds_bpermute_b32 v0, v93, v4
	s_waitcnt lgkmcnt(3)
	ds_bpermute_b32 v1, v93, v5
	s_waitcnt lgkmcnt(3)
	ds_bpermute_b32 v2, v93, v6
	s_waitcnt lgkmcnt(3)
	ds_bpermute_b32 v3, v93, v7
	s_mov_b32 s47, exec_lo
	v_cmpx_le_u32_e64 v94, v102
	s_cbranch_execz .LBB184_52
; %bb.51:                               ;   in Loop: Header=BB184_43 Depth=1
	s_getpc_b64 s[4:5]
	s_add_u32 s4, s4, _ZZZZN2at6native31launch_logcumsumexp_cuda_kernelERKNS_10TensorBaseES3_lENKUlvE_clEvENKUlvE1_clEvENKUlN3c107complexIdEES8_E_clES8_S8_@rel32@lo+4
	s_addc_u32 s5, s5, _ZZZZN2at6native31launch_logcumsumexp_cuda_kernelERKNS_10TensorBaseES3_lENKUlvE_clEvENKUlvE1_clEvENKUlN3c107complexIdEES8_E_clES8_S8_@rel32@hi+12
	s_swappc_b64 s[30:31], s[4:5]
	v_mov_b32_e32 v4, v0
	v_mov_b32_e32 v5, v1
	v_mov_b32_e32 v6, v2
	v_mov_b32_e32 v7, v3
.LBB184_52:                             ;   in Loop: Header=BB184_43 Depth=1
	s_or_b32 exec_lo, exec_lo, s47
	s_waitcnt lgkmcnt(3)
	ds_bpermute_b32 v0, v95, v4
	s_waitcnt lgkmcnt(3)
	ds_bpermute_b32 v1, v95, v5
	s_waitcnt lgkmcnt(3)
	ds_bpermute_b32 v2, v95, v6
	s_waitcnt lgkmcnt(3)
	ds_bpermute_b32 v3, v95, v7
	s_mov_b32 s47, exec_lo
	v_cmpx_le_u32_e64 v96, v102
	s_cbranch_execz .LBB184_54
; %bb.53:                               ;   in Loop: Header=BB184_43 Depth=1
	s_getpc_b64 s[4:5]
	s_add_u32 s4, s4, _ZZZZN2at6native31launch_logcumsumexp_cuda_kernelERKNS_10TensorBaseES3_lENKUlvE_clEvENKUlvE1_clEvENKUlN3c107complexIdEES8_E_clES8_S8_@rel32@lo+4
	s_addc_u32 s5, s5, _ZZZZN2at6native31launch_logcumsumexp_cuda_kernelERKNS_10TensorBaseES3_lENKUlvE_clEvENKUlvE1_clEvENKUlN3c107complexIdEES8_E_clES8_S8_@rel32@hi+12
	s_swappc_b64 s[30:31], s[4:5]
	v_mov_b32_e32 v4, v0
	v_mov_b32_e32 v5, v1
	v_mov_b32_e32 v6, v2
	v_mov_b32_e32 v7, v3
.LBB184_54:                             ;   in Loop: Header=BB184_43 Depth=1
	s_or_b32 exec_lo, exec_lo, s47
	s_waitcnt lgkmcnt(3)
	ds_bpermute_b32 v0, v97, v4
	s_waitcnt lgkmcnt(3)
	ds_bpermute_b32 v1, v97, v5
	s_waitcnt lgkmcnt(3)
	ds_bpermute_b32 v2, v97, v6
	s_waitcnt lgkmcnt(3)
	ds_bpermute_b32 v3, v97, v7
	s_mov_b32 s47, exec_lo
	v_cmpx_le_u32_e64 v98, v102
	s_cbranch_execz .LBB184_56
; %bb.55:                               ;   in Loop: Header=BB184_43 Depth=1
	s_getpc_b64 s[4:5]
	s_add_u32 s4, s4, _ZZZZN2at6native31launch_logcumsumexp_cuda_kernelERKNS_10TensorBaseES3_lENKUlvE_clEvENKUlvE1_clEvENKUlN3c107complexIdEES8_E_clES8_S8_@rel32@lo+4
	s_addc_u32 s5, s5, _ZZZZN2at6native31launch_logcumsumexp_cuda_kernelERKNS_10TensorBaseES3_lENKUlvE_clEvENKUlvE1_clEvENKUlN3c107complexIdEES8_E_clES8_S8_@rel32@hi+12
	s_swappc_b64 s[30:31], s[4:5]
	v_mov_b32_e32 v4, v0
	v_mov_b32_e32 v5, v1
	v_mov_b32_e32 v6, v2
	v_mov_b32_e32 v7, v3
.LBB184_56:                             ;   in Loop: Header=BB184_43 Depth=1
	s_or_b32 exec_lo, exec_lo, s47
	s_waitcnt lgkmcnt(3)
	ds_bpermute_b32 v0, v99, v4
	s_waitcnt lgkmcnt(3)
	ds_bpermute_b32 v1, v99, v5
	s_waitcnt lgkmcnt(3)
	ds_bpermute_b32 v2, v99, v6
	s_waitcnt lgkmcnt(3)
	ds_bpermute_b32 v3, v99, v7
	s_mov_b32 s47, exec_lo
	v_cmpx_le_u32_e64 v100, v102
	s_cbranch_execz .LBB184_41
; %bb.57:                               ;   in Loop: Header=BB184_43 Depth=1
	s_getpc_b64 s[4:5]
	s_add_u32 s4, s4, _ZZZZN2at6native31launch_logcumsumexp_cuda_kernelERKNS_10TensorBaseES3_lENKUlvE_clEvENKUlvE1_clEvENKUlN3c107complexIdEES8_E_clES8_S8_@rel32@lo+4
	s_addc_u32 s5, s5, _ZZZZN2at6native31launch_logcumsumexp_cuda_kernelERKNS_10TensorBaseES3_lENKUlvE_clEvENKUlvE1_clEvENKUlN3c107complexIdEES8_E_clES8_S8_@rel32@hi+12
	s_swappc_b64 s[30:31], s[4:5]
	v_mov_b32_e32 v4, v0
	v_mov_b32_e32 v5, v1
	;; [unrolled: 1-line block ×4, first 2 shown]
	s_branch .LBB184_41
.LBB184_58:
                                        ; implicit-def: $vgpr60_vgpr61
                                        ; implicit-def: $vgpr56_vgpr57
	s_load_dwordx8 s[52:59], s[34:35], 0x58
	s_cbranch_execnz .LBB184_66
	s_branch .LBB184_85
.LBB184_59:
	s_and_saveexec_b32 s47, s37
	s_cbranch_execz .LBB184_61
; %bb.60:
	s_waitcnt lgkmcnt(3)
	v_mov_b32_e32 v0, v72
	s_waitcnt lgkmcnt(2)
	v_mov_b32_e32 v1, v73
	;; [unrolled: 2-line block ×4, first 2 shown]
	v_mov_b32_e32 v4, v60
	v_mov_b32_e32 v5, v61
	;; [unrolled: 1-line block ×4, first 2 shown]
	s_getpc_b64 s[4:5]
	s_add_u32 s4, s4, _ZZZZN2at6native31launch_logcumsumexp_cuda_kernelERKNS_10TensorBaseES3_lENKUlvE_clEvENKUlvE1_clEvENKUlN3c107complexIdEES8_E_clES8_S8_@rel32@lo+4
	s_addc_u32 s5, s5, _ZZZZN2at6native31launch_logcumsumexp_cuda_kernelERKNS_10TensorBaseES3_lENKUlvE_clEvENKUlvE1_clEvENKUlN3c107complexIdEES8_E_clES8_S8_@rel32@hi+12
	s_swappc_b64 s[30:31], s[4:5]
	s_add_i32 s4, s27, 32
	s_mov_b32 s5, 0
	v_mov_b32_e32 v4, 0
	s_lshl_b64 s[6:7], s[4:5], 4
	v_mov_b32_e32 v5, 2
	v_mov_b32_e32 v6, s4
	s_add_u32 s6, s62, s6
	s_addc_u32 s7, s63, s7
	global_store_dwordx4 v4, v[0:3], s[6:7]
	s_waitcnt_vscnt null, 0x0
	buffer_gl1_inv
	buffer_gl0_inv
	global_store_byte v6, v5, s[42:43]
.LBB184_61:
	s_or_b32 exec_lo, exec_lo, s47
	s_and_b32 exec_lo, exec_lo, s36
	s_cbranch_execz .LBB184_63
; %bb.62:
	s_waitcnt lgkmcnt(3)
	v_mov_b32_e32 v0, 0
	ds_write_b128 v0, v[72:75]
.LBB184_63:
	s_or_b32 exec_lo, exec_lo, s46
	s_waitcnt lgkmcnt(3)
	v_mov_b32_e32 v0, 0
	s_waitcnt lgkmcnt(0)
	s_waitcnt_vscnt null, 0x0
	s_barrier
	buffer_gl0_inv
	v_mov_b32_e32 v6, v42
	ds_read_b128 v[0:3], v0
	v_mov_b32_e32 v4, v40
	v_mov_b32_e32 v7, v43
	;; [unrolled: 1-line block ×3, first 2 shown]
	s_and_saveexec_b32 s27, s33
	s_cbranch_execz .LBB184_65
; %bb.64:
	s_waitcnt lgkmcnt(0)
	v_mov_b32_e32 v63, v3
	v_mov_b32_e32 v62, v2
	;; [unrolled: 1-line block ×12, first 2 shown]
	s_getpc_b64 s[4:5]
	s_add_u32 s4, s4, _ZZZZN2at6native31launch_logcumsumexp_cuda_kernelERKNS_10TensorBaseES3_lENKUlvE_clEvENKUlvE1_clEvENKUlN3c107complexIdEES8_E_clES8_S8_@rel32@lo+4
	s_addc_u32 s5, s5, _ZZZZN2at6native31launch_logcumsumexp_cuda_kernelERKNS_10TensorBaseES3_lENKUlvE_clEvENKUlvE1_clEvENKUlN3c107complexIdEES8_E_clES8_S8_@rel32@hi+12
	s_swappc_b64 s[30:31], s[4:5]
	v_mov_b32_e32 v4, v0
	v_mov_b32_e32 v5, v1
	;; [unrolled: 1-line block ×8, first 2 shown]
.LBB184_65:
	s_or_b32 exec_lo, exec_lo, s27
	s_getpc_b64 s[36:37]
	s_add_u32 s36, s36, _ZZZZN2at6native31launch_logcumsumexp_cuda_kernelERKNS_10TensorBaseES3_lENKUlvE_clEvENKUlvE1_clEvENKUlN3c107complexIdEES8_E_clES8_S8_@rel32@lo+4
	s_addc_u32 s37, s37, _ZZZZN2at6native31launch_logcumsumexp_cuda_kernelERKNS_10TensorBaseES3_lENKUlvE_clEvENKUlvE1_clEvENKUlN3c107complexIdEES8_E_clES8_S8_@rel32@hi+12
	s_swappc_b64 s[30:31], s[36:37]
	v_mov_b32_e32 v4, v44
	v_mov_b32_e32 v5, v45
	;; [unrolled: 1-line block ×8, first 2 shown]
	s_swappc_b64 s[30:31], s[36:37]
	v_mov_b32_e32 v56, v0
	v_mov_b32_e32 v57, v1
	v_mov_b32_e32 v58, v2
	v_mov_b32_e32 v59, v3
	s_load_dwordx8 s[52:59], s[34:35], 0x58
	s_branch .LBB184_85
.LBB184_66:
	v_cmp_eq_u32_e64 s33, 0, v76
	s_waitcnt lgkmcnt(0)
	s_cmp_lg_u64 s[56:57], 0
	v_cmp_ne_u32_e64 s27, 0, v76
	s_cselect_b32 s4, -1, 0
	s_and_b32 s4, s33, s4
	s_and_saveexec_b32 s34, s4
	s_cbranch_execz .LBB184_68
; %bb.67:
	v_mov_b32_e32 v0, 0
	v_mov_b32_e32 v4, v40
	;; [unrolled: 1-line block ×5, first 2 shown]
	global_load_dwordx4 v[0:3], v0, s[52:53]
	s_getpc_b64 s[4:5]
	s_add_u32 s4, s4, _ZZZZN2at6native31launch_logcumsumexp_cuda_kernelERKNS_10TensorBaseES3_lENKUlvE_clEvENKUlvE1_clEvENKUlN3c107complexIdEES8_E_clES8_S8_@rel32@lo+4
	s_addc_u32 s5, s5, _ZZZZN2at6native31launch_logcumsumexp_cuda_kernelERKNS_10TensorBaseES3_lENKUlvE_clEvENKUlvE1_clEvENKUlN3c107complexIdEES8_E_clES8_S8_@rel32@hi+12
	s_swappc_b64 s[30:31], s[4:5]
	v_mov_b32_e32 v40, v0
	v_mov_b32_e32 v41, v1
	;; [unrolled: 1-line block ×4, first 2 shown]
.LBB184_68:
	s_or_b32 exec_lo, exec_lo, s34
	v_mov_b32_e32 v0, v40
	v_mov_b32_e32 v1, v41
	;; [unrolled: 1-line block ×8, first 2 shown]
	s_getpc_b64 s[34:35]
	s_add_u32 s34, s34, _ZZZZN2at6native31launch_logcumsumexp_cuda_kernelERKNS_10TensorBaseES3_lENKUlvE_clEvENKUlvE1_clEvENKUlN3c107complexIdEES8_E_clES8_S8_@rel32@lo+4
	s_addc_u32 s35, s35, _ZZZZN2at6native31launch_logcumsumexp_cuda_kernelERKNS_10TensorBaseES3_lENKUlvE_clEvENKUlvE1_clEvENKUlN3c107complexIdEES8_E_clES8_S8_@rel32@hi+12
	s_swappc_b64 s[30:31], s[34:35]
	v_mov_b32_e32 v56, v0
	v_and_b32_e32 v0, 0x70, v87
	v_mov_b32_e32 v57, v1
	v_mov_b32_e32 v58, v2
	;; [unrolled: 1-line block ×3, first 2 shown]
	s_mov_b32 s36, exec_lo
	v_lshl_add_u32 v0, v76, 4, v0
	ds_write_b128 v0, v[56:59]
	s_waitcnt lgkmcnt(0)
	s_waitcnt_vscnt null, 0x0
	s_barrier
	buffer_gl0_inv
	v_cmpx_gt_u32_e32 32, v76
	s_cbranch_execz .LBB184_80
; %bb.69:
	v_lshlrev_b32_e32 v0, 2, v76
	v_lshlrev_b32_e32 v1, 7, v76
	v_and_b32_e32 v0, 0x3f0, v0
	v_add_nc_u32_e32 v72, v0, v1
	ds_read_b128 v[60:63], v72
	ds_read_b128 v[4:7], v72 offset:16
	s_waitcnt lgkmcnt(1)
	v_mov_b32_e32 v0, v60
	v_mov_b32_e32 v1, v61
	;; [unrolled: 1-line block ×4, first 2 shown]
	s_swappc_b64 s[30:31], s[34:35]
	ds_read_b128 v[4:7], v72 offset:32
	s_swappc_b64 s[30:31], s[34:35]
	ds_read_b128 v[4:7], v72 offset:48
	;; [unrolled: 2-line block ×6, first 2 shown]
	s_swappc_b64 s[30:31], s[34:35]
	v_mov_b32_e32 v4, v0
	v_mov_b32_e32 v5, v1
	;; [unrolled: 1-line block ×4, first 2 shown]
	v_mbcnt_lo_u32_b32 v73, -1, 0
	v_mov_b32_dpp v0, v4 row_shr:1 row_mask:0xf bank_mask:0xf
	v_mov_b32_dpp v1, v5 row_shr:1 row_mask:0xf bank_mask:0xf
	;; [unrolled: 1-line block ×4, first 2 shown]
	v_and_b32_e32 v74, 15, v73
	s_mov_b32 s34, exec_lo
	v_cmpx_ne_u32_e32 0, v74
	s_cbranch_execz .LBB184_71
; %bb.70:
	s_getpc_b64 s[4:5]
	s_add_u32 s4, s4, _ZZZZN2at6native31launch_logcumsumexp_cuda_kernelERKNS_10TensorBaseES3_lENKUlvE_clEvENKUlvE1_clEvENKUlN3c107complexIdEES8_E_clES8_S8_@rel32@lo+4
	s_addc_u32 s5, s5, _ZZZZN2at6native31launch_logcumsumexp_cuda_kernelERKNS_10TensorBaseES3_lENKUlvE_clEvENKUlvE1_clEvENKUlN3c107complexIdEES8_E_clES8_S8_@rel32@hi+12
	s_swappc_b64 s[30:31], s[4:5]
	v_mov_b32_e32 v4, v0
	v_mov_b32_e32 v5, v1
	v_mov_b32_e32 v6, v2
	v_mov_b32_e32 v7, v3
.LBB184_71:
	s_or_b32 exec_lo, exec_lo, s34
	v_mov_b32_dpp v0, v4 row_shr:2 row_mask:0xf bank_mask:0xf
	v_mov_b32_dpp v1, v5 row_shr:2 row_mask:0xf bank_mask:0xf
	v_mov_b32_dpp v2, v6 row_shr:2 row_mask:0xf bank_mask:0xf
	v_mov_b32_dpp v3, v7 row_shr:2 row_mask:0xf bank_mask:0xf
	s_mov_b32 s34, exec_lo
	v_cmpx_lt_u32_e32 1, v74
	s_cbranch_execz .LBB184_73
; %bb.72:
	s_getpc_b64 s[4:5]
	s_add_u32 s4, s4, _ZZZZN2at6native31launch_logcumsumexp_cuda_kernelERKNS_10TensorBaseES3_lENKUlvE_clEvENKUlvE1_clEvENKUlN3c107complexIdEES8_E_clES8_S8_@rel32@lo+4
	s_addc_u32 s5, s5, _ZZZZN2at6native31launch_logcumsumexp_cuda_kernelERKNS_10TensorBaseES3_lENKUlvE_clEvENKUlvE1_clEvENKUlN3c107complexIdEES8_E_clES8_S8_@rel32@hi+12
	s_swappc_b64 s[30:31], s[4:5]
	v_mov_b32_e32 v4, v0
	v_mov_b32_e32 v5, v1
	v_mov_b32_e32 v6, v2
	v_mov_b32_e32 v7, v3
.LBB184_73:
	s_or_b32 exec_lo, exec_lo, s34
	v_mov_b32_dpp v0, v4 row_shr:4 row_mask:0xf bank_mask:0xf
	v_mov_b32_dpp v1, v5 row_shr:4 row_mask:0xf bank_mask:0xf
	v_mov_b32_dpp v2, v6 row_shr:4 row_mask:0xf bank_mask:0xf
	v_mov_b32_dpp v3, v7 row_shr:4 row_mask:0xf bank_mask:0xf
	s_mov_b32 s34, exec_lo
	v_cmpx_lt_u32_e32 3, v74
	;; [unrolled: 18-line block ×3, first 2 shown]
	s_cbranch_execz .LBB184_77
; %bb.76:
	s_getpc_b64 s[4:5]
	s_add_u32 s4, s4, _ZZZZN2at6native31launch_logcumsumexp_cuda_kernelERKNS_10TensorBaseES3_lENKUlvE_clEvENKUlvE1_clEvENKUlN3c107complexIdEES8_E_clES8_S8_@rel32@lo+4
	s_addc_u32 s5, s5, _ZZZZN2at6native31launch_logcumsumexp_cuda_kernelERKNS_10TensorBaseES3_lENKUlvE_clEvENKUlvE1_clEvENKUlN3c107complexIdEES8_E_clES8_S8_@rel32@hi+12
	s_swappc_b64 s[30:31], s[4:5]
	v_mov_b32_e32 v4, v0
	v_mov_b32_e32 v5, v1
	;; [unrolled: 1-line block ×4, first 2 shown]
.LBB184_77:
	s_or_b32 exec_lo, exec_lo, s34
	ds_swizzle_b32 v0, v4 offset:swizzle(BROADCAST,32,15)
	ds_swizzle_b32 v1, v5 offset:swizzle(BROADCAST,32,15)
	;; [unrolled: 1-line block ×4, first 2 shown]
	v_and_b32_e32 v8, 16, v73
	s_mov_b32 s34, exec_lo
	v_cmpx_ne_u32_e32 0, v8
	s_cbranch_execz .LBB184_79
; %bb.78:
	s_getpc_b64 s[4:5]
	s_add_u32 s4, s4, _ZZZZN2at6native31launch_logcumsumexp_cuda_kernelERKNS_10TensorBaseES3_lENKUlvE_clEvENKUlvE1_clEvENKUlN3c107complexIdEES8_E_clES8_S8_@rel32@lo+4
	s_addc_u32 s5, s5, _ZZZZN2at6native31launch_logcumsumexp_cuda_kernelERKNS_10TensorBaseES3_lENKUlvE_clEvENKUlvE1_clEvENKUlN3c107complexIdEES8_E_clES8_S8_@rel32@hi+12
	s_swappc_b64 s[30:31], s[4:5]
	v_mov_b32_e32 v4, v0
	v_mov_b32_e32 v5, v1
	v_mov_b32_e32 v6, v2
	v_mov_b32_e32 v7, v3
.LBB184_79:
	s_or_b32 exec_lo, exec_lo, s34
	s_waitcnt lgkmcnt(3)
	v_add_nc_u32_e32 v0, -1, v73
	s_getpc_b64 s[34:35]
	s_add_u32 s34, s34, _ZZZZN2at6native31launch_logcumsumexp_cuda_kernelERKNS_10TensorBaseES3_lENKUlvE_clEvENKUlvE1_clEvENKUlN3c107complexIdEES8_E_clES8_S8_@rel32@lo+4
	s_addc_u32 s35, s35, _ZZZZN2at6native31launch_logcumsumexp_cuda_kernelERKNS_10TensorBaseES3_lENKUlvE_clEvENKUlvE1_clEvENKUlN3c107complexIdEES8_E_clES8_S8_@rel32@hi+12
	v_cmp_gt_i32_e32 vcc_lo, 0, v0
	v_cndmask_b32_e32 v0, v0, v73, vcc_lo
	s_waitcnt lgkmcnt(0)
	v_lshlrev_b32_e32 v3, 2, v0
	ds_bpermute_b32 v0, v3, v4
	ds_bpermute_b32 v1, v3, v5
	;; [unrolled: 1-line block ×4, first 2 shown]
	v_mov_b32_e32 v4, v60
	v_mov_b32_e32 v5, v61
	;; [unrolled: 1-line block ×4, first 2 shown]
	s_swappc_b64 s[30:31], s[34:35]
	v_cndmask_b32_e64 v3, v3, v59, s33
	v_cndmask_b32_e64 v2, v2, v58, s33
	;; [unrolled: 1-line block ×4, first 2 shown]
	; wave barrier
	ds_write_b128 v72, v[0:3]
	; wave barrier
	ds_read_b128 v[4:7], v72 offset:16
	s_swappc_b64 s[30:31], s[34:35]
	ds_read_b128 v[4:7], v72 offset:32
	ds_write_b128 v72, v[0:3] offset:16
	s_swappc_b64 s[30:31], s[34:35]
	ds_read_b128 v[4:7], v72 offset:48
	ds_write_b128 v72, v[0:3] offset:32
	;; [unrolled: 3-line block ×6, first 2 shown]
	s_swappc_b64 s[30:31], s[34:35]
	ds_write_b128 v72, v[0:3] offset:112
.LBB184_80:
	s_or_b32 exec_lo, exec_lo, s36
	s_waitcnt lgkmcnt(0)
	s_waitcnt_vscnt null, 0x0
	s_barrier
	buffer_gl0_inv
	s_and_saveexec_b32 s33, s27
	s_cbranch_execz .LBB184_82
; %bb.81:
	v_add_nc_u32_e32 v0, -1, v76
	v_mov_b32_e32 v4, v40
	v_mov_b32_e32 v5, v41
	;; [unrolled: 1-line block ×4, first 2 shown]
	v_lshrrev_b32_e32 v1, 1, v0
	s_getpc_b64 s[34:35]
	s_add_u32 s34, s34, _ZZZZN2at6native31launch_logcumsumexp_cuda_kernelERKNS_10TensorBaseES3_lENKUlvE_clEvENKUlvE1_clEvENKUlN3c107complexIdEES8_E_clES8_S8_@rel32@lo+4
	s_addc_u32 s35, s35, _ZZZZN2at6native31launch_logcumsumexp_cuda_kernelERKNS_10TensorBaseES3_lENKUlvE_clEvENKUlvE1_clEvENKUlN3c107complexIdEES8_E_clES8_S8_@rel32@hi+12
	v_and_b32_e32 v1, 0x7ffffff0, v1
	v_lshl_add_u32 v0, v0, 4, v1
	ds_read_b128 v[0:3], v0
	s_swappc_b64 s[30:31], s[34:35]
	v_mov_b32_e32 v4, v44
	v_mov_b32_e32 v5, v45
	;; [unrolled: 1-line block ×8, first 2 shown]
	;;#ASMSTART
	;;#ASMEND
	s_swappc_b64 s[30:31], s[34:35]
	v_mov_b32_e32 v56, v0
	v_mov_b32_e32 v57, v1
	;; [unrolled: 1-line block ×4, first 2 shown]
.LBB184_82:
	s_or_b32 exec_lo, exec_lo, s33
	s_mov_b32 s4, exec_lo
	v_cmpx_eq_u32_e32 0xff, v76
	s_cbranch_execz .LBB184_84
; %bb.83:
	v_mov_b32_e32 v0, 0
	v_mov_b32_e32 v1, 2
	global_store_dwordx4 v0, v[56:59], s[62:63] offset:512
	s_waitcnt_vscnt null, 0x0
	buffer_gl1_inv
	buffer_gl0_inv
	global_store_byte v0, v1, s[42:43] offset:32
.LBB184_84:
	s_or_b32 exec_lo, exec_lo, s4
	v_mov_b32_e32 v61, v41
	v_mov_b32_e32 v63, v43
	;; [unrolled: 1-line block ×4, first 2 shown]
.LBB184_85:
	s_add_u32 s4, s48, s38
	s_addc_u32 s5, s49, s39
	s_add_u32 s4, s4, s44
	s_addc_u32 s5, s5, s45
	s_and_b32 vcc_lo, exec_lo, s64
	s_mov_b32 s6, -1
	s_waitcnt lgkmcnt(0)
	s_waitcnt_vscnt null, 0x0
	s_barrier
	buffer_gl0_inv
	s_cbranch_vccz .LBB184_87
; %bb.86:
	v_lshrrev_b32_e32 v0, 1, v79
	v_and_b32_e32 v1, 0x70, v87
	ds_write_b128 v88, v[60:63]
	ds_write_b128 v88, v[56:59] offset:16
	s_waitcnt lgkmcnt(0)
	s_barrier
	v_and_b32_e32 v0, 0xf0, v0
	v_add_nc_u32_e32 v1, v1, v86
	buffer_gl0_inv
	v_add_co_u32 v8, s6, s4, v86
	v_add_nc_u32_e32 v4, v0, v86
	v_add_co_ci_u32_e64 v9, null, s5, 0, s6
	v_add_co_u32 v8, vcc_lo, 0x1000, v8
	ds_read_b128 v[0:3], v1
	ds_read_b128 v[4:7], v4 offset:4096
	v_add_co_ci_u32_e64 v9, null, 0, v9, vcc_lo
	s_mov_b32 s6, 0
	s_waitcnt lgkmcnt(1)
	global_store_dwordx4 v86, v[0:3], s[4:5]
	s_waitcnt lgkmcnt(0)
	global_store_dwordx4 v[8:9], v[4:7], off
.LBB184_87:
	s_andn2_b32 vcc_lo, exec_lo, s6
	s_cbranch_vccnz .LBB184_91
; %bb.88:
	v_lshrrev_b32_e32 v0, 1, v79
	v_and_b32_e32 v1, 0x70, v87
	ds_write_b128 v88, v[60:63]
	ds_write_b128 v88, v[56:59] offset:16
	s_waitcnt lgkmcnt(0)
	s_waitcnt_vscnt null, 0x0
	s_barrier
	v_and_b32_e32 v0, 0xf0, v0
	v_add_nc_u32_e32 v1, v1, v86
	buffer_gl0_inv
	v_add_co_u32 v8, s4, s4, v86
	v_add_nc_u32_e32 v4, v0, v86
	v_mov_b32_e32 v77, 0
	v_add_co_ci_u32_e64 v9, null, s5, 0, s4
	ds_read_b128 v[0:3], v1
	ds_read_b128 v[4:7], v4 offset:4096
	s_mov_b32 s4, exec_lo
	v_cmpx_gt_u32_e64 s50, v76
	s_cbranch_execnz .LBB184_92
; %bb.89:
	s_or_b32 exec_lo, exec_lo, s4
	s_mov_b32 s4, exec_lo
	v_cmpx_gt_u32_e64 s50, v79
	s_cbranch_execnz .LBB184_93
.LBB184_90:
	s_or_b32 exec_lo, exec_lo, s4
	v_cmp_lt_u64_e64 s4, s[58:59], 2
	s_and_b32 vcc_lo, exec_lo, s4
	s_cbranch_vccz .LBB184_94
.LBB184_91:
	s_endpgm
.LBB184_92:
	s_waitcnt lgkmcnt(1)
	global_store_dwordx4 v[8:9], v[0:3], off
	s_or_b32 exec_lo, exec_lo, s4
	s_mov_b32 s4, exec_lo
	v_cmpx_gt_u32_e64 s50, v79
	s_cbranch_execz .LBB184_90
.LBB184_93:
	v_add_co_u32 v8, vcc_lo, 0x1000, v8
	v_add_co_ci_u32_e64 v9, null, 0, v9, vcc_lo
	s_waitcnt lgkmcnt(0)
	global_store_dwordx4 v[8:9], v[4:7], off
	s_or_b32 exec_lo, exec_lo, s4
	v_cmp_lt_u64_e64 s4, s[58:59], 2
	s_and_b32 vcc_lo, exec_lo, s4
	s_cbranch_vccnz .LBB184_91
.LBB184_94:
	s_add_u32 s4, s50, -1
	s_addc_u32 s5, s51, -1
	s_lshr_b64 s[6:7], s[4:5], 1
	s_mov_b32 s5, exec_lo
	v_cmpx_eq_u64_e64 s[6:7], v[76:77]
	s_cbranch_execz .LBB184_91
; %bb.95:
	s_bitcmp1_b32 s4, 0
	s_cselect_b32 s4, -1, 0
	s_and_b32 vcc_lo, exec_lo, s4
	s_mov_b32 s4, -1
	s_cbranch_vccz .LBB184_97
; %bb.96:
	v_mov_b32_e32 v8, 0
	s_mov_b32 s4, 0
	s_waitcnt lgkmcnt(0)
	global_store_dwordx4 v8, v[4:7], s[54:55]
.LBB184_97:
	s_andn2_b32 vcc_lo, exec_lo, s4
	s_cbranch_vccnz .LBB184_91
; %bb.98:
	s_waitcnt lgkmcnt(0)
	v_mov_b32_e32 v4, 0
	global_store_dwordx4 v4, v[0:3], s[54:55]
	s_endpgm
	.section	.rodata,"a",@progbits
	.p2align	6, 0x0
	.amdhsa_kernel _ZN7rocprim17ROCPRIM_400000_NS6detail17trampoline_kernelINS0_14default_configENS1_20scan_config_selectorIN3c107complexIdEEEEZZNS1_9scan_implILNS1_25lookback_scan_determinismE0ELb0ELb0ES3_PKS7_PS7_S7_ZZZN2at6native31launch_logcumsumexp_cuda_kernelERKNSE_10TensorBaseESI_lENKUlvE_clEvENKUlvE1_clEvEUlS7_S7_E_S7_EEDaPvRmT3_T4_T5_mT6_P12ihipStream_tbENKUlT_T0_E_clISt17integral_constantIbLb0EESZ_EEDaSU_SV_EUlSU_E_NS1_11comp_targetILNS1_3genE8ELNS1_11target_archE1030ELNS1_3gpuE2ELNS1_3repE0EEENS1_30default_config_static_selectorELNS0_4arch9wavefront6targetE0EEEvT1_
		.amdhsa_group_segment_fixed_size 8448
		.amdhsa_private_segment_fixed_size 0
		.amdhsa_kernarg_size 128
		.amdhsa_user_sgpr_count 6
		.amdhsa_user_sgpr_private_segment_buffer 1
		.amdhsa_user_sgpr_dispatch_ptr 0
		.amdhsa_user_sgpr_queue_ptr 0
		.amdhsa_user_sgpr_kernarg_segment_ptr 1
		.amdhsa_user_sgpr_dispatch_id 0
		.amdhsa_user_sgpr_flat_scratch_init 0
		.amdhsa_user_sgpr_private_segment_size 0
		.amdhsa_wavefront_size32 1
		.amdhsa_uses_dynamic_stack 0
		.amdhsa_system_sgpr_private_segment_wavefront_offset 0
		.amdhsa_system_sgpr_workgroup_id_x 1
		.amdhsa_system_sgpr_workgroup_id_y 0
		.amdhsa_system_sgpr_workgroup_id_z 0
		.amdhsa_system_sgpr_workgroup_info 0
		.amdhsa_system_vgpr_workitem_id 0
		.amdhsa_next_free_vgpr 103
		.amdhsa_next_free_sgpr 65
		.amdhsa_reserve_vcc 1
		.amdhsa_reserve_flat_scratch 0
		.amdhsa_float_round_mode_32 0
		.amdhsa_float_round_mode_16_64 0
		.amdhsa_float_denorm_mode_32 3
		.amdhsa_float_denorm_mode_16_64 3
		.amdhsa_dx10_clamp 1
		.amdhsa_ieee_mode 1
		.amdhsa_fp16_overflow 0
		.amdhsa_workgroup_processor_mode 1
		.amdhsa_memory_ordered 1
		.amdhsa_forward_progress 1
		.amdhsa_shared_vgpr_count 0
		.amdhsa_exception_fp_ieee_invalid_op 0
		.amdhsa_exception_fp_denorm_src 0
		.amdhsa_exception_fp_ieee_div_zero 0
		.amdhsa_exception_fp_ieee_overflow 0
		.amdhsa_exception_fp_ieee_underflow 0
		.amdhsa_exception_fp_ieee_inexact 0
		.amdhsa_exception_int_div_zero 0
	.end_amdhsa_kernel
	.section	.text._ZN7rocprim17ROCPRIM_400000_NS6detail17trampoline_kernelINS0_14default_configENS1_20scan_config_selectorIN3c107complexIdEEEEZZNS1_9scan_implILNS1_25lookback_scan_determinismE0ELb0ELb0ES3_PKS7_PS7_S7_ZZZN2at6native31launch_logcumsumexp_cuda_kernelERKNSE_10TensorBaseESI_lENKUlvE_clEvENKUlvE1_clEvEUlS7_S7_E_S7_EEDaPvRmT3_T4_T5_mT6_P12ihipStream_tbENKUlT_T0_E_clISt17integral_constantIbLb0EESZ_EEDaSU_SV_EUlSU_E_NS1_11comp_targetILNS1_3genE8ELNS1_11target_archE1030ELNS1_3gpuE2ELNS1_3repE0EEENS1_30default_config_static_selectorELNS0_4arch9wavefront6targetE0EEEvT1_,"axG",@progbits,_ZN7rocprim17ROCPRIM_400000_NS6detail17trampoline_kernelINS0_14default_configENS1_20scan_config_selectorIN3c107complexIdEEEEZZNS1_9scan_implILNS1_25lookback_scan_determinismE0ELb0ELb0ES3_PKS7_PS7_S7_ZZZN2at6native31launch_logcumsumexp_cuda_kernelERKNSE_10TensorBaseESI_lENKUlvE_clEvENKUlvE1_clEvEUlS7_S7_E_S7_EEDaPvRmT3_T4_T5_mT6_P12ihipStream_tbENKUlT_T0_E_clISt17integral_constantIbLb0EESZ_EEDaSU_SV_EUlSU_E_NS1_11comp_targetILNS1_3genE8ELNS1_11target_archE1030ELNS1_3gpuE2ELNS1_3repE0EEENS1_30default_config_static_selectorELNS0_4arch9wavefront6targetE0EEEvT1_,comdat
.Lfunc_end184:
	.size	_ZN7rocprim17ROCPRIM_400000_NS6detail17trampoline_kernelINS0_14default_configENS1_20scan_config_selectorIN3c107complexIdEEEEZZNS1_9scan_implILNS1_25lookback_scan_determinismE0ELb0ELb0ES3_PKS7_PS7_S7_ZZZN2at6native31launch_logcumsumexp_cuda_kernelERKNSE_10TensorBaseESI_lENKUlvE_clEvENKUlvE1_clEvEUlS7_S7_E_S7_EEDaPvRmT3_T4_T5_mT6_P12ihipStream_tbENKUlT_T0_E_clISt17integral_constantIbLb0EESZ_EEDaSU_SV_EUlSU_E_NS1_11comp_targetILNS1_3genE8ELNS1_11target_archE1030ELNS1_3gpuE2ELNS1_3repE0EEENS1_30default_config_static_selectorELNS0_4arch9wavefront6targetE0EEEvT1_, .Lfunc_end184-_ZN7rocprim17ROCPRIM_400000_NS6detail17trampoline_kernelINS0_14default_configENS1_20scan_config_selectorIN3c107complexIdEEEEZZNS1_9scan_implILNS1_25lookback_scan_determinismE0ELb0ELb0ES3_PKS7_PS7_S7_ZZZN2at6native31launch_logcumsumexp_cuda_kernelERKNSE_10TensorBaseESI_lENKUlvE_clEvENKUlvE1_clEvEUlS7_S7_E_S7_EEDaPvRmT3_T4_T5_mT6_P12ihipStream_tbENKUlT_T0_E_clISt17integral_constantIbLb0EESZ_EEDaSU_SV_EUlSU_E_NS1_11comp_targetILNS1_3genE8ELNS1_11target_archE1030ELNS1_3gpuE2ELNS1_3repE0EEENS1_30default_config_static_selectorELNS0_4arch9wavefront6targetE0EEEvT1_
                                        ; -- End function
	.set _ZN7rocprim17ROCPRIM_400000_NS6detail17trampoline_kernelINS0_14default_configENS1_20scan_config_selectorIN3c107complexIdEEEEZZNS1_9scan_implILNS1_25lookback_scan_determinismE0ELb0ELb0ES3_PKS7_PS7_S7_ZZZN2at6native31launch_logcumsumexp_cuda_kernelERKNSE_10TensorBaseESI_lENKUlvE_clEvENKUlvE1_clEvEUlS7_S7_E_S7_EEDaPvRmT3_T4_T5_mT6_P12ihipStream_tbENKUlT_T0_E_clISt17integral_constantIbLb0EESZ_EEDaSU_SV_EUlSU_E_NS1_11comp_targetILNS1_3genE8ELNS1_11target_archE1030ELNS1_3gpuE2ELNS1_3repE0EEENS1_30default_config_static_selectorELNS0_4arch9wavefront6targetE0EEEvT1_.num_vgpr, max(103, .L_ZZZZN2at6native31launch_logcumsumexp_cuda_kernelERKNS_10TensorBaseES3_lENKUlvE_clEvENKUlvE1_clEvENKUlN3c107complexIdEES8_E_clES8_S8_.num_vgpr)
	.set _ZN7rocprim17ROCPRIM_400000_NS6detail17trampoline_kernelINS0_14default_configENS1_20scan_config_selectorIN3c107complexIdEEEEZZNS1_9scan_implILNS1_25lookback_scan_determinismE0ELb0ELb0ES3_PKS7_PS7_S7_ZZZN2at6native31launch_logcumsumexp_cuda_kernelERKNSE_10TensorBaseESI_lENKUlvE_clEvENKUlvE1_clEvEUlS7_S7_E_S7_EEDaPvRmT3_T4_T5_mT6_P12ihipStream_tbENKUlT_T0_E_clISt17integral_constantIbLb0EESZ_EEDaSU_SV_EUlSU_E_NS1_11comp_targetILNS1_3genE8ELNS1_11target_archE1030ELNS1_3gpuE2ELNS1_3repE0EEENS1_30default_config_static_selectorELNS0_4arch9wavefront6targetE0EEEvT1_.num_agpr, max(0, .L_ZZZZN2at6native31launch_logcumsumexp_cuda_kernelERKNS_10TensorBaseES3_lENKUlvE_clEvENKUlvE1_clEvENKUlN3c107complexIdEES8_E_clES8_S8_.num_agpr)
	.set _ZN7rocprim17ROCPRIM_400000_NS6detail17trampoline_kernelINS0_14default_configENS1_20scan_config_selectorIN3c107complexIdEEEEZZNS1_9scan_implILNS1_25lookback_scan_determinismE0ELb0ELb0ES3_PKS7_PS7_S7_ZZZN2at6native31launch_logcumsumexp_cuda_kernelERKNSE_10TensorBaseESI_lENKUlvE_clEvENKUlvE1_clEvEUlS7_S7_E_S7_EEDaPvRmT3_T4_T5_mT6_P12ihipStream_tbENKUlT_T0_E_clISt17integral_constantIbLb0EESZ_EEDaSU_SV_EUlSU_E_NS1_11comp_targetILNS1_3genE8ELNS1_11target_archE1030ELNS1_3gpuE2ELNS1_3repE0EEENS1_30default_config_static_selectorELNS0_4arch9wavefront6targetE0EEEvT1_.numbered_sgpr, max(65, .L_ZZZZN2at6native31launch_logcumsumexp_cuda_kernelERKNS_10TensorBaseES3_lENKUlvE_clEvENKUlvE1_clEvENKUlN3c107complexIdEES8_E_clES8_S8_.numbered_sgpr)
	.set _ZN7rocprim17ROCPRIM_400000_NS6detail17trampoline_kernelINS0_14default_configENS1_20scan_config_selectorIN3c107complexIdEEEEZZNS1_9scan_implILNS1_25lookback_scan_determinismE0ELb0ELb0ES3_PKS7_PS7_S7_ZZZN2at6native31launch_logcumsumexp_cuda_kernelERKNSE_10TensorBaseESI_lENKUlvE_clEvENKUlvE1_clEvEUlS7_S7_E_S7_EEDaPvRmT3_T4_T5_mT6_P12ihipStream_tbENKUlT_T0_E_clISt17integral_constantIbLb0EESZ_EEDaSU_SV_EUlSU_E_NS1_11comp_targetILNS1_3genE8ELNS1_11target_archE1030ELNS1_3gpuE2ELNS1_3repE0EEENS1_30default_config_static_selectorELNS0_4arch9wavefront6targetE0EEEvT1_.num_named_barrier, max(0, .L_ZZZZN2at6native31launch_logcumsumexp_cuda_kernelERKNS_10TensorBaseES3_lENKUlvE_clEvENKUlvE1_clEvENKUlN3c107complexIdEES8_E_clES8_S8_.num_named_barrier)
	.set _ZN7rocprim17ROCPRIM_400000_NS6detail17trampoline_kernelINS0_14default_configENS1_20scan_config_selectorIN3c107complexIdEEEEZZNS1_9scan_implILNS1_25lookback_scan_determinismE0ELb0ELb0ES3_PKS7_PS7_S7_ZZZN2at6native31launch_logcumsumexp_cuda_kernelERKNSE_10TensorBaseESI_lENKUlvE_clEvENKUlvE1_clEvEUlS7_S7_E_S7_EEDaPvRmT3_T4_T5_mT6_P12ihipStream_tbENKUlT_T0_E_clISt17integral_constantIbLb0EESZ_EEDaSU_SV_EUlSU_E_NS1_11comp_targetILNS1_3genE8ELNS1_11target_archE1030ELNS1_3gpuE2ELNS1_3repE0EEENS1_30default_config_static_selectorELNS0_4arch9wavefront6targetE0EEEvT1_.private_seg_size, 0+max(.L_ZZZZN2at6native31launch_logcumsumexp_cuda_kernelERKNS_10TensorBaseES3_lENKUlvE_clEvENKUlvE1_clEvENKUlN3c107complexIdEES8_E_clES8_S8_.private_seg_size)
	.set _ZN7rocprim17ROCPRIM_400000_NS6detail17trampoline_kernelINS0_14default_configENS1_20scan_config_selectorIN3c107complexIdEEEEZZNS1_9scan_implILNS1_25lookback_scan_determinismE0ELb0ELb0ES3_PKS7_PS7_S7_ZZZN2at6native31launch_logcumsumexp_cuda_kernelERKNSE_10TensorBaseESI_lENKUlvE_clEvENKUlvE1_clEvEUlS7_S7_E_S7_EEDaPvRmT3_T4_T5_mT6_P12ihipStream_tbENKUlT_T0_E_clISt17integral_constantIbLb0EESZ_EEDaSU_SV_EUlSU_E_NS1_11comp_targetILNS1_3genE8ELNS1_11target_archE1030ELNS1_3gpuE2ELNS1_3repE0EEENS1_30default_config_static_selectorELNS0_4arch9wavefront6targetE0EEEvT1_.uses_vcc, or(1, .L_ZZZZN2at6native31launch_logcumsumexp_cuda_kernelERKNS_10TensorBaseES3_lENKUlvE_clEvENKUlvE1_clEvENKUlN3c107complexIdEES8_E_clES8_S8_.uses_vcc)
	.set _ZN7rocprim17ROCPRIM_400000_NS6detail17trampoline_kernelINS0_14default_configENS1_20scan_config_selectorIN3c107complexIdEEEEZZNS1_9scan_implILNS1_25lookback_scan_determinismE0ELb0ELb0ES3_PKS7_PS7_S7_ZZZN2at6native31launch_logcumsumexp_cuda_kernelERKNSE_10TensorBaseESI_lENKUlvE_clEvENKUlvE1_clEvEUlS7_S7_E_S7_EEDaPvRmT3_T4_T5_mT6_P12ihipStream_tbENKUlT_T0_E_clISt17integral_constantIbLb0EESZ_EEDaSU_SV_EUlSU_E_NS1_11comp_targetILNS1_3genE8ELNS1_11target_archE1030ELNS1_3gpuE2ELNS1_3repE0EEENS1_30default_config_static_selectorELNS0_4arch9wavefront6targetE0EEEvT1_.uses_flat_scratch, or(0, .L_ZZZZN2at6native31launch_logcumsumexp_cuda_kernelERKNS_10TensorBaseES3_lENKUlvE_clEvENKUlvE1_clEvENKUlN3c107complexIdEES8_E_clES8_S8_.uses_flat_scratch)
	.set _ZN7rocprim17ROCPRIM_400000_NS6detail17trampoline_kernelINS0_14default_configENS1_20scan_config_selectorIN3c107complexIdEEEEZZNS1_9scan_implILNS1_25lookback_scan_determinismE0ELb0ELb0ES3_PKS7_PS7_S7_ZZZN2at6native31launch_logcumsumexp_cuda_kernelERKNSE_10TensorBaseESI_lENKUlvE_clEvENKUlvE1_clEvEUlS7_S7_E_S7_EEDaPvRmT3_T4_T5_mT6_P12ihipStream_tbENKUlT_T0_E_clISt17integral_constantIbLb0EESZ_EEDaSU_SV_EUlSU_E_NS1_11comp_targetILNS1_3genE8ELNS1_11target_archE1030ELNS1_3gpuE2ELNS1_3repE0EEENS1_30default_config_static_selectorELNS0_4arch9wavefront6targetE0EEEvT1_.has_dyn_sized_stack, or(0, .L_ZZZZN2at6native31launch_logcumsumexp_cuda_kernelERKNS_10TensorBaseES3_lENKUlvE_clEvENKUlvE1_clEvENKUlN3c107complexIdEES8_E_clES8_S8_.has_dyn_sized_stack)
	.set _ZN7rocprim17ROCPRIM_400000_NS6detail17trampoline_kernelINS0_14default_configENS1_20scan_config_selectorIN3c107complexIdEEEEZZNS1_9scan_implILNS1_25lookback_scan_determinismE0ELb0ELb0ES3_PKS7_PS7_S7_ZZZN2at6native31launch_logcumsumexp_cuda_kernelERKNSE_10TensorBaseESI_lENKUlvE_clEvENKUlvE1_clEvEUlS7_S7_E_S7_EEDaPvRmT3_T4_T5_mT6_P12ihipStream_tbENKUlT_T0_E_clISt17integral_constantIbLb0EESZ_EEDaSU_SV_EUlSU_E_NS1_11comp_targetILNS1_3genE8ELNS1_11target_archE1030ELNS1_3gpuE2ELNS1_3repE0EEENS1_30default_config_static_selectorELNS0_4arch9wavefront6targetE0EEEvT1_.has_recursion, or(0, .L_ZZZZN2at6native31launch_logcumsumexp_cuda_kernelERKNS_10TensorBaseES3_lENKUlvE_clEvENKUlvE1_clEvENKUlN3c107complexIdEES8_E_clES8_S8_.has_recursion)
	.set _ZN7rocprim17ROCPRIM_400000_NS6detail17trampoline_kernelINS0_14default_configENS1_20scan_config_selectorIN3c107complexIdEEEEZZNS1_9scan_implILNS1_25lookback_scan_determinismE0ELb0ELb0ES3_PKS7_PS7_S7_ZZZN2at6native31launch_logcumsumexp_cuda_kernelERKNSE_10TensorBaseESI_lENKUlvE_clEvENKUlvE1_clEvEUlS7_S7_E_S7_EEDaPvRmT3_T4_T5_mT6_P12ihipStream_tbENKUlT_T0_E_clISt17integral_constantIbLb0EESZ_EEDaSU_SV_EUlSU_E_NS1_11comp_targetILNS1_3genE8ELNS1_11target_archE1030ELNS1_3gpuE2ELNS1_3repE0EEENS1_30default_config_static_selectorELNS0_4arch9wavefront6targetE0EEEvT1_.has_indirect_call, or(0, .L_ZZZZN2at6native31launch_logcumsumexp_cuda_kernelERKNS_10TensorBaseES3_lENKUlvE_clEvENKUlvE1_clEvENKUlN3c107complexIdEES8_E_clES8_S8_.has_indirect_call)
	.section	.AMDGPU.csdata,"",@progbits
; Kernel info:
; codeLenInByte = 5744
; TotalNumSgprs: 67
; NumVgprs: 103
; ScratchSize: 0
; MemoryBound: 1
; FloatMode: 240
; IeeeMode: 1
; LDSByteSize: 8448 bytes/workgroup (compile time only)
; SGPRBlocks: 0
; VGPRBlocks: 12
; NumSGPRsForWavesPerEU: 67
; NumVGPRsForWavesPerEU: 103
; Occupancy: 9
; WaveLimiterHint : 0
; COMPUTE_PGM_RSRC2:SCRATCH_EN: 0
; COMPUTE_PGM_RSRC2:USER_SGPR: 6
; COMPUTE_PGM_RSRC2:TRAP_HANDLER: 0
; COMPUTE_PGM_RSRC2:TGID_X_EN: 1
; COMPUTE_PGM_RSRC2:TGID_Y_EN: 0
; COMPUTE_PGM_RSRC2:TGID_Z_EN: 0
; COMPUTE_PGM_RSRC2:TIDIG_COMP_CNT: 0
	.section	.text._ZN7rocprim17ROCPRIM_400000_NS6detail17trampoline_kernelINS0_14default_configENS1_25transform_config_selectorIN3c107complexIdEELb1EEEZNS1_14transform_implILb1ES3_S8_PS7_SA_NS0_8identityIS7_EEEE10hipError_tT2_T3_mT4_P12ihipStream_tbEUlT_E_NS1_11comp_targetILNS1_3genE0ELNS1_11target_archE4294967295ELNS1_3gpuE0ELNS1_3repE0EEENS1_30default_config_static_selectorELNS0_4arch9wavefront6targetE0EEEvT1_,"axG",@progbits,_ZN7rocprim17ROCPRIM_400000_NS6detail17trampoline_kernelINS0_14default_configENS1_25transform_config_selectorIN3c107complexIdEELb1EEEZNS1_14transform_implILb1ES3_S8_PS7_SA_NS0_8identityIS7_EEEE10hipError_tT2_T3_mT4_P12ihipStream_tbEUlT_E_NS1_11comp_targetILNS1_3genE0ELNS1_11target_archE4294967295ELNS1_3gpuE0ELNS1_3repE0EEENS1_30default_config_static_selectorELNS0_4arch9wavefront6targetE0EEEvT1_,comdat
	.protected	_ZN7rocprim17ROCPRIM_400000_NS6detail17trampoline_kernelINS0_14default_configENS1_25transform_config_selectorIN3c107complexIdEELb1EEEZNS1_14transform_implILb1ES3_S8_PS7_SA_NS0_8identityIS7_EEEE10hipError_tT2_T3_mT4_P12ihipStream_tbEUlT_E_NS1_11comp_targetILNS1_3genE0ELNS1_11target_archE4294967295ELNS1_3gpuE0ELNS1_3repE0EEENS1_30default_config_static_selectorELNS0_4arch9wavefront6targetE0EEEvT1_ ; -- Begin function _ZN7rocprim17ROCPRIM_400000_NS6detail17trampoline_kernelINS0_14default_configENS1_25transform_config_selectorIN3c107complexIdEELb1EEEZNS1_14transform_implILb1ES3_S8_PS7_SA_NS0_8identityIS7_EEEE10hipError_tT2_T3_mT4_P12ihipStream_tbEUlT_E_NS1_11comp_targetILNS1_3genE0ELNS1_11target_archE4294967295ELNS1_3gpuE0ELNS1_3repE0EEENS1_30default_config_static_selectorELNS0_4arch9wavefront6targetE0EEEvT1_
	.globl	_ZN7rocprim17ROCPRIM_400000_NS6detail17trampoline_kernelINS0_14default_configENS1_25transform_config_selectorIN3c107complexIdEELb1EEEZNS1_14transform_implILb1ES3_S8_PS7_SA_NS0_8identityIS7_EEEE10hipError_tT2_T3_mT4_P12ihipStream_tbEUlT_E_NS1_11comp_targetILNS1_3genE0ELNS1_11target_archE4294967295ELNS1_3gpuE0ELNS1_3repE0EEENS1_30default_config_static_selectorELNS0_4arch9wavefront6targetE0EEEvT1_
	.p2align	8
	.type	_ZN7rocprim17ROCPRIM_400000_NS6detail17trampoline_kernelINS0_14default_configENS1_25transform_config_selectorIN3c107complexIdEELb1EEEZNS1_14transform_implILb1ES3_S8_PS7_SA_NS0_8identityIS7_EEEE10hipError_tT2_T3_mT4_P12ihipStream_tbEUlT_E_NS1_11comp_targetILNS1_3genE0ELNS1_11target_archE4294967295ELNS1_3gpuE0ELNS1_3repE0EEENS1_30default_config_static_selectorELNS0_4arch9wavefront6targetE0EEEvT1_,@function
_ZN7rocprim17ROCPRIM_400000_NS6detail17trampoline_kernelINS0_14default_configENS1_25transform_config_selectorIN3c107complexIdEELb1EEEZNS1_14transform_implILb1ES3_S8_PS7_SA_NS0_8identityIS7_EEEE10hipError_tT2_T3_mT4_P12ihipStream_tbEUlT_E_NS1_11comp_targetILNS1_3genE0ELNS1_11target_archE4294967295ELNS1_3gpuE0ELNS1_3repE0EEENS1_30default_config_static_selectorELNS0_4arch9wavefront6targetE0EEEvT1_: ; @_ZN7rocprim17ROCPRIM_400000_NS6detail17trampoline_kernelINS0_14default_configENS1_25transform_config_selectorIN3c107complexIdEELb1EEEZNS1_14transform_implILb1ES3_S8_PS7_SA_NS0_8identityIS7_EEEE10hipError_tT2_T3_mT4_P12ihipStream_tbEUlT_E_NS1_11comp_targetILNS1_3genE0ELNS1_11target_archE4294967295ELNS1_3gpuE0ELNS1_3repE0EEENS1_30default_config_static_selectorELNS0_4arch9wavefront6targetE0EEEvT1_
; %bb.0:
	.section	.rodata,"a",@progbits
	.p2align	6, 0x0
	.amdhsa_kernel _ZN7rocprim17ROCPRIM_400000_NS6detail17trampoline_kernelINS0_14default_configENS1_25transform_config_selectorIN3c107complexIdEELb1EEEZNS1_14transform_implILb1ES3_S8_PS7_SA_NS0_8identityIS7_EEEE10hipError_tT2_T3_mT4_P12ihipStream_tbEUlT_E_NS1_11comp_targetILNS1_3genE0ELNS1_11target_archE4294967295ELNS1_3gpuE0ELNS1_3repE0EEENS1_30default_config_static_selectorELNS0_4arch9wavefront6targetE0EEEvT1_
		.amdhsa_group_segment_fixed_size 0
		.amdhsa_private_segment_fixed_size 0
		.amdhsa_kernarg_size 40
		.amdhsa_user_sgpr_count 6
		.amdhsa_user_sgpr_private_segment_buffer 1
		.amdhsa_user_sgpr_dispatch_ptr 0
		.amdhsa_user_sgpr_queue_ptr 0
		.amdhsa_user_sgpr_kernarg_segment_ptr 1
		.amdhsa_user_sgpr_dispatch_id 0
		.amdhsa_user_sgpr_flat_scratch_init 0
		.amdhsa_user_sgpr_private_segment_size 0
		.amdhsa_wavefront_size32 1
		.amdhsa_uses_dynamic_stack 0
		.amdhsa_system_sgpr_private_segment_wavefront_offset 0
		.amdhsa_system_sgpr_workgroup_id_x 1
		.amdhsa_system_sgpr_workgroup_id_y 0
		.amdhsa_system_sgpr_workgroup_id_z 0
		.amdhsa_system_sgpr_workgroup_info 0
		.amdhsa_system_vgpr_workitem_id 0
		.amdhsa_next_free_vgpr 1
		.amdhsa_next_free_sgpr 1
		.amdhsa_reserve_vcc 0
		.amdhsa_reserve_flat_scratch 0
		.amdhsa_float_round_mode_32 0
		.amdhsa_float_round_mode_16_64 0
		.amdhsa_float_denorm_mode_32 3
		.amdhsa_float_denorm_mode_16_64 3
		.amdhsa_dx10_clamp 1
		.amdhsa_ieee_mode 1
		.amdhsa_fp16_overflow 0
		.amdhsa_workgroup_processor_mode 1
		.amdhsa_memory_ordered 1
		.amdhsa_forward_progress 1
		.amdhsa_shared_vgpr_count 0
		.amdhsa_exception_fp_ieee_invalid_op 0
		.amdhsa_exception_fp_denorm_src 0
		.amdhsa_exception_fp_ieee_div_zero 0
		.amdhsa_exception_fp_ieee_overflow 0
		.amdhsa_exception_fp_ieee_underflow 0
		.amdhsa_exception_fp_ieee_inexact 0
		.amdhsa_exception_int_div_zero 0
	.end_amdhsa_kernel
	.section	.text._ZN7rocprim17ROCPRIM_400000_NS6detail17trampoline_kernelINS0_14default_configENS1_25transform_config_selectorIN3c107complexIdEELb1EEEZNS1_14transform_implILb1ES3_S8_PS7_SA_NS0_8identityIS7_EEEE10hipError_tT2_T3_mT4_P12ihipStream_tbEUlT_E_NS1_11comp_targetILNS1_3genE0ELNS1_11target_archE4294967295ELNS1_3gpuE0ELNS1_3repE0EEENS1_30default_config_static_selectorELNS0_4arch9wavefront6targetE0EEEvT1_,"axG",@progbits,_ZN7rocprim17ROCPRIM_400000_NS6detail17trampoline_kernelINS0_14default_configENS1_25transform_config_selectorIN3c107complexIdEELb1EEEZNS1_14transform_implILb1ES3_S8_PS7_SA_NS0_8identityIS7_EEEE10hipError_tT2_T3_mT4_P12ihipStream_tbEUlT_E_NS1_11comp_targetILNS1_3genE0ELNS1_11target_archE4294967295ELNS1_3gpuE0ELNS1_3repE0EEENS1_30default_config_static_selectorELNS0_4arch9wavefront6targetE0EEEvT1_,comdat
.Lfunc_end185:
	.size	_ZN7rocprim17ROCPRIM_400000_NS6detail17trampoline_kernelINS0_14default_configENS1_25transform_config_selectorIN3c107complexIdEELb1EEEZNS1_14transform_implILb1ES3_S8_PS7_SA_NS0_8identityIS7_EEEE10hipError_tT2_T3_mT4_P12ihipStream_tbEUlT_E_NS1_11comp_targetILNS1_3genE0ELNS1_11target_archE4294967295ELNS1_3gpuE0ELNS1_3repE0EEENS1_30default_config_static_selectorELNS0_4arch9wavefront6targetE0EEEvT1_, .Lfunc_end185-_ZN7rocprim17ROCPRIM_400000_NS6detail17trampoline_kernelINS0_14default_configENS1_25transform_config_selectorIN3c107complexIdEELb1EEEZNS1_14transform_implILb1ES3_S8_PS7_SA_NS0_8identityIS7_EEEE10hipError_tT2_T3_mT4_P12ihipStream_tbEUlT_E_NS1_11comp_targetILNS1_3genE0ELNS1_11target_archE4294967295ELNS1_3gpuE0ELNS1_3repE0EEENS1_30default_config_static_selectorELNS0_4arch9wavefront6targetE0EEEvT1_
                                        ; -- End function
	.set _ZN7rocprim17ROCPRIM_400000_NS6detail17trampoline_kernelINS0_14default_configENS1_25transform_config_selectorIN3c107complexIdEELb1EEEZNS1_14transform_implILb1ES3_S8_PS7_SA_NS0_8identityIS7_EEEE10hipError_tT2_T3_mT4_P12ihipStream_tbEUlT_E_NS1_11comp_targetILNS1_3genE0ELNS1_11target_archE4294967295ELNS1_3gpuE0ELNS1_3repE0EEENS1_30default_config_static_selectorELNS0_4arch9wavefront6targetE0EEEvT1_.num_vgpr, 0
	.set _ZN7rocprim17ROCPRIM_400000_NS6detail17trampoline_kernelINS0_14default_configENS1_25transform_config_selectorIN3c107complexIdEELb1EEEZNS1_14transform_implILb1ES3_S8_PS7_SA_NS0_8identityIS7_EEEE10hipError_tT2_T3_mT4_P12ihipStream_tbEUlT_E_NS1_11comp_targetILNS1_3genE0ELNS1_11target_archE4294967295ELNS1_3gpuE0ELNS1_3repE0EEENS1_30default_config_static_selectorELNS0_4arch9wavefront6targetE0EEEvT1_.num_agpr, 0
	.set _ZN7rocprim17ROCPRIM_400000_NS6detail17trampoline_kernelINS0_14default_configENS1_25transform_config_selectorIN3c107complexIdEELb1EEEZNS1_14transform_implILb1ES3_S8_PS7_SA_NS0_8identityIS7_EEEE10hipError_tT2_T3_mT4_P12ihipStream_tbEUlT_E_NS1_11comp_targetILNS1_3genE0ELNS1_11target_archE4294967295ELNS1_3gpuE0ELNS1_3repE0EEENS1_30default_config_static_selectorELNS0_4arch9wavefront6targetE0EEEvT1_.numbered_sgpr, 0
	.set _ZN7rocprim17ROCPRIM_400000_NS6detail17trampoline_kernelINS0_14default_configENS1_25transform_config_selectorIN3c107complexIdEELb1EEEZNS1_14transform_implILb1ES3_S8_PS7_SA_NS0_8identityIS7_EEEE10hipError_tT2_T3_mT4_P12ihipStream_tbEUlT_E_NS1_11comp_targetILNS1_3genE0ELNS1_11target_archE4294967295ELNS1_3gpuE0ELNS1_3repE0EEENS1_30default_config_static_selectorELNS0_4arch9wavefront6targetE0EEEvT1_.num_named_barrier, 0
	.set _ZN7rocprim17ROCPRIM_400000_NS6detail17trampoline_kernelINS0_14default_configENS1_25transform_config_selectorIN3c107complexIdEELb1EEEZNS1_14transform_implILb1ES3_S8_PS7_SA_NS0_8identityIS7_EEEE10hipError_tT2_T3_mT4_P12ihipStream_tbEUlT_E_NS1_11comp_targetILNS1_3genE0ELNS1_11target_archE4294967295ELNS1_3gpuE0ELNS1_3repE0EEENS1_30default_config_static_selectorELNS0_4arch9wavefront6targetE0EEEvT1_.private_seg_size, 0
	.set _ZN7rocprim17ROCPRIM_400000_NS6detail17trampoline_kernelINS0_14default_configENS1_25transform_config_selectorIN3c107complexIdEELb1EEEZNS1_14transform_implILb1ES3_S8_PS7_SA_NS0_8identityIS7_EEEE10hipError_tT2_T3_mT4_P12ihipStream_tbEUlT_E_NS1_11comp_targetILNS1_3genE0ELNS1_11target_archE4294967295ELNS1_3gpuE0ELNS1_3repE0EEENS1_30default_config_static_selectorELNS0_4arch9wavefront6targetE0EEEvT1_.uses_vcc, 0
	.set _ZN7rocprim17ROCPRIM_400000_NS6detail17trampoline_kernelINS0_14default_configENS1_25transform_config_selectorIN3c107complexIdEELb1EEEZNS1_14transform_implILb1ES3_S8_PS7_SA_NS0_8identityIS7_EEEE10hipError_tT2_T3_mT4_P12ihipStream_tbEUlT_E_NS1_11comp_targetILNS1_3genE0ELNS1_11target_archE4294967295ELNS1_3gpuE0ELNS1_3repE0EEENS1_30default_config_static_selectorELNS0_4arch9wavefront6targetE0EEEvT1_.uses_flat_scratch, 0
	.set _ZN7rocprim17ROCPRIM_400000_NS6detail17trampoline_kernelINS0_14default_configENS1_25transform_config_selectorIN3c107complexIdEELb1EEEZNS1_14transform_implILb1ES3_S8_PS7_SA_NS0_8identityIS7_EEEE10hipError_tT2_T3_mT4_P12ihipStream_tbEUlT_E_NS1_11comp_targetILNS1_3genE0ELNS1_11target_archE4294967295ELNS1_3gpuE0ELNS1_3repE0EEENS1_30default_config_static_selectorELNS0_4arch9wavefront6targetE0EEEvT1_.has_dyn_sized_stack, 0
	.set _ZN7rocprim17ROCPRIM_400000_NS6detail17trampoline_kernelINS0_14default_configENS1_25transform_config_selectorIN3c107complexIdEELb1EEEZNS1_14transform_implILb1ES3_S8_PS7_SA_NS0_8identityIS7_EEEE10hipError_tT2_T3_mT4_P12ihipStream_tbEUlT_E_NS1_11comp_targetILNS1_3genE0ELNS1_11target_archE4294967295ELNS1_3gpuE0ELNS1_3repE0EEENS1_30default_config_static_selectorELNS0_4arch9wavefront6targetE0EEEvT1_.has_recursion, 0
	.set _ZN7rocprim17ROCPRIM_400000_NS6detail17trampoline_kernelINS0_14default_configENS1_25transform_config_selectorIN3c107complexIdEELb1EEEZNS1_14transform_implILb1ES3_S8_PS7_SA_NS0_8identityIS7_EEEE10hipError_tT2_T3_mT4_P12ihipStream_tbEUlT_E_NS1_11comp_targetILNS1_3genE0ELNS1_11target_archE4294967295ELNS1_3gpuE0ELNS1_3repE0EEENS1_30default_config_static_selectorELNS0_4arch9wavefront6targetE0EEEvT1_.has_indirect_call, 0
	.section	.AMDGPU.csdata,"",@progbits
; Kernel info:
; codeLenInByte = 0
; TotalNumSgprs: 0
; NumVgprs: 0
; ScratchSize: 0
; MemoryBound: 0
; FloatMode: 240
; IeeeMode: 1
; LDSByteSize: 0 bytes/workgroup (compile time only)
; SGPRBlocks: 0
; VGPRBlocks: 0
; NumSGPRsForWavesPerEU: 1
; NumVGPRsForWavesPerEU: 1
; Occupancy: 16
; WaveLimiterHint : 0
; COMPUTE_PGM_RSRC2:SCRATCH_EN: 0
; COMPUTE_PGM_RSRC2:USER_SGPR: 6
; COMPUTE_PGM_RSRC2:TRAP_HANDLER: 0
; COMPUTE_PGM_RSRC2:TGID_X_EN: 1
; COMPUTE_PGM_RSRC2:TGID_Y_EN: 0
; COMPUTE_PGM_RSRC2:TGID_Z_EN: 0
; COMPUTE_PGM_RSRC2:TIDIG_COMP_CNT: 0
	.section	.text._ZN7rocprim17ROCPRIM_400000_NS6detail17trampoline_kernelINS0_14default_configENS1_25transform_config_selectorIN3c107complexIdEELb1EEEZNS1_14transform_implILb1ES3_S8_PS7_SA_NS0_8identityIS7_EEEE10hipError_tT2_T3_mT4_P12ihipStream_tbEUlT_E_NS1_11comp_targetILNS1_3genE10ELNS1_11target_archE1201ELNS1_3gpuE5ELNS1_3repE0EEENS1_30default_config_static_selectorELNS0_4arch9wavefront6targetE0EEEvT1_,"axG",@progbits,_ZN7rocprim17ROCPRIM_400000_NS6detail17trampoline_kernelINS0_14default_configENS1_25transform_config_selectorIN3c107complexIdEELb1EEEZNS1_14transform_implILb1ES3_S8_PS7_SA_NS0_8identityIS7_EEEE10hipError_tT2_T3_mT4_P12ihipStream_tbEUlT_E_NS1_11comp_targetILNS1_3genE10ELNS1_11target_archE1201ELNS1_3gpuE5ELNS1_3repE0EEENS1_30default_config_static_selectorELNS0_4arch9wavefront6targetE0EEEvT1_,comdat
	.protected	_ZN7rocprim17ROCPRIM_400000_NS6detail17trampoline_kernelINS0_14default_configENS1_25transform_config_selectorIN3c107complexIdEELb1EEEZNS1_14transform_implILb1ES3_S8_PS7_SA_NS0_8identityIS7_EEEE10hipError_tT2_T3_mT4_P12ihipStream_tbEUlT_E_NS1_11comp_targetILNS1_3genE10ELNS1_11target_archE1201ELNS1_3gpuE5ELNS1_3repE0EEENS1_30default_config_static_selectorELNS0_4arch9wavefront6targetE0EEEvT1_ ; -- Begin function _ZN7rocprim17ROCPRIM_400000_NS6detail17trampoline_kernelINS0_14default_configENS1_25transform_config_selectorIN3c107complexIdEELb1EEEZNS1_14transform_implILb1ES3_S8_PS7_SA_NS0_8identityIS7_EEEE10hipError_tT2_T3_mT4_P12ihipStream_tbEUlT_E_NS1_11comp_targetILNS1_3genE10ELNS1_11target_archE1201ELNS1_3gpuE5ELNS1_3repE0EEENS1_30default_config_static_selectorELNS0_4arch9wavefront6targetE0EEEvT1_
	.globl	_ZN7rocprim17ROCPRIM_400000_NS6detail17trampoline_kernelINS0_14default_configENS1_25transform_config_selectorIN3c107complexIdEELb1EEEZNS1_14transform_implILb1ES3_S8_PS7_SA_NS0_8identityIS7_EEEE10hipError_tT2_T3_mT4_P12ihipStream_tbEUlT_E_NS1_11comp_targetILNS1_3genE10ELNS1_11target_archE1201ELNS1_3gpuE5ELNS1_3repE0EEENS1_30default_config_static_selectorELNS0_4arch9wavefront6targetE0EEEvT1_
	.p2align	8
	.type	_ZN7rocprim17ROCPRIM_400000_NS6detail17trampoline_kernelINS0_14default_configENS1_25transform_config_selectorIN3c107complexIdEELb1EEEZNS1_14transform_implILb1ES3_S8_PS7_SA_NS0_8identityIS7_EEEE10hipError_tT2_T3_mT4_P12ihipStream_tbEUlT_E_NS1_11comp_targetILNS1_3genE10ELNS1_11target_archE1201ELNS1_3gpuE5ELNS1_3repE0EEENS1_30default_config_static_selectorELNS0_4arch9wavefront6targetE0EEEvT1_,@function
_ZN7rocprim17ROCPRIM_400000_NS6detail17trampoline_kernelINS0_14default_configENS1_25transform_config_selectorIN3c107complexIdEELb1EEEZNS1_14transform_implILb1ES3_S8_PS7_SA_NS0_8identityIS7_EEEE10hipError_tT2_T3_mT4_P12ihipStream_tbEUlT_E_NS1_11comp_targetILNS1_3genE10ELNS1_11target_archE1201ELNS1_3gpuE5ELNS1_3repE0EEENS1_30default_config_static_selectorELNS0_4arch9wavefront6targetE0EEEvT1_: ; @_ZN7rocprim17ROCPRIM_400000_NS6detail17trampoline_kernelINS0_14default_configENS1_25transform_config_selectorIN3c107complexIdEELb1EEEZNS1_14transform_implILb1ES3_S8_PS7_SA_NS0_8identityIS7_EEEE10hipError_tT2_T3_mT4_P12ihipStream_tbEUlT_E_NS1_11comp_targetILNS1_3genE10ELNS1_11target_archE1201ELNS1_3gpuE5ELNS1_3repE0EEENS1_30default_config_static_selectorELNS0_4arch9wavefront6targetE0EEEvT1_
; %bb.0:
	.section	.rodata,"a",@progbits
	.p2align	6, 0x0
	.amdhsa_kernel _ZN7rocprim17ROCPRIM_400000_NS6detail17trampoline_kernelINS0_14default_configENS1_25transform_config_selectorIN3c107complexIdEELb1EEEZNS1_14transform_implILb1ES3_S8_PS7_SA_NS0_8identityIS7_EEEE10hipError_tT2_T3_mT4_P12ihipStream_tbEUlT_E_NS1_11comp_targetILNS1_3genE10ELNS1_11target_archE1201ELNS1_3gpuE5ELNS1_3repE0EEENS1_30default_config_static_selectorELNS0_4arch9wavefront6targetE0EEEvT1_
		.amdhsa_group_segment_fixed_size 0
		.amdhsa_private_segment_fixed_size 0
		.amdhsa_kernarg_size 40
		.amdhsa_user_sgpr_count 6
		.amdhsa_user_sgpr_private_segment_buffer 1
		.amdhsa_user_sgpr_dispatch_ptr 0
		.amdhsa_user_sgpr_queue_ptr 0
		.amdhsa_user_sgpr_kernarg_segment_ptr 1
		.amdhsa_user_sgpr_dispatch_id 0
		.amdhsa_user_sgpr_flat_scratch_init 0
		.amdhsa_user_sgpr_private_segment_size 0
		.amdhsa_wavefront_size32 1
		.amdhsa_uses_dynamic_stack 0
		.amdhsa_system_sgpr_private_segment_wavefront_offset 0
		.amdhsa_system_sgpr_workgroup_id_x 1
		.amdhsa_system_sgpr_workgroup_id_y 0
		.amdhsa_system_sgpr_workgroup_id_z 0
		.amdhsa_system_sgpr_workgroup_info 0
		.amdhsa_system_vgpr_workitem_id 0
		.amdhsa_next_free_vgpr 1
		.amdhsa_next_free_sgpr 1
		.amdhsa_reserve_vcc 0
		.amdhsa_reserve_flat_scratch 0
		.amdhsa_float_round_mode_32 0
		.amdhsa_float_round_mode_16_64 0
		.amdhsa_float_denorm_mode_32 3
		.amdhsa_float_denorm_mode_16_64 3
		.amdhsa_dx10_clamp 1
		.amdhsa_ieee_mode 1
		.amdhsa_fp16_overflow 0
		.amdhsa_workgroup_processor_mode 1
		.amdhsa_memory_ordered 1
		.amdhsa_forward_progress 1
		.amdhsa_shared_vgpr_count 0
		.amdhsa_exception_fp_ieee_invalid_op 0
		.amdhsa_exception_fp_denorm_src 0
		.amdhsa_exception_fp_ieee_div_zero 0
		.amdhsa_exception_fp_ieee_overflow 0
		.amdhsa_exception_fp_ieee_underflow 0
		.amdhsa_exception_fp_ieee_inexact 0
		.amdhsa_exception_int_div_zero 0
	.end_amdhsa_kernel
	.section	.text._ZN7rocprim17ROCPRIM_400000_NS6detail17trampoline_kernelINS0_14default_configENS1_25transform_config_selectorIN3c107complexIdEELb1EEEZNS1_14transform_implILb1ES3_S8_PS7_SA_NS0_8identityIS7_EEEE10hipError_tT2_T3_mT4_P12ihipStream_tbEUlT_E_NS1_11comp_targetILNS1_3genE10ELNS1_11target_archE1201ELNS1_3gpuE5ELNS1_3repE0EEENS1_30default_config_static_selectorELNS0_4arch9wavefront6targetE0EEEvT1_,"axG",@progbits,_ZN7rocprim17ROCPRIM_400000_NS6detail17trampoline_kernelINS0_14default_configENS1_25transform_config_selectorIN3c107complexIdEELb1EEEZNS1_14transform_implILb1ES3_S8_PS7_SA_NS0_8identityIS7_EEEE10hipError_tT2_T3_mT4_P12ihipStream_tbEUlT_E_NS1_11comp_targetILNS1_3genE10ELNS1_11target_archE1201ELNS1_3gpuE5ELNS1_3repE0EEENS1_30default_config_static_selectorELNS0_4arch9wavefront6targetE0EEEvT1_,comdat
.Lfunc_end186:
	.size	_ZN7rocprim17ROCPRIM_400000_NS6detail17trampoline_kernelINS0_14default_configENS1_25transform_config_selectorIN3c107complexIdEELb1EEEZNS1_14transform_implILb1ES3_S8_PS7_SA_NS0_8identityIS7_EEEE10hipError_tT2_T3_mT4_P12ihipStream_tbEUlT_E_NS1_11comp_targetILNS1_3genE10ELNS1_11target_archE1201ELNS1_3gpuE5ELNS1_3repE0EEENS1_30default_config_static_selectorELNS0_4arch9wavefront6targetE0EEEvT1_, .Lfunc_end186-_ZN7rocprim17ROCPRIM_400000_NS6detail17trampoline_kernelINS0_14default_configENS1_25transform_config_selectorIN3c107complexIdEELb1EEEZNS1_14transform_implILb1ES3_S8_PS7_SA_NS0_8identityIS7_EEEE10hipError_tT2_T3_mT4_P12ihipStream_tbEUlT_E_NS1_11comp_targetILNS1_3genE10ELNS1_11target_archE1201ELNS1_3gpuE5ELNS1_3repE0EEENS1_30default_config_static_selectorELNS0_4arch9wavefront6targetE0EEEvT1_
                                        ; -- End function
	.set _ZN7rocprim17ROCPRIM_400000_NS6detail17trampoline_kernelINS0_14default_configENS1_25transform_config_selectorIN3c107complexIdEELb1EEEZNS1_14transform_implILb1ES3_S8_PS7_SA_NS0_8identityIS7_EEEE10hipError_tT2_T3_mT4_P12ihipStream_tbEUlT_E_NS1_11comp_targetILNS1_3genE10ELNS1_11target_archE1201ELNS1_3gpuE5ELNS1_3repE0EEENS1_30default_config_static_selectorELNS0_4arch9wavefront6targetE0EEEvT1_.num_vgpr, 0
	.set _ZN7rocprim17ROCPRIM_400000_NS6detail17trampoline_kernelINS0_14default_configENS1_25transform_config_selectorIN3c107complexIdEELb1EEEZNS1_14transform_implILb1ES3_S8_PS7_SA_NS0_8identityIS7_EEEE10hipError_tT2_T3_mT4_P12ihipStream_tbEUlT_E_NS1_11comp_targetILNS1_3genE10ELNS1_11target_archE1201ELNS1_3gpuE5ELNS1_3repE0EEENS1_30default_config_static_selectorELNS0_4arch9wavefront6targetE0EEEvT1_.num_agpr, 0
	.set _ZN7rocprim17ROCPRIM_400000_NS6detail17trampoline_kernelINS0_14default_configENS1_25transform_config_selectorIN3c107complexIdEELb1EEEZNS1_14transform_implILb1ES3_S8_PS7_SA_NS0_8identityIS7_EEEE10hipError_tT2_T3_mT4_P12ihipStream_tbEUlT_E_NS1_11comp_targetILNS1_3genE10ELNS1_11target_archE1201ELNS1_3gpuE5ELNS1_3repE0EEENS1_30default_config_static_selectorELNS0_4arch9wavefront6targetE0EEEvT1_.numbered_sgpr, 0
	.set _ZN7rocprim17ROCPRIM_400000_NS6detail17trampoline_kernelINS0_14default_configENS1_25transform_config_selectorIN3c107complexIdEELb1EEEZNS1_14transform_implILb1ES3_S8_PS7_SA_NS0_8identityIS7_EEEE10hipError_tT2_T3_mT4_P12ihipStream_tbEUlT_E_NS1_11comp_targetILNS1_3genE10ELNS1_11target_archE1201ELNS1_3gpuE5ELNS1_3repE0EEENS1_30default_config_static_selectorELNS0_4arch9wavefront6targetE0EEEvT1_.num_named_barrier, 0
	.set _ZN7rocprim17ROCPRIM_400000_NS6detail17trampoline_kernelINS0_14default_configENS1_25transform_config_selectorIN3c107complexIdEELb1EEEZNS1_14transform_implILb1ES3_S8_PS7_SA_NS0_8identityIS7_EEEE10hipError_tT2_T3_mT4_P12ihipStream_tbEUlT_E_NS1_11comp_targetILNS1_3genE10ELNS1_11target_archE1201ELNS1_3gpuE5ELNS1_3repE0EEENS1_30default_config_static_selectorELNS0_4arch9wavefront6targetE0EEEvT1_.private_seg_size, 0
	.set _ZN7rocprim17ROCPRIM_400000_NS6detail17trampoline_kernelINS0_14default_configENS1_25transform_config_selectorIN3c107complexIdEELb1EEEZNS1_14transform_implILb1ES3_S8_PS7_SA_NS0_8identityIS7_EEEE10hipError_tT2_T3_mT4_P12ihipStream_tbEUlT_E_NS1_11comp_targetILNS1_3genE10ELNS1_11target_archE1201ELNS1_3gpuE5ELNS1_3repE0EEENS1_30default_config_static_selectorELNS0_4arch9wavefront6targetE0EEEvT1_.uses_vcc, 0
	.set _ZN7rocprim17ROCPRIM_400000_NS6detail17trampoline_kernelINS0_14default_configENS1_25transform_config_selectorIN3c107complexIdEELb1EEEZNS1_14transform_implILb1ES3_S8_PS7_SA_NS0_8identityIS7_EEEE10hipError_tT2_T3_mT4_P12ihipStream_tbEUlT_E_NS1_11comp_targetILNS1_3genE10ELNS1_11target_archE1201ELNS1_3gpuE5ELNS1_3repE0EEENS1_30default_config_static_selectorELNS0_4arch9wavefront6targetE0EEEvT1_.uses_flat_scratch, 0
	.set _ZN7rocprim17ROCPRIM_400000_NS6detail17trampoline_kernelINS0_14default_configENS1_25transform_config_selectorIN3c107complexIdEELb1EEEZNS1_14transform_implILb1ES3_S8_PS7_SA_NS0_8identityIS7_EEEE10hipError_tT2_T3_mT4_P12ihipStream_tbEUlT_E_NS1_11comp_targetILNS1_3genE10ELNS1_11target_archE1201ELNS1_3gpuE5ELNS1_3repE0EEENS1_30default_config_static_selectorELNS0_4arch9wavefront6targetE0EEEvT1_.has_dyn_sized_stack, 0
	.set _ZN7rocprim17ROCPRIM_400000_NS6detail17trampoline_kernelINS0_14default_configENS1_25transform_config_selectorIN3c107complexIdEELb1EEEZNS1_14transform_implILb1ES3_S8_PS7_SA_NS0_8identityIS7_EEEE10hipError_tT2_T3_mT4_P12ihipStream_tbEUlT_E_NS1_11comp_targetILNS1_3genE10ELNS1_11target_archE1201ELNS1_3gpuE5ELNS1_3repE0EEENS1_30default_config_static_selectorELNS0_4arch9wavefront6targetE0EEEvT1_.has_recursion, 0
	.set _ZN7rocprim17ROCPRIM_400000_NS6detail17trampoline_kernelINS0_14default_configENS1_25transform_config_selectorIN3c107complexIdEELb1EEEZNS1_14transform_implILb1ES3_S8_PS7_SA_NS0_8identityIS7_EEEE10hipError_tT2_T3_mT4_P12ihipStream_tbEUlT_E_NS1_11comp_targetILNS1_3genE10ELNS1_11target_archE1201ELNS1_3gpuE5ELNS1_3repE0EEENS1_30default_config_static_selectorELNS0_4arch9wavefront6targetE0EEEvT1_.has_indirect_call, 0
	.section	.AMDGPU.csdata,"",@progbits
; Kernel info:
; codeLenInByte = 0
; TotalNumSgprs: 0
; NumVgprs: 0
; ScratchSize: 0
; MemoryBound: 0
; FloatMode: 240
; IeeeMode: 1
; LDSByteSize: 0 bytes/workgroup (compile time only)
; SGPRBlocks: 0
; VGPRBlocks: 0
; NumSGPRsForWavesPerEU: 1
; NumVGPRsForWavesPerEU: 1
; Occupancy: 16
; WaveLimiterHint : 0
; COMPUTE_PGM_RSRC2:SCRATCH_EN: 0
; COMPUTE_PGM_RSRC2:USER_SGPR: 6
; COMPUTE_PGM_RSRC2:TRAP_HANDLER: 0
; COMPUTE_PGM_RSRC2:TGID_X_EN: 1
; COMPUTE_PGM_RSRC2:TGID_Y_EN: 0
; COMPUTE_PGM_RSRC2:TGID_Z_EN: 0
; COMPUTE_PGM_RSRC2:TIDIG_COMP_CNT: 0
	.section	.text._ZN7rocprim17ROCPRIM_400000_NS6detail17trampoline_kernelINS0_14default_configENS1_25transform_config_selectorIN3c107complexIdEELb1EEEZNS1_14transform_implILb1ES3_S8_PS7_SA_NS0_8identityIS7_EEEE10hipError_tT2_T3_mT4_P12ihipStream_tbEUlT_E_NS1_11comp_targetILNS1_3genE5ELNS1_11target_archE942ELNS1_3gpuE9ELNS1_3repE0EEENS1_30default_config_static_selectorELNS0_4arch9wavefront6targetE0EEEvT1_,"axG",@progbits,_ZN7rocprim17ROCPRIM_400000_NS6detail17trampoline_kernelINS0_14default_configENS1_25transform_config_selectorIN3c107complexIdEELb1EEEZNS1_14transform_implILb1ES3_S8_PS7_SA_NS0_8identityIS7_EEEE10hipError_tT2_T3_mT4_P12ihipStream_tbEUlT_E_NS1_11comp_targetILNS1_3genE5ELNS1_11target_archE942ELNS1_3gpuE9ELNS1_3repE0EEENS1_30default_config_static_selectorELNS0_4arch9wavefront6targetE0EEEvT1_,comdat
	.protected	_ZN7rocprim17ROCPRIM_400000_NS6detail17trampoline_kernelINS0_14default_configENS1_25transform_config_selectorIN3c107complexIdEELb1EEEZNS1_14transform_implILb1ES3_S8_PS7_SA_NS0_8identityIS7_EEEE10hipError_tT2_T3_mT4_P12ihipStream_tbEUlT_E_NS1_11comp_targetILNS1_3genE5ELNS1_11target_archE942ELNS1_3gpuE9ELNS1_3repE0EEENS1_30default_config_static_selectorELNS0_4arch9wavefront6targetE0EEEvT1_ ; -- Begin function _ZN7rocprim17ROCPRIM_400000_NS6detail17trampoline_kernelINS0_14default_configENS1_25transform_config_selectorIN3c107complexIdEELb1EEEZNS1_14transform_implILb1ES3_S8_PS7_SA_NS0_8identityIS7_EEEE10hipError_tT2_T3_mT4_P12ihipStream_tbEUlT_E_NS1_11comp_targetILNS1_3genE5ELNS1_11target_archE942ELNS1_3gpuE9ELNS1_3repE0EEENS1_30default_config_static_selectorELNS0_4arch9wavefront6targetE0EEEvT1_
	.globl	_ZN7rocprim17ROCPRIM_400000_NS6detail17trampoline_kernelINS0_14default_configENS1_25transform_config_selectorIN3c107complexIdEELb1EEEZNS1_14transform_implILb1ES3_S8_PS7_SA_NS0_8identityIS7_EEEE10hipError_tT2_T3_mT4_P12ihipStream_tbEUlT_E_NS1_11comp_targetILNS1_3genE5ELNS1_11target_archE942ELNS1_3gpuE9ELNS1_3repE0EEENS1_30default_config_static_selectorELNS0_4arch9wavefront6targetE0EEEvT1_
	.p2align	8
	.type	_ZN7rocprim17ROCPRIM_400000_NS6detail17trampoline_kernelINS0_14default_configENS1_25transform_config_selectorIN3c107complexIdEELb1EEEZNS1_14transform_implILb1ES3_S8_PS7_SA_NS0_8identityIS7_EEEE10hipError_tT2_T3_mT4_P12ihipStream_tbEUlT_E_NS1_11comp_targetILNS1_3genE5ELNS1_11target_archE942ELNS1_3gpuE9ELNS1_3repE0EEENS1_30default_config_static_selectorELNS0_4arch9wavefront6targetE0EEEvT1_,@function
_ZN7rocprim17ROCPRIM_400000_NS6detail17trampoline_kernelINS0_14default_configENS1_25transform_config_selectorIN3c107complexIdEELb1EEEZNS1_14transform_implILb1ES3_S8_PS7_SA_NS0_8identityIS7_EEEE10hipError_tT2_T3_mT4_P12ihipStream_tbEUlT_E_NS1_11comp_targetILNS1_3genE5ELNS1_11target_archE942ELNS1_3gpuE9ELNS1_3repE0EEENS1_30default_config_static_selectorELNS0_4arch9wavefront6targetE0EEEvT1_: ; @_ZN7rocprim17ROCPRIM_400000_NS6detail17trampoline_kernelINS0_14default_configENS1_25transform_config_selectorIN3c107complexIdEELb1EEEZNS1_14transform_implILb1ES3_S8_PS7_SA_NS0_8identityIS7_EEEE10hipError_tT2_T3_mT4_P12ihipStream_tbEUlT_E_NS1_11comp_targetILNS1_3genE5ELNS1_11target_archE942ELNS1_3gpuE9ELNS1_3repE0EEENS1_30default_config_static_selectorELNS0_4arch9wavefront6targetE0EEEvT1_
; %bb.0:
	.section	.rodata,"a",@progbits
	.p2align	6, 0x0
	.amdhsa_kernel _ZN7rocprim17ROCPRIM_400000_NS6detail17trampoline_kernelINS0_14default_configENS1_25transform_config_selectorIN3c107complexIdEELb1EEEZNS1_14transform_implILb1ES3_S8_PS7_SA_NS0_8identityIS7_EEEE10hipError_tT2_T3_mT4_P12ihipStream_tbEUlT_E_NS1_11comp_targetILNS1_3genE5ELNS1_11target_archE942ELNS1_3gpuE9ELNS1_3repE0EEENS1_30default_config_static_selectorELNS0_4arch9wavefront6targetE0EEEvT1_
		.amdhsa_group_segment_fixed_size 0
		.amdhsa_private_segment_fixed_size 0
		.amdhsa_kernarg_size 40
		.amdhsa_user_sgpr_count 6
		.amdhsa_user_sgpr_private_segment_buffer 1
		.amdhsa_user_sgpr_dispatch_ptr 0
		.amdhsa_user_sgpr_queue_ptr 0
		.amdhsa_user_sgpr_kernarg_segment_ptr 1
		.amdhsa_user_sgpr_dispatch_id 0
		.amdhsa_user_sgpr_flat_scratch_init 0
		.amdhsa_user_sgpr_private_segment_size 0
		.amdhsa_wavefront_size32 1
		.amdhsa_uses_dynamic_stack 0
		.amdhsa_system_sgpr_private_segment_wavefront_offset 0
		.amdhsa_system_sgpr_workgroup_id_x 1
		.amdhsa_system_sgpr_workgroup_id_y 0
		.amdhsa_system_sgpr_workgroup_id_z 0
		.amdhsa_system_sgpr_workgroup_info 0
		.amdhsa_system_vgpr_workitem_id 0
		.amdhsa_next_free_vgpr 1
		.amdhsa_next_free_sgpr 1
		.amdhsa_reserve_vcc 0
		.amdhsa_reserve_flat_scratch 0
		.amdhsa_float_round_mode_32 0
		.amdhsa_float_round_mode_16_64 0
		.amdhsa_float_denorm_mode_32 3
		.amdhsa_float_denorm_mode_16_64 3
		.amdhsa_dx10_clamp 1
		.amdhsa_ieee_mode 1
		.amdhsa_fp16_overflow 0
		.amdhsa_workgroup_processor_mode 1
		.amdhsa_memory_ordered 1
		.amdhsa_forward_progress 1
		.amdhsa_shared_vgpr_count 0
		.amdhsa_exception_fp_ieee_invalid_op 0
		.amdhsa_exception_fp_denorm_src 0
		.amdhsa_exception_fp_ieee_div_zero 0
		.amdhsa_exception_fp_ieee_overflow 0
		.amdhsa_exception_fp_ieee_underflow 0
		.amdhsa_exception_fp_ieee_inexact 0
		.amdhsa_exception_int_div_zero 0
	.end_amdhsa_kernel
	.section	.text._ZN7rocprim17ROCPRIM_400000_NS6detail17trampoline_kernelINS0_14default_configENS1_25transform_config_selectorIN3c107complexIdEELb1EEEZNS1_14transform_implILb1ES3_S8_PS7_SA_NS0_8identityIS7_EEEE10hipError_tT2_T3_mT4_P12ihipStream_tbEUlT_E_NS1_11comp_targetILNS1_3genE5ELNS1_11target_archE942ELNS1_3gpuE9ELNS1_3repE0EEENS1_30default_config_static_selectorELNS0_4arch9wavefront6targetE0EEEvT1_,"axG",@progbits,_ZN7rocprim17ROCPRIM_400000_NS6detail17trampoline_kernelINS0_14default_configENS1_25transform_config_selectorIN3c107complexIdEELb1EEEZNS1_14transform_implILb1ES3_S8_PS7_SA_NS0_8identityIS7_EEEE10hipError_tT2_T3_mT4_P12ihipStream_tbEUlT_E_NS1_11comp_targetILNS1_3genE5ELNS1_11target_archE942ELNS1_3gpuE9ELNS1_3repE0EEENS1_30default_config_static_selectorELNS0_4arch9wavefront6targetE0EEEvT1_,comdat
.Lfunc_end187:
	.size	_ZN7rocprim17ROCPRIM_400000_NS6detail17trampoline_kernelINS0_14default_configENS1_25transform_config_selectorIN3c107complexIdEELb1EEEZNS1_14transform_implILb1ES3_S8_PS7_SA_NS0_8identityIS7_EEEE10hipError_tT2_T3_mT4_P12ihipStream_tbEUlT_E_NS1_11comp_targetILNS1_3genE5ELNS1_11target_archE942ELNS1_3gpuE9ELNS1_3repE0EEENS1_30default_config_static_selectorELNS0_4arch9wavefront6targetE0EEEvT1_, .Lfunc_end187-_ZN7rocprim17ROCPRIM_400000_NS6detail17trampoline_kernelINS0_14default_configENS1_25transform_config_selectorIN3c107complexIdEELb1EEEZNS1_14transform_implILb1ES3_S8_PS7_SA_NS0_8identityIS7_EEEE10hipError_tT2_T3_mT4_P12ihipStream_tbEUlT_E_NS1_11comp_targetILNS1_3genE5ELNS1_11target_archE942ELNS1_3gpuE9ELNS1_3repE0EEENS1_30default_config_static_selectorELNS0_4arch9wavefront6targetE0EEEvT1_
                                        ; -- End function
	.set _ZN7rocprim17ROCPRIM_400000_NS6detail17trampoline_kernelINS0_14default_configENS1_25transform_config_selectorIN3c107complexIdEELb1EEEZNS1_14transform_implILb1ES3_S8_PS7_SA_NS0_8identityIS7_EEEE10hipError_tT2_T3_mT4_P12ihipStream_tbEUlT_E_NS1_11comp_targetILNS1_3genE5ELNS1_11target_archE942ELNS1_3gpuE9ELNS1_3repE0EEENS1_30default_config_static_selectorELNS0_4arch9wavefront6targetE0EEEvT1_.num_vgpr, 0
	.set _ZN7rocprim17ROCPRIM_400000_NS6detail17trampoline_kernelINS0_14default_configENS1_25transform_config_selectorIN3c107complexIdEELb1EEEZNS1_14transform_implILb1ES3_S8_PS7_SA_NS0_8identityIS7_EEEE10hipError_tT2_T3_mT4_P12ihipStream_tbEUlT_E_NS1_11comp_targetILNS1_3genE5ELNS1_11target_archE942ELNS1_3gpuE9ELNS1_3repE0EEENS1_30default_config_static_selectorELNS0_4arch9wavefront6targetE0EEEvT1_.num_agpr, 0
	.set _ZN7rocprim17ROCPRIM_400000_NS6detail17trampoline_kernelINS0_14default_configENS1_25transform_config_selectorIN3c107complexIdEELb1EEEZNS1_14transform_implILb1ES3_S8_PS7_SA_NS0_8identityIS7_EEEE10hipError_tT2_T3_mT4_P12ihipStream_tbEUlT_E_NS1_11comp_targetILNS1_3genE5ELNS1_11target_archE942ELNS1_3gpuE9ELNS1_3repE0EEENS1_30default_config_static_selectorELNS0_4arch9wavefront6targetE0EEEvT1_.numbered_sgpr, 0
	.set _ZN7rocprim17ROCPRIM_400000_NS6detail17trampoline_kernelINS0_14default_configENS1_25transform_config_selectorIN3c107complexIdEELb1EEEZNS1_14transform_implILb1ES3_S8_PS7_SA_NS0_8identityIS7_EEEE10hipError_tT2_T3_mT4_P12ihipStream_tbEUlT_E_NS1_11comp_targetILNS1_3genE5ELNS1_11target_archE942ELNS1_3gpuE9ELNS1_3repE0EEENS1_30default_config_static_selectorELNS0_4arch9wavefront6targetE0EEEvT1_.num_named_barrier, 0
	.set _ZN7rocprim17ROCPRIM_400000_NS6detail17trampoline_kernelINS0_14default_configENS1_25transform_config_selectorIN3c107complexIdEELb1EEEZNS1_14transform_implILb1ES3_S8_PS7_SA_NS0_8identityIS7_EEEE10hipError_tT2_T3_mT4_P12ihipStream_tbEUlT_E_NS1_11comp_targetILNS1_3genE5ELNS1_11target_archE942ELNS1_3gpuE9ELNS1_3repE0EEENS1_30default_config_static_selectorELNS0_4arch9wavefront6targetE0EEEvT1_.private_seg_size, 0
	.set _ZN7rocprim17ROCPRIM_400000_NS6detail17trampoline_kernelINS0_14default_configENS1_25transform_config_selectorIN3c107complexIdEELb1EEEZNS1_14transform_implILb1ES3_S8_PS7_SA_NS0_8identityIS7_EEEE10hipError_tT2_T3_mT4_P12ihipStream_tbEUlT_E_NS1_11comp_targetILNS1_3genE5ELNS1_11target_archE942ELNS1_3gpuE9ELNS1_3repE0EEENS1_30default_config_static_selectorELNS0_4arch9wavefront6targetE0EEEvT1_.uses_vcc, 0
	.set _ZN7rocprim17ROCPRIM_400000_NS6detail17trampoline_kernelINS0_14default_configENS1_25transform_config_selectorIN3c107complexIdEELb1EEEZNS1_14transform_implILb1ES3_S8_PS7_SA_NS0_8identityIS7_EEEE10hipError_tT2_T3_mT4_P12ihipStream_tbEUlT_E_NS1_11comp_targetILNS1_3genE5ELNS1_11target_archE942ELNS1_3gpuE9ELNS1_3repE0EEENS1_30default_config_static_selectorELNS0_4arch9wavefront6targetE0EEEvT1_.uses_flat_scratch, 0
	.set _ZN7rocprim17ROCPRIM_400000_NS6detail17trampoline_kernelINS0_14default_configENS1_25transform_config_selectorIN3c107complexIdEELb1EEEZNS1_14transform_implILb1ES3_S8_PS7_SA_NS0_8identityIS7_EEEE10hipError_tT2_T3_mT4_P12ihipStream_tbEUlT_E_NS1_11comp_targetILNS1_3genE5ELNS1_11target_archE942ELNS1_3gpuE9ELNS1_3repE0EEENS1_30default_config_static_selectorELNS0_4arch9wavefront6targetE0EEEvT1_.has_dyn_sized_stack, 0
	.set _ZN7rocprim17ROCPRIM_400000_NS6detail17trampoline_kernelINS0_14default_configENS1_25transform_config_selectorIN3c107complexIdEELb1EEEZNS1_14transform_implILb1ES3_S8_PS7_SA_NS0_8identityIS7_EEEE10hipError_tT2_T3_mT4_P12ihipStream_tbEUlT_E_NS1_11comp_targetILNS1_3genE5ELNS1_11target_archE942ELNS1_3gpuE9ELNS1_3repE0EEENS1_30default_config_static_selectorELNS0_4arch9wavefront6targetE0EEEvT1_.has_recursion, 0
	.set _ZN7rocprim17ROCPRIM_400000_NS6detail17trampoline_kernelINS0_14default_configENS1_25transform_config_selectorIN3c107complexIdEELb1EEEZNS1_14transform_implILb1ES3_S8_PS7_SA_NS0_8identityIS7_EEEE10hipError_tT2_T3_mT4_P12ihipStream_tbEUlT_E_NS1_11comp_targetILNS1_3genE5ELNS1_11target_archE942ELNS1_3gpuE9ELNS1_3repE0EEENS1_30default_config_static_selectorELNS0_4arch9wavefront6targetE0EEEvT1_.has_indirect_call, 0
	.section	.AMDGPU.csdata,"",@progbits
; Kernel info:
; codeLenInByte = 0
; TotalNumSgprs: 0
; NumVgprs: 0
; ScratchSize: 0
; MemoryBound: 0
; FloatMode: 240
; IeeeMode: 1
; LDSByteSize: 0 bytes/workgroup (compile time only)
; SGPRBlocks: 0
; VGPRBlocks: 0
; NumSGPRsForWavesPerEU: 1
; NumVGPRsForWavesPerEU: 1
; Occupancy: 16
; WaveLimiterHint : 0
; COMPUTE_PGM_RSRC2:SCRATCH_EN: 0
; COMPUTE_PGM_RSRC2:USER_SGPR: 6
; COMPUTE_PGM_RSRC2:TRAP_HANDLER: 0
; COMPUTE_PGM_RSRC2:TGID_X_EN: 1
; COMPUTE_PGM_RSRC2:TGID_Y_EN: 0
; COMPUTE_PGM_RSRC2:TGID_Z_EN: 0
; COMPUTE_PGM_RSRC2:TIDIG_COMP_CNT: 0
	.section	.text._ZN7rocprim17ROCPRIM_400000_NS6detail17trampoline_kernelINS0_14default_configENS1_25transform_config_selectorIN3c107complexIdEELb1EEEZNS1_14transform_implILb1ES3_S8_PS7_SA_NS0_8identityIS7_EEEE10hipError_tT2_T3_mT4_P12ihipStream_tbEUlT_E_NS1_11comp_targetILNS1_3genE4ELNS1_11target_archE910ELNS1_3gpuE8ELNS1_3repE0EEENS1_30default_config_static_selectorELNS0_4arch9wavefront6targetE0EEEvT1_,"axG",@progbits,_ZN7rocprim17ROCPRIM_400000_NS6detail17trampoline_kernelINS0_14default_configENS1_25transform_config_selectorIN3c107complexIdEELb1EEEZNS1_14transform_implILb1ES3_S8_PS7_SA_NS0_8identityIS7_EEEE10hipError_tT2_T3_mT4_P12ihipStream_tbEUlT_E_NS1_11comp_targetILNS1_3genE4ELNS1_11target_archE910ELNS1_3gpuE8ELNS1_3repE0EEENS1_30default_config_static_selectorELNS0_4arch9wavefront6targetE0EEEvT1_,comdat
	.protected	_ZN7rocprim17ROCPRIM_400000_NS6detail17trampoline_kernelINS0_14default_configENS1_25transform_config_selectorIN3c107complexIdEELb1EEEZNS1_14transform_implILb1ES3_S8_PS7_SA_NS0_8identityIS7_EEEE10hipError_tT2_T3_mT4_P12ihipStream_tbEUlT_E_NS1_11comp_targetILNS1_3genE4ELNS1_11target_archE910ELNS1_3gpuE8ELNS1_3repE0EEENS1_30default_config_static_selectorELNS0_4arch9wavefront6targetE0EEEvT1_ ; -- Begin function _ZN7rocprim17ROCPRIM_400000_NS6detail17trampoline_kernelINS0_14default_configENS1_25transform_config_selectorIN3c107complexIdEELb1EEEZNS1_14transform_implILb1ES3_S8_PS7_SA_NS0_8identityIS7_EEEE10hipError_tT2_T3_mT4_P12ihipStream_tbEUlT_E_NS1_11comp_targetILNS1_3genE4ELNS1_11target_archE910ELNS1_3gpuE8ELNS1_3repE0EEENS1_30default_config_static_selectorELNS0_4arch9wavefront6targetE0EEEvT1_
	.globl	_ZN7rocprim17ROCPRIM_400000_NS6detail17trampoline_kernelINS0_14default_configENS1_25transform_config_selectorIN3c107complexIdEELb1EEEZNS1_14transform_implILb1ES3_S8_PS7_SA_NS0_8identityIS7_EEEE10hipError_tT2_T3_mT4_P12ihipStream_tbEUlT_E_NS1_11comp_targetILNS1_3genE4ELNS1_11target_archE910ELNS1_3gpuE8ELNS1_3repE0EEENS1_30default_config_static_selectorELNS0_4arch9wavefront6targetE0EEEvT1_
	.p2align	8
	.type	_ZN7rocprim17ROCPRIM_400000_NS6detail17trampoline_kernelINS0_14default_configENS1_25transform_config_selectorIN3c107complexIdEELb1EEEZNS1_14transform_implILb1ES3_S8_PS7_SA_NS0_8identityIS7_EEEE10hipError_tT2_T3_mT4_P12ihipStream_tbEUlT_E_NS1_11comp_targetILNS1_3genE4ELNS1_11target_archE910ELNS1_3gpuE8ELNS1_3repE0EEENS1_30default_config_static_selectorELNS0_4arch9wavefront6targetE0EEEvT1_,@function
_ZN7rocprim17ROCPRIM_400000_NS6detail17trampoline_kernelINS0_14default_configENS1_25transform_config_selectorIN3c107complexIdEELb1EEEZNS1_14transform_implILb1ES3_S8_PS7_SA_NS0_8identityIS7_EEEE10hipError_tT2_T3_mT4_P12ihipStream_tbEUlT_E_NS1_11comp_targetILNS1_3genE4ELNS1_11target_archE910ELNS1_3gpuE8ELNS1_3repE0EEENS1_30default_config_static_selectorELNS0_4arch9wavefront6targetE0EEEvT1_: ; @_ZN7rocprim17ROCPRIM_400000_NS6detail17trampoline_kernelINS0_14default_configENS1_25transform_config_selectorIN3c107complexIdEELb1EEEZNS1_14transform_implILb1ES3_S8_PS7_SA_NS0_8identityIS7_EEEE10hipError_tT2_T3_mT4_P12ihipStream_tbEUlT_E_NS1_11comp_targetILNS1_3genE4ELNS1_11target_archE910ELNS1_3gpuE8ELNS1_3repE0EEENS1_30default_config_static_selectorELNS0_4arch9wavefront6targetE0EEEvT1_
; %bb.0:
	.section	.rodata,"a",@progbits
	.p2align	6, 0x0
	.amdhsa_kernel _ZN7rocprim17ROCPRIM_400000_NS6detail17trampoline_kernelINS0_14default_configENS1_25transform_config_selectorIN3c107complexIdEELb1EEEZNS1_14transform_implILb1ES3_S8_PS7_SA_NS0_8identityIS7_EEEE10hipError_tT2_T3_mT4_P12ihipStream_tbEUlT_E_NS1_11comp_targetILNS1_3genE4ELNS1_11target_archE910ELNS1_3gpuE8ELNS1_3repE0EEENS1_30default_config_static_selectorELNS0_4arch9wavefront6targetE0EEEvT1_
		.amdhsa_group_segment_fixed_size 0
		.amdhsa_private_segment_fixed_size 0
		.amdhsa_kernarg_size 40
		.amdhsa_user_sgpr_count 6
		.amdhsa_user_sgpr_private_segment_buffer 1
		.amdhsa_user_sgpr_dispatch_ptr 0
		.amdhsa_user_sgpr_queue_ptr 0
		.amdhsa_user_sgpr_kernarg_segment_ptr 1
		.amdhsa_user_sgpr_dispatch_id 0
		.amdhsa_user_sgpr_flat_scratch_init 0
		.amdhsa_user_sgpr_private_segment_size 0
		.amdhsa_wavefront_size32 1
		.amdhsa_uses_dynamic_stack 0
		.amdhsa_system_sgpr_private_segment_wavefront_offset 0
		.amdhsa_system_sgpr_workgroup_id_x 1
		.amdhsa_system_sgpr_workgroup_id_y 0
		.amdhsa_system_sgpr_workgroup_id_z 0
		.amdhsa_system_sgpr_workgroup_info 0
		.amdhsa_system_vgpr_workitem_id 0
		.amdhsa_next_free_vgpr 1
		.amdhsa_next_free_sgpr 1
		.amdhsa_reserve_vcc 0
		.amdhsa_reserve_flat_scratch 0
		.amdhsa_float_round_mode_32 0
		.amdhsa_float_round_mode_16_64 0
		.amdhsa_float_denorm_mode_32 3
		.amdhsa_float_denorm_mode_16_64 3
		.amdhsa_dx10_clamp 1
		.amdhsa_ieee_mode 1
		.amdhsa_fp16_overflow 0
		.amdhsa_workgroup_processor_mode 1
		.amdhsa_memory_ordered 1
		.amdhsa_forward_progress 1
		.amdhsa_shared_vgpr_count 0
		.amdhsa_exception_fp_ieee_invalid_op 0
		.amdhsa_exception_fp_denorm_src 0
		.amdhsa_exception_fp_ieee_div_zero 0
		.amdhsa_exception_fp_ieee_overflow 0
		.amdhsa_exception_fp_ieee_underflow 0
		.amdhsa_exception_fp_ieee_inexact 0
		.amdhsa_exception_int_div_zero 0
	.end_amdhsa_kernel
	.section	.text._ZN7rocprim17ROCPRIM_400000_NS6detail17trampoline_kernelINS0_14default_configENS1_25transform_config_selectorIN3c107complexIdEELb1EEEZNS1_14transform_implILb1ES3_S8_PS7_SA_NS0_8identityIS7_EEEE10hipError_tT2_T3_mT4_P12ihipStream_tbEUlT_E_NS1_11comp_targetILNS1_3genE4ELNS1_11target_archE910ELNS1_3gpuE8ELNS1_3repE0EEENS1_30default_config_static_selectorELNS0_4arch9wavefront6targetE0EEEvT1_,"axG",@progbits,_ZN7rocprim17ROCPRIM_400000_NS6detail17trampoline_kernelINS0_14default_configENS1_25transform_config_selectorIN3c107complexIdEELb1EEEZNS1_14transform_implILb1ES3_S8_PS7_SA_NS0_8identityIS7_EEEE10hipError_tT2_T3_mT4_P12ihipStream_tbEUlT_E_NS1_11comp_targetILNS1_3genE4ELNS1_11target_archE910ELNS1_3gpuE8ELNS1_3repE0EEENS1_30default_config_static_selectorELNS0_4arch9wavefront6targetE0EEEvT1_,comdat
.Lfunc_end188:
	.size	_ZN7rocprim17ROCPRIM_400000_NS6detail17trampoline_kernelINS0_14default_configENS1_25transform_config_selectorIN3c107complexIdEELb1EEEZNS1_14transform_implILb1ES3_S8_PS7_SA_NS0_8identityIS7_EEEE10hipError_tT2_T3_mT4_P12ihipStream_tbEUlT_E_NS1_11comp_targetILNS1_3genE4ELNS1_11target_archE910ELNS1_3gpuE8ELNS1_3repE0EEENS1_30default_config_static_selectorELNS0_4arch9wavefront6targetE0EEEvT1_, .Lfunc_end188-_ZN7rocprim17ROCPRIM_400000_NS6detail17trampoline_kernelINS0_14default_configENS1_25transform_config_selectorIN3c107complexIdEELb1EEEZNS1_14transform_implILb1ES3_S8_PS7_SA_NS0_8identityIS7_EEEE10hipError_tT2_T3_mT4_P12ihipStream_tbEUlT_E_NS1_11comp_targetILNS1_3genE4ELNS1_11target_archE910ELNS1_3gpuE8ELNS1_3repE0EEENS1_30default_config_static_selectorELNS0_4arch9wavefront6targetE0EEEvT1_
                                        ; -- End function
	.set _ZN7rocprim17ROCPRIM_400000_NS6detail17trampoline_kernelINS0_14default_configENS1_25transform_config_selectorIN3c107complexIdEELb1EEEZNS1_14transform_implILb1ES3_S8_PS7_SA_NS0_8identityIS7_EEEE10hipError_tT2_T3_mT4_P12ihipStream_tbEUlT_E_NS1_11comp_targetILNS1_3genE4ELNS1_11target_archE910ELNS1_3gpuE8ELNS1_3repE0EEENS1_30default_config_static_selectorELNS0_4arch9wavefront6targetE0EEEvT1_.num_vgpr, 0
	.set _ZN7rocprim17ROCPRIM_400000_NS6detail17trampoline_kernelINS0_14default_configENS1_25transform_config_selectorIN3c107complexIdEELb1EEEZNS1_14transform_implILb1ES3_S8_PS7_SA_NS0_8identityIS7_EEEE10hipError_tT2_T3_mT4_P12ihipStream_tbEUlT_E_NS1_11comp_targetILNS1_3genE4ELNS1_11target_archE910ELNS1_3gpuE8ELNS1_3repE0EEENS1_30default_config_static_selectorELNS0_4arch9wavefront6targetE0EEEvT1_.num_agpr, 0
	.set _ZN7rocprim17ROCPRIM_400000_NS6detail17trampoline_kernelINS0_14default_configENS1_25transform_config_selectorIN3c107complexIdEELb1EEEZNS1_14transform_implILb1ES3_S8_PS7_SA_NS0_8identityIS7_EEEE10hipError_tT2_T3_mT4_P12ihipStream_tbEUlT_E_NS1_11comp_targetILNS1_3genE4ELNS1_11target_archE910ELNS1_3gpuE8ELNS1_3repE0EEENS1_30default_config_static_selectorELNS0_4arch9wavefront6targetE0EEEvT1_.numbered_sgpr, 0
	.set _ZN7rocprim17ROCPRIM_400000_NS6detail17trampoline_kernelINS0_14default_configENS1_25transform_config_selectorIN3c107complexIdEELb1EEEZNS1_14transform_implILb1ES3_S8_PS7_SA_NS0_8identityIS7_EEEE10hipError_tT2_T3_mT4_P12ihipStream_tbEUlT_E_NS1_11comp_targetILNS1_3genE4ELNS1_11target_archE910ELNS1_3gpuE8ELNS1_3repE0EEENS1_30default_config_static_selectorELNS0_4arch9wavefront6targetE0EEEvT1_.num_named_barrier, 0
	.set _ZN7rocprim17ROCPRIM_400000_NS6detail17trampoline_kernelINS0_14default_configENS1_25transform_config_selectorIN3c107complexIdEELb1EEEZNS1_14transform_implILb1ES3_S8_PS7_SA_NS0_8identityIS7_EEEE10hipError_tT2_T3_mT4_P12ihipStream_tbEUlT_E_NS1_11comp_targetILNS1_3genE4ELNS1_11target_archE910ELNS1_3gpuE8ELNS1_3repE0EEENS1_30default_config_static_selectorELNS0_4arch9wavefront6targetE0EEEvT1_.private_seg_size, 0
	.set _ZN7rocprim17ROCPRIM_400000_NS6detail17trampoline_kernelINS0_14default_configENS1_25transform_config_selectorIN3c107complexIdEELb1EEEZNS1_14transform_implILb1ES3_S8_PS7_SA_NS0_8identityIS7_EEEE10hipError_tT2_T3_mT4_P12ihipStream_tbEUlT_E_NS1_11comp_targetILNS1_3genE4ELNS1_11target_archE910ELNS1_3gpuE8ELNS1_3repE0EEENS1_30default_config_static_selectorELNS0_4arch9wavefront6targetE0EEEvT1_.uses_vcc, 0
	.set _ZN7rocprim17ROCPRIM_400000_NS6detail17trampoline_kernelINS0_14default_configENS1_25transform_config_selectorIN3c107complexIdEELb1EEEZNS1_14transform_implILb1ES3_S8_PS7_SA_NS0_8identityIS7_EEEE10hipError_tT2_T3_mT4_P12ihipStream_tbEUlT_E_NS1_11comp_targetILNS1_3genE4ELNS1_11target_archE910ELNS1_3gpuE8ELNS1_3repE0EEENS1_30default_config_static_selectorELNS0_4arch9wavefront6targetE0EEEvT1_.uses_flat_scratch, 0
	.set _ZN7rocprim17ROCPRIM_400000_NS6detail17trampoline_kernelINS0_14default_configENS1_25transform_config_selectorIN3c107complexIdEELb1EEEZNS1_14transform_implILb1ES3_S8_PS7_SA_NS0_8identityIS7_EEEE10hipError_tT2_T3_mT4_P12ihipStream_tbEUlT_E_NS1_11comp_targetILNS1_3genE4ELNS1_11target_archE910ELNS1_3gpuE8ELNS1_3repE0EEENS1_30default_config_static_selectorELNS0_4arch9wavefront6targetE0EEEvT1_.has_dyn_sized_stack, 0
	.set _ZN7rocprim17ROCPRIM_400000_NS6detail17trampoline_kernelINS0_14default_configENS1_25transform_config_selectorIN3c107complexIdEELb1EEEZNS1_14transform_implILb1ES3_S8_PS7_SA_NS0_8identityIS7_EEEE10hipError_tT2_T3_mT4_P12ihipStream_tbEUlT_E_NS1_11comp_targetILNS1_3genE4ELNS1_11target_archE910ELNS1_3gpuE8ELNS1_3repE0EEENS1_30default_config_static_selectorELNS0_4arch9wavefront6targetE0EEEvT1_.has_recursion, 0
	.set _ZN7rocprim17ROCPRIM_400000_NS6detail17trampoline_kernelINS0_14default_configENS1_25transform_config_selectorIN3c107complexIdEELb1EEEZNS1_14transform_implILb1ES3_S8_PS7_SA_NS0_8identityIS7_EEEE10hipError_tT2_T3_mT4_P12ihipStream_tbEUlT_E_NS1_11comp_targetILNS1_3genE4ELNS1_11target_archE910ELNS1_3gpuE8ELNS1_3repE0EEENS1_30default_config_static_selectorELNS0_4arch9wavefront6targetE0EEEvT1_.has_indirect_call, 0
	.section	.AMDGPU.csdata,"",@progbits
; Kernel info:
; codeLenInByte = 0
; TotalNumSgprs: 0
; NumVgprs: 0
; ScratchSize: 0
; MemoryBound: 0
; FloatMode: 240
; IeeeMode: 1
; LDSByteSize: 0 bytes/workgroup (compile time only)
; SGPRBlocks: 0
; VGPRBlocks: 0
; NumSGPRsForWavesPerEU: 1
; NumVGPRsForWavesPerEU: 1
; Occupancy: 16
; WaveLimiterHint : 0
; COMPUTE_PGM_RSRC2:SCRATCH_EN: 0
; COMPUTE_PGM_RSRC2:USER_SGPR: 6
; COMPUTE_PGM_RSRC2:TRAP_HANDLER: 0
; COMPUTE_PGM_RSRC2:TGID_X_EN: 1
; COMPUTE_PGM_RSRC2:TGID_Y_EN: 0
; COMPUTE_PGM_RSRC2:TGID_Z_EN: 0
; COMPUTE_PGM_RSRC2:TIDIG_COMP_CNT: 0
	.section	.text._ZN7rocprim17ROCPRIM_400000_NS6detail17trampoline_kernelINS0_14default_configENS1_25transform_config_selectorIN3c107complexIdEELb1EEEZNS1_14transform_implILb1ES3_S8_PS7_SA_NS0_8identityIS7_EEEE10hipError_tT2_T3_mT4_P12ihipStream_tbEUlT_E_NS1_11comp_targetILNS1_3genE3ELNS1_11target_archE908ELNS1_3gpuE7ELNS1_3repE0EEENS1_30default_config_static_selectorELNS0_4arch9wavefront6targetE0EEEvT1_,"axG",@progbits,_ZN7rocprim17ROCPRIM_400000_NS6detail17trampoline_kernelINS0_14default_configENS1_25transform_config_selectorIN3c107complexIdEELb1EEEZNS1_14transform_implILb1ES3_S8_PS7_SA_NS0_8identityIS7_EEEE10hipError_tT2_T3_mT4_P12ihipStream_tbEUlT_E_NS1_11comp_targetILNS1_3genE3ELNS1_11target_archE908ELNS1_3gpuE7ELNS1_3repE0EEENS1_30default_config_static_selectorELNS0_4arch9wavefront6targetE0EEEvT1_,comdat
	.protected	_ZN7rocprim17ROCPRIM_400000_NS6detail17trampoline_kernelINS0_14default_configENS1_25transform_config_selectorIN3c107complexIdEELb1EEEZNS1_14transform_implILb1ES3_S8_PS7_SA_NS0_8identityIS7_EEEE10hipError_tT2_T3_mT4_P12ihipStream_tbEUlT_E_NS1_11comp_targetILNS1_3genE3ELNS1_11target_archE908ELNS1_3gpuE7ELNS1_3repE0EEENS1_30default_config_static_selectorELNS0_4arch9wavefront6targetE0EEEvT1_ ; -- Begin function _ZN7rocprim17ROCPRIM_400000_NS6detail17trampoline_kernelINS0_14default_configENS1_25transform_config_selectorIN3c107complexIdEELb1EEEZNS1_14transform_implILb1ES3_S8_PS7_SA_NS0_8identityIS7_EEEE10hipError_tT2_T3_mT4_P12ihipStream_tbEUlT_E_NS1_11comp_targetILNS1_3genE3ELNS1_11target_archE908ELNS1_3gpuE7ELNS1_3repE0EEENS1_30default_config_static_selectorELNS0_4arch9wavefront6targetE0EEEvT1_
	.globl	_ZN7rocprim17ROCPRIM_400000_NS6detail17trampoline_kernelINS0_14default_configENS1_25transform_config_selectorIN3c107complexIdEELb1EEEZNS1_14transform_implILb1ES3_S8_PS7_SA_NS0_8identityIS7_EEEE10hipError_tT2_T3_mT4_P12ihipStream_tbEUlT_E_NS1_11comp_targetILNS1_3genE3ELNS1_11target_archE908ELNS1_3gpuE7ELNS1_3repE0EEENS1_30default_config_static_selectorELNS0_4arch9wavefront6targetE0EEEvT1_
	.p2align	8
	.type	_ZN7rocprim17ROCPRIM_400000_NS6detail17trampoline_kernelINS0_14default_configENS1_25transform_config_selectorIN3c107complexIdEELb1EEEZNS1_14transform_implILb1ES3_S8_PS7_SA_NS0_8identityIS7_EEEE10hipError_tT2_T3_mT4_P12ihipStream_tbEUlT_E_NS1_11comp_targetILNS1_3genE3ELNS1_11target_archE908ELNS1_3gpuE7ELNS1_3repE0EEENS1_30default_config_static_selectorELNS0_4arch9wavefront6targetE0EEEvT1_,@function
_ZN7rocprim17ROCPRIM_400000_NS6detail17trampoline_kernelINS0_14default_configENS1_25transform_config_selectorIN3c107complexIdEELb1EEEZNS1_14transform_implILb1ES3_S8_PS7_SA_NS0_8identityIS7_EEEE10hipError_tT2_T3_mT4_P12ihipStream_tbEUlT_E_NS1_11comp_targetILNS1_3genE3ELNS1_11target_archE908ELNS1_3gpuE7ELNS1_3repE0EEENS1_30default_config_static_selectorELNS0_4arch9wavefront6targetE0EEEvT1_: ; @_ZN7rocprim17ROCPRIM_400000_NS6detail17trampoline_kernelINS0_14default_configENS1_25transform_config_selectorIN3c107complexIdEELb1EEEZNS1_14transform_implILb1ES3_S8_PS7_SA_NS0_8identityIS7_EEEE10hipError_tT2_T3_mT4_P12ihipStream_tbEUlT_E_NS1_11comp_targetILNS1_3genE3ELNS1_11target_archE908ELNS1_3gpuE7ELNS1_3repE0EEENS1_30default_config_static_selectorELNS0_4arch9wavefront6targetE0EEEvT1_
; %bb.0:
	.section	.rodata,"a",@progbits
	.p2align	6, 0x0
	.amdhsa_kernel _ZN7rocprim17ROCPRIM_400000_NS6detail17trampoline_kernelINS0_14default_configENS1_25transform_config_selectorIN3c107complexIdEELb1EEEZNS1_14transform_implILb1ES3_S8_PS7_SA_NS0_8identityIS7_EEEE10hipError_tT2_T3_mT4_P12ihipStream_tbEUlT_E_NS1_11comp_targetILNS1_3genE3ELNS1_11target_archE908ELNS1_3gpuE7ELNS1_3repE0EEENS1_30default_config_static_selectorELNS0_4arch9wavefront6targetE0EEEvT1_
		.amdhsa_group_segment_fixed_size 0
		.amdhsa_private_segment_fixed_size 0
		.amdhsa_kernarg_size 40
		.amdhsa_user_sgpr_count 6
		.amdhsa_user_sgpr_private_segment_buffer 1
		.amdhsa_user_sgpr_dispatch_ptr 0
		.amdhsa_user_sgpr_queue_ptr 0
		.amdhsa_user_sgpr_kernarg_segment_ptr 1
		.amdhsa_user_sgpr_dispatch_id 0
		.amdhsa_user_sgpr_flat_scratch_init 0
		.amdhsa_user_sgpr_private_segment_size 0
		.amdhsa_wavefront_size32 1
		.amdhsa_uses_dynamic_stack 0
		.amdhsa_system_sgpr_private_segment_wavefront_offset 0
		.amdhsa_system_sgpr_workgroup_id_x 1
		.amdhsa_system_sgpr_workgroup_id_y 0
		.amdhsa_system_sgpr_workgroup_id_z 0
		.amdhsa_system_sgpr_workgroup_info 0
		.amdhsa_system_vgpr_workitem_id 0
		.amdhsa_next_free_vgpr 1
		.amdhsa_next_free_sgpr 1
		.amdhsa_reserve_vcc 0
		.amdhsa_reserve_flat_scratch 0
		.amdhsa_float_round_mode_32 0
		.amdhsa_float_round_mode_16_64 0
		.amdhsa_float_denorm_mode_32 3
		.amdhsa_float_denorm_mode_16_64 3
		.amdhsa_dx10_clamp 1
		.amdhsa_ieee_mode 1
		.amdhsa_fp16_overflow 0
		.amdhsa_workgroup_processor_mode 1
		.amdhsa_memory_ordered 1
		.amdhsa_forward_progress 1
		.amdhsa_shared_vgpr_count 0
		.amdhsa_exception_fp_ieee_invalid_op 0
		.amdhsa_exception_fp_denorm_src 0
		.amdhsa_exception_fp_ieee_div_zero 0
		.amdhsa_exception_fp_ieee_overflow 0
		.amdhsa_exception_fp_ieee_underflow 0
		.amdhsa_exception_fp_ieee_inexact 0
		.amdhsa_exception_int_div_zero 0
	.end_amdhsa_kernel
	.section	.text._ZN7rocprim17ROCPRIM_400000_NS6detail17trampoline_kernelINS0_14default_configENS1_25transform_config_selectorIN3c107complexIdEELb1EEEZNS1_14transform_implILb1ES3_S8_PS7_SA_NS0_8identityIS7_EEEE10hipError_tT2_T3_mT4_P12ihipStream_tbEUlT_E_NS1_11comp_targetILNS1_3genE3ELNS1_11target_archE908ELNS1_3gpuE7ELNS1_3repE0EEENS1_30default_config_static_selectorELNS0_4arch9wavefront6targetE0EEEvT1_,"axG",@progbits,_ZN7rocprim17ROCPRIM_400000_NS6detail17trampoline_kernelINS0_14default_configENS1_25transform_config_selectorIN3c107complexIdEELb1EEEZNS1_14transform_implILb1ES3_S8_PS7_SA_NS0_8identityIS7_EEEE10hipError_tT2_T3_mT4_P12ihipStream_tbEUlT_E_NS1_11comp_targetILNS1_3genE3ELNS1_11target_archE908ELNS1_3gpuE7ELNS1_3repE0EEENS1_30default_config_static_selectorELNS0_4arch9wavefront6targetE0EEEvT1_,comdat
.Lfunc_end189:
	.size	_ZN7rocprim17ROCPRIM_400000_NS6detail17trampoline_kernelINS0_14default_configENS1_25transform_config_selectorIN3c107complexIdEELb1EEEZNS1_14transform_implILb1ES3_S8_PS7_SA_NS0_8identityIS7_EEEE10hipError_tT2_T3_mT4_P12ihipStream_tbEUlT_E_NS1_11comp_targetILNS1_3genE3ELNS1_11target_archE908ELNS1_3gpuE7ELNS1_3repE0EEENS1_30default_config_static_selectorELNS0_4arch9wavefront6targetE0EEEvT1_, .Lfunc_end189-_ZN7rocprim17ROCPRIM_400000_NS6detail17trampoline_kernelINS0_14default_configENS1_25transform_config_selectorIN3c107complexIdEELb1EEEZNS1_14transform_implILb1ES3_S8_PS7_SA_NS0_8identityIS7_EEEE10hipError_tT2_T3_mT4_P12ihipStream_tbEUlT_E_NS1_11comp_targetILNS1_3genE3ELNS1_11target_archE908ELNS1_3gpuE7ELNS1_3repE0EEENS1_30default_config_static_selectorELNS0_4arch9wavefront6targetE0EEEvT1_
                                        ; -- End function
	.set _ZN7rocprim17ROCPRIM_400000_NS6detail17trampoline_kernelINS0_14default_configENS1_25transform_config_selectorIN3c107complexIdEELb1EEEZNS1_14transform_implILb1ES3_S8_PS7_SA_NS0_8identityIS7_EEEE10hipError_tT2_T3_mT4_P12ihipStream_tbEUlT_E_NS1_11comp_targetILNS1_3genE3ELNS1_11target_archE908ELNS1_3gpuE7ELNS1_3repE0EEENS1_30default_config_static_selectorELNS0_4arch9wavefront6targetE0EEEvT1_.num_vgpr, 0
	.set _ZN7rocprim17ROCPRIM_400000_NS6detail17trampoline_kernelINS0_14default_configENS1_25transform_config_selectorIN3c107complexIdEELb1EEEZNS1_14transform_implILb1ES3_S8_PS7_SA_NS0_8identityIS7_EEEE10hipError_tT2_T3_mT4_P12ihipStream_tbEUlT_E_NS1_11comp_targetILNS1_3genE3ELNS1_11target_archE908ELNS1_3gpuE7ELNS1_3repE0EEENS1_30default_config_static_selectorELNS0_4arch9wavefront6targetE0EEEvT1_.num_agpr, 0
	.set _ZN7rocprim17ROCPRIM_400000_NS6detail17trampoline_kernelINS0_14default_configENS1_25transform_config_selectorIN3c107complexIdEELb1EEEZNS1_14transform_implILb1ES3_S8_PS7_SA_NS0_8identityIS7_EEEE10hipError_tT2_T3_mT4_P12ihipStream_tbEUlT_E_NS1_11comp_targetILNS1_3genE3ELNS1_11target_archE908ELNS1_3gpuE7ELNS1_3repE0EEENS1_30default_config_static_selectorELNS0_4arch9wavefront6targetE0EEEvT1_.numbered_sgpr, 0
	.set _ZN7rocprim17ROCPRIM_400000_NS6detail17trampoline_kernelINS0_14default_configENS1_25transform_config_selectorIN3c107complexIdEELb1EEEZNS1_14transform_implILb1ES3_S8_PS7_SA_NS0_8identityIS7_EEEE10hipError_tT2_T3_mT4_P12ihipStream_tbEUlT_E_NS1_11comp_targetILNS1_3genE3ELNS1_11target_archE908ELNS1_3gpuE7ELNS1_3repE0EEENS1_30default_config_static_selectorELNS0_4arch9wavefront6targetE0EEEvT1_.num_named_barrier, 0
	.set _ZN7rocprim17ROCPRIM_400000_NS6detail17trampoline_kernelINS0_14default_configENS1_25transform_config_selectorIN3c107complexIdEELb1EEEZNS1_14transform_implILb1ES3_S8_PS7_SA_NS0_8identityIS7_EEEE10hipError_tT2_T3_mT4_P12ihipStream_tbEUlT_E_NS1_11comp_targetILNS1_3genE3ELNS1_11target_archE908ELNS1_3gpuE7ELNS1_3repE0EEENS1_30default_config_static_selectorELNS0_4arch9wavefront6targetE0EEEvT1_.private_seg_size, 0
	.set _ZN7rocprim17ROCPRIM_400000_NS6detail17trampoline_kernelINS0_14default_configENS1_25transform_config_selectorIN3c107complexIdEELb1EEEZNS1_14transform_implILb1ES3_S8_PS7_SA_NS0_8identityIS7_EEEE10hipError_tT2_T3_mT4_P12ihipStream_tbEUlT_E_NS1_11comp_targetILNS1_3genE3ELNS1_11target_archE908ELNS1_3gpuE7ELNS1_3repE0EEENS1_30default_config_static_selectorELNS0_4arch9wavefront6targetE0EEEvT1_.uses_vcc, 0
	.set _ZN7rocprim17ROCPRIM_400000_NS6detail17trampoline_kernelINS0_14default_configENS1_25transform_config_selectorIN3c107complexIdEELb1EEEZNS1_14transform_implILb1ES3_S8_PS7_SA_NS0_8identityIS7_EEEE10hipError_tT2_T3_mT4_P12ihipStream_tbEUlT_E_NS1_11comp_targetILNS1_3genE3ELNS1_11target_archE908ELNS1_3gpuE7ELNS1_3repE0EEENS1_30default_config_static_selectorELNS0_4arch9wavefront6targetE0EEEvT1_.uses_flat_scratch, 0
	.set _ZN7rocprim17ROCPRIM_400000_NS6detail17trampoline_kernelINS0_14default_configENS1_25transform_config_selectorIN3c107complexIdEELb1EEEZNS1_14transform_implILb1ES3_S8_PS7_SA_NS0_8identityIS7_EEEE10hipError_tT2_T3_mT4_P12ihipStream_tbEUlT_E_NS1_11comp_targetILNS1_3genE3ELNS1_11target_archE908ELNS1_3gpuE7ELNS1_3repE0EEENS1_30default_config_static_selectorELNS0_4arch9wavefront6targetE0EEEvT1_.has_dyn_sized_stack, 0
	.set _ZN7rocprim17ROCPRIM_400000_NS6detail17trampoline_kernelINS0_14default_configENS1_25transform_config_selectorIN3c107complexIdEELb1EEEZNS1_14transform_implILb1ES3_S8_PS7_SA_NS0_8identityIS7_EEEE10hipError_tT2_T3_mT4_P12ihipStream_tbEUlT_E_NS1_11comp_targetILNS1_3genE3ELNS1_11target_archE908ELNS1_3gpuE7ELNS1_3repE0EEENS1_30default_config_static_selectorELNS0_4arch9wavefront6targetE0EEEvT1_.has_recursion, 0
	.set _ZN7rocprim17ROCPRIM_400000_NS6detail17trampoline_kernelINS0_14default_configENS1_25transform_config_selectorIN3c107complexIdEELb1EEEZNS1_14transform_implILb1ES3_S8_PS7_SA_NS0_8identityIS7_EEEE10hipError_tT2_T3_mT4_P12ihipStream_tbEUlT_E_NS1_11comp_targetILNS1_3genE3ELNS1_11target_archE908ELNS1_3gpuE7ELNS1_3repE0EEENS1_30default_config_static_selectorELNS0_4arch9wavefront6targetE0EEEvT1_.has_indirect_call, 0
	.section	.AMDGPU.csdata,"",@progbits
; Kernel info:
; codeLenInByte = 0
; TotalNumSgprs: 0
; NumVgprs: 0
; ScratchSize: 0
; MemoryBound: 0
; FloatMode: 240
; IeeeMode: 1
; LDSByteSize: 0 bytes/workgroup (compile time only)
; SGPRBlocks: 0
; VGPRBlocks: 0
; NumSGPRsForWavesPerEU: 1
; NumVGPRsForWavesPerEU: 1
; Occupancy: 16
; WaveLimiterHint : 0
; COMPUTE_PGM_RSRC2:SCRATCH_EN: 0
; COMPUTE_PGM_RSRC2:USER_SGPR: 6
; COMPUTE_PGM_RSRC2:TRAP_HANDLER: 0
; COMPUTE_PGM_RSRC2:TGID_X_EN: 1
; COMPUTE_PGM_RSRC2:TGID_Y_EN: 0
; COMPUTE_PGM_RSRC2:TGID_Z_EN: 0
; COMPUTE_PGM_RSRC2:TIDIG_COMP_CNT: 0
	.section	.text._ZN7rocprim17ROCPRIM_400000_NS6detail17trampoline_kernelINS0_14default_configENS1_25transform_config_selectorIN3c107complexIdEELb1EEEZNS1_14transform_implILb1ES3_S8_PS7_SA_NS0_8identityIS7_EEEE10hipError_tT2_T3_mT4_P12ihipStream_tbEUlT_E_NS1_11comp_targetILNS1_3genE2ELNS1_11target_archE906ELNS1_3gpuE6ELNS1_3repE0EEENS1_30default_config_static_selectorELNS0_4arch9wavefront6targetE0EEEvT1_,"axG",@progbits,_ZN7rocprim17ROCPRIM_400000_NS6detail17trampoline_kernelINS0_14default_configENS1_25transform_config_selectorIN3c107complexIdEELb1EEEZNS1_14transform_implILb1ES3_S8_PS7_SA_NS0_8identityIS7_EEEE10hipError_tT2_T3_mT4_P12ihipStream_tbEUlT_E_NS1_11comp_targetILNS1_3genE2ELNS1_11target_archE906ELNS1_3gpuE6ELNS1_3repE0EEENS1_30default_config_static_selectorELNS0_4arch9wavefront6targetE0EEEvT1_,comdat
	.protected	_ZN7rocprim17ROCPRIM_400000_NS6detail17trampoline_kernelINS0_14default_configENS1_25transform_config_selectorIN3c107complexIdEELb1EEEZNS1_14transform_implILb1ES3_S8_PS7_SA_NS0_8identityIS7_EEEE10hipError_tT2_T3_mT4_P12ihipStream_tbEUlT_E_NS1_11comp_targetILNS1_3genE2ELNS1_11target_archE906ELNS1_3gpuE6ELNS1_3repE0EEENS1_30default_config_static_selectorELNS0_4arch9wavefront6targetE0EEEvT1_ ; -- Begin function _ZN7rocprim17ROCPRIM_400000_NS6detail17trampoline_kernelINS0_14default_configENS1_25transform_config_selectorIN3c107complexIdEELb1EEEZNS1_14transform_implILb1ES3_S8_PS7_SA_NS0_8identityIS7_EEEE10hipError_tT2_T3_mT4_P12ihipStream_tbEUlT_E_NS1_11comp_targetILNS1_3genE2ELNS1_11target_archE906ELNS1_3gpuE6ELNS1_3repE0EEENS1_30default_config_static_selectorELNS0_4arch9wavefront6targetE0EEEvT1_
	.globl	_ZN7rocprim17ROCPRIM_400000_NS6detail17trampoline_kernelINS0_14default_configENS1_25transform_config_selectorIN3c107complexIdEELb1EEEZNS1_14transform_implILb1ES3_S8_PS7_SA_NS0_8identityIS7_EEEE10hipError_tT2_T3_mT4_P12ihipStream_tbEUlT_E_NS1_11comp_targetILNS1_3genE2ELNS1_11target_archE906ELNS1_3gpuE6ELNS1_3repE0EEENS1_30default_config_static_selectorELNS0_4arch9wavefront6targetE0EEEvT1_
	.p2align	8
	.type	_ZN7rocprim17ROCPRIM_400000_NS6detail17trampoline_kernelINS0_14default_configENS1_25transform_config_selectorIN3c107complexIdEELb1EEEZNS1_14transform_implILb1ES3_S8_PS7_SA_NS0_8identityIS7_EEEE10hipError_tT2_T3_mT4_P12ihipStream_tbEUlT_E_NS1_11comp_targetILNS1_3genE2ELNS1_11target_archE906ELNS1_3gpuE6ELNS1_3repE0EEENS1_30default_config_static_selectorELNS0_4arch9wavefront6targetE0EEEvT1_,@function
_ZN7rocprim17ROCPRIM_400000_NS6detail17trampoline_kernelINS0_14default_configENS1_25transform_config_selectorIN3c107complexIdEELb1EEEZNS1_14transform_implILb1ES3_S8_PS7_SA_NS0_8identityIS7_EEEE10hipError_tT2_T3_mT4_P12ihipStream_tbEUlT_E_NS1_11comp_targetILNS1_3genE2ELNS1_11target_archE906ELNS1_3gpuE6ELNS1_3repE0EEENS1_30default_config_static_selectorELNS0_4arch9wavefront6targetE0EEEvT1_: ; @_ZN7rocprim17ROCPRIM_400000_NS6detail17trampoline_kernelINS0_14default_configENS1_25transform_config_selectorIN3c107complexIdEELb1EEEZNS1_14transform_implILb1ES3_S8_PS7_SA_NS0_8identityIS7_EEEE10hipError_tT2_T3_mT4_P12ihipStream_tbEUlT_E_NS1_11comp_targetILNS1_3genE2ELNS1_11target_archE906ELNS1_3gpuE6ELNS1_3repE0EEENS1_30default_config_static_selectorELNS0_4arch9wavefront6targetE0EEEvT1_
; %bb.0:
	.section	.rodata,"a",@progbits
	.p2align	6, 0x0
	.amdhsa_kernel _ZN7rocprim17ROCPRIM_400000_NS6detail17trampoline_kernelINS0_14default_configENS1_25transform_config_selectorIN3c107complexIdEELb1EEEZNS1_14transform_implILb1ES3_S8_PS7_SA_NS0_8identityIS7_EEEE10hipError_tT2_T3_mT4_P12ihipStream_tbEUlT_E_NS1_11comp_targetILNS1_3genE2ELNS1_11target_archE906ELNS1_3gpuE6ELNS1_3repE0EEENS1_30default_config_static_selectorELNS0_4arch9wavefront6targetE0EEEvT1_
		.amdhsa_group_segment_fixed_size 0
		.amdhsa_private_segment_fixed_size 0
		.amdhsa_kernarg_size 40
		.amdhsa_user_sgpr_count 6
		.amdhsa_user_sgpr_private_segment_buffer 1
		.amdhsa_user_sgpr_dispatch_ptr 0
		.amdhsa_user_sgpr_queue_ptr 0
		.amdhsa_user_sgpr_kernarg_segment_ptr 1
		.amdhsa_user_sgpr_dispatch_id 0
		.amdhsa_user_sgpr_flat_scratch_init 0
		.amdhsa_user_sgpr_private_segment_size 0
		.amdhsa_wavefront_size32 1
		.amdhsa_uses_dynamic_stack 0
		.amdhsa_system_sgpr_private_segment_wavefront_offset 0
		.amdhsa_system_sgpr_workgroup_id_x 1
		.amdhsa_system_sgpr_workgroup_id_y 0
		.amdhsa_system_sgpr_workgroup_id_z 0
		.amdhsa_system_sgpr_workgroup_info 0
		.amdhsa_system_vgpr_workitem_id 0
		.amdhsa_next_free_vgpr 1
		.amdhsa_next_free_sgpr 1
		.amdhsa_reserve_vcc 0
		.amdhsa_reserve_flat_scratch 0
		.amdhsa_float_round_mode_32 0
		.amdhsa_float_round_mode_16_64 0
		.amdhsa_float_denorm_mode_32 3
		.amdhsa_float_denorm_mode_16_64 3
		.amdhsa_dx10_clamp 1
		.amdhsa_ieee_mode 1
		.amdhsa_fp16_overflow 0
		.amdhsa_workgroup_processor_mode 1
		.amdhsa_memory_ordered 1
		.amdhsa_forward_progress 1
		.amdhsa_shared_vgpr_count 0
		.amdhsa_exception_fp_ieee_invalid_op 0
		.amdhsa_exception_fp_denorm_src 0
		.amdhsa_exception_fp_ieee_div_zero 0
		.amdhsa_exception_fp_ieee_overflow 0
		.amdhsa_exception_fp_ieee_underflow 0
		.amdhsa_exception_fp_ieee_inexact 0
		.amdhsa_exception_int_div_zero 0
	.end_amdhsa_kernel
	.section	.text._ZN7rocprim17ROCPRIM_400000_NS6detail17trampoline_kernelINS0_14default_configENS1_25transform_config_selectorIN3c107complexIdEELb1EEEZNS1_14transform_implILb1ES3_S8_PS7_SA_NS0_8identityIS7_EEEE10hipError_tT2_T3_mT4_P12ihipStream_tbEUlT_E_NS1_11comp_targetILNS1_3genE2ELNS1_11target_archE906ELNS1_3gpuE6ELNS1_3repE0EEENS1_30default_config_static_selectorELNS0_4arch9wavefront6targetE0EEEvT1_,"axG",@progbits,_ZN7rocprim17ROCPRIM_400000_NS6detail17trampoline_kernelINS0_14default_configENS1_25transform_config_selectorIN3c107complexIdEELb1EEEZNS1_14transform_implILb1ES3_S8_PS7_SA_NS0_8identityIS7_EEEE10hipError_tT2_T3_mT4_P12ihipStream_tbEUlT_E_NS1_11comp_targetILNS1_3genE2ELNS1_11target_archE906ELNS1_3gpuE6ELNS1_3repE0EEENS1_30default_config_static_selectorELNS0_4arch9wavefront6targetE0EEEvT1_,comdat
.Lfunc_end190:
	.size	_ZN7rocprim17ROCPRIM_400000_NS6detail17trampoline_kernelINS0_14default_configENS1_25transform_config_selectorIN3c107complexIdEELb1EEEZNS1_14transform_implILb1ES3_S8_PS7_SA_NS0_8identityIS7_EEEE10hipError_tT2_T3_mT4_P12ihipStream_tbEUlT_E_NS1_11comp_targetILNS1_3genE2ELNS1_11target_archE906ELNS1_3gpuE6ELNS1_3repE0EEENS1_30default_config_static_selectorELNS0_4arch9wavefront6targetE0EEEvT1_, .Lfunc_end190-_ZN7rocprim17ROCPRIM_400000_NS6detail17trampoline_kernelINS0_14default_configENS1_25transform_config_selectorIN3c107complexIdEELb1EEEZNS1_14transform_implILb1ES3_S8_PS7_SA_NS0_8identityIS7_EEEE10hipError_tT2_T3_mT4_P12ihipStream_tbEUlT_E_NS1_11comp_targetILNS1_3genE2ELNS1_11target_archE906ELNS1_3gpuE6ELNS1_3repE0EEENS1_30default_config_static_selectorELNS0_4arch9wavefront6targetE0EEEvT1_
                                        ; -- End function
	.set _ZN7rocprim17ROCPRIM_400000_NS6detail17trampoline_kernelINS0_14default_configENS1_25transform_config_selectorIN3c107complexIdEELb1EEEZNS1_14transform_implILb1ES3_S8_PS7_SA_NS0_8identityIS7_EEEE10hipError_tT2_T3_mT4_P12ihipStream_tbEUlT_E_NS1_11comp_targetILNS1_3genE2ELNS1_11target_archE906ELNS1_3gpuE6ELNS1_3repE0EEENS1_30default_config_static_selectorELNS0_4arch9wavefront6targetE0EEEvT1_.num_vgpr, 0
	.set _ZN7rocprim17ROCPRIM_400000_NS6detail17trampoline_kernelINS0_14default_configENS1_25transform_config_selectorIN3c107complexIdEELb1EEEZNS1_14transform_implILb1ES3_S8_PS7_SA_NS0_8identityIS7_EEEE10hipError_tT2_T3_mT4_P12ihipStream_tbEUlT_E_NS1_11comp_targetILNS1_3genE2ELNS1_11target_archE906ELNS1_3gpuE6ELNS1_3repE0EEENS1_30default_config_static_selectorELNS0_4arch9wavefront6targetE0EEEvT1_.num_agpr, 0
	.set _ZN7rocprim17ROCPRIM_400000_NS6detail17trampoline_kernelINS0_14default_configENS1_25transform_config_selectorIN3c107complexIdEELb1EEEZNS1_14transform_implILb1ES3_S8_PS7_SA_NS0_8identityIS7_EEEE10hipError_tT2_T3_mT4_P12ihipStream_tbEUlT_E_NS1_11comp_targetILNS1_3genE2ELNS1_11target_archE906ELNS1_3gpuE6ELNS1_3repE0EEENS1_30default_config_static_selectorELNS0_4arch9wavefront6targetE0EEEvT1_.numbered_sgpr, 0
	.set _ZN7rocprim17ROCPRIM_400000_NS6detail17trampoline_kernelINS0_14default_configENS1_25transform_config_selectorIN3c107complexIdEELb1EEEZNS1_14transform_implILb1ES3_S8_PS7_SA_NS0_8identityIS7_EEEE10hipError_tT2_T3_mT4_P12ihipStream_tbEUlT_E_NS1_11comp_targetILNS1_3genE2ELNS1_11target_archE906ELNS1_3gpuE6ELNS1_3repE0EEENS1_30default_config_static_selectorELNS0_4arch9wavefront6targetE0EEEvT1_.num_named_barrier, 0
	.set _ZN7rocprim17ROCPRIM_400000_NS6detail17trampoline_kernelINS0_14default_configENS1_25transform_config_selectorIN3c107complexIdEELb1EEEZNS1_14transform_implILb1ES3_S8_PS7_SA_NS0_8identityIS7_EEEE10hipError_tT2_T3_mT4_P12ihipStream_tbEUlT_E_NS1_11comp_targetILNS1_3genE2ELNS1_11target_archE906ELNS1_3gpuE6ELNS1_3repE0EEENS1_30default_config_static_selectorELNS0_4arch9wavefront6targetE0EEEvT1_.private_seg_size, 0
	.set _ZN7rocprim17ROCPRIM_400000_NS6detail17trampoline_kernelINS0_14default_configENS1_25transform_config_selectorIN3c107complexIdEELb1EEEZNS1_14transform_implILb1ES3_S8_PS7_SA_NS0_8identityIS7_EEEE10hipError_tT2_T3_mT4_P12ihipStream_tbEUlT_E_NS1_11comp_targetILNS1_3genE2ELNS1_11target_archE906ELNS1_3gpuE6ELNS1_3repE0EEENS1_30default_config_static_selectorELNS0_4arch9wavefront6targetE0EEEvT1_.uses_vcc, 0
	.set _ZN7rocprim17ROCPRIM_400000_NS6detail17trampoline_kernelINS0_14default_configENS1_25transform_config_selectorIN3c107complexIdEELb1EEEZNS1_14transform_implILb1ES3_S8_PS7_SA_NS0_8identityIS7_EEEE10hipError_tT2_T3_mT4_P12ihipStream_tbEUlT_E_NS1_11comp_targetILNS1_3genE2ELNS1_11target_archE906ELNS1_3gpuE6ELNS1_3repE0EEENS1_30default_config_static_selectorELNS0_4arch9wavefront6targetE0EEEvT1_.uses_flat_scratch, 0
	.set _ZN7rocprim17ROCPRIM_400000_NS6detail17trampoline_kernelINS0_14default_configENS1_25transform_config_selectorIN3c107complexIdEELb1EEEZNS1_14transform_implILb1ES3_S8_PS7_SA_NS0_8identityIS7_EEEE10hipError_tT2_T3_mT4_P12ihipStream_tbEUlT_E_NS1_11comp_targetILNS1_3genE2ELNS1_11target_archE906ELNS1_3gpuE6ELNS1_3repE0EEENS1_30default_config_static_selectorELNS0_4arch9wavefront6targetE0EEEvT1_.has_dyn_sized_stack, 0
	.set _ZN7rocprim17ROCPRIM_400000_NS6detail17trampoline_kernelINS0_14default_configENS1_25transform_config_selectorIN3c107complexIdEELb1EEEZNS1_14transform_implILb1ES3_S8_PS7_SA_NS0_8identityIS7_EEEE10hipError_tT2_T3_mT4_P12ihipStream_tbEUlT_E_NS1_11comp_targetILNS1_3genE2ELNS1_11target_archE906ELNS1_3gpuE6ELNS1_3repE0EEENS1_30default_config_static_selectorELNS0_4arch9wavefront6targetE0EEEvT1_.has_recursion, 0
	.set _ZN7rocprim17ROCPRIM_400000_NS6detail17trampoline_kernelINS0_14default_configENS1_25transform_config_selectorIN3c107complexIdEELb1EEEZNS1_14transform_implILb1ES3_S8_PS7_SA_NS0_8identityIS7_EEEE10hipError_tT2_T3_mT4_P12ihipStream_tbEUlT_E_NS1_11comp_targetILNS1_3genE2ELNS1_11target_archE906ELNS1_3gpuE6ELNS1_3repE0EEENS1_30default_config_static_selectorELNS0_4arch9wavefront6targetE0EEEvT1_.has_indirect_call, 0
	.section	.AMDGPU.csdata,"",@progbits
; Kernel info:
; codeLenInByte = 0
; TotalNumSgprs: 0
; NumVgprs: 0
; ScratchSize: 0
; MemoryBound: 0
; FloatMode: 240
; IeeeMode: 1
; LDSByteSize: 0 bytes/workgroup (compile time only)
; SGPRBlocks: 0
; VGPRBlocks: 0
; NumSGPRsForWavesPerEU: 1
; NumVGPRsForWavesPerEU: 1
; Occupancy: 16
; WaveLimiterHint : 0
; COMPUTE_PGM_RSRC2:SCRATCH_EN: 0
; COMPUTE_PGM_RSRC2:USER_SGPR: 6
; COMPUTE_PGM_RSRC2:TRAP_HANDLER: 0
; COMPUTE_PGM_RSRC2:TGID_X_EN: 1
; COMPUTE_PGM_RSRC2:TGID_Y_EN: 0
; COMPUTE_PGM_RSRC2:TGID_Z_EN: 0
; COMPUTE_PGM_RSRC2:TIDIG_COMP_CNT: 0
	.section	.text._ZN7rocprim17ROCPRIM_400000_NS6detail17trampoline_kernelINS0_14default_configENS1_25transform_config_selectorIN3c107complexIdEELb1EEEZNS1_14transform_implILb1ES3_S8_PS7_SA_NS0_8identityIS7_EEEE10hipError_tT2_T3_mT4_P12ihipStream_tbEUlT_E_NS1_11comp_targetILNS1_3genE9ELNS1_11target_archE1100ELNS1_3gpuE3ELNS1_3repE0EEENS1_30default_config_static_selectorELNS0_4arch9wavefront6targetE0EEEvT1_,"axG",@progbits,_ZN7rocprim17ROCPRIM_400000_NS6detail17trampoline_kernelINS0_14default_configENS1_25transform_config_selectorIN3c107complexIdEELb1EEEZNS1_14transform_implILb1ES3_S8_PS7_SA_NS0_8identityIS7_EEEE10hipError_tT2_T3_mT4_P12ihipStream_tbEUlT_E_NS1_11comp_targetILNS1_3genE9ELNS1_11target_archE1100ELNS1_3gpuE3ELNS1_3repE0EEENS1_30default_config_static_selectorELNS0_4arch9wavefront6targetE0EEEvT1_,comdat
	.protected	_ZN7rocprim17ROCPRIM_400000_NS6detail17trampoline_kernelINS0_14default_configENS1_25transform_config_selectorIN3c107complexIdEELb1EEEZNS1_14transform_implILb1ES3_S8_PS7_SA_NS0_8identityIS7_EEEE10hipError_tT2_T3_mT4_P12ihipStream_tbEUlT_E_NS1_11comp_targetILNS1_3genE9ELNS1_11target_archE1100ELNS1_3gpuE3ELNS1_3repE0EEENS1_30default_config_static_selectorELNS0_4arch9wavefront6targetE0EEEvT1_ ; -- Begin function _ZN7rocprim17ROCPRIM_400000_NS6detail17trampoline_kernelINS0_14default_configENS1_25transform_config_selectorIN3c107complexIdEELb1EEEZNS1_14transform_implILb1ES3_S8_PS7_SA_NS0_8identityIS7_EEEE10hipError_tT2_T3_mT4_P12ihipStream_tbEUlT_E_NS1_11comp_targetILNS1_3genE9ELNS1_11target_archE1100ELNS1_3gpuE3ELNS1_3repE0EEENS1_30default_config_static_selectorELNS0_4arch9wavefront6targetE0EEEvT1_
	.globl	_ZN7rocprim17ROCPRIM_400000_NS6detail17trampoline_kernelINS0_14default_configENS1_25transform_config_selectorIN3c107complexIdEELb1EEEZNS1_14transform_implILb1ES3_S8_PS7_SA_NS0_8identityIS7_EEEE10hipError_tT2_T3_mT4_P12ihipStream_tbEUlT_E_NS1_11comp_targetILNS1_3genE9ELNS1_11target_archE1100ELNS1_3gpuE3ELNS1_3repE0EEENS1_30default_config_static_selectorELNS0_4arch9wavefront6targetE0EEEvT1_
	.p2align	8
	.type	_ZN7rocprim17ROCPRIM_400000_NS6detail17trampoline_kernelINS0_14default_configENS1_25transform_config_selectorIN3c107complexIdEELb1EEEZNS1_14transform_implILb1ES3_S8_PS7_SA_NS0_8identityIS7_EEEE10hipError_tT2_T3_mT4_P12ihipStream_tbEUlT_E_NS1_11comp_targetILNS1_3genE9ELNS1_11target_archE1100ELNS1_3gpuE3ELNS1_3repE0EEENS1_30default_config_static_selectorELNS0_4arch9wavefront6targetE0EEEvT1_,@function
_ZN7rocprim17ROCPRIM_400000_NS6detail17trampoline_kernelINS0_14default_configENS1_25transform_config_selectorIN3c107complexIdEELb1EEEZNS1_14transform_implILb1ES3_S8_PS7_SA_NS0_8identityIS7_EEEE10hipError_tT2_T3_mT4_P12ihipStream_tbEUlT_E_NS1_11comp_targetILNS1_3genE9ELNS1_11target_archE1100ELNS1_3gpuE3ELNS1_3repE0EEENS1_30default_config_static_selectorELNS0_4arch9wavefront6targetE0EEEvT1_: ; @_ZN7rocprim17ROCPRIM_400000_NS6detail17trampoline_kernelINS0_14default_configENS1_25transform_config_selectorIN3c107complexIdEELb1EEEZNS1_14transform_implILb1ES3_S8_PS7_SA_NS0_8identityIS7_EEEE10hipError_tT2_T3_mT4_P12ihipStream_tbEUlT_E_NS1_11comp_targetILNS1_3genE9ELNS1_11target_archE1100ELNS1_3gpuE3ELNS1_3repE0EEENS1_30default_config_static_selectorELNS0_4arch9wavefront6targetE0EEEvT1_
; %bb.0:
	.section	.rodata,"a",@progbits
	.p2align	6, 0x0
	.amdhsa_kernel _ZN7rocprim17ROCPRIM_400000_NS6detail17trampoline_kernelINS0_14default_configENS1_25transform_config_selectorIN3c107complexIdEELb1EEEZNS1_14transform_implILb1ES3_S8_PS7_SA_NS0_8identityIS7_EEEE10hipError_tT2_T3_mT4_P12ihipStream_tbEUlT_E_NS1_11comp_targetILNS1_3genE9ELNS1_11target_archE1100ELNS1_3gpuE3ELNS1_3repE0EEENS1_30default_config_static_selectorELNS0_4arch9wavefront6targetE0EEEvT1_
		.amdhsa_group_segment_fixed_size 0
		.amdhsa_private_segment_fixed_size 0
		.amdhsa_kernarg_size 40
		.amdhsa_user_sgpr_count 6
		.amdhsa_user_sgpr_private_segment_buffer 1
		.amdhsa_user_sgpr_dispatch_ptr 0
		.amdhsa_user_sgpr_queue_ptr 0
		.amdhsa_user_sgpr_kernarg_segment_ptr 1
		.amdhsa_user_sgpr_dispatch_id 0
		.amdhsa_user_sgpr_flat_scratch_init 0
		.amdhsa_user_sgpr_private_segment_size 0
		.amdhsa_wavefront_size32 1
		.amdhsa_uses_dynamic_stack 0
		.amdhsa_system_sgpr_private_segment_wavefront_offset 0
		.amdhsa_system_sgpr_workgroup_id_x 1
		.amdhsa_system_sgpr_workgroup_id_y 0
		.amdhsa_system_sgpr_workgroup_id_z 0
		.amdhsa_system_sgpr_workgroup_info 0
		.amdhsa_system_vgpr_workitem_id 0
		.amdhsa_next_free_vgpr 1
		.amdhsa_next_free_sgpr 1
		.amdhsa_reserve_vcc 0
		.amdhsa_reserve_flat_scratch 0
		.amdhsa_float_round_mode_32 0
		.amdhsa_float_round_mode_16_64 0
		.amdhsa_float_denorm_mode_32 3
		.amdhsa_float_denorm_mode_16_64 3
		.amdhsa_dx10_clamp 1
		.amdhsa_ieee_mode 1
		.amdhsa_fp16_overflow 0
		.amdhsa_workgroup_processor_mode 1
		.amdhsa_memory_ordered 1
		.amdhsa_forward_progress 1
		.amdhsa_shared_vgpr_count 0
		.amdhsa_exception_fp_ieee_invalid_op 0
		.amdhsa_exception_fp_denorm_src 0
		.amdhsa_exception_fp_ieee_div_zero 0
		.amdhsa_exception_fp_ieee_overflow 0
		.amdhsa_exception_fp_ieee_underflow 0
		.amdhsa_exception_fp_ieee_inexact 0
		.amdhsa_exception_int_div_zero 0
	.end_amdhsa_kernel
	.section	.text._ZN7rocprim17ROCPRIM_400000_NS6detail17trampoline_kernelINS0_14default_configENS1_25transform_config_selectorIN3c107complexIdEELb1EEEZNS1_14transform_implILb1ES3_S8_PS7_SA_NS0_8identityIS7_EEEE10hipError_tT2_T3_mT4_P12ihipStream_tbEUlT_E_NS1_11comp_targetILNS1_3genE9ELNS1_11target_archE1100ELNS1_3gpuE3ELNS1_3repE0EEENS1_30default_config_static_selectorELNS0_4arch9wavefront6targetE0EEEvT1_,"axG",@progbits,_ZN7rocprim17ROCPRIM_400000_NS6detail17trampoline_kernelINS0_14default_configENS1_25transform_config_selectorIN3c107complexIdEELb1EEEZNS1_14transform_implILb1ES3_S8_PS7_SA_NS0_8identityIS7_EEEE10hipError_tT2_T3_mT4_P12ihipStream_tbEUlT_E_NS1_11comp_targetILNS1_3genE9ELNS1_11target_archE1100ELNS1_3gpuE3ELNS1_3repE0EEENS1_30default_config_static_selectorELNS0_4arch9wavefront6targetE0EEEvT1_,comdat
.Lfunc_end191:
	.size	_ZN7rocprim17ROCPRIM_400000_NS6detail17trampoline_kernelINS0_14default_configENS1_25transform_config_selectorIN3c107complexIdEELb1EEEZNS1_14transform_implILb1ES3_S8_PS7_SA_NS0_8identityIS7_EEEE10hipError_tT2_T3_mT4_P12ihipStream_tbEUlT_E_NS1_11comp_targetILNS1_3genE9ELNS1_11target_archE1100ELNS1_3gpuE3ELNS1_3repE0EEENS1_30default_config_static_selectorELNS0_4arch9wavefront6targetE0EEEvT1_, .Lfunc_end191-_ZN7rocprim17ROCPRIM_400000_NS6detail17trampoline_kernelINS0_14default_configENS1_25transform_config_selectorIN3c107complexIdEELb1EEEZNS1_14transform_implILb1ES3_S8_PS7_SA_NS0_8identityIS7_EEEE10hipError_tT2_T3_mT4_P12ihipStream_tbEUlT_E_NS1_11comp_targetILNS1_3genE9ELNS1_11target_archE1100ELNS1_3gpuE3ELNS1_3repE0EEENS1_30default_config_static_selectorELNS0_4arch9wavefront6targetE0EEEvT1_
                                        ; -- End function
	.set _ZN7rocprim17ROCPRIM_400000_NS6detail17trampoline_kernelINS0_14default_configENS1_25transform_config_selectorIN3c107complexIdEELb1EEEZNS1_14transform_implILb1ES3_S8_PS7_SA_NS0_8identityIS7_EEEE10hipError_tT2_T3_mT4_P12ihipStream_tbEUlT_E_NS1_11comp_targetILNS1_3genE9ELNS1_11target_archE1100ELNS1_3gpuE3ELNS1_3repE0EEENS1_30default_config_static_selectorELNS0_4arch9wavefront6targetE0EEEvT1_.num_vgpr, 0
	.set _ZN7rocprim17ROCPRIM_400000_NS6detail17trampoline_kernelINS0_14default_configENS1_25transform_config_selectorIN3c107complexIdEELb1EEEZNS1_14transform_implILb1ES3_S8_PS7_SA_NS0_8identityIS7_EEEE10hipError_tT2_T3_mT4_P12ihipStream_tbEUlT_E_NS1_11comp_targetILNS1_3genE9ELNS1_11target_archE1100ELNS1_3gpuE3ELNS1_3repE0EEENS1_30default_config_static_selectorELNS0_4arch9wavefront6targetE0EEEvT1_.num_agpr, 0
	.set _ZN7rocprim17ROCPRIM_400000_NS6detail17trampoline_kernelINS0_14default_configENS1_25transform_config_selectorIN3c107complexIdEELb1EEEZNS1_14transform_implILb1ES3_S8_PS7_SA_NS0_8identityIS7_EEEE10hipError_tT2_T3_mT4_P12ihipStream_tbEUlT_E_NS1_11comp_targetILNS1_3genE9ELNS1_11target_archE1100ELNS1_3gpuE3ELNS1_3repE0EEENS1_30default_config_static_selectorELNS0_4arch9wavefront6targetE0EEEvT1_.numbered_sgpr, 0
	.set _ZN7rocprim17ROCPRIM_400000_NS6detail17trampoline_kernelINS0_14default_configENS1_25transform_config_selectorIN3c107complexIdEELb1EEEZNS1_14transform_implILb1ES3_S8_PS7_SA_NS0_8identityIS7_EEEE10hipError_tT2_T3_mT4_P12ihipStream_tbEUlT_E_NS1_11comp_targetILNS1_3genE9ELNS1_11target_archE1100ELNS1_3gpuE3ELNS1_3repE0EEENS1_30default_config_static_selectorELNS0_4arch9wavefront6targetE0EEEvT1_.num_named_barrier, 0
	.set _ZN7rocprim17ROCPRIM_400000_NS6detail17trampoline_kernelINS0_14default_configENS1_25transform_config_selectorIN3c107complexIdEELb1EEEZNS1_14transform_implILb1ES3_S8_PS7_SA_NS0_8identityIS7_EEEE10hipError_tT2_T3_mT4_P12ihipStream_tbEUlT_E_NS1_11comp_targetILNS1_3genE9ELNS1_11target_archE1100ELNS1_3gpuE3ELNS1_3repE0EEENS1_30default_config_static_selectorELNS0_4arch9wavefront6targetE0EEEvT1_.private_seg_size, 0
	.set _ZN7rocprim17ROCPRIM_400000_NS6detail17trampoline_kernelINS0_14default_configENS1_25transform_config_selectorIN3c107complexIdEELb1EEEZNS1_14transform_implILb1ES3_S8_PS7_SA_NS0_8identityIS7_EEEE10hipError_tT2_T3_mT4_P12ihipStream_tbEUlT_E_NS1_11comp_targetILNS1_3genE9ELNS1_11target_archE1100ELNS1_3gpuE3ELNS1_3repE0EEENS1_30default_config_static_selectorELNS0_4arch9wavefront6targetE0EEEvT1_.uses_vcc, 0
	.set _ZN7rocprim17ROCPRIM_400000_NS6detail17trampoline_kernelINS0_14default_configENS1_25transform_config_selectorIN3c107complexIdEELb1EEEZNS1_14transform_implILb1ES3_S8_PS7_SA_NS0_8identityIS7_EEEE10hipError_tT2_T3_mT4_P12ihipStream_tbEUlT_E_NS1_11comp_targetILNS1_3genE9ELNS1_11target_archE1100ELNS1_3gpuE3ELNS1_3repE0EEENS1_30default_config_static_selectorELNS0_4arch9wavefront6targetE0EEEvT1_.uses_flat_scratch, 0
	.set _ZN7rocprim17ROCPRIM_400000_NS6detail17trampoline_kernelINS0_14default_configENS1_25transform_config_selectorIN3c107complexIdEELb1EEEZNS1_14transform_implILb1ES3_S8_PS7_SA_NS0_8identityIS7_EEEE10hipError_tT2_T3_mT4_P12ihipStream_tbEUlT_E_NS1_11comp_targetILNS1_3genE9ELNS1_11target_archE1100ELNS1_3gpuE3ELNS1_3repE0EEENS1_30default_config_static_selectorELNS0_4arch9wavefront6targetE0EEEvT1_.has_dyn_sized_stack, 0
	.set _ZN7rocprim17ROCPRIM_400000_NS6detail17trampoline_kernelINS0_14default_configENS1_25transform_config_selectorIN3c107complexIdEELb1EEEZNS1_14transform_implILb1ES3_S8_PS7_SA_NS0_8identityIS7_EEEE10hipError_tT2_T3_mT4_P12ihipStream_tbEUlT_E_NS1_11comp_targetILNS1_3genE9ELNS1_11target_archE1100ELNS1_3gpuE3ELNS1_3repE0EEENS1_30default_config_static_selectorELNS0_4arch9wavefront6targetE0EEEvT1_.has_recursion, 0
	.set _ZN7rocprim17ROCPRIM_400000_NS6detail17trampoline_kernelINS0_14default_configENS1_25transform_config_selectorIN3c107complexIdEELb1EEEZNS1_14transform_implILb1ES3_S8_PS7_SA_NS0_8identityIS7_EEEE10hipError_tT2_T3_mT4_P12ihipStream_tbEUlT_E_NS1_11comp_targetILNS1_3genE9ELNS1_11target_archE1100ELNS1_3gpuE3ELNS1_3repE0EEENS1_30default_config_static_selectorELNS0_4arch9wavefront6targetE0EEEvT1_.has_indirect_call, 0
	.section	.AMDGPU.csdata,"",@progbits
; Kernel info:
; codeLenInByte = 0
; TotalNumSgprs: 0
; NumVgprs: 0
; ScratchSize: 0
; MemoryBound: 0
; FloatMode: 240
; IeeeMode: 1
; LDSByteSize: 0 bytes/workgroup (compile time only)
; SGPRBlocks: 0
; VGPRBlocks: 0
; NumSGPRsForWavesPerEU: 1
; NumVGPRsForWavesPerEU: 1
; Occupancy: 16
; WaveLimiterHint : 0
; COMPUTE_PGM_RSRC2:SCRATCH_EN: 0
; COMPUTE_PGM_RSRC2:USER_SGPR: 6
; COMPUTE_PGM_RSRC2:TRAP_HANDLER: 0
; COMPUTE_PGM_RSRC2:TGID_X_EN: 1
; COMPUTE_PGM_RSRC2:TGID_Y_EN: 0
; COMPUTE_PGM_RSRC2:TGID_Z_EN: 0
; COMPUTE_PGM_RSRC2:TIDIG_COMP_CNT: 0
	.section	.text._ZN7rocprim17ROCPRIM_400000_NS6detail17trampoline_kernelINS0_14default_configENS1_25transform_config_selectorIN3c107complexIdEELb1EEEZNS1_14transform_implILb1ES3_S8_PS7_SA_NS0_8identityIS7_EEEE10hipError_tT2_T3_mT4_P12ihipStream_tbEUlT_E_NS1_11comp_targetILNS1_3genE8ELNS1_11target_archE1030ELNS1_3gpuE2ELNS1_3repE0EEENS1_30default_config_static_selectorELNS0_4arch9wavefront6targetE0EEEvT1_,"axG",@progbits,_ZN7rocprim17ROCPRIM_400000_NS6detail17trampoline_kernelINS0_14default_configENS1_25transform_config_selectorIN3c107complexIdEELb1EEEZNS1_14transform_implILb1ES3_S8_PS7_SA_NS0_8identityIS7_EEEE10hipError_tT2_T3_mT4_P12ihipStream_tbEUlT_E_NS1_11comp_targetILNS1_3genE8ELNS1_11target_archE1030ELNS1_3gpuE2ELNS1_3repE0EEENS1_30default_config_static_selectorELNS0_4arch9wavefront6targetE0EEEvT1_,comdat
	.protected	_ZN7rocprim17ROCPRIM_400000_NS6detail17trampoline_kernelINS0_14default_configENS1_25transform_config_selectorIN3c107complexIdEELb1EEEZNS1_14transform_implILb1ES3_S8_PS7_SA_NS0_8identityIS7_EEEE10hipError_tT2_T3_mT4_P12ihipStream_tbEUlT_E_NS1_11comp_targetILNS1_3genE8ELNS1_11target_archE1030ELNS1_3gpuE2ELNS1_3repE0EEENS1_30default_config_static_selectorELNS0_4arch9wavefront6targetE0EEEvT1_ ; -- Begin function _ZN7rocprim17ROCPRIM_400000_NS6detail17trampoline_kernelINS0_14default_configENS1_25transform_config_selectorIN3c107complexIdEELb1EEEZNS1_14transform_implILb1ES3_S8_PS7_SA_NS0_8identityIS7_EEEE10hipError_tT2_T3_mT4_P12ihipStream_tbEUlT_E_NS1_11comp_targetILNS1_3genE8ELNS1_11target_archE1030ELNS1_3gpuE2ELNS1_3repE0EEENS1_30default_config_static_selectorELNS0_4arch9wavefront6targetE0EEEvT1_
	.globl	_ZN7rocprim17ROCPRIM_400000_NS6detail17trampoline_kernelINS0_14default_configENS1_25transform_config_selectorIN3c107complexIdEELb1EEEZNS1_14transform_implILb1ES3_S8_PS7_SA_NS0_8identityIS7_EEEE10hipError_tT2_T3_mT4_P12ihipStream_tbEUlT_E_NS1_11comp_targetILNS1_3genE8ELNS1_11target_archE1030ELNS1_3gpuE2ELNS1_3repE0EEENS1_30default_config_static_selectorELNS0_4arch9wavefront6targetE0EEEvT1_
	.p2align	8
	.type	_ZN7rocprim17ROCPRIM_400000_NS6detail17trampoline_kernelINS0_14default_configENS1_25transform_config_selectorIN3c107complexIdEELb1EEEZNS1_14transform_implILb1ES3_S8_PS7_SA_NS0_8identityIS7_EEEE10hipError_tT2_T3_mT4_P12ihipStream_tbEUlT_E_NS1_11comp_targetILNS1_3genE8ELNS1_11target_archE1030ELNS1_3gpuE2ELNS1_3repE0EEENS1_30default_config_static_selectorELNS0_4arch9wavefront6targetE0EEEvT1_,@function
_ZN7rocprim17ROCPRIM_400000_NS6detail17trampoline_kernelINS0_14default_configENS1_25transform_config_selectorIN3c107complexIdEELb1EEEZNS1_14transform_implILb1ES3_S8_PS7_SA_NS0_8identityIS7_EEEE10hipError_tT2_T3_mT4_P12ihipStream_tbEUlT_E_NS1_11comp_targetILNS1_3genE8ELNS1_11target_archE1030ELNS1_3gpuE2ELNS1_3repE0EEENS1_30default_config_static_selectorELNS0_4arch9wavefront6targetE0EEEvT1_: ; @_ZN7rocprim17ROCPRIM_400000_NS6detail17trampoline_kernelINS0_14default_configENS1_25transform_config_selectorIN3c107complexIdEELb1EEEZNS1_14transform_implILb1ES3_S8_PS7_SA_NS0_8identityIS7_EEEE10hipError_tT2_T3_mT4_P12ihipStream_tbEUlT_E_NS1_11comp_targetILNS1_3genE8ELNS1_11target_archE1030ELNS1_3gpuE2ELNS1_3repE0EEENS1_30default_config_static_selectorELNS0_4arch9wavefront6targetE0EEEvT1_
; %bb.0:
	s_clause 0x1
	s_load_dword s0, s[4:5], 0x28
	s_load_dword s1, s[4:5], 0x10
	s_waitcnt lgkmcnt(0)
	s_add_i32 s2, s0, -1
	s_lshl_b32 s0, s6, 10
	s_cmp_lg_u32 s6, s2
	s_cselect_b32 s2, -1, 0
	s_sub_i32 s1, s1, s0
	v_cmp_gt_u32_e32 vcc_lo, s1, v0
	s_or_b32 s1, vcc_lo, s2
	s_and_saveexec_b32 s2, s1
	s_cbranch_execz .LBB192_2
; %bb.1:
	s_clause 0x1
	s_load_dwordx4 s[8:11], s[4:5], 0x0
	s_load_dwordx2 s[2:3], s[4:5], 0x18
	s_mov_b32 s1, 0
	v_lshlrev_b32_e32 v4, 4, v0
	s_waitcnt lgkmcnt(0)
	s_lshl_b64 s[4:5], s[10:11], 4
	s_add_u32 s6, s8, s4
	s_addc_u32 s7, s9, s5
	s_lshl_b64 s[0:1], s[0:1], 4
	s_add_u32 s6, s6, s0
	s_addc_u32 s7, s7, s1
	s_add_u32 s2, s2, s4
	global_load_dwordx4 v[0:3], v4, s[6:7]
	s_addc_u32 s3, s3, s5
	s_add_u32 s0, s2, s0
	s_addc_u32 s1, s3, s1
	s_waitcnt vmcnt(0)
	global_store_dwordx4 v4, v[0:3], s[0:1]
.LBB192_2:
	s_endpgm
	.section	.rodata,"a",@progbits
	.p2align	6, 0x0
	.amdhsa_kernel _ZN7rocprim17ROCPRIM_400000_NS6detail17trampoline_kernelINS0_14default_configENS1_25transform_config_selectorIN3c107complexIdEELb1EEEZNS1_14transform_implILb1ES3_S8_PS7_SA_NS0_8identityIS7_EEEE10hipError_tT2_T3_mT4_P12ihipStream_tbEUlT_E_NS1_11comp_targetILNS1_3genE8ELNS1_11target_archE1030ELNS1_3gpuE2ELNS1_3repE0EEENS1_30default_config_static_selectorELNS0_4arch9wavefront6targetE0EEEvT1_
		.amdhsa_group_segment_fixed_size 0
		.amdhsa_private_segment_fixed_size 0
		.amdhsa_kernarg_size 296
		.amdhsa_user_sgpr_count 6
		.amdhsa_user_sgpr_private_segment_buffer 1
		.amdhsa_user_sgpr_dispatch_ptr 0
		.amdhsa_user_sgpr_queue_ptr 0
		.amdhsa_user_sgpr_kernarg_segment_ptr 1
		.amdhsa_user_sgpr_dispatch_id 0
		.amdhsa_user_sgpr_flat_scratch_init 0
		.amdhsa_user_sgpr_private_segment_size 0
		.amdhsa_wavefront_size32 1
		.amdhsa_uses_dynamic_stack 0
		.amdhsa_system_sgpr_private_segment_wavefront_offset 0
		.amdhsa_system_sgpr_workgroup_id_x 1
		.amdhsa_system_sgpr_workgroup_id_y 0
		.amdhsa_system_sgpr_workgroup_id_z 0
		.amdhsa_system_sgpr_workgroup_info 0
		.amdhsa_system_vgpr_workitem_id 0
		.amdhsa_next_free_vgpr 5
		.amdhsa_next_free_sgpr 12
		.amdhsa_reserve_vcc 1
		.amdhsa_reserve_flat_scratch 0
		.amdhsa_float_round_mode_32 0
		.amdhsa_float_round_mode_16_64 0
		.amdhsa_float_denorm_mode_32 3
		.amdhsa_float_denorm_mode_16_64 3
		.amdhsa_dx10_clamp 1
		.amdhsa_ieee_mode 1
		.amdhsa_fp16_overflow 0
		.amdhsa_workgroup_processor_mode 1
		.amdhsa_memory_ordered 1
		.amdhsa_forward_progress 1
		.amdhsa_shared_vgpr_count 0
		.amdhsa_exception_fp_ieee_invalid_op 0
		.amdhsa_exception_fp_denorm_src 0
		.amdhsa_exception_fp_ieee_div_zero 0
		.amdhsa_exception_fp_ieee_overflow 0
		.amdhsa_exception_fp_ieee_underflow 0
		.amdhsa_exception_fp_ieee_inexact 0
		.amdhsa_exception_int_div_zero 0
	.end_amdhsa_kernel
	.section	.text._ZN7rocprim17ROCPRIM_400000_NS6detail17trampoline_kernelINS0_14default_configENS1_25transform_config_selectorIN3c107complexIdEELb1EEEZNS1_14transform_implILb1ES3_S8_PS7_SA_NS0_8identityIS7_EEEE10hipError_tT2_T3_mT4_P12ihipStream_tbEUlT_E_NS1_11comp_targetILNS1_3genE8ELNS1_11target_archE1030ELNS1_3gpuE2ELNS1_3repE0EEENS1_30default_config_static_selectorELNS0_4arch9wavefront6targetE0EEEvT1_,"axG",@progbits,_ZN7rocprim17ROCPRIM_400000_NS6detail17trampoline_kernelINS0_14default_configENS1_25transform_config_selectorIN3c107complexIdEELb1EEEZNS1_14transform_implILb1ES3_S8_PS7_SA_NS0_8identityIS7_EEEE10hipError_tT2_T3_mT4_P12ihipStream_tbEUlT_E_NS1_11comp_targetILNS1_3genE8ELNS1_11target_archE1030ELNS1_3gpuE2ELNS1_3repE0EEENS1_30default_config_static_selectorELNS0_4arch9wavefront6targetE0EEEvT1_,comdat
.Lfunc_end192:
	.size	_ZN7rocprim17ROCPRIM_400000_NS6detail17trampoline_kernelINS0_14default_configENS1_25transform_config_selectorIN3c107complexIdEELb1EEEZNS1_14transform_implILb1ES3_S8_PS7_SA_NS0_8identityIS7_EEEE10hipError_tT2_T3_mT4_P12ihipStream_tbEUlT_E_NS1_11comp_targetILNS1_3genE8ELNS1_11target_archE1030ELNS1_3gpuE2ELNS1_3repE0EEENS1_30default_config_static_selectorELNS0_4arch9wavefront6targetE0EEEvT1_, .Lfunc_end192-_ZN7rocprim17ROCPRIM_400000_NS6detail17trampoline_kernelINS0_14default_configENS1_25transform_config_selectorIN3c107complexIdEELb1EEEZNS1_14transform_implILb1ES3_S8_PS7_SA_NS0_8identityIS7_EEEE10hipError_tT2_T3_mT4_P12ihipStream_tbEUlT_E_NS1_11comp_targetILNS1_3genE8ELNS1_11target_archE1030ELNS1_3gpuE2ELNS1_3repE0EEENS1_30default_config_static_selectorELNS0_4arch9wavefront6targetE0EEEvT1_
                                        ; -- End function
	.set _ZN7rocprim17ROCPRIM_400000_NS6detail17trampoline_kernelINS0_14default_configENS1_25transform_config_selectorIN3c107complexIdEELb1EEEZNS1_14transform_implILb1ES3_S8_PS7_SA_NS0_8identityIS7_EEEE10hipError_tT2_T3_mT4_P12ihipStream_tbEUlT_E_NS1_11comp_targetILNS1_3genE8ELNS1_11target_archE1030ELNS1_3gpuE2ELNS1_3repE0EEENS1_30default_config_static_selectorELNS0_4arch9wavefront6targetE0EEEvT1_.num_vgpr, 5
	.set _ZN7rocprim17ROCPRIM_400000_NS6detail17trampoline_kernelINS0_14default_configENS1_25transform_config_selectorIN3c107complexIdEELb1EEEZNS1_14transform_implILb1ES3_S8_PS7_SA_NS0_8identityIS7_EEEE10hipError_tT2_T3_mT4_P12ihipStream_tbEUlT_E_NS1_11comp_targetILNS1_3genE8ELNS1_11target_archE1030ELNS1_3gpuE2ELNS1_3repE0EEENS1_30default_config_static_selectorELNS0_4arch9wavefront6targetE0EEEvT1_.num_agpr, 0
	.set _ZN7rocprim17ROCPRIM_400000_NS6detail17trampoline_kernelINS0_14default_configENS1_25transform_config_selectorIN3c107complexIdEELb1EEEZNS1_14transform_implILb1ES3_S8_PS7_SA_NS0_8identityIS7_EEEE10hipError_tT2_T3_mT4_P12ihipStream_tbEUlT_E_NS1_11comp_targetILNS1_3genE8ELNS1_11target_archE1030ELNS1_3gpuE2ELNS1_3repE0EEENS1_30default_config_static_selectorELNS0_4arch9wavefront6targetE0EEEvT1_.numbered_sgpr, 12
	.set _ZN7rocprim17ROCPRIM_400000_NS6detail17trampoline_kernelINS0_14default_configENS1_25transform_config_selectorIN3c107complexIdEELb1EEEZNS1_14transform_implILb1ES3_S8_PS7_SA_NS0_8identityIS7_EEEE10hipError_tT2_T3_mT4_P12ihipStream_tbEUlT_E_NS1_11comp_targetILNS1_3genE8ELNS1_11target_archE1030ELNS1_3gpuE2ELNS1_3repE0EEENS1_30default_config_static_selectorELNS0_4arch9wavefront6targetE0EEEvT1_.num_named_barrier, 0
	.set _ZN7rocprim17ROCPRIM_400000_NS6detail17trampoline_kernelINS0_14default_configENS1_25transform_config_selectorIN3c107complexIdEELb1EEEZNS1_14transform_implILb1ES3_S8_PS7_SA_NS0_8identityIS7_EEEE10hipError_tT2_T3_mT4_P12ihipStream_tbEUlT_E_NS1_11comp_targetILNS1_3genE8ELNS1_11target_archE1030ELNS1_3gpuE2ELNS1_3repE0EEENS1_30default_config_static_selectorELNS0_4arch9wavefront6targetE0EEEvT1_.private_seg_size, 0
	.set _ZN7rocprim17ROCPRIM_400000_NS6detail17trampoline_kernelINS0_14default_configENS1_25transform_config_selectorIN3c107complexIdEELb1EEEZNS1_14transform_implILb1ES3_S8_PS7_SA_NS0_8identityIS7_EEEE10hipError_tT2_T3_mT4_P12ihipStream_tbEUlT_E_NS1_11comp_targetILNS1_3genE8ELNS1_11target_archE1030ELNS1_3gpuE2ELNS1_3repE0EEENS1_30default_config_static_selectorELNS0_4arch9wavefront6targetE0EEEvT1_.uses_vcc, 1
	.set _ZN7rocprim17ROCPRIM_400000_NS6detail17trampoline_kernelINS0_14default_configENS1_25transform_config_selectorIN3c107complexIdEELb1EEEZNS1_14transform_implILb1ES3_S8_PS7_SA_NS0_8identityIS7_EEEE10hipError_tT2_T3_mT4_P12ihipStream_tbEUlT_E_NS1_11comp_targetILNS1_3genE8ELNS1_11target_archE1030ELNS1_3gpuE2ELNS1_3repE0EEENS1_30default_config_static_selectorELNS0_4arch9wavefront6targetE0EEEvT1_.uses_flat_scratch, 0
	.set _ZN7rocprim17ROCPRIM_400000_NS6detail17trampoline_kernelINS0_14default_configENS1_25transform_config_selectorIN3c107complexIdEELb1EEEZNS1_14transform_implILb1ES3_S8_PS7_SA_NS0_8identityIS7_EEEE10hipError_tT2_T3_mT4_P12ihipStream_tbEUlT_E_NS1_11comp_targetILNS1_3genE8ELNS1_11target_archE1030ELNS1_3gpuE2ELNS1_3repE0EEENS1_30default_config_static_selectorELNS0_4arch9wavefront6targetE0EEEvT1_.has_dyn_sized_stack, 0
	.set _ZN7rocprim17ROCPRIM_400000_NS6detail17trampoline_kernelINS0_14default_configENS1_25transform_config_selectorIN3c107complexIdEELb1EEEZNS1_14transform_implILb1ES3_S8_PS7_SA_NS0_8identityIS7_EEEE10hipError_tT2_T3_mT4_P12ihipStream_tbEUlT_E_NS1_11comp_targetILNS1_3genE8ELNS1_11target_archE1030ELNS1_3gpuE2ELNS1_3repE0EEENS1_30default_config_static_selectorELNS0_4arch9wavefront6targetE0EEEvT1_.has_recursion, 0
	.set _ZN7rocprim17ROCPRIM_400000_NS6detail17trampoline_kernelINS0_14default_configENS1_25transform_config_selectorIN3c107complexIdEELb1EEEZNS1_14transform_implILb1ES3_S8_PS7_SA_NS0_8identityIS7_EEEE10hipError_tT2_T3_mT4_P12ihipStream_tbEUlT_E_NS1_11comp_targetILNS1_3genE8ELNS1_11target_archE1030ELNS1_3gpuE2ELNS1_3repE0EEENS1_30default_config_static_selectorELNS0_4arch9wavefront6targetE0EEEvT1_.has_indirect_call, 0
	.section	.AMDGPU.csdata,"",@progbits
; Kernel info:
; codeLenInByte = 156
; TotalNumSgprs: 14
; NumVgprs: 5
; ScratchSize: 0
; MemoryBound: 0
; FloatMode: 240
; IeeeMode: 1
; LDSByteSize: 0 bytes/workgroup (compile time only)
; SGPRBlocks: 0
; VGPRBlocks: 0
; NumSGPRsForWavesPerEU: 14
; NumVGPRsForWavesPerEU: 5
; Occupancy: 16
; WaveLimiterHint : 0
; COMPUTE_PGM_RSRC2:SCRATCH_EN: 0
; COMPUTE_PGM_RSRC2:USER_SGPR: 6
; COMPUTE_PGM_RSRC2:TRAP_HANDLER: 0
; COMPUTE_PGM_RSRC2:TGID_X_EN: 1
; COMPUTE_PGM_RSRC2:TGID_Y_EN: 0
; COMPUTE_PGM_RSRC2:TGID_Z_EN: 0
; COMPUTE_PGM_RSRC2:TIDIG_COMP_CNT: 0
	.section	.text._ZN7rocprim17ROCPRIM_400000_NS6detail17trampoline_kernelINS0_14default_configENS1_20scan_config_selectorIN3c107complexIdEEEEZZNS1_9scan_implILNS1_25lookback_scan_determinismE0ELb0ELb0ES3_PKS7_PS7_S7_ZZZN2at6native31launch_logcumsumexp_cuda_kernelERKNSE_10TensorBaseESI_lENKUlvE_clEvENKUlvE1_clEvEUlS7_S7_E_S7_EEDaPvRmT3_T4_T5_mT6_P12ihipStream_tbENKUlT_T0_E_clISt17integral_constantIbLb0EESZ_EEDaSU_SV_EUlSU_E0_NS1_11comp_targetILNS1_3genE0ELNS1_11target_archE4294967295ELNS1_3gpuE0ELNS1_3repE0EEENS1_30default_config_static_selectorELNS0_4arch9wavefront6targetE0EEEvT1_,"axG",@progbits,_ZN7rocprim17ROCPRIM_400000_NS6detail17trampoline_kernelINS0_14default_configENS1_20scan_config_selectorIN3c107complexIdEEEEZZNS1_9scan_implILNS1_25lookback_scan_determinismE0ELb0ELb0ES3_PKS7_PS7_S7_ZZZN2at6native31launch_logcumsumexp_cuda_kernelERKNSE_10TensorBaseESI_lENKUlvE_clEvENKUlvE1_clEvEUlS7_S7_E_S7_EEDaPvRmT3_T4_T5_mT6_P12ihipStream_tbENKUlT_T0_E_clISt17integral_constantIbLb0EESZ_EEDaSU_SV_EUlSU_E0_NS1_11comp_targetILNS1_3genE0ELNS1_11target_archE4294967295ELNS1_3gpuE0ELNS1_3repE0EEENS1_30default_config_static_selectorELNS0_4arch9wavefront6targetE0EEEvT1_,comdat
	.globl	_ZN7rocprim17ROCPRIM_400000_NS6detail17trampoline_kernelINS0_14default_configENS1_20scan_config_selectorIN3c107complexIdEEEEZZNS1_9scan_implILNS1_25lookback_scan_determinismE0ELb0ELb0ES3_PKS7_PS7_S7_ZZZN2at6native31launch_logcumsumexp_cuda_kernelERKNSE_10TensorBaseESI_lENKUlvE_clEvENKUlvE1_clEvEUlS7_S7_E_S7_EEDaPvRmT3_T4_T5_mT6_P12ihipStream_tbENKUlT_T0_E_clISt17integral_constantIbLb0EESZ_EEDaSU_SV_EUlSU_E0_NS1_11comp_targetILNS1_3genE0ELNS1_11target_archE4294967295ELNS1_3gpuE0ELNS1_3repE0EEENS1_30default_config_static_selectorELNS0_4arch9wavefront6targetE0EEEvT1_ ; -- Begin function _ZN7rocprim17ROCPRIM_400000_NS6detail17trampoline_kernelINS0_14default_configENS1_20scan_config_selectorIN3c107complexIdEEEEZZNS1_9scan_implILNS1_25lookback_scan_determinismE0ELb0ELb0ES3_PKS7_PS7_S7_ZZZN2at6native31launch_logcumsumexp_cuda_kernelERKNSE_10TensorBaseESI_lENKUlvE_clEvENKUlvE1_clEvEUlS7_S7_E_S7_EEDaPvRmT3_T4_T5_mT6_P12ihipStream_tbENKUlT_T0_E_clISt17integral_constantIbLb0EESZ_EEDaSU_SV_EUlSU_E0_NS1_11comp_targetILNS1_3genE0ELNS1_11target_archE4294967295ELNS1_3gpuE0ELNS1_3repE0EEENS1_30default_config_static_selectorELNS0_4arch9wavefront6targetE0EEEvT1_
	.p2align	8
	.type	_ZN7rocprim17ROCPRIM_400000_NS6detail17trampoline_kernelINS0_14default_configENS1_20scan_config_selectorIN3c107complexIdEEEEZZNS1_9scan_implILNS1_25lookback_scan_determinismE0ELb0ELb0ES3_PKS7_PS7_S7_ZZZN2at6native31launch_logcumsumexp_cuda_kernelERKNSE_10TensorBaseESI_lENKUlvE_clEvENKUlvE1_clEvEUlS7_S7_E_S7_EEDaPvRmT3_T4_T5_mT6_P12ihipStream_tbENKUlT_T0_E_clISt17integral_constantIbLb0EESZ_EEDaSU_SV_EUlSU_E0_NS1_11comp_targetILNS1_3genE0ELNS1_11target_archE4294967295ELNS1_3gpuE0ELNS1_3repE0EEENS1_30default_config_static_selectorELNS0_4arch9wavefront6targetE0EEEvT1_,@function
_ZN7rocprim17ROCPRIM_400000_NS6detail17trampoline_kernelINS0_14default_configENS1_20scan_config_selectorIN3c107complexIdEEEEZZNS1_9scan_implILNS1_25lookback_scan_determinismE0ELb0ELb0ES3_PKS7_PS7_S7_ZZZN2at6native31launch_logcumsumexp_cuda_kernelERKNSE_10TensorBaseESI_lENKUlvE_clEvENKUlvE1_clEvEUlS7_S7_E_S7_EEDaPvRmT3_T4_T5_mT6_P12ihipStream_tbENKUlT_T0_E_clISt17integral_constantIbLb0EESZ_EEDaSU_SV_EUlSU_E0_NS1_11comp_targetILNS1_3genE0ELNS1_11target_archE4294967295ELNS1_3gpuE0ELNS1_3repE0EEENS1_30default_config_static_selectorELNS0_4arch9wavefront6targetE0EEEvT1_: ; @_ZN7rocprim17ROCPRIM_400000_NS6detail17trampoline_kernelINS0_14default_configENS1_20scan_config_selectorIN3c107complexIdEEEEZZNS1_9scan_implILNS1_25lookback_scan_determinismE0ELb0ELb0ES3_PKS7_PS7_S7_ZZZN2at6native31launch_logcumsumexp_cuda_kernelERKNSE_10TensorBaseESI_lENKUlvE_clEvENKUlvE1_clEvEUlS7_S7_E_S7_EEDaPvRmT3_T4_T5_mT6_P12ihipStream_tbENKUlT_T0_E_clISt17integral_constantIbLb0EESZ_EEDaSU_SV_EUlSU_E0_NS1_11comp_targetILNS1_3genE0ELNS1_11target_archE4294967295ELNS1_3gpuE0ELNS1_3repE0EEENS1_30default_config_static_selectorELNS0_4arch9wavefront6targetE0EEEvT1_
; %bb.0:
	.section	.rodata,"a",@progbits
	.p2align	6, 0x0
	.amdhsa_kernel _ZN7rocprim17ROCPRIM_400000_NS6detail17trampoline_kernelINS0_14default_configENS1_20scan_config_selectorIN3c107complexIdEEEEZZNS1_9scan_implILNS1_25lookback_scan_determinismE0ELb0ELb0ES3_PKS7_PS7_S7_ZZZN2at6native31launch_logcumsumexp_cuda_kernelERKNSE_10TensorBaseESI_lENKUlvE_clEvENKUlvE1_clEvEUlS7_S7_E_S7_EEDaPvRmT3_T4_T5_mT6_P12ihipStream_tbENKUlT_T0_E_clISt17integral_constantIbLb0EESZ_EEDaSU_SV_EUlSU_E0_NS1_11comp_targetILNS1_3genE0ELNS1_11target_archE4294967295ELNS1_3gpuE0ELNS1_3repE0EEENS1_30default_config_static_selectorELNS0_4arch9wavefront6targetE0EEEvT1_
		.amdhsa_group_segment_fixed_size 0
		.amdhsa_private_segment_fixed_size 0
		.amdhsa_kernarg_size 48
		.amdhsa_user_sgpr_count 6
		.amdhsa_user_sgpr_private_segment_buffer 1
		.amdhsa_user_sgpr_dispatch_ptr 0
		.amdhsa_user_sgpr_queue_ptr 0
		.amdhsa_user_sgpr_kernarg_segment_ptr 1
		.amdhsa_user_sgpr_dispatch_id 0
		.amdhsa_user_sgpr_flat_scratch_init 0
		.amdhsa_user_sgpr_private_segment_size 0
		.amdhsa_wavefront_size32 1
		.amdhsa_uses_dynamic_stack 0
		.amdhsa_system_sgpr_private_segment_wavefront_offset 0
		.amdhsa_system_sgpr_workgroup_id_x 1
		.amdhsa_system_sgpr_workgroup_id_y 0
		.amdhsa_system_sgpr_workgroup_id_z 0
		.amdhsa_system_sgpr_workgroup_info 0
		.amdhsa_system_vgpr_workitem_id 0
		.amdhsa_next_free_vgpr 1
		.amdhsa_next_free_sgpr 1
		.amdhsa_reserve_vcc 0
		.amdhsa_reserve_flat_scratch 0
		.amdhsa_float_round_mode_32 0
		.amdhsa_float_round_mode_16_64 0
		.amdhsa_float_denorm_mode_32 3
		.amdhsa_float_denorm_mode_16_64 3
		.amdhsa_dx10_clamp 1
		.amdhsa_ieee_mode 1
		.amdhsa_fp16_overflow 0
		.amdhsa_workgroup_processor_mode 1
		.amdhsa_memory_ordered 1
		.amdhsa_forward_progress 1
		.amdhsa_shared_vgpr_count 0
		.amdhsa_exception_fp_ieee_invalid_op 0
		.amdhsa_exception_fp_denorm_src 0
		.amdhsa_exception_fp_ieee_div_zero 0
		.amdhsa_exception_fp_ieee_overflow 0
		.amdhsa_exception_fp_ieee_underflow 0
		.amdhsa_exception_fp_ieee_inexact 0
		.amdhsa_exception_int_div_zero 0
	.end_amdhsa_kernel
	.section	.text._ZN7rocprim17ROCPRIM_400000_NS6detail17trampoline_kernelINS0_14default_configENS1_20scan_config_selectorIN3c107complexIdEEEEZZNS1_9scan_implILNS1_25lookback_scan_determinismE0ELb0ELb0ES3_PKS7_PS7_S7_ZZZN2at6native31launch_logcumsumexp_cuda_kernelERKNSE_10TensorBaseESI_lENKUlvE_clEvENKUlvE1_clEvEUlS7_S7_E_S7_EEDaPvRmT3_T4_T5_mT6_P12ihipStream_tbENKUlT_T0_E_clISt17integral_constantIbLb0EESZ_EEDaSU_SV_EUlSU_E0_NS1_11comp_targetILNS1_3genE0ELNS1_11target_archE4294967295ELNS1_3gpuE0ELNS1_3repE0EEENS1_30default_config_static_selectorELNS0_4arch9wavefront6targetE0EEEvT1_,"axG",@progbits,_ZN7rocprim17ROCPRIM_400000_NS6detail17trampoline_kernelINS0_14default_configENS1_20scan_config_selectorIN3c107complexIdEEEEZZNS1_9scan_implILNS1_25lookback_scan_determinismE0ELb0ELb0ES3_PKS7_PS7_S7_ZZZN2at6native31launch_logcumsumexp_cuda_kernelERKNSE_10TensorBaseESI_lENKUlvE_clEvENKUlvE1_clEvEUlS7_S7_E_S7_EEDaPvRmT3_T4_T5_mT6_P12ihipStream_tbENKUlT_T0_E_clISt17integral_constantIbLb0EESZ_EEDaSU_SV_EUlSU_E0_NS1_11comp_targetILNS1_3genE0ELNS1_11target_archE4294967295ELNS1_3gpuE0ELNS1_3repE0EEENS1_30default_config_static_selectorELNS0_4arch9wavefront6targetE0EEEvT1_,comdat
.Lfunc_end193:
	.size	_ZN7rocprim17ROCPRIM_400000_NS6detail17trampoline_kernelINS0_14default_configENS1_20scan_config_selectorIN3c107complexIdEEEEZZNS1_9scan_implILNS1_25lookback_scan_determinismE0ELb0ELb0ES3_PKS7_PS7_S7_ZZZN2at6native31launch_logcumsumexp_cuda_kernelERKNSE_10TensorBaseESI_lENKUlvE_clEvENKUlvE1_clEvEUlS7_S7_E_S7_EEDaPvRmT3_T4_T5_mT6_P12ihipStream_tbENKUlT_T0_E_clISt17integral_constantIbLb0EESZ_EEDaSU_SV_EUlSU_E0_NS1_11comp_targetILNS1_3genE0ELNS1_11target_archE4294967295ELNS1_3gpuE0ELNS1_3repE0EEENS1_30default_config_static_selectorELNS0_4arch9wavefront6targetE0EEEvT1_, .Lfunc_end193-_ZN7rocprim17ROCPRIM_400000_NS6detail17trampoline_kernelINS0_14default_configENS1_20scan_config_selectorIN3c107complexIdEEEEZZNS1_9scan_implILNS1_25lookback_scan_determinismE0ELb0ELb0ES3_PKS7_PS7_S7_ZZZN2at6native31launch_logcumsumexp_cuda_kernelERKNSE_10TensorBaseESI_lENKUlvE_clEvENKUlvE1_clEvEUlS7_S7_E_S7_EEDaPvRmT3_T4_T5_mT6_P12ihipStream_tbENKUlT_T0_E_clISt17integral_constantIbLb0EESZ_EEDaSU_SV_EUlSU_E0_NS1_11comp_targetILNS1_3genE0ELNS1_11target_archE4294967295ELNS1_3gpuE0ELNS1_3repE0EEENS1_30default_config_static_selectorELNS0_4arch9wavefront6targetE0EEEvT1_
                                        ; -- End function
	.set _ZN7rocprim17ROCPRIM_400000_NS6detail17trampoline_kernelINS0_14default_configENS1_20scan_config_selectorIN3c107complexIdEEEEZZNS1_9scan_implILNS1_25lookback_scan_determinismE0ELb0ELb0ES3_PKS7_PS7_S7_ZZZN2at6native31launch_logcumsumexp_cuda_kernelERKNSE_10TensorBaseESI_lENKUlvE_clEvENKUlvE1_clEvEUlS7_S7_E_S7_EEDaPvRmT3_T4_T5_mT6_P12ihipStream_tbENKUlT_T0_E_clISt17integral_constantIbLb0EESZ_EEDaSU_SV_EUlSU_E0_NS1_11comp_targetILNS1_3genE0ELNS1_11target_archE4294967295ELNS1_3gpuE0ELNS1_3repE0EEENS1_30default_config_static_selectorELNS0_4arch9wavefront6targetE0EEEvT1_.num_vgpr, 0
	.set _ZN7rocprim17ROCPRIM_400000_NS6detail17trampoline_kernelINS0_14default_configENS1_20scan_config_selectorIN3c107complexIdEEEEZZNS1_9scan_implILNS1_25lookback_scan_determinismE0ELb0ELb0ES3_PKS7_PS7_S7_ZZZN2at6native31launch_logcumsumexp_cuda_kernelERKNSE_10TensorBaseESI_lENKUlvE_clEvENKUlvE1_clEvEUlS7_S7_E_S7_EEDaPvRmT3_T4_T5_mT6_P12ihipStream_tbENKUlT_T0_E_clISt17integral_constantIbLb0EESZ_EEDaSU_SV_EUlSU_E0_NS1_11comp_targetILNS1_3genE0ELNS1_11target_archE4294967295ELNS1_3gpuE0ELNS1_3repE0EEENS1_30default_config_static_selectorELNS0_4arch9wavefront6targetE0EEEvT1_.num_agpr, 0
	.set _ZN7rocprim17ROCPRIM_400000_NS6detail17trampoline_kernelINS0_14default_configENS1_20scan_config_selectorIN3c107complexIdEEEEZZNS1_9scan_implILNS1_25lookback_scan_determinismE0ELb0ELb0ES3_PKS7_PS7_S7_ZZZN2at6native31launch_logcumsumexp_cuda_kernelERKNSE_10TensorBaseESI_lENKUlvE_clEvENKUlvE1_clEvEUlS7_S7_E_S7_EEDaPvRmT3_T4_T5_mT6_P12ihipStream_tbENKUlT_T0_E_clISt17integral_constantIbLb0EESZ_EEDaSU_SV_EUlSU_E0_NS1_11comp_targetILNS1_3genE0ELNS1_11target_archE4294967295ELNS1_3gpuE0ELNS1_3repE0EEENS1_30default_config_static_selectorELNS0_4arch9wavefront6targetE0EEEvT1_.numbered_sgpr, 0
	.set _ZN7rocprim17ROCPRIM_400000_NS6detail17trampoline_kernelINS0_14default_configENS1_20scan_config_selectorIN3c107complexIdEEEEZZNS1_9scan_implILNS1_25lookback_scan_determinismE0ELb0ELb0ES3_PKS7_PS7_S7_ZZZN2at6native31launch_logcumsumexp_cuda_kernelERKNSE_10TensorBaseESI_lENKUlvE_clEvENKUlvE1_clEvEUlS7_S7_E_S7_EEDaPvRmT3_T4_T5_mT6_P12ihipStream_tbENKUlT_T0_E_clISt17integral_constantIbLb0EESZ_EEDaSU_SV_EUlSU_E0_NS1_11comp_targetILNS1_3genE0ELNS1_11target_archE4294967295ELNS1_3gpuE0ELNS1_3repE0EEENS1_30default_config_static_selectorELNS0_4arch9wavefront6targetE0EEEvT1_.num_named_barrier, 0
	.set _ZN7rocprim17ROCPRIM_400000_NS6detail17trampoline_kernelINS0_14default_configENS1_20scan_config_selectorIN3c107complexIdEEEEZZNS1_9scan_implILNS1_25lookback_scan_determinismE0ELb0ELb0ES3_PKS7_PS7_S7_ZZZN2at6native31launch_logcumsumexp_cuda_kernelERKNSE_10TensorBaseESI_lENKUlvE_clEvENKUlvE1_clEvEUlS7_S7_E_S7_EEDaPvRmT3_T4_T5_mT6_P12ihipStream_tbENKUlT_T0_E_clISt17integral_constantIbLb0EESZ_EEDaSU_SV_EUlSU_E0_NS1_11comp_targetILNS1_3genE0ELNS1_11target_archE4294967295ELNS1_3gpuE0ELNS1_3repE0EEENS1_30default_config_static_selectorELNS0_4arch9wavefront6targetE0EEEvT1_.private_seg_size, 0
	.set _ZN7rocprim17ROCPRIM_400000_NS6detail17trampoline_kernelINS0_14default_configENS1_20scan_config_selectorIN3c107complexIdEEEEZZNS1_9scan_implILNS1_25lookback_scan_determinismE0ELb0ELb0ES3_PKS7_PS7_S7_ZZZN2at6native31launch_logcumsumexp_cuda_kernelERKNSE_10TensorBaseESI_lENKUlvE_clEvENKUlvE1_clEvEUlS7_S7_E_S7_EEDaPvRmT3_T4_T5_mT6_P12ihipStream_tbENKUlT_T0_E_clISt17integral_constantIbLb0EESZ_EEDaSU_SV_EUlSU_E0_NS1_11comp_targetILNS1_3genE0ELNS1_11target_archE4294967295ELNS1_3gpuE0ELNS1_3repE0EEENS1_30default_config_static_selectorELNS0_4arch9wavefront6targetE0EEEvT1_.uses_vcc, 0
	.set _ZN7rocprim17ROCPRIM_400000_NS6detail17trampoline_kernelINS0_14default_configENS1_20scan_config_selectorIN3c107complexIdEEEEZZNS1_9scan_implILNS1_25lookback_scan_determinismE0ELb0ELb0ES3_PKS7_PS7_S7_ZZZN2at6native31launch_logcumsumexp_cuda_kernelERKNSE_10TensorBaseESI_lENKUlvE_clEvENKUlvE1_clEvEUlS7_S7_E_S7_EEDaPvRmT3_T4_T5_mT6_P12ihipStream_tbENKUlT_T0_E_clISt17integral_constantIbLb0EESZ_EEDaSU_SV_EUlSU_E0_NS1_11comp_targetILNS1_3genE0ELNS1_11target_archE4294967295ELNS1_3gpuE0ELNS1_3repE0EEENS1_30default_config_static_selectorELNS0_4arch9wavefront6targetE0EEEvT1_.uses_flat_scratch, 0
	.set _ZN7rocprim17ROCPRIM_400000_NS6detail17trampoline_kernelINS0_14default_configENS1_20scan_config_selectorIN3c107complexIdEEEEZZNS1_9scan_implILNS1_25lookback_scan_determinismE0ELb0ELb0ES3_PKS7_PS7_S7_ZZZN2at6native31launch_logcumsumexp_cuda_kernelERKNSE_10TensorBaseESI_lENKUlvE_clEvENKUlvE1_clEvEUlS7_S7_E_S7_EEDaPvRmT3_T4_T5_mT6_P12ihipStream_tbENKUlT_T0_E_clISt17integral_constantIbLb0EESZ_EEDaSU_SV_EUlSU_E0_NS1_11comp_targetILNS1_3genE0ELNS1_11target_archE4294967295ELNS1_3gpuE0ELNS1_3repE0EEENS1_30default_config_static_selectorELNS0_4arch9wavefront6targetE0EEEvT1_.has_dyn_sized_stack, 0
	.set _ZN7rocprim17ROCPRIM_400000_NS6detail17trampoline_kernelINS0_14default_configENS1_20scan_config_selectorIN3c107complexIdEEEEZZNS1_9scan_implILNS1_25lookback_scan_determinismE0ELb0ELb0ES3_PKS7_PS7_S7_ZZZN2at6native31launch_logcumsumexp_cuda_kernelERKNSE_10TensorBaseESI_lENKUlvE_clEvENKUlvE1_clEvEUlS7_S7_E_S7_EEDaPvRmT3_T4_T5_mT6_P12ihipStream_tbENKUlT_T0_E_clISt17integral_constantIbLb0EESZ_EEDaSU_SV_EUlSU_E0_NS1_11comp_targetILNS1_3genE0ELNS1_11target_archE4294967295ELNS1_3gpuE0ELNS1_3repE0EEENS1_30default_config_static_selectorELNS0_4arch9wavefront6targetE0EEEvT1_.has_recursion, 0
	.set _ZN7rocprim17ROCPRIM_400000_NS6detail17trampoline_kernelINS0_14default_configENS1_20scan_config_selectorIN3c107complexIdEEEEZZNS1_9scan_implILNS1_25lookback_scan_determinismE0ELb0ELb0ES3_PKS7_PS7_S7_ZZZN2at6native31launch_logcumsumexp_cuda_kernelERKNSE_10TensorBaseESI_lENKUlvE_clEvENKUlvE1_clEvEUlS7_S7_E_S7_EEDaPvRmT3_T4_T5_mT6_P12ihipStream_tbENKUlT_T0_E_clISt17integral_constantIbLb0EESZ_EEDaSU_SV_EUlSU_E0_NS1_11comp_targetILNS1_3genE0ELNS1_11target_archE4294967295ELNS1_3gpuE0ELNS1_3repE0EEENS1_30default_config_static_selectorELNS0_4arch9wavefront6targetE0EEEvT1_.has_indirect_call, 0
	.section	.AMDGPU.csdata,"",@progbits
; Kernel info:
; codeLenInByte = 0
; TotalNumSgprs: 0
; NumVgprs: 0
; ScratchSize: 0
; MemoryBound: 0
; FloatMode: 240
; IeeeMode: 1
; LDSByteSize: 0 bytes/workgroup (compile time only)
; SGPRBlocks: 0
; VGPRBlocks: 0
; NumSGPRsForWavesPerEU: 1
; NumVGPRsForWavesPerEU: 1
; Occupancy: 16
; WaveLimiterHint : 0
; COMPUTE_PGM_RSRC2:SCRATCH_EN: 0
; COMPUTE_PGM_RSRC2:USER_SGPR: 6
; COMPUTE_PGM_RSRC2:TRAP_HANDLER: 0
; COMPUTE_PGM_RSRC2:TGID_X_EN: 1
; COMPUTE_PGM_RSRC2:TGID_Y_EN: 0
; COMPUTE_PGM_RSRC2:TGID_Z_EN: 0
; COMPUTE_PGM_RSRC2:TIDIG_COMP_CNT: 0
	.section	.text._ZN7rocprim17ROCPRIM_400000_NS6detail17trampoline_kernelINS0_14default_configENS1_20scan_config_selectorIN3c107complexIdEEEEZZNS1_9scan_implILNS1_25lookback_scan_determinismE0ELb0ELb0ES3_PKS7_PS7_S7_ZZZN2at6native31launch_logcumsumexp_cuda_kernelERKNSE_10TensorBaseESI_lENKUlvE_clEvENKUlvE1_clEvEUlS7_S7_E_S7_EEDaPvRmT3_T4_T5_mT6_P12ihipStream_tbENKUlT_T0_E_clISt17integral_constantIbLb0EESZ_EEDaSU_SV_EUlSU_E0_NS1_11comp_targetILNS1_3genE5ELNS1_11target_archE942ELNS1_3gpuE9ELNS1_3repE0EEENS1_30default_config_static_selectorELNS0_4arch9wavefront6targetE0EEEvT1_,"axG",@progbits,_ZN7rocprim17ROCPRIM_400000_NS6detail17trampoline_kernelINS0_14default_configENS1_20scan_config_selectorIN3c107complexIdEEEEZZNS1_9scan_implILNS1_25lookback_scan_determinismE0ELb0ELb0ES3_PKS7_PS7_S7_ZZZN2at6native31launch_logcumsumexp_cuda_kernelERKNSE_10TensorBaseESI_lENKUlvE_clEvENKUlvE1_clEvEUlS7_S7_E_S7_EEDaPvRmT3_T4_T5_mT6_P12ihipStream_tbENKUlT_T0_E_clISt17integral_constantIbLb0EESZ_EEDaSU_SV_EUlSU_E0_NS1_11comp_targetILNS1_3genE5ELNS1_11target_archE942ELNS1_3gpuE9ELNS1_3repE0EEENS1_30default_config_static_selectorELNS0_4arch9wavefront6targetE0EEEvT1_,comdat
	.globl	_ZN7rocprim17ROCPRIM_400000_NS6detail17trampoline_kernelINS0_14default_configENS1_20scan_config_selectorIN3c107complexIdEEEEZZNS1_9scan_implILNS1_25lookback_scan_determinismE0ELb0ELb0ES3_PKS7_PS7_S7_ZZZN2at6native31launch_logcumsumexp_cuda_kernelERKNSE_10TensorBaseESI_lENKUlvE_clEvENKUlvE1_clEvEUlS7_S7_E_S7_EEDaPvRmT3_T4_T5_mT6_P12ihipStream_tbENKUlT_T0_E_clISt17integral_constantIbLb0EESZ_EEDaSU_SV_EUlSU_E0_NS1_11comp_targetILNS1_3genE5ELNS1_11target_archE942ELNS1_3gpuE9ELNS1_3repE0EEENS1_30default_config_static_selectorELNS0_4arch9wavefront6targetE0EEEvT1_ ; -- Begin function _ZN7rocprim17ROCPRIM_400000_NS6detail17trampoline_kernelINS0_14default_configENS1_20scan_config_selectorIN3c107complexIdEEEEZZNS1_9scan_implILNS1_25lookback_scan_determinismE0ELb0ELb0ES3_PKS7_PS7_S7_ZZZN2at6native31launch_logcumsumexp_cuda_kernelERKNSE_10TensorBaseESI_lENKUlvE_clEvENKUlvE1_clEvEUlS7_S7_E_S7_EEDaPvRmT3_T4_T5_mT6_P12ihipStream_tbENKUlT_T0_E_clISt17integral_constantIbLb0EESZ_EEDaSU_SV_EUlSU_E0_NS1_11comp_targetILNS1_3genE5ELNS1_11target_archE942ELNS1_3gpuE9ELNS1_3repE0EEENS1_30default_config_static_selectorELNS0_4arch9wavefront6targetE0EEEvT1_
	.p2align	8
	.type	_ZN7rocprim17ROCPRIM_400000_NS6detail17trampoline_kernelINS0_14default_configENS1_20scan_config_selectorIN3c107complexIdEEEEZZNS1_9scan_implILNS1_25lookback_scan_determinismE0ELb0ELb0ES3_PKS7_PS7_S7_ZZZN2at6native31launch_logcumsumexp_cuda_kernelERKNSE_10TensorBaseESI_lENKUlvE_clEvENKUlvE1_clEvEUlS7_S7_E_S7_EEDaPvRmT3_T4_T5_mT6_P12ihipStream_tbENKUlT_T0_E_clISt17integral_constantIbLb0EESZ_EEDaSU_SV_EUlSU_E0_NS1_11comp_targetILNS1_3genE5ELNS1_11target_archE942ELNS1_3gpuE9ELNS1_3repE0EEENS1_30default_config_static_selectorELNS0_4arch9wavefront6targetE0EEEvT1_,@function
_ZN7rocprim17ROCPRIM_400000_NS6detail17trampoline_kernelINS0_14default_configENS1_20scan_config_selectorIN3c107complexIdEEEEZZNS1_9scan_implILNS1_25lookback_scan_determinismE0ELb0ELb0ES3_PKS7_PS7_S7_ZZZN2at6native31launch_logcumsumexp_cuda_kernelERKNSE_10TensorBaseESI_lENKUlvE_clEvENKUlvE1_clEvEUlS7_S7_E_S7_EEDaPvRmT3_T4_T5_mT6_P12ihipStream_tbENKUlT_T0_E_clISt17integral_constantIbLb0EESZ_EEDaSU_SV_EUlSU_E0_NS1_11comp_targetILNS1_3genE5ELNS1_11target_archE942ELNS1_3gpuE9ELNS1_3repE0EEENS1_30default_config_static_selectorELNS0_4arch9wavefront6targetE0EEEvT1_: ; @_ZN7rocprim17ROCPRIM_400000_NS6detail17trampoline_kernelINS0_14default_configENS1_20scan_config_selectorIN3c107complexIdEEEEZZNS1_9scan_implILNS1_25lookback_scan_determinismE0ELb0ELb0ES3_PKS7_PS7_S7_ZZZN2at6native31launch_logcumsumexp_cuda_kernelERKNSE_10TensorBaseESI_lENKUlvE_clEvENKUlvE1_clEvEUlS7_S7_E_S7_EEDaPvRmT3_T4_T5_mT6_P12ihipStream_tbENKUlT_T0_E_clISt17integral_constantIbLb0EESZ_EEDaSU_SV_EUlSU_E0_NS1_11comp_targetILNS1_3genE5ELNS1_11target_archE942ELNS1_3gpuE9ELNS1_3repE0EEENS1_30default_config_static_selectorELNS0_4arch9wavefront6targetE0EEEvT1_
; %bb.0:
	.section	.rodata,"a",@progbits
	.p2align	6, 0x0
	.amdhsa_kernel _ZN7rocprim17ROCPRIM_400000_NS6detail17trampoline_kernelINS0_14default_configENS1_20scan_config_selectorIN3c107complexIdEEEEZZNS1_9scan_implILNS1_25lookback_scan_determinismE0ELb0ELb0ES3_PKS7_PS7_S7_ZZZN2at6native31launch_logcumsumexp_cuda_kernelERKNSE_10TensorBaseESI_lENKUlvE_clEvENKUlvE1_clEvEUlS7_S7_E_S7_EEDaPvRmT3_T4_T5_mT6_P12ihipStream_tbENKUlT_T0_E_clISt17integral_constantIbLb0EESZ_EEDaSU_SV_EUlSU_E0_NS1_11comp_targetILNS1_3genE5ELNS1_11target_archE942ELNS1_3gpuE9ELNS1_3repE0EEENS1_30default_config_static_selectorELNS0_4arch9wavefront6targetE0EEEvT1_
		.amdhsa_group_segment_fixed_size 0
		.amdhsa_private_segment_fixed_size 0
		.amdhsa_kernarg_size 48
		.amdhsa_user_sgpr_count 6
		.amdhsa_user_sgpr_private_segment_buffer 1
		.amdhsa_user_sgpr_dispatch_ptr 0
		.amdhsa_user_sgpr_queue_ptr 0
		.amdhsa_user_sgpr_kernarg_segment_ptr 1
		.amdhsa_user_sgpr_dispatch_id 0
		.amdhsa_user_sgpr_flat_scratch_init 0
		.amdhsa_user_sgpr_private_segment_size 0
		.amdhsa_wavefront_size32 1
		.amdhsa_uses_dynamic_stack 0
		.amdhsa_system_sgpr_private_segment_wavefront_offset 0
		.amdhsa_system_sgpr_workgroup_id_x 1
		.amdhsa_system_sgpr_workgroup_id_y 0
		.amdhsa_system_sgpr_workgroup_id_z 0
		.amdhsa_system_sgpr_workgroup_info 0
		.amdhsa_system_vgpr_workitem_id 0
		.amdhsa_next_free_vgpr 1
		.amdhsa_next_free_sgpr 1
		.amdhsa_reserve_vcc 0
		.amdhsa_reserve_flat_scratch 0
		.amdhsa_float_round_mode_32 0
		.amdhsa_float_round_mode_16_64 0
		.amdhsa_float_denorm_mode_32 3
		.amdhsa_float_denorm_mode_16_64 3
		.amdhsa_dx10_clamp 1
		.amdhsa_ieee_mode 1
		.amdhsa_fp16_overflow 0
		.amdhsa_workgroup_processor_mode 1
		.amdhsa_memory_ordered 1
		.amdhsa_forward_progress 1
		.amdhsa_shared_vgpr_count 0
		.amdhsa_exception_fp_ieee_invalid_op 0
		.amdhsa_exception_fp_denorm_src 0
		.amdhsa_exception_fp_ieee_div_zero 0
		.amdhsa_exception_fp_ieee_overflow 0
		.amdhsa_exception_fp_ieee_underflow 0
		.amdhsa_exception_fp_ieee_inexact 0
		.amdhsa_exception_int_div_zero 0
	.end_amdhsa_kernel
	.section	.text._ZN7rocprim17ROCPRIM_400000_NS6detail17trampoline_kernelINS0_14default_configENS1_20scan_config_selectorIN3c107complexIdEEEEZZNS1_9scan_implILNS1_25lookback_scan_determinismE0ELb0ELb0ES3_PKS7_PS7_S7_ZZZN2at6native31launch_logcumsumexp_cuda_kernelERKNSE_10TensorBaseESI_lENKUlvE_clEvENKUlvE1_clEvEUlS7_S7_E_S7_EEDaPvRmT3_T4_T5_mT6_P12ihipStream_tbENKUlT_T0_E_clISt17integral_constantIbLb0EESZ_EEDaSU_SV_EUlSU_E0_NS1_11comp_targetILNS1_3genE5ELNS1_11target_archE942ELNS1_3gpuE9ELNS1_3repE0EEENS1_30default_config_static_selectorELNS0_4arch9wavefront6targetE0EEEvT1_,"axG",@progbits,_ZN7rocprim17ROCPRIM_400000_NS6detail17trampoline_kernelINS0_14default_configENS1_20scan_config_selectorIN3c107complexIdEEEEZZNS1_9scan_implILNS1_25lookback_scan_determinismE0ELb0ELb0ES3_PKS7_PS7_S7_ZZZN2at6native31launch_logcumsumexp_cuda_kernelERKNSE_10TensorBaseESI_lENKUlvE_clEvENKUlvE1_clEvEUlS7_S7_E_S7_EEDaPvRmT3_T4_T5_mT6_P12ihipStream_tbENKUlT_T0_E_clISt17integral_constantIbLb0EESZ_EEDaSU_SV_EUlSU_E0_NS1_11comp_targetILNS1_3genE5ELNS1_11target_archE942ELNS1_3gpuE9ELNS1_3repE0EEENS1_30default_config_static_selectorELNS0_4arch9wavefront6targetE0EEEvT1_,comdat
.Lfunc_end194:
	.size	_ZN7rocprim17ROCPRIM_400000_NS6detail17trampoline_kernelINS0_14default_configENS1_20scan_config_selectorIN3c107complexIdEEEEZZNS1_9scan_implILNS1_25lookback_scan_determinismE0ELb0ELb0ES3_PKS7_PS7_S7_ZZZN2at6native31launch_logcumsumexp_cuda_kernelERKNSE_10TensorBaseESI_lENKUlvE_clEvENKUlvE1_clEvEUlS7_S7_E_S7_EEDaPvRmT3_T4_T5_mT6_P12ihipStream_tbENKUlT_T0_E_clISt17integral_constantIbLb0EESZ_EEDaSU_SV_EUlSU_E0_NS1_11comp_targetILNS1_3genE5ELNS1_11target_archE942ELNS1_3gpuE9ELNS1_3repE0EEENS1_30default_config_static_selectorELNS0_4arch9wavefront6targetE0EEEvT1_, .Lfunc_end194-_ZN7rocprim17ROCPRIM_400000_NS6detail17trampoline_kernelINS0_14default_configENS1_20scan_config_selectorIN3c107complexIdEEEEZZNS1_9scan_implILNS1_25lookback_scan_determinismE0ELb0ELb0ES3_PKS7_PS7_S7_ZZZN2at6native31launch_logcumsumexp_cuda_kernelERKNSE_10TensorBaseESI_lENKUlvE_clEvENKUlvE1_clEvEUlS7_S7_E_S7_EEDaPvRmT3_T4_T5_mT6_P12ihipStream_tbENKUlT_T0_E_clISt17integral_constantIbLb0EESZ_EEDaSU_SV_EUlSU_E0_NS1_11comp_targetILNS1_3genE5ELNS1_11target_archE942ELNS1_3gpuE9ELNS1_3repE0EEENS1_30default_config_static_selectorELNS0_4arch9wavefront6targetE0EEEvT1_
                                        ; -- End function
	.set _ZN7rocprim17ROCPRIM_400000_NS6detail17trampoline_kernelINS0_14default_configENS1_20scan_config_selectorIN3c107complexIdEEEEZZNS1_9scan_implILNS1_25lookback_scan_determinismE0ELb0ELb0ES3_PKS7_PS7_S7_ZZZN2at6native31launch_logcumsumexp_cuda_kernelERKNSE_10TensorBaseESI_lENKUlvE_clEvENKUlvE1_clEvEUlS7_S7_E_S7_EEDaPvRmT3_T4_T5_mT6_P12ihipStream_tbENKUlT_T0_E_clISt17integral_constantIbLb0EESZ_EEDaSU_SV_EUlSU_E0_NS1_11comp_targetILNS1_3genE5ELNS1_11target_archE942ELNS1_3gpuE9ELNS1_3repE0EEENS1_30default_config_static_selectorELNS0_4arch9wavefront6targetE0EEEvT1_.num_vgpr, 0
	.set _ZN7rocprim17ROCPRIM_400000_NS6detail17trampoline_kernelINS0_14default_configENS1_20scan_config_selectorIN3c107complexIdEEEEZZNS1_9scan_implILNS1_25lookback_scan_determinismE0ELb0ELb0ES3_PKS7_PS7_S7_ZZZN2at6native31launch_logcumsumexp_cuda_kernelERKNSE_10TensorBaseESI_lENKUlvE_clEvENKUlvE1_clEvEUlS7_S7_E_S7_EEDaPvRmT3_T4_T5_mT6_P12ihipStream_tbENKUlT_T0_E_clISt17integral_constantIbLb0EESZ_EEDaSU_SV_EUlSU_E0_NS1_11comp_targetILNS1_3genE5ELNS1_11target_archE942ELNS1_3gpuE9ELNS1_3repE0EEENS1_30default_config_static_selectorELNS0_4arch9wavefront6targetE0EEEvT1_.num_agpr, 0
	.set _ZN7rocprim17ROCPRIM_400000_NS6detail17trampoline_kernelINS0_14default_configENS1_20scan_config_selectorIN3c107complexIdEEEEZZNS1_9scan_implILNS1_25lookback_scan_determinismE0ELb0ELb0ES3_PKS7_PS7_S7_ZZZN2at6native31launch_logcumsumexp_cuda_kernelERKNSE_10TensorBaseESI_lENKUlvE_clEvENKUlvE1_clEvEUlS7_S7_E_S7_EEDaPvRmT3_T4_T5_mT6_P12ihipStream_tbENKUlT_T0_E_clISt17integral_constantIbLb0EESZ_EEDaSU_SV_EUlSU_E0_NS1_11comp_targetILNS1_3genE5ELNS1_11target_archE942ELNS1_3gpuE9ELNS1_3repE0EEENS1_30default_config_static_selectorELNS0_4arch9wavefront6targetE0EEEvT1_.numbered_sgpr, 0
	.set _ZN7rocprim17ROCPRIM_400000_NS6detail17trampoline_kernelINS0_14default_configENS1_20scan_config_selectorIN3c107complexIdEEEEZZNS1_9scan_implILNS1_25lookback_scan_determinismE0ELb0ELb0ES3_PKS7_PS7_S7_ZZZN2at6native31launch_logcumsumexp_cuda_kernelERKNSE_10TensorBaseESI_lENKUlvE_clEvENKUlvE1_clEvEUlS7_S7_E_S7_EEDaPvRmT3_T4_T5_mT6_P12ihipStream_tbENKUlT_T0_E_clISt17integral_constantIbLb0EESZ_EEDaSU_SV_EUlSU_E0_NS1_11comp_targetILNS1_3genE5ELNS1_11target_archE942ELNS1_3gpuE9ELNS1_3repE0EEENS1_30default_config_static_selectorELNS0_4arch9wavefront6targetE0EEEvT1_.num_named_barrier, 0
	.set _ZN7rocprim17ROCPRIM_400000_NS6detail17trampoline_kernelINS0_14default_configENS1_20scan_config_selectorIN3c107complexIdEEEEZZNS1_9scan_implILNS1_25lookback_scan_determinismE0ELb0ELb0ES3_PKS7_PS7_S7_ZZZN2at6native31launch_logcumsumexp_cuda_kernelERKNSE_10TensorBaseESI_lENKUlvE_clEvENKUlvE1_clEvEUlS7_S7_E_S7_EEDaPvRmT3_T4_T5_mT6_P12ihipStream_tbENKUlT_T0_E_clISt17integral_constantIbLb0EESZ_EEDaSU_SV_EUlSU_E0_NS1_11comp_targetILNS1_3genE5ELNS1_11target_archE942ELNS1_3gpuE9ELNS1_3repE0EEENS1_30default_config_static_selectorELNS0_4arch9wavefront6targetE0EEEvT1_.private_seg_size, 0
	.set _ZN7rocprim17ROCPRIM_400000_NS6detail17trampoline_kernelINS0_14default_configENS1_20scan_config_selectorIN3c107complexIdEEEEZZNS1_9scan_implILNS1_25lookback_scan_determinismE0ELb0ELb0ES3_PKS7_PS7_S7_ZZZN2at6native31launch_logcumsumexp_cuda_kernelERKNSE_10TensorBaseESI_lENKUlvE_clEvENKUlvE1_clEvEUlS7_S7_E_S7_EEDaPvRmT3_T4_T5_mT6_P12ihipStream_tbENKUlT_T0_E_clISt17integral_constantIbLb0EESZ_EEDaSU_SV_EUlSU_E0_NS1_11comp_targetILNS1_3genE5ELNS1_11target_archE942ELNS1_3gpuE9ELNS1_3repE0EEENS1_30default_config_static_selectorELNS0_4arch9wavefront6targetE0EEEvT1_.uses_vcc, 0
	.set _ZN7rocprim17ROCPRIM_400000_NS6detail17trampoline_kernelINS0_14default_configENS1_20scan_config_selectorIN3c107complexIdEEEEZZNS1_9scan_implILNS1_25lookback_scan_determinismE0ELb0ELb0ES3_PKS7_PS7_S7_ZZZN2at6native31launch_logcumsumexp_cuda_kernelERKNSE_10TensorBaseESI_lENKUlvE_clEvENKUlvE1_clEvEUlS7_S7_E_S7_EEDaPvRmT3_T4_T5_mT6_P12ihipStream_tbENKUlT_T0_E_clISt17integral_constantIbLb0EESZ_EEDaSU_SV_EUlSU_E0_NS1_11comp_targetILNS1_3genE5ELNS1_11target_archE942ELNS1_3gpuE9ELNS1_3repE0EEENS1_30default_config_static_selectorELNS0_4arch9wavefront6targetE0EEEvT1_.uses_flat_scratch, 0
	.set _ZN7rocprim17ROCPRIM_400000_NS6detail17trampoline_kernelINS0_14default_configENS1_20scan_config_selectorIN3c107complexIdEEEEZZNS1_9scan_implILNS1_25lookback_scan_determinismE0ELb0ELb0ES3_PKS7_PS7_S7_ZZZN2at6native31launch_logcumsumexp_cuda_kernelERKNSE_10TensorBaseESI_lENKUlvE_clEvENKUlvE1_clEvEUlS7_S7_E_S7_EEDaPvRmT3_T4_T5_mT6_P12ihipStream_tbENKUlT_T0_E_clISt17integral_constantIbLb0EESZ_EEDaSU_SV_EUlSU_E0_NS1_11comp_targetILNS1_3genE5ELNS1_11target_archE942ELNS1_3gpuE9ELNS1_3repE0EEENS1_30default_config_static_selectorELNS0_4arch9wavefront6targetE0EEEvT1_.has_dyn_sized_stack, 0
	.set _ZN7rocprim17ROCPRIM_400000_NS6detail17trampoline_kernelINS0_14default_configENS1_20scan_config_selectorIN3c107complexIdEEEEZZNS1_9scan_implILNS1_25lookback_scan_determinismE0ELb0ELb0ES3_PKS7_PS7_S7_ZZZN2at6native31launch_logcumsumexp_cuda_kernelERKNSE_10TensorBaseESI_lENKUlvE_clEvENKUlvE1_clEvEUlS7_S7_E_S7_EEDaPvRmT3_T4_T5_mT6_P12ihipStream_tbENKUlT_T0_E_clISt17integral_constantIbLb0EESZ_EEDaSU_SV_EUlSU_E0_NS1_11comp_targetILNS1_3genE5ELNS1_11target_archE942ELNS1_3gpuE9ELNS1_3repE0EEENS1_30default_config_static_selectorELNS0_4arch9wavefront6targetE0EEEvT1_.has_recursion, 0
	.set _ZN7rocprim17ROCPRIM_400000_NS6detail17trampoline_kernelINS0_14default_configENS1_20scan_config_selectorIN3c107complexIdEEEEZZNS1_9scan_implILNS1_25lookback_scan_determinismE0ELb0ELb0ES3_PKS7_PS7_S7_ZZZN2at6native31launch_logcumsumexp_cuda_kernelERKNSE_10TensorBaseESI_lENKUlvE_clEvENKUlvE1_clEvEUlS7_S7_E_S7_EEDaPvRmT3_T4_T5_mT6_P12ihipStream_tbENKUlT_T0_E_clISt17integral_constantIbLb0EESZ_EEDaSU_SV_EUlSU_E0_NS1_11comp_targetILNS1_3genE5ELNS1_11target_archE942ELNS1_3gpuE9ELNS1_3repE0EEENS1_30default_config_static_selectorELNS0_4arch9wavefront6targetE0EEEvT1_.has_indirect_call, 0
	.section	.AMDGPU.csdata,"",@progbits
; Kernel info:
; codeLenInByte = 0
; TotalNumSgprs: 0
; NumVgprs: 0
; ScratchSize: 0
; MemoryBound: 0
; FloatMode: 240
; IeeeMode: 1
; LDSByteSize: 0 bytes/workgroup (compile time only)
; SGPRBlocks: 0
; VGPRBlocks: 0
; NumSGPRsForWavesPerEU: 1
; NumVGPRsForWavesPerEU: 1
; Occupancy: 16
; WaveLimiterHint : 0
; COMPUTE_PGM_RSRC2:SCRATCH_EN: 0
; COMPUTE_PGM_RSRC2:USER_SGPR: 6
; COMPUTE_PGM_RSRC2:TRAP_HANDLER: 0
; COMPUTE_PGM_RSRC2:TGID_X_EN: 1
; COMPUTE_PGM_RSRC2:TGID_Y_EN: 0
; COMPUTE_PGM_RSRC2:TGID_Z_EN: 0
; COMPUTE_PGM_RSRC2:TIDIG_COMP_CNT: 0
	.section	.text._ZN7rocprim17ROCPRIM_400000_NS6detail17trampoline_kernelINS0_14default_configENS1_20scan_config_selectorIN3c107complexIdEEEEZZNS1_9scan_implILNS1_25lookback_scan_determinismE0ELb0ELb0ES3_PKS7_PS7_S7_ZZZN2at6native31launch_logcumsumexp_cuda_kernelERKNSE_10TensorBaseESI_lENKUlvE_clEvENKUlvE1_clEvEUlS7_S7_E_S7_EEDaPvRmT3_T4_T5_mT6_P12ihipStream_tbENKUlT_T0_E_clISt17integral_constantIbLb0EESZ_EEDaSU_SV_EUlSU_E0_NS1_11comp_targetILNS1_3genE4ELNS1_11target_archE910ELNS1_3gpuE8ELNS1_3repE0EEENS1_30default_config_static_selectorELNS0_4arch9wavefront6targetE0EEEvT1_,"axG",@progbits,_ZN7rocprim17ROCPRIM_400000_NS6detail17trampoline_kernelINS0_14default_configENS1_20scan_config_selectorIN3c107complexIdEEEEZZNS1_9scan_implILNS1_25lookback_scan_determinismE0ELb0ELb0ES3_PKS7_PS7_S7_ZZZN2at6native31launch_logcumsumexp_cuda_kernelERKNSE_10TensorBaseESI_lENKUlvE_clEvENKUlvE1_clEvEUlS7_S7_E_S7_EEDaPvRmT3_T4_T5_mT6_P12ihipStream_tbENKUlT_T0_E_clISt17integral_constantIbLb0EESZ_EEDaSU_SV_EUlSU_E0_NS1_11comp_targetILNS1_3genE4ELNS1_11target_archE910ELNS1_3gpuE8ELNS1_3repE0EEENS1_30default_config_static_selectorELNS0_4arch9wavefront6targetE0EEEvT1_,comdat
	.globl	_ZN7rocprim17ROCPRIM_400000_NS6detail17trampoline_kernelINS0_14default_configENS1_20scan_config_selectorIN3c107complexIdEEEEZZNS1_9scan_implILNS1_25lookback_scan_determinismE0ELb0ELb0ES3_PKS7_PS7_S7_ZZZN2at6native31launch_logcumsumexp_cuda_kernelERKNSE_10TensorBaseESI_lENKUlvE_clEvENKUlvE1_clEvEUlS7_S7_E_S7_EEDaPvRmT3_T4_T5_mT6_P12ihipStream_tbENKUlT_T0_E_clISt17integral_constantIbLb0EESZ_EEDaSU_SV_EUlSU_E0_NS1_11comp_targetILNS1_3genE4ELNS1_11target_archE910ELNS1_3gpuE8ELNS1_3repE0EEENS1_30default_config_static_selectorELNS0_4arch9wavefront6targetE0EEEvT1_ ; -- Begin function _ZN7rocprim17ROCPRIM_400000_NS6detail17trampoline_kernelINS0_14default_configENS1_20scan_config_selectorIN3c107complexIdEEEEZZNS1_9scan_implILNS1_25lookback_scan_determinismE0ELb0ELb0ES3_PKS7_PS7_S7_ZZZN2at6native31launch_logcumsumexp_cuda_kernelERKNSE_10TensorBaseESI_lENKUlvE_clEvENKUlvE1_clEvEUlS7_S7_E_S7_EEDaPvRmT3_T4_T5_mT6_P12ihipStream_tbENKUlT_T0_E_clISt17integral_constantIbLb0EESZ_EEDaSU_SV_EUlSU_E0_NS1_11comp_targetILNS1_3genE4ELNS1_11target_archE910ELNS1_3gpuE8ELNS1_3repE0EEENS1_30default_config_static_selectorELNS0_4arch9wavefront6targetE0EEEvT1_
	.p2align	8
	.type	_ZN7rocprim17ROCPRIM_400000_NS6detail17trampoline_kernelINS0_14default_configENS1_20scan_config_selectorIN3c107complexIdEEEEZZNS1_9scan_implILNS1_25lookback_scan_determinismE0ELb0ELb0ES3_PKS7_PS7_S7_ZZZN2at6native31launch_logcumsumexp_cuda_kernelERKNSE_10TensorBaseESI_lENKUlvE_clEvENKUlvE1_clEvEUlS7_S7_E_S7_EEDaPvRmT3_T4_T5_mT6_P12ihipStream_tbENKUlT_T0_E_clISt17integral_constantIbLb0EESZ_EEDaSU_SV_EUlSU_E0_NS1_11comp_targetILNS1_3genE4ELNS1_11target_archE910ELNS1_3gpuE8ELNS1_3repE0EEENS1_30default_config_static_selectorELNS0_4arch9wavefront6targetE0EEEvT1_,@function
_ZN7rocprim17ROCPRIM_400000_NS6detail17trampoline_kernelINS0_14default_configENS1_20scan_config_selectorIN3c107complexIdEEEEZZNS1_9scan_implILNS1_25lookback_scan_determinismE0ELb0ELb0ES3_PKS7_PS7_S7_ZZZN2at6native31launch_logcumsumexp_cuda_kernelERKNSE_10TensorBaseESI_lENKUlvE_clEvENKUlvE1_clEvEUlS7_S7_E_S7_EEDaPvRmT3_T4_T5_mT6_P12ihipStream_tbENKUlT_T0_E_clISt17integral_constantIbLb0EESZ_EEDaSU_SV_EUlSU_E0_NS1_11comp_targetILNS1_3genE4ELNS1_11target_archE910ELNS1_3gpuE8ELNS1_3repE0EEENS1_30default_config_static_selectorELNS0_4arch9wavefront6targetE0EEEvT1_: ; @_ZN7rocprim17ROCPRIM_400000_NS6detail17trampoline_kernelINS0_14default_configENS1_20scan_config_selectorIN3c107complexIdEEEEZZNS1_9scan_implILNS1_25lookback_scan_determinismE0ELb0ELb0ES3_PKS7_PS7_S7_ZZZN2at6native31launch_logcumsumexp_cuda_kernelERKNSE_10TensorBaseESI_lENKUlvE_clEvENKUlvE1_clEvEUlS7_S7_E_S7_EEDaPvRmT3_T4_T5_mT6_P12ihipStream_tbENKUlT_T0_E_clISt17integral_constantIbLb0EESZ_EEDaSU_SV_EUlSU_E0_NS1_11comp_targetILNS1_3genE4ELNS1_11target_archE910ELNS1_3gpuE8ELNS1_3repE0EEENS1_30default_config_static_selectorELNS0_4arch9wavefront6targetE0EEEvT1_
; %bb.0:
	.section	.rodata,"a",@progbits
	.p2align	6, 0x0
	.amdhsa_kernel _ZN7rocprim17ROCPRIM_400000_NS6detail17trampoline_kernelINS0_14default_configENS1_20scan_config_selectorIN3c107complexIdEEEEZZNS1_9scan_implILNS1_25lookback_scan_determinismE0ELb0ELb0ES3_PKS7_PS7_S7_ZZZN2at6native31launch_logcumsumexp_cuda_kernelERKNSE_10TensorBaseESI_lENKUlvE_clEvENKUlvE1_clEvEUlS7_S7_E_S7_EEDaPvRmT3_T4_T5_mT6_P12ihipStream_tbENKUlT_T0_E_clISt17integral_constantIbLb0EESZ_EEDaSU_SV_EUlSU_E0_NS1_11comp_targetILNS1_3genE4ELNS1_11target_archE910ELNS1_3gpuE8ELNS1_3repE0EEENS1_30default_config_static_selectorELNS0_4arch9wavefront6targetE0EEEvT1_
		.amdhsa_group_segment_fixed_size 0
		.amdhsa_private_segment_fixed_size 0
		.amdhsa_kernarg_size 48
		.amdhsa_user_sgpr_count 6
		.amdhsa_user_sgpr_private_segment_buffer 1
		.amdhsa_user_sgpr_dispatch_ptr 0
		.amdhsa_user_sgpr_queue_ptr 0
		.amdhsa_user_sgpr_kernarg_segment_ptr 1
		.amdhsa_user_sgpr_dispatch_id 0
		.amdhsa_user_sgpr_flat_scratch_init 0
		.amdhsa_user_sgpr_private_segment_size 0
		.amdhsa_wavefront_size32 1
		.amdhsa_uses_dynamic_stack 0
		.amdhsa_system_sgpr_private_segment_wavefront_offset 0
		.amdhsa_system_sgpr_workgroup_id_x 1
		.amdhsa_system_sgpr_workgroup_id_y 0
		.amdhsa_system_sgpr_workgroup_id_z 0
		.amdhsa_system_sgpr_workgroup_info 0
		.amdhsa_system_vgpr_workitem_id 0
		.amdhsa_next_free_vgpr 1
		.amdhsa_next_free_sgpr 1
		.amdhsa_reserve_vcc 0
		.amdhsa_reserve_flat_scratch 0
		.amdhsa_float_round_mode_32 0
		.amdhsa_float_round_mode_16_64 0
		.amdhsa_float_denorm_mode_32 3
		.amdhsa_float_denorm_mode_16_64 3
		.amdhsa_dx10_clamp 1
		.amdhsa_ieee_mode 1
		.amdhsa_fp16_overflow 0
		.amdhsa_workgroup_processor_mode 1
		.amdhsa_memory_ordered 1
		.amdhsa_forward_progress 1
		.amdhsa_shared_vgpr_count 0
		.amdhsa_exception_fp_ieee_invalid_op 0
		.amdhsa_exception_fp_denorm_src 0
		.amdhsa_exception_fp_ieee_div_zero 0
		.amdhsa_exception_fp_ieee_overflow 0
		.amdhsa_exception_fp_ieee_underflow 0
		.amdhsa_exception_fp_ieee_inexact 0
		.amdhsa_exception_int_div_zero 0
	.end_amdhsa_kernel
	.section	.text._ZN7rocprim17ROCPRIM_400000_NS6detail17trampoline_kernelINS0_14default_configENS1_20scan_config_selectorIN3c107complexIdEEEEZZNS1_9scan_implILNS1_25lookback_scan_determinismE0ELb0ELb0ES3_PKS7_PS7_S7_ZZZN2at6native31launch_logcumsumexp_cuda_kernelERKNSE_10TensorBaseESI_lENKUlvE_clEvENKUlvE1_clEvEUlS7_S7_E_S7_EEDaPvRmT3_T4_T5_mT6_P12ihipStream_tbENKUlT_T0_E_clISt17integral_constantIbLb0EESZ_EEDaSU_SV_EUlSU_E0_NS1_11comp_targetILNS1_3genE4ELNS1_11target_archE910ELNS1_3gpuE8ELNS1_3repE0EEENS1_30default_config_static_selectorELNS0_4arch9wavefront6targetE0EEEvT1_,"axG",@progbits,_ZN7rocprim17ROCPRIM_400000_NS6detail17trampoline_kernelINS0_14default_configENS1_20scan_config_selectorIN3c107complexIdEEEEZZNS1_9scan_implILNS1_25lookback_scan_determinismE0ELb0ELb0ES3_PKS7_PS7_S7_ZZZN2at6native31launch_logcumsumexp_cuda_kernelERKNSE_10TensorBaseESI_lENKUlvE_clEvENKUlvE1_clEvEUlS7_S7_E_S7_EEDaPvRmT3_T4_T5_mT6_P12ihipStream_tbENKUlT_T0_E_clISt17integral_constantIbLb0EESZ_EEDaSU_SV_EUlSU_E0_NS1_11comp_targetILNS1_3genE4ELNS1_11target_archE910ELNS1_3gpuE8ELNS1_3repE0EEENS1_30default_config_static_selectorELNS0_4arch9wavefront6targetE0EEEvT1_,comdat
.Lfunc_end195:
	.size	_ZN7rocprim17ROCPRIM_400000_NS6detail17trampoline_kernelINS0_14default_configENS1_20scan_config_selectorIN3c107complexIdEEEEZZNS1_9scan_implILNS1_25lookback_scan_determinismE0ELb0ELb0ES3_PKS7_PS7_S7_ZZZN2at6native31launch_logcumsumexp_cuda_kernelERKNSE_10TensorBaseESI_lENKUlvE_clEvENKUlvE1_clEvEUlS7_S7_E_S7_EEDaPvRmT3_T4_T5_mT6_P12ihipStream_tbENKUlT_T0_E_clISt17integral_constantIbLb0EESZ_EEDaSU_SV_EUlSU_E0_NS1_11comp_targetILNS1_3genE4ELNS1_11target_archE910ELNS1_3gpuE8ELNS1_3repE0EEENS1_30default_config_static_selectorELNS0_4arch9wavefront6targetE0EEEvT1_, .Lfunc_end195-_ZN7rocprim17ROCPRIM_400000_NS6detail17trampoline_kernelINS0_14default_configENS1_20scan_config_selectorIN3c107complexIdEEEEZZNS1_9scan_implILNS1_25lookback_scan_determinismE0ELb0ELb0ES3_PKS7_PS7_S7_ZZZN2at6native31launch_logcumsumexp_cuda_kernelERKNSE_10TensorBaseESI_lENKUlvE_clEvENKUlvE1_clEvEUlS7_S7_E_S7_EEDaPvRmT3_T4_T5_mT6_P12ihipStream_tbENKUlT_T0_E_clISt17integral_constantIbLb0EESZ_EEDaSU_SV_EUlSU_E0_NS1_11comp_targetILNS1_3genE4ELNS1_11target_archE910ELNS1_3gpuE8ELNS1_3repE0EEENS1_30default_config_static_selectorELNS0_4arch9wavefront6targetE0EEEvT1_
                                        ; -- End function
	.set _ZN7rocprim17ROCPRIM_400000_NS6detail17trampoline_kernelINS0_14default_configENS1_20scan_config_selectorIN3c107complexIdEEEEZZNS1_9scan_implILNS1_25lookback_scan_determinismE0ELb0ELb0ES3_PKS7_PS7_S7_ZZZN2at6native31launch_logcumsumexp_cuda_kernelERKNSE_10TensorBaseESI_lENKUlvE_clEvENKUlvE1_clEvEUlS7_S7_E_S7_EEDaPvRmT3_T4_T5_mT6_P12ihipStream_tbENKUlT_T0_E_clISt17integral_constantIbLb0EESZ_EEDaSU_SV_EUlSU_E0_NS1_11comp_targetILNS1_3genE4ELNS1_11target_archE910ELNS1_3gpuE8ELNS1_3repE0EEENS1_30default_config_static_selectorELNS0_4arch9wavefront6targetE0EEEvT1_.num_vgpr, 0
	.set _ZN7rocprim17ROCPRIM_400000_NS6detail17trampoline_kernelINS0_14default_configENS1_20scan_config_selectorIN3c107complexIdEEEEZZNS1_9scan_implILNS1_25lookback_scan_determinismE0ELb0ELb0ES3_PKS7_PS7_S7_ZZZN2at6native31launch_logcumsumexp_cuda_kernelERKNSE_10TensorBaseESI_lENKUlvE_clEvENKUlvE1_clEvEUlS7_S7_E_S7_EEDaPvRmT3_T4_T5_mT6_P12ihipStream_tbENKUlT_T0_E_clISt17integral_constantIbLb0EESZ_EEDaSU_SV_EUlSU_E0_NS1_11comp_targetILNS1_3genE4ELNS1_11target_archE910ELNS1_3gpuE8ELNS1_3repE0EEENS1_30default_config_static_selectorELNS0_4arch9wavefront6targetE0EEEvT1_.num_agpr, 0
	.set _ZN7rocprim17ROCPRIM_400000_NS6detail17trampoline_kernelINS0_14default_configENS1_20scan_config_selectorIN3c107complexIdEEEEZZNS1_9scan_implILNS1_25lookback_scan_determinismE0ELb0ELb0ES3_PKS7_PS7_S7_ZZZN2at6native31launch_logcumsumexp_cuda_kernelERKNSE_10TensorBaseESI_lENKUlvE_clEvENKUlvE1_clEvEUlS7_S7_E_S7_EEDaPvRmT3_T4_T5_mT6_P12ihipStream_tbENKUlT_T0_E_clISt17integral_constantIbLb0EESZ_EEDaSU_SV_EUlSU_E0_NS1_11comp_targetILNS1_3genE4ELNS1_11target_archE910ELNS1_3gpuE8ELNS1_3repE0EEENS1_30default_config_static_selectorELNS0_4arch9wavefront6targetE0EEEvT1_.numbered_sgpr, 0
	.set _ZN7rocprim17ROCPRIM_400000_NS6detail17trampoline_kernelINS0_14default_configENS1_20scan_config_selectorIN3c107complexIdEEEEZZNS1_9scan_implILNS1_25lookback_scan_determinismE0ELb0ELb0ES3_PKS7_PS7_S7_ZZZN2at6native31launch_logcumsumexp_cuda_kernelERKNSE_10TensorBaseESI_lENKUlvE_clEvENKUlvE1_clEvEUlS7_S7_E_S7_EEDaPvRmT3_T4_T5_mT6_P12ihipStream_tbENKUlT_T0_E_clISt17integral_constantIbLb0EESZ_EEDaSU_SV_EUlSU_E0_NS1_11comp_targetILNS1_3genE4ELNS1_11target_archE910ELNS1_3gpuE8ELNS1_3repE0EEENS1_30default_config_static_selectorELNS0_4arch9wavefront6targetE0EEEvT1_.num_named_barrier, 0
	.set _ZN7rocprim17ROCPRIM_400000_NS6detail17trampoline_kernelINS0_14default_configENS1_20scan_config_selectorIN3c107complexIdEEEEZZNS1_9scan_implILNS1_25lookback_scan_determinismE0ELb0ELb0ES3_PKS7_PS7_S7_ZZZN2at6native31launch_logcumsumexp_cuda_kernelERKNSE_10TensorBaseESI_lENKUlvE_clEvENKUlvE1_clEvEUlS7_S7_E_S7_EEDaPvRmT3_T4_T5_mT6_P12ihipStream_tbENKUlT_T0_E_clISt17integral_constantIbLb0EESZ_EEDaSU_SV_EUlSU_E0_NS1_11comp_targetILNS1_3genE4ELNS1_11target_archE910ELNS1_3gpuE8ELNS1_3repE0EEENS1_30default_config_static_selectorELNS0_4arch9wavefront6targetE0EEEvT1_.private_seg_size, 0
	.set _ZN7rocprim17ROCPRIM_400000_NS6detail17trampoline_kernelINS0_14default_configENS1_20scan_config_selectorIN3c107complexIdEEEEZZNS1_9scan_implILNS1_25lookback_scan_determinismE0ELb0ELb0ES3_PKS7_PS7_S7_ZZZN2at6native31launch_logcumsumexp_cuda_kernelERKNSE_10TensorBaseESI_lENKUlvE_clEvENKUlvE1_clEvEUlS7_S7_E_S7_EEDaPvRmT3_T4_T5_mT6_P12ihipStream_tbENKUlT_T0_E_clISt17integral_constantIbLb0EESZ_EEDaSU_SV_EUlSU_E0_NS1_11comp_targetILNS1_3genE4ELNS1_11target_archE910ELNS1_3gpuE8ELNS1_3repE0EEENS1_30default_config_static_selectorELNS0_4arch9wavefront6targetE0EEEvT1_.uses_vcc, 0
	.set _ZN7rocprim17ROCPRIM_400000_NS6detail17trampoline_kernelINS0_14default_configENS1_20scan_config_selectorIN3c107complexIdEEEEZZNS1_9scan_implILNS1_25lookback_scan_determinismE0ELb0ELb0ES3_PKS7_PS7_S7_ZZZN2at6native31launch_logcumsumexp_cuda_kernelERKNSE_10TensorBaseESI_lENKUlvE_clEvENKUlvE1_clEvEUlS7_S7_E_S7_EEDaPvRmT3_T4_T5_mT6_P12ihipStream_tbENKUlT_T0_E_clISt17integral_constantIbLb0EESZ_EEDaSU_SV_EUlSU_E0_NS1_11comp_targetILNS1_3genE4ELNS1_11target_archE910ELNS1_3gpuE8ELNS1_3repE0EEENS1_30default_config_static_selectorELNS0_4arch9wavefront6targetE0EEEvT1_.uses_flat_scratch, 0
	.set _ZN7rocprim17ROCPRIM_400000_NS6detail17trampoline_kernelINS0_14default_configENS1_20scan_config_selectorIN3c107complexIdEEEEZZNS1_9scan_implILNS1_25lookback_scan_determinismE0ELb0ELb0ES3_PKS7_PS7_S7_ZZZN2at6native31launch_logcumsumexp_cuda_kernelERKNSE_10TensorBaseESI_lENKUlvE_clEvENKUlvE1_clEvEUlS7_S7_E_S7_EEDaPvRmT3_T4_T5_mT6_P12ihipStream_tbENKUlT_T0_E_clISt17integral_constantIbLb0EESZ_EEDaSU_SV_EUlSU_E0_NS1_11comp_targetILNS1_3genE4ELNS1_11target_archE910ELNS1_3gpuE8ELNS1_3repE0EEENS1_30default_config_static_selectorELNS0_4arch9wavefront6targetE0EEEvT1_.has_dyn_sized_stack, 0
	.set _ZN7rocprim17ROCPRIM_400000_NS6detail17trampoline_kernelINS0_14default_configENS1_20scan_config_selectorIN3c107complexIdEEEEZZNS1_9scan_implILNS1_25lookback_scan_determinismE0ELb0ELb0ES3_PKS7_PS7_S7_ZZZN2at6native31launch_logcumsumexp_cuda_kernelERKNSE_10TensorBaseESI_lENKUlvE_clEvENKUlvE1_clEvEUlS7_S7_E_S7_EEDaPvRmT3_T4_T5_mT6_P12ihipStream_tbENKUlT_T0_E_clISt17integral_constantIbLb0EESZ_EEDaSU_SV_EUlSU_E0_NS1_11comp_targetILNS1_3genE4ELNS1_11target_archE910ELNS1_3gpuE8ELNS1_3repE0EEENS1_30default_config_static_selectorELNS0_4arch9wavefront6targetE0EEEvT1_.has_recursion, 0
	.set _ZN7rocprim17ROCPRIM_400000_NS6detail17trampoline_kernelINS0_14default_configENS1_20scan_config_selectorIN3c107complexIdEEEEZZNS1_9scan_implILNS1_25lookback_scan_determinismE0ELb0ELb0ES3_PKS7_PS7_S7_ZZZN2at6native31launch_logcumsumexp_cuda_kernelERKNSE_10TensorBaseESI_lENKUlvE_clEvENKUlvE1_clEvEUlS7_S7_E_S7_EEDaPvRmT3_T4_T5_mT6_P12ihipStream_tbENKUlT_T0_E_clISt17integral_constantIbLb0EESZ_EEDaSU_SV_EUlSU_E0_NS1_11comp_targetILNS1_3genE4ELNS1_11target_archE910ELNS1_3gpuE8ELNS1_3repE0EEENS1_30default_config_static_selectorELNS0_4arch9wavefront6targetE0EEEvT1_.has_indirect_call, 0
	.section	.AMDGPU.csdata,"",@progbits
; Kernel info:
; codeLenInByte = 0
; TotalNumSgprs: 0
; NumVgprs: 0
; ScratchSize: 0
; MemoryBound: 0
; FloatMode: 240
; IeeeMode: 1
; LDSByteSize: 0 bytes/workgroup (compile time only)
; SGPRBlocks: 0
; VGPRBlocks: 0
; NumSGPRsForWavesPerEU: 1
; NumVGPRsForWavesPerEU: 1
; Occupancy: 16
; WaveLimiterHint : 0
; COMPUTE_PGM_RSRC2:SCRATCH_EN: 0
; COMPUTE_PGM_RSRC2:USER_SGPR: 6
; COMPUTE_PGM_RSRC2:TRAP_HANDLER: 0
; COMPUTE_PGM_RSRC2:TGID_X_EN: 1
; COMPUTE_PGM_RSRC2:TGID_Y_EN: 0
; COMPUTE_PGM_RSRC2:TGID_Z_EN: 0
; COMPUTE_PGM_RSRC2:TIDIG_COMP_CNT: 0
	.section	.text._ZN7rocprim17ROCPRIM_400000_NS6detail17trampoline_kernelINS0_14default_configENS1_20scan_config_selectorIN3c107complexIdEEEEZZNS1_9scan_implILNS1_25lookback_scan_determinismE0ELb0ELb0ES3_PKS7_PS7_S7_ZZZN2at6native31launch_logcumsumexp_cuda_kernelERKNSE_10TensorBaseESI_lENKUlvE_clEvENKUlvE1_clEvEUlS7_S7_E_S7_EEDaPvRmT3_T4_T5_mT6_P12ihipStream_tbENKUlT_T0_E_clISt17integral_constantIbLb0EESZ_EEDaSU_SV_EUlSU_E0_NS1_11comp_targetILNS1_3genE3ELNS1_11target_archE908ELNS1_3gpuE7ELNS1_3repE0EEENS1_30default_config_static_selectorELNS0_4arch9wavefront6targetE0EEEvT1_,"axG",@progbits,_ZN7rocprim17ROCPRIM_400000_NS6detail17trampoline_kernelINS0_14default_configENS1_20scan_config_selectorIN3c107complexIdEEEEZZNS1_9scan_implILNS1_25lookback_scan_determinismE0ELb0ELb0ES3_PKS7_PS7_S7_ZZZN2at6native31launch_logcumsumexp_cuda_kernelERKNSE_10TensorBaseESI_lENKUlvE_clEvENKUlvE1_clEvEUlS7_S7_E_S7_EEDaPvRmT3_T4_T5_mT6_P12ihipStream_tbENKUlT_T0_E_clISt17integral_constantIbLb0EESZ_EEDaSU_SV_EUlSU_E0_NS1_11comp_targetILNS1_3genE3ELNS1_11target_archE908ELNS1_3gpuE7ELNS1_3repE0EEENS1_30default_config_static_selectorELNS0_4arch9wavefront6targetE0EEEvT1_,comdat
	.globl	_ZN7rocprim17ROCPRIM_400000_NS6detail17trampoline_kernelINS0_14default_configENS1_20scan_config_selectorIN3c107complexIdEEEEZZNS1_9scan_implILNS1_25lookback_scan_determinismE0ELb0ELb0ES3_PKS7_PS7_S7_ZZZN2at6native31launch_logcumsumexp_cuda_kernelERKNSE_10TensorBaseESI_lENKUlvE_clEvENKUlvE1_clEvEUlS7_S7_E_S7_EEDaPvRmT3_T4_T5_mT6_P12ihipStream_tbENKUlT_T0_E_clISt17integral_constantIbLb0EESZ_EEDaSU_SV_EUlSU_E0_NS1_11comp_targetILNS1_3genE3ELNS1_11target_archE908ELNS1_3gpuE7ELNS1_3repE0EEENS1_30default_config_static_selectorELNS0_4arch9wavefront6targetE0EEEvT1_ ; -- Begin function _ZN7rocprim17ROCPRIM_400000_NS6detail17trampoline_kernelINS0_14default_configENS1_20scan_config_selectorIN3c107complexIdEEEEZZNS1_9scan_implILNS1_25lookback_scan_determinismE0ELb0ELb0ES3_PKS7_PS7_S7_ZZZN2at6native31launch_logcumsumexp_cuda_kernelERKNSE_10TensorBaseESI_lENKUlvE_clEvENKUlvE1_clEvEUlS7_S7_E_S7_EEDaPvRmT3_T4_T5_mT6_P12ihipStream_tbENKUlT_T0_E_clISt17integral_constantIbLb0EESZ_EEDaSU_SV_EUlSU_E0_NS1_11comp_targetILNS1_3genE3ELNS1_11target_archE908ELNS1_3gpuE7ELNS1_3repE0EEENS1_30default_config_static_selectorELNS0_4arch9wavefront6targetE0EEEvT1_
	.p2align	8
	.type	_ZN7rocprim17ROCPRIM_400000_NS6detail17trampoline_kernelINS0_14default_configENS1_20scan_config_selectorIN3c107complexIdEEEEZZNS1_9scan_implILNS1_25lookback_scan_determinismE0ELb0ELb0ES3_PKS7_PS7_S7_ZZZN2at6native31launch_logcumsumexp_cuda_kernelERKNSE_10TensorBaseESI_lENKUlvE_clEvENKUlvE1_clEvEUlS7_S7_E_S7_EEDaPvRmT3_T4_T5_mT6_P12ihipStream_tbENKUlT_T0_E_clISt17integral_constantIbLb0EESZ_EEDaSU_SV_EUlSU_E0_NS1_11comp_targetILNS1_3genE3ELNS1_11target_archE908ELNS1_3gpuE7ELNS1_3repE0EEENS1_30default_config_static_selectorELNS0_4arch9wavefront6targetE0EEEvT1_,@function
_ZN7rocprim17ROCPRIM_400000_NS6detail17trampoline_kernelINS0_14default_configENS1_20scan_config_selectorIN3c107complexIdEEEEZZNS1_9scan_implILNS1_25lookback_scan_determinismE0ELb0ELb0ES3_PKS7_PS7_S7_ZZZN2at6native31launch_logcumsumexp_cuda_kernelERKNSE_10TensorBaseESI_lENKUlvE_clEvENKUlvE1_clEvEUlS7_S7_E_S7_EEDaPvRmT3_T4_T5_mT6_P12ihipStream_tbENKUlT_T0_E_clISt17integral_constantIbLb0EESZ_EEDaSU_SV_EUlSU_E0_NS1_11comp_targetILNS1_3genE3ELNS1_11target_archE908ELNS1_3gpuE7ELNS1_3repE0EEENS1_30default_config_static_selectorELNS0_4arch9wavefront6targetE0EEEvT1_: ; @_ZN7rocprim17ROCPRIM_400000_NS6detail17trampoline_kernelINS0_14default_configENS1_20scan_config_selectorIN3c107complexIdEEEEZZNS1_9scan_implILNS1_25lookback_scan_determinismE0ELb0ELb0ES3_PKS7_PS7_S7_ZZZN2at6native31launch_logcumsumexp_cuda_kernelERKNSE_10TensorBaseESI_lENKUlvE_clEvENKUlvE1_clEvEUlS7_S7_E_S7_EEDaPvRmT3_T4_T5_mT6_P12ihipStream_tbENKUlT_T0_E_clISt17integral_constantIbLb0EESZ_EEDaSU_SV_EUlSU_E0_NS1_11comp_targetILNS1_3genE3ELNS1_11target_archE908ELNS1_3gpuE7ELNS1_3repE0EEENS1_30default_config_static_selectorELNS0_4arch9wavefront6targetE0EEEvT1_
; %bb.0:
	.section	.rodata,"a",@progbits
	.p2align	6, 0x0
	.amdhsa_kernel _ZN7rocprim17ROCPRIM_400000_NS6detail17trampoline_kernelINS0_14default_configENS1_20scan_config_selectorIN3c107complexIdEEEEZZNS1_9scan_implILNS1_25lookback_scan_determinismE0ELb0ELb0ES3_PKS7_PS7_S7_ZZZN2at6native31launch_logcumsumexp_cuda_kernelERKNSE_10TensorBaseESI_lENKUlvE_clEvENKUlvE1_clEvEUlS7_S7_E_S7_EEDaPvRmT3_T4_T5_mT6_P12ihipStream_tbENKUlT_T0_E_clISt17integral_constantIbLb0EESZ_EEDaSU_SV_EUlSU_E0_NS1_11comp_targetILNS1_3genE3ELNS1_11target_archE908ELNS1_3gpuE7ELNS1_3repE0EEENS1_30default_config_static_selectorELNS0_4arch9wavefront6targetE0EEEvT1_
		.amdhsa_group_segment_fixed_size 0
		.amdhsa_private_segment_fixed_size 0
		.amdhsa_kernarg_size 48
		.amdhsa_user_sgpr_count 6
		.amdhsa_user_sgpr_private_segment_buffer 1
		.amdhsa_user_sgpr_dispatch_ptr 0
		.amdhsa_user_sgpr_queue_ptr 0
		.amdhsa_user_sgpr_kernarg_segment_ptr 1
		.amdhsa_user_sgpr_dispatch_id 0
		.amdhsa_user_sgpr_flat_scratch_init 0
		.amdhsa_user_sgpr_private_segment_size 0
		.amdhsa_wavefront_size32 1
		.amdhsa_uses_dynamic_stack 0
		.amdhsa_system_sgpr_private_segment_wavefront_offset 0
		.amdhsa_system_sgpr_workgroup_id_x 1
		.amdhsa_system_sgpr_workgroup_id_y 0
		.amdhsa_system_sgpr_workgroup_id_z 0
		.amdhsa_system_sgpr_workgroup_info 0
		.amdhsa_system_vgpr_workitem_id 0
		.amdhsa_next_free_vgpr 1
		.amdhsa_next_free_sgpr 1
		.amdhsa_reserve_vcc 0
		.amdhsa_reserve_flat_scratch 0
		.amdhsa_float_round_mode_32 0
		.amdhsa_float_round_mode_16_64 0
		.amdhsa_float_denorm_mode_32 3
		.amdhsa_float_denorm_mode_16_64 3
		.amdhsa_dx10_clamp 1
		.amdhsa_ieee_mode 1
		.amdhsa_fp16_overflow 0
		.amdhsa_workgroup_processor_mode 1
		.amdhsa_memory_ordered 1
		.amdhsa_forward_progress 1
		.amdhsa_shared_vgpr_count 0
		.amdhsa_exception_fp_ieee_invalid_op 0
		.amdhsa_exception_fp_denorm_src 0
		.amdhsa_exception_fp_ieee_div_zero 0
		.amdhsa_exception_fp_ieee_overflow 0
		.amdhsa_exception_fp_ieee_underflow 0
		.amdhsa_exception_fp_ieee_inexact 0
		.amdhsa_exception_int_div_zero 0
	.end_amdhsa_kernel
	.section	.text._ZN7rocprim17ROCPRIM_400000_NS6detail17trampoline_kernelINS0_14default_configENS1_20scan_config_selectorIN3c107complexIdEEEEZZNS1_9scan_implILNS1_25lookback_scan_determinismE0ELb0ELb0ES3_PKS7_PS7_S7_ZZZN2at6native31launch_logcumsumexp_cuda_kernelERKNSE_10TensorBaseESI_lENKUlvE_clEvENKUlvE1_clEvEUlS7_S7_E_S7_EEDaPvRmT3_T4_T5_mT6_P12ihipStream_tbENKUlT_T0_E_clISt17integral_constantIbLb0EESZ_EEDaSU_SV_EUlSU_E0_NS1_11comp_targetILNS1_3genE3ELNS1_11target_archE908ELNS1_3gpuE7ELNS1_3repE0EEENS1_30default_config_static_selectorELNS0_4arch9wavefront6targetE0EEEvT1_,"axG",@progbits,_ZN7rocprim17ROCPRIM_400000_NS6detail17trampoline_kernelINS0_14default_configENS1_20scan_config_selectorIN3c107complexIdEEEEZZNS1_9scan_implILNS1_25lookback_scan_determinismE0ELb0ELb0ES3_PKS7_PS7_S7_ZZZN2at6native31launch_logcumsumexp_cuda_kernelERKNSE_10TensorBaseESI_lENKUlvE_clEvENKUlvE1_clEvEUlS7_S7_E_S7_EEDaPvRmT3_T4_T5_mT6_P12ihipStream_tbENKUlT_T0_E_clISt17integral_constantIbLb0EESZ_EEDaSU_SV_EUlSU_E0_NS1_11comp_targetILNS1_3genE3ELNS1_11target_archE908ELNS1_3gpuE7ELNS1_3repE0EEENS1_30default_config_static_selectorELNS0_4arch9wavefront6targetE0EEEvT1_,comdat
.Lfunc_end196:
	.size	_ZN7rocprim17ROCPRIM_400000_NS6detail17trampoline_kernelINS0_14default_configENS1_20scan_config_selectorIN3c107complexIdEEEEZZNS1_9scan_implILNS1_25lookback_scan_determinismE0ELb0ELb0ES3_PKS7_PS7_S7_ZZZN2at6native31launch_logcumsumexp_cuda_kernelERKNSE_10TensorBaseESI_lENKUlvE_clEvENKUlvE1_clEvEUlS7_S7_E_S7_EEDaPvRmT3_T4_T5_mT6_P12ihipStream_tbENKUlT_T0_E_clISt17integral_constantIbLb0EESZ_EEDaSU_SV_EUlSU_E0_NS1_11comp_targetILNS1_3genE3ELNS1_11target_archE908ELNS1_3gpuE7ELNS1_3repE0EEENS1_30default_config_static_selectorELNS0_4arch9wavefront6targetE0EEEvT1_, .Lfunc_end196-_ZN7rocprim17ROCPRIM_400000_NS6detail17trampoline_kernelINS0_14default_configENS1_20scan_config_selectorIN3c107complexIdEEEEZZNS1_9scan_implILNS1_25lookback_scan_determinismE0ELb0ELb0ES3_PKS7_PS7_S7_ZZZN2at6native31launch_logcumsumexp_cuda_kernelERKNSE_10TensorBaseESI_lENKUlvE_clEvENKUlvE1_clEvEUlS7_S7_E_S7_EEDaPvRmT3_T4_T5_mT6_P12ihipStream_tbENKUlT_T0_E_clISt17integral_constantIbLb0EESZ_EEDaSU_SV_EUlSU_E0_NS1_11comp_targetILNS1_3genE3ELNS1_11target_archE908ELNS1_3gpuE7ELNS1_3repE0EEENS1_30default_config_static_selectorELNS0_4arch9wavefront6targetE0EEEvT1_
                                        ; -- End function
	.set _ZN7rocprim17ROCPRIM_400000_NS6detail17trampoline_kernelINS0_14default_configENS1_20scan_config_selectorIN3c107complexIdEEEEZZNS1_9scan_implILNS1_25lookback_scan_determinismE0ELb0ELb0ES3_PKS7_PS7_S7_ZZZN2at6native31launch_logcumsumexp_cuda_kernelERKNSE_10TensorBaseESI_lENKUlvE_clEvENKUlvE1_clEvEUlS7_S7_E_S7_EEDaPvRmT3_T4_T5_mT6_P12ihipStream_tbENKUlT_T0_E_clISt17integral_constantIbLb0EESZ_EEDaSU_SV_EUlSU_E0_NS1_11comp_targetILNS1_3genE3ELNS1_11target_archE908ELNS1_3gpuE7ELNS1_3repE0EEENS1_30default_config_static_selectorELNS0_4arch9wavefront6targetE0EEEvT1_.num_vgpr, 0
	.set _ZN7rocprim17ROCPRIM_400000_NS6detail17trampoline_kernelINS0_14default_configENS1_20scan_config_selectorIN3c107complexIdEEEEZZNS1_9scan_implILNS1_25lookback_scan_determinismE0ELb0ELb0ES3_PKS7_PS7_S7_ZZZN2at6native31launch_logcumsumexp_cuda_kernelERKNSE_10TensorBaseESI_lENKUlvE_clEvENKUlvE1_clEvEUlS7_S7_E_S7_EEDaPvRmT3_T4_T5_mT6_P12ihipStream_tbENKUlT_T0_E_clISt17integral_constantIbLb0EESZ_EEDaSU_SV_EUlSU_E0_NS1_11comp_targetILNS1_3genE3ELNS1_11target_archE908ELNS1_3gpuE7ELNS1_3repE0EEENS1_30default_config_static_selectorELNS0_4arch9wavefront6targetE0EEEvT1_.num_agpr, 0
	.set _ZN7rocprim17ROCPRIM_400000_NS6detail17trampoline_kernelINS0_14default_configENS1_20scan_config_selectorIN3c107complexIdEEEEZZNS1_9scan_implILNS1_25lookback_scan_determinismE0ELb0ELb0ES3_PKS7_PS7_S7_ZZZN2at6native31launch_logcumsumexp_cuda_kernelERKNSE_10TensorBaseESI_lENKUlvE_clEvENKUlvE1_clEvEUlS7_S7_E_S7_EEDaPvRmT3_T4_T5_mT6_P12ihipStream_tbENKUlT_T0_E_clISt17integral_constantIbLb0EESZ_EEDaSU_SV_EUlSU_E0_NS1_11comp_targetILNS1_3genE3ELNS1_11target_archE908ELNS1_3gpuE7ELNS1_3repE0EEENS1_30default_config_static_selectorELNS0_4arch9wavefront6targetE0EEEvT1_.numbered_sgpr, 0
	.set _ZN7rocprim17ROCPRIM_400000_NS6detail17trampoline_kernelINS0_14default_configENS1_20scan_config_selectorIN3c107complexIdEEEEZZNS1_9scan_implILNS1_25lookback_scan_determinismE0ELb0ELb0ES3_PKS7_PS7_S7_ZZZN2at6native31launch_logcumsumexp_cuda_kernelERKNSE_10TensorBaseESI_lENKUlvE_clEvENKUlvE1_clEvEUlS7_S7_E_S7_EEDaPvRmT3_T4_T5_mT6_P12ihipStream_tbENKUlT_T0_E_clISt17integral_constantIbLb0EESZ_EEDaSU_SV_EUlSU_E0_NS1_11comp_targetILNS1_3genE3ELNS1_11target_archE908ELNS1_3gpuE7ELNS1_3repE0EEENS1_30default_config_static_selectorELNS0_4arch9wavefront6targetE0EEEvT1_.num_named_barrier, 0
	.set _ZN7rocprim17ROCPRIM_400000_NS6detail17trampoline_kernelINS0_14default_configENS1_20scan_config_selectorIN3c107complexIdEEEEZZNS1_9scan_implILNS1_25lookback_scan_determinismE0ELb0ELb0ES3_PKS7_PS7_S7_ZZZN2at6native31launch_logcumsumexp_cuda_kernelERKNSE_10TensorBaseESI_lENKUlvE_clEvENKUlvE1_clEvEUlS7_S7_E_S7_EEDaPvRmT3_T4_T5_mT6_P12ihipStream_tbENKUlT_T0_E_clISt17integral_constantIbLb0EESZ_EEDaSU_SV_EUlSU_E0_NS1_11comp_targetILNS1_3genE3ELNS1_11target_archE908ELNS1_3gpuE7ELNS1_3repE0EEENS1_30default_config_static_selectorELNS0_4arch9wavefront6targetE0EEEvT1_.private_seg_size, 0
	.set _ZN7rocprim17ROCPRIM_400000_NS6detail17trampoline_kernelINS0_14default_configENS1_20scan_config_selectorIN3c107complexIdEEEEZZNS1_9scan_implILNS1_25lookback_scan_determinismE0ELb0ELb0ES3_PKS7_PS7_S7_ZZZN2at6native31launch_logcumsumexp_cuda_kernelERKNSE_10TensorBaseESI_lENKUlvE_clEvENKUlvE1_clEvEUlS7_S7_E_S7_EEDaPvRmT3_T4_T5_mT6_P12ihipStream_tbENKUlT_T0_E_clISt17integral_constantIbLb0EESZ_EEDaSU_SV_EUlSU_E0_NS1_11comp_targetILNS1_3genE3ELNS1_11target_archE908ELNS1_3gpuE7ELNS1_3repE0EEENS1_30default_config_static_selectorELNS0_4arch9wavefront6targetE0EEEvT1_.uses_vcc, 0
	.set _ZN7rocprim17ROCPRIM_400000_NS6detail17trampoline_kernelINS0_14default_configENS1_20scan_config_selectorIN3c107complexIdEEEEZZNS1_9scan_implILNS1_25lookback_scan_determinismE0ELb0ELb0ES3_PKS7_PS7_S7_ZZZN2at6native31launch_logcumsumexp_cuda_kernelERKNSE_10TensorBaseESI_lENKUlvE_clEvENKUlvE1_clEvEUlS7_S7_E_S7_EEDaPvRmT3_T4_T5_mT6_P12ihipStream_tbENKUlT_T0_E_clISt17integral_constantIbLb0EESZ_EEDaSU_SV_EUlSU_E0_NS1_11comp_targetILNS1_3genE3ELNS1_11target_archE908ELNS1_3gpuE7ELNS1_3repE0EEENS1_30default_config_static_selectorELNS0_4arch9wavefront6targetE0EEEvT1_.uses_flat_scratch, 0
	.set _ZN7rocprim17ROCPRIM_400000_NS6detail17trampoline_kernelINS0_14default_configENS1_20scan_config_selectorIN3c107complexIdEEEEZZNS1_9scan_implILNS1_25lookback_scan_determinismE0ELb0ELb0ES3_PKS7_PS7_S7_ZZZN2at6native31launch_logcumsumexp_cuda_kernelERKNSE_10TensorBaseESI_lENKUlvE_clEvENKUlvE1_clEvEUlS7_S7_E_S7_EEDaPvRmT3_T4_T5_mT6_P12ihipStream_tbENKUlT_T0_E_clISt17integral_constantIbLb0EESZ_EEDaSU_SV_EUlSU_E0_NS1_11comp_targetILNS1_3genE3ELNS1_11target_archE908ELNS1_3gpuE7ELNS1_3repE0EEENS1_30default_config_static_selectorELNS0_4arch9wavefront6targetE0EEEvT1_.has_dyn_sized_stack, 0
	.set _ZN7rocprim17ROCPRIM_400000_NS6detail17trampoline_kernelINS0_14default_configENS1_20scan_config_selectorIN3c107complexIdEEEEZZNS1_9scan_implILNS1_25lookback_scan_determinismE0ELb0ELb0ES3_PKS7_PS7_S7_ZZZN2at6native31launch_logcumsumexp_cuda_kernelERKNSE_10TensorBaseESI_lENKUlvE_clEvENKUlvE1_clEvEUlS7_S7_E_S7_EEDaPvRmT3_T4_T5_mT6_P12ihipStream_tbENKUlT_T0_E_clISt17integral_constantIbLb0EESZ_EEDaSU_SV_EUlSU_E0_NS1_11comp_targetILNS1_3genE3ELNS1_11target_archE908ELNS1_3gpuE7ELNS1_3repE0EEENS1_30default_config_static_selectorELNS0_4arch9wavefront6targetE0EEEvT1_.has_recursion, 0
	.set _ZN7rocprim17ROCPRIM_400000_NS6detail17trampoline_kernelINS0_14default_configENS1_20scan_config_selectorIN3c107complexIdEEEEZZNS1_9scan_implILNS1_25lookback_scan_determinismE0ELb0ELb0ES3_PKS7_PS7_S7_ZZZN2at6native31launch_logcumsumexp_cuda_kernelERKNSE_10TensorBaseESI_lENKUlvE_clEvENKUlvE1_clEvEUlS7_S7_E_S7_EEDaPvRmT3_T4_T5_mT6_P12ihipStream_tbENKUlT_T0_E_clISt17integral_constantIbLb0EESZ_EEDaSU_SV_EUlSU_E0_NS1_11comp_targetILNS1_3genE3ELNS1_11target_archE908ELNS1_3gpuE7ELNS1_3repE0EEENS1_30default_config_static_selectorELNS0_4arch9wavefront6targetE0EEEvT1_.has_indirect_call, 0
	.section	.AMDGPU.csdata,"",@progbits
; Kernel info:
; codeLenInByte = 0
; TotalNumSgprs: 0
; NumVgprs: 0
; ScratchSize: 0
; MemoryBound: 0
; FloatMode: 240
; IeeeMode: 1
; LDSByteSize: 0 bytes/workgroup (compile time only)
; SGPRBlocks: 0
; VGPRBlocks: 0
; NumSGPRsForWavesPerEU: 1
; NumVGPRsForWavesPerEU: 1
; Occupancy: 16
; WaveLimiterHint : 0
; COMPUTE_PGM_RSRC2:SCRATCH_EN: 0
; COMPUTE_PGM_RSRC2:USER_SGPR: 6
; COMPUTE_PGM_RSRC2:TRAP_HANDLER: 0
; COMPUTE_PGM_RSRC2:TGID_X_EN: 1
; COMPUTE_PGM_RSRC2:TGID_Y_EN: 0
; COMPUTE_PGM_RSRC2:TGID_Z_EN: 0
; COMPUTE_PGM_RSRC2:TIDIG_COMP_CNT: 0
	.section	.text._ZN7rocprim17ROCPRIM_400000_NS6detail17trampoline_kernelINS0_14default_configENS1_20scan_config_selectorIN3c107complexIdEEEEZZNS1_9scan_implILNS1_25lookback_scan_determinismE0ELb0ELb0ES3_PKS7_PS7_S7_ZZZN2at6native31launch_logcumsumexp_cuda_kernelERKNSE_10TensorBaseESI_lENKUlvE_clEvENKUlvE1_clEvEUlS7_S7_E_S7_EEDaPvRmT3_T4_T5_mT6_P12ihipStream_tbENKUlT_T0_E_clISt17integral_constantIbLb0EESZ_EEDaSU_SV_EUlSU_E0_NS1_11comp_targetILNS1_3genE2ELNS1_11target_archE906ELNS1_3gpuE6ELNS1_3repE0EEENS1_30default_config_static_selectorELNS0_4arch9wavefront6targetE0EEEvT1_,"axG",@progbits,_ZN7rocprim17ROCPRIM_400000_NS6detail17trampoline_kernelINS0_14default_configENS1_20scan_config_selectorIN3c107complexIdEEEEZZNS1_9scan_implILNS1_25lookback_scan_determinismE0ELb0ELb0ES3_PKS7_PS7_S7_ZZZN2at6native31launch_logcumsumexp_cuda_kernelERKNSE_10TensorBaseESI_lENKUlvE_clEvENKUlvE1_clEvEUlS7_S7_E_S7_EEDaPvRmT3_T4_T5_mT6_P12ihipStream_tbENKUlT_T0_E_clISt17integral_constantIbLb0EESZ_EEDaSU_SV_EUlSU_E0_NS1_11comp_targetILNS1_3genE2ELNS1_11target_archE906ELNS1_3gpuE6ELNS1_3repE0EEENS1_30default_config_static_selectorELNS0_4arch9wavefront6targetE0EEEvT1_,comdat
	.globl	_ZN7rocprim17ROCPRIM_400000_NS6detail17trampoline_kernelINS0_14default_configENS1_20scan_config_selectorIN3c107complexIdEEEEZZNS1_9scan_implILNS1_25lookback_scan_determinismE0ELb0ELb0ES3_PKS7_PS7_S7_ZZZN2at6native31launch_logcumsumexp_cuda_kernelERKNSE_10TensorBaseESI_lENKUlvE_clEvENKUlvE1_clEvEUlS7_S7_E_S7_EEDaPvRmT3_T4_T5_mT6_P12ihipStream_tbENKUlT_T0_E_clISt17integral_constantIbLb0EESZ_EEDaSU_SV_EUlSU_E0_NS1_11comp_targetILNS1_3genE2ELNS1_11target_archE906ELNS1_3gpuE6ELNS1_3repE0EEENS1_30default_config_static_selectorELNS0_4arch9wavefront6targetE0EEEvT1_ ; -- Begin function _ZN7rocprim17ROCPRIM_400000_NS6detail17trampoline_kernelINS0_14default_configENS1_20scan_config_selectorIN3c107complexIdEEEEZZNS1_9scan_implILNS1_25lookback_scan_determinismE0ELb0ELb0ES3_PKS7_PS7_S7_ZZZN2at6native31launch_logcumsumexp_cuda_kernelERKNSE_10TensorBaseESI_lENKUlvE_clEvENKUlvE1_clEvEUlS7_S7_E_S7_EEDaPvRmT3_T4_T5_mT6_P12ihipStream_tbENKUlT_T0_E_clISt17integral_constantIbLb0EESZ_EEDaSU_SV_EUlSU_E0_NS1_11comp_targetILNS1_3genE2ELNS1_11target_archE906ELNS1_3gpuE6ELNS1_3repE0EEENS1_30default_config_static_selectorELNS0_4arch9wavefront6targetE0EEEvT1_
	.p2align	8
	.type	_ZN7rocprim17ROCPRIM_400000_NS6detail17trampoline_kernelINS0_14default_configENS1_20scan_config_selectorIN3c107complexIdEEEEZZNS1_9scan_implILNS1_25lookback_scan_determinismE0ELb0ELb0ES3_PKS7_PS7_S7_ZZZN2at6native31launch_logcumsumexp_cuda_kernelERKNSE_10TensorBaseESI_lENKUlvE_clEvENKUlvE1_clEvEUlS7_S7_E_S7_EEDaPvRmT3_T4_T5_mT6_P12ihipStream_tbENKUlT_T0_E_clISt17integral_constantIbLb0EESZ_EEDaSU_SV_EUlSU_E0_NS1_11comp_targetILNS1_3genE2ELNS1_11target_archE906ELNS1_3gpuE6ELNS1_3repE0EEENS1_30default_config_static_selectorELNS0_4arch9wavefront6targetE0EEEvT1_,@function
_ZN7rocprim17ROCPRIM_400000_NS6detail17trampoline_kernelINS0_14default_configENS1_20scan_config_selectorIN3c107complexIdEEEEZZNS1_9scan_implILNS1_25lookback_scan_determinismE0ELb0ELb0ES3_PKS7_PS7_S7_ZZZN2at6native31launch_logcumsumexp_cuda_kernelERKNSE_10TensorBaseESI_lENKUlvE_clEvENKUlvE1_clEvEUlS7_S7_E_S7_EEDaPvRmT3_T4_T5_mT6_P12ihipStream_tbENKUlT_T0_E_clISt17integral_constantIbLb0EESZ_EEDaSU_SV_EUlSU_E0_NS1_11comp_targetILNS1_3genE2ELNS1_11target_archE906ELNS1_3gpuE6ELNS1_3repE0EEENS1_30default_config_static_selectorELNS0_4arch9wavefront6targetE0EEEvT1_: ; @_ZN7rocprim17ROCPRIM_400000_NS6detail17trampoline_kernelINS0_14default_configENS1_20scan_config_selectorIN3c107complexIdEEEEZZNS1_9scan_implILNS1_25lookback_scan_determinismE0ELb0ELb0ES3_PKS7_PS7_S7_ZZZN2at6native31launch_logcumsumexp_cuda_kernelERKNSE_10TensorBaseESI_lENKUlvE_clEvENKUlvE1_clEvEUlS7_S7_E_S7_EEDaPvRmT3_T4_T5_mT6_P12ihipStream_tbENKUlT_T0_E_clISt17integral_constantIbLb0EESZ_EEDaSU_SV_EUlSU_E0_NS1_11comp_targetILNS1_3genE2ELNS1_11target_archE906ELNS1_3gpuE6ELNS1_3repE0EEENS1_30default_config_static_selectorELNS0_4arch9wavefront6targetE0EEEvT1_
; %bb.0:
	.section	.rodata,"a",@progbits
	.p2align	6, 0x0
	.amdhsa_kernel _ZN7rocprim17ROCPRIM_400000_NS6detail17trampoline_kernelINS0_14default_configENS1_20scan_config_selectorIN3c107complexIdEEEEZZNS1_9scan_implILNS1_25lookback_scan_determinismE0ELb0ELb0ES3_PKS7_PS7_S7_ZZZN2at6native31launch_logcumsumexp_cuda_kernelERKNSE_10TensorBaseESI_lENKUlvE_clEvENKUlvE1_clEvEUlS7_S7_E_S7_EEDaPvRmT3_T4_T5_mT6_P12ihipStream_tbENKUlT_T0_E_clISt17integral_constantIbLb0EESZ_EEDaSU_SV_EUlSU_E0_NS1_11comp_targetILNS1_3genE2ELNS1_11target_archE906ELNS1_3gpuE6ELNS1_3repE0EEENS1_30default_config_static_selectorELNS0_4arch9wavefront6targetE0EEEvT1_
		.amdhsa_group_segment_fixed_size 0
		.amdhsa_private_segment_fixed_size 0
		.amdhsa_kernarg_size 48
		.amdhsa_user_sgpr_count 6
		.amdhsa_user_sgpr_private_segment_buffer 1
		.amdhsa_user_sgpr_dispatch_ptr 0
		.amdhsa_user_sgpr_queue_ptr 0
		.amdhsa_user_sgpr_kernarg_segment_ptr 1
		.amdhsa_user_sgpr_dispatch_id 0
		.amdhsa_user_sgpr_flat_scratch_init 0
		.amdhsa_user_sgpr_private_segment_size 0
		.amdhsa_wavefront_size32 1
		.amdhsa_uses_dynamic_stack 0
		.amdhsa_system_sgpr_private_segment_wavefront_offset 0
		.amdhsa_system_sgpr_workgroup_id_x 1
		.amdhsa_system_sgpr_workgroup_id_y 0
		.amdhsa_system_sgpr_workgroup_id_z 0
		.amdhsa_system_sgpr_workgroup_info 0
		.amdhsa_system_vgpr_workitem_id 0
		.amdhsa_next_free_vgpr 1
		.amdhsa_next_free_sgpr 1
		.amdhsa_reserve_vcc 0
		.amdhsa_reserve_flat_scratch 0
		.amdhsa_float_round_mode_32 0
		.amdhsa_float_round_mode_16_64 0
		.amdhsa_float_denorm_mode_32 3
		.amdhsa_float_denorm_mode_16_64 3
		.amdhsa_dx10_clamp 1
		.amdhsa_ieee_mode 1
		.amdhsa_fp16_overflow 0
		.amdhsa_workgroup_processor_mode 1
		.amdhsa_memory_ordered 1
		.amdhsa_forward_progress 1
		.amdhsa_shared_vgpr_count 0
		.amdhsa_exception_fp_ieee_invalid_op 0
		.amdhsa_exception_fp_denorm_src 0
		.amdhsa_exception_fp_ieee_div_zero 0
		.amdhsa_exception_fp_ieee_overflow 0
		.amdhsa_exception_fp_ieee_underflow 0
		.amdhsa_exception_fp_ieee_inexact 0
		.amdhsa_exception_int_div_zero 0
	.end_amdhsa_kernel
	.section	.text._ZN7rocprim17ROCPRIM_400000_NS6detail17trampoline_kernelINS0_14default_configENS1_20scan_config_selectorIN3c107complexIdEEEEZZNS1_9scan_implILNS1_25lookback_scan_determinismE0ELb0ELb0ES3_PKS7_PS7_S7_ZZZN2at6native31launch_logcumsumexp_cuda_kernelERKNSE_10TensorBaseESI_lENKUlvE_clEvENKUlvE1_clEvEUlS7_S7_E_S7_EEDaPvRmT3_T4_T5_mT6_P12ihipStream_tbENKUlT_T0_E_clISt17integral_constantIbLb0EESZ_EEDaSU_SV_EUlSU_E0_NS1_11comp_targetILNS1_3genE2ELNS1_11target_archE906ELNS1_3gpuE6ELNS1_3repE0EEENS1_30default_config_static_selectorELNS0_4arch9wavefront6targetE0EEEvT1_,"axG",@progbits,_ZN7rocprim17ROCPRIM_400000_NS6detail17trampoline_kernelINS0_14default_configENS1_20scan_config_selectorIN3c107complexIdEEEEZZNS1_9scan_implILNS1_25lookback_scan_determinismE0ELb0ELb0ES3_PKS7_PS7_S7_ZZZN2at6native31launch_logcumsumexp_cuda_kernelERKNSE_10TensorBaseESI_lENKUlvE_clEvENKUlvE1_clEvEUlS7_S7_E_S7_EEDaPvRmT3_T4_T5_mT6_P12ihipStream_tbENKUlT_T0_E_clISt17integral_constantIbLb0EESZ_EEDaSU_SV_EUlSU_E0_NS1_11comp_targetILNS1_3genE2ELNS1_11target_archE906ELNS1_3gpuE6ELNS1_3repE0EEENS1_30default_config_static_selectorELNS0_4arch9wavefront6targetE0EEEvT1_,comdat
.Lfunc_end197:
	.size	_ZN7rocprim17ROCPRIM_400000_NS6detail17trampoline_kernelINS0_14default_configENS1_20scan_config_selectorIN3c107complexIdEEEEZZNS1_9scan_implILNS1_25lookback_scan_determinismE0ELb0ELb0ES3_PKS7_PS7_S7_ZZZN2at6native31launch_logcumsumexp_cuda_kernelERKNSE_10TensorBaseESI_lENKUlvE_clEvENKUlvE1_clEvEUlS7_S7_E_S7_EEDaPvRmT3_T4_T5_mT6_P12ihipStream_tbENKUlT_T0_E_clISt17integral_constantIbLb0EESZ_EEDaSU_SV_EUlSU_E0_NS1_11comp_targetILNS1_3genE2ELNS1_11target_archE906ELNS1_3gpuE6ELNS1_3repE0EEENS1_30default_config_static_selectorELNS0_4arch9wavefront6targetE0EEEvT1_, .Lfunc_end197-_ZN7rocprim17ROCPRIM_400000_NS6detail17trampoline_kernelINS0_14default_configENS1_20scan_config_selectorIN3c107complexIdEEEEZZNS1_9scan_implILNS1_25lookback_scan_determinismE0ELb0ELb0ES3_PKS7_PS7_S7_ZZZN2at6native31launch_logcumsumexp_cuda_kernelERKNSE_10TensorBaseESI_lENKUlvE_clEvENKUlvE1_clEvEUlS7_S7_E_S7_EEDaPvRmT3_T4_T5_mT6_P12ihipStream_tbENKUlT_T0_E_clISt17integral_constantIbLb0EESZ_EEDaSU_SV_EUlSU_E0_NS1_11comp_targetILNS1_3genE2ELNS1_11target_archE906ELNS1_3gpuE6ELNS1_3repE0EEENS1_30default_config_static_selectorELNS0_4arch9wavefront6targetE0EEEvT1_
                                        ; -- End function
	.set _ZN7rocprim17ROCPRIM_400000_NS6detail17trampoline_kernelINS0_14default_configENS1_20scan_config_selectorIN3c107complexIdEEEEZZNS1_9scan_implILNS1_25lookback_scan_determinismE0ELb0ELb0ES3_PKS7_PS7_S7_ZZZN2at6native31launch_logcumsumexp_cuda_kernelERKNSE_10TensorBaseESI_lENKUlvE_clEvENKUlvE1_clEvEUlS7_S7_E_S7_EEDaPvRmT3_T4_T5_mT6_P12ihipStream_tbENKUlT_T0_E_clISt17integral_constantIbLb0EESZ_EEDaSU_SV_EUlSU_E0_NS1_11comp_targetILNS1_3genE2ELNS1_11target_archE906ELNS1_3gpuE6ELNS1_3repE0EEENS1_30default_config_static_selectorELNS0_4arch9wavefront6targetE0EEEvT1_.num_vgpr, 0
	.set _ZN7rocprim17ROCPRIM_400000_NS6detail17trampoline_kernelINS0_14default_configENS1_20scan_config_selectorIN3c107complexIdEEEEZZNS1_9scan_implILNS1_25lookback_scan_determinismE0ELb0ELb0ES3_PKS7_PS7_S7_ZZZN2at6native31launch_logcumsumexp_cuda_kernelERKNSE_10TensorBaseESI_lENKUlvE_clEvENKUlvE1_clEvEUlS7_S7_E_S7_EEDaPvRmT3_T4_T5_mT6_P12ihipStream_tbENKUlT_T0_E_clISt17integral_constantIbLb0EESZ_EEDaSU_SV_EUlSU_E0_NS1_11comp_targetILNS1_3genE2ELNS1_11target_archE906ELNS1_3gpuE6ELNS1_3repE0EEENS1_30default_config_static_selectorELNS0_4arch9wavefront6targetE0EEEvT1_.num_agpr, 0
	.set _ZN7rocprim17ROCPRIM_400000_NS6detail17trampoline_kernelINS0_14default_configENS1_20scan_config_selectorIN3c107complexIdEEEEZZNS1_9scan_implILNS1_25lookback_scan_determinismE0ELb0ELb0ES3_PKS7_PS7_S7_ZZZN2at6native31launch_logcumsumexp_cuda_kernelERKNSE_10TensorBaseESI_lENKUlvE_clEvENKUlvE1_clEvEUlS7_S7_E_S7_EEDaPvRmT3_T4_T5_mT6_P12ihipStream_tbENKUlT_T0_E_clISt17integral_constantIbLb0EESZ_EEDaSU_SV_EUlSU_E0_NS1_11comp_targetILNS1_3genE2ELNS1_11target_archE906ELNS1_3gpuE6ELNS1_3repE0EEENS1_30default_config_static_selectorELNS0_4arch9wavefront6targetE0EEEvT1_.numbered_sgpr, 0
	.set _ZN7rocprim17ROCPRIM_400000_NS6detail17trampoline_kernelINS0_14default_configENS1_20scan_config_selectorIN3c107complexIdEEEEZZNS1_9scan_implILNS1_25lookback_scan_determinismE0ELb0ELb0ES3_PKS7_PS7_S7_ZZZN2at6native31launch_logcumsumexp_cuda_kernelERKNSE_10TensorBaseESI_lENKUlvE_clEvENKUlvE1_clEvEUlS7_S7_E_S7_EEDaPvRmT3_T4_T5_mT6_P12ihipStream_tbENKUlT_T0_E_clISt17integral_constantIbLb0EESZ_EEDaSU_SV_EUlSU_E0_NS1_11comp_targetILNS1_3genE2ELNS1_11target_archE906ELNS1_3gpuE6ELNS1_3repE0EEENS1_30default_config_static_selectorELNS0_4arch9wavefront6targetE0EEEvT1_.num_named_barrier, 0
	.set _ZN7rocprim17ROCPRIM_400000_NS6detail17trampoline_kernelINS0_14default_configENS1_20scan_config_selectorIN3c107complexIdEEEEZZNS1_9scan_implILNS1_25lookback_scan_determinismE0ELb0ELb0ES3_PKS7_PS7_S7_ZZZN2at6native31launch_logcumsumexp_cuda_kernelERKNSE_10TensorBaseESI_lENKUlvE_clEvENKUlvE1_clEvEUlS7_S7_E_S7_EEDaPvRmT3_T4_T5_mT6_P12ihipStream_tbENKUlT_T0_E_clISt17integral_constantIbLb0EESZ_EEDaSU_SV_EUlSU_E0_NS1_11comp_targetILNS1_3genE2ELNS1_11target_archE906ELNS1_3gpuE6ELNS1_3repE0EEENS1_30default_config_static_selectorELNS0_4arch9wavefront6targetE0EEEvT1_.private_seg_size, 0
	.set _ZN7rocprim17ROCPRIM_400000_NS6detail17trampoline_kernelINS0_14default_configENS1_20scan_config_selectorIN3c107complexIdEEEEZZNS1_9scan_implILNS1_25lookback_scan_determinismE0ELb0ELb0ES3_PKS7_PS7_S7_ZZZN2at6native31launch_logcumsumexp_cuda_kernelERKNSE_10TensorBaseESI_lENKUlvE_clEvENKUlvE1_clEvEUlS7_S7_E_S7_EEDaPvRmT3_T4_T5_mT6_P12ihipStream_tbENKUlT_T0_E_clISt17integral_constantIbLb0EESZ_EEDaSU_SV_EUlSU_E0_NS1_11comp_targetILNS1_3genE2ELNS1_11target_archE906ELNS1_3gpuE6ELNS1_3repE0EEENS1_30default_config_static_selectorELNS0_4arch9wavefront6targetE0EEEvT1_.uses_vcc, 0
	.set _ZN7rocprim17ROCPRIM_400000_NS6detail17trampoline_kernelINS0_14default_configENS1_20scan_config_selectorIN3c107complexIdEEEEZZNS1_9scan_implILNS1_25lookback_scan_determinismE0ELb0ELb0ES3_PKS7_PS7_S7_ZZZN2at6native31launch_logcumsumexp_cuda_kernelERKNSE_10TensorBaseESI_lENKUlvE_clEvENKUlvE1_clEvEUlS7_S7_E_S7_EEDaPvRmT3_T4_T5_mT6_P12ihipStream_tbENKUlT_T0_E_clISt17integral_constantIbLb0EESZ_EEDaSU_SV_EUlSU_E0_NS1_11comp_targetILNS1_3genE2ELNS1_11target_archE906ELNS1_3gpuE6ELNS1_3repE0EEENS1_30default_config_static_selectorELNS0_4arch9wavefront6targetE0EEEvT1_.uses_flat_scratch, 0
	.set _ZN7rocprim17ROCPRIM_400000_NS6detail17trampoline_kernelINS0_14default_configENS1_20scan_config_selectorIN3c107complexIdEEEEZZNS1_9scan_implILNS1_25lookback_scan_determinismE0ELb0ELb0ES3_PKS7_PS7_S7_ZZZN2at6native31launch_logcumsumexp_cuda_kernelERKNSE_10TensorBaseESI_lENKUlvE_clEvENKUlvE1_clEvEUlS7_S7_E_S7_EEDaPvRmT3_T4_T5_mT6_P12ihipStream_tbENKUlT_T0_E_clISt17integral_constantIbLb0EESZ_EEDaSU_SV_EUlSU_E0_NS1_11comp_targetILNS1_3genE2ELNS1_11target_archE906ELNS1_3gpuE6ELNS1_3repE0EEENS1_30default_config_static_selectorELNS0_4arch9wavefront6targetE0EEEvT1_.has_dyn_sized_stack, 0
	.set _ZN7rocprim17ROCPRIM_400000_NS6detail17trampoline_kernelINS0_14default_configENS1_20scan_config_selectorIN3c107complexIdEEEEZZNS1_9scan_implILNS1_25lookback_scan_determinismE0ELb0ELb0ES3_PKS7_PS7_S7_ZZZN2at6native31launch_logcumsumexp_cuda_kernelERKNSE_10TensorBaseESI_lENKUlvE_clEvENKUlvE1_clEvEUlS7_S7_E_S7_EEDaPvRmT3_T4_T5_mT6_P12ihipStream_tbENKUlT_T0_E_clISt17integral_constantIbLb0EESZ_EEDaSU_SV_EUlSU_E0_NS1_11comp_targetILNS1_3genE2ELNS1_11target_archE906ELNS1_3gpuE6ELNS1_3repE0EEENS1_30default_config_static_selectorELNS0_4arch9wavefront6targetE0EEEvT1_.has_recursion, 0
	.set _ZN7rocprim17ROCPRIM_400000_NS6detail17trampoline_kernelINS0_14default_configENS1_20scan_config_selectorIN3c107complexIdEEEEZZNS1_9scan_implILNS1_25lookback_scan_determinismE0ELb0ELb0ES3_PKS7_PS7_S7_ZZZN2at6native31launch_logcumsumexp_cuda_kernelERKNSE_10TensorBaseESI_lENKUlvE_clEvENKUlvE1_clEvEUlS7_S7_E_S7_EEDaPvRmT3_T4_T5_mT6_P12ihipStream_tbENKUlT_T0_E_clISt17integral_constantIbLb0EESZ_EEDaSU_SV_EUlSU_E0_NS1_11comp_targetILNS1_3genE2ELNS1_11target_archE906ELNS1_3gpuE6ELNS1_3repE0EEENS1_30default_config_static_selectorELNS0_4arch9wavefront6targetE0EEEvT1_.has_indirect_call, 0
	.section	.AMDGPU.csdata,"",@progbits
; Kernel info:
; codeLenInByte = 0
; TotalNumSgprs: 0
; NumVgprs: 0
; ScratchSize: 0
; MemoryBound: 0
; FloatMode: 240
; IeeeMode: 1
; LDSByteSize: 0 bytes/workgroup (compile time only)
; SGPRBlocks: 0
; VGPRBlocks: 0
; NumSGPRsForWavesPerEU: 1
; NumVGPRsForWavesPerEU: 1
; Occupancy: 16
; WaveLimiterHint : 0
; COMPUTE_PGM_RSRC2:SCRATCH_EN: 0
; COMPUTE_PGM_RSRC2:USER_SGPR: 6
; COMPUTE_PGM_RSRC2:TRAP_HANDLER: 0
; COMPUTE_PGM_RSRC2:TGID_X_EN: 1
; COMPUTE_PGM_RSRC2:TGID_Y_EN: 0
; COMPUTE_PGM_RSRC2:TGID_Z_EN: 0
; COMPUTE_PGM_RSRC2:TIDIG_COMP_CNT: 0
	.section	.text._ZN7rocprim17ROCPRIM_400000_NS6detail17trampoline_kernelINS0_14default_configENS1_20scan_config_selectorIN3c107complexIdEEEEZZNS1_9scan_implILNS1_25lookback_scan_determinismE0ELb0ELb0ES3_PKS7_PS7_S7_ZZZN2at6native31launch_logcumsumexp_cuda_kernelERKNSE_10TensorBaseESI_lENKUlvE_clEvENKUlvE1_clEvEUlS7_S7_E_S7_EEDaPvRmT3_T4_T5_mT6_P12ihipStream_tbENKUlT_T0_E_clISt17integral_constantIbLb0EESZ_EEDaSU_SV_EUlSU_E0_NS1_11comp_targetILNS1_3genE10ELNS1_11target_archE1201ELNS1_3gpuE5ELNS1_3repE0EEENS1_30default_config_static_selectorELNS0_4arch9wavefront6targetE0EEEvT1_,"axG",@progbits,_ZN7rocprim17ROCPRIM_400000_NS6detail17trampoline_kernelINS0_14default_configENS1_20scan_config_selectorIN3c107complexIdEEEEZZNS1_9scan_implILNS1_25lookback_scan_determinismE0ELb0ELb0ES3_PKS7_PS7_S7_ZZZN2at6native31launch_logcumsumexp_cuda_kernelERKNSE_10TensorBaseESI_lENKUlvE_clEvENKUlvE1_clEvEUlS7_S7_E_S7_EEDaPvRmT3_T4_T5_mT6_P12ihipStream_tbENKUlT_T0_E_clISt17integral_constantIbLb0EESZ_EEDaSU_SV_EUlSU_E0_NS1_11comp_targetILNS1_3genE10ELNS1_11target_archE1201ELNS1_3gpuE5ELNS1_3repE0EEENS1_30default_config_static_selectorELNS0_4arch9wavefront6targetE0EEEvT1_,comdat
	.globl	_ZN7rocprim17ROCPRIM_400000_NS6detail17trampoline_kernelINS0_14default_configENS1_20scan_config_selectorIN3c107complexIdEEEEZZNS1_9scan_implILNS1_25lookback_scan_determinismE0ELb0ELb0ES3_PKS7_PS7_S7_ZZZN2at6native31launch_logcumsumexp_cuda_kernelERKNSE_10TensorBaseESI_lENKUlvE_clEvENKUlvE1_clEvEUlS7_S7_E_S7_EEDaPvRmT3_T4_T5_mT6_P12ihipStream_tbENKUlT_T0_E_clISt17integral_constantIbLb0EESZ_EEDaSU_SV_EUlSU_E0_NS1_11comp_targetILNS1_3genE10ELNS1_11target_archE1201ELNS1_3gpuE5ELNS1_3repE0EEENS1_30default_config_static_selectorELNS0_4arch9wavefront6targetE0EEEvT1_ ; -- Begin function _ZN7rocprim17ROCPRIM_400000_NS6detail17trampoline_kernelINS0_14default_configENS1_20scan_config_selectorIN3c107complexIdEEEEZZNS1_9scan_implILNS1_25lookback_scan_determinismE0ELb0ELb0ES3_PKS7_PS7_S7_ZZZN2at6native31launch_logcumsumexp_cuda_kernelERKNSE_10TensorBaseESI_lENKUlvE_clEvENKUlvE1_clEvEUlS7_S7_E_S7_EEDaPvRmT3_T4_T5_mT6_P12ihipStream_tbENKUlT_T0_E_clISt17integral_constantIbLb0EESZ_EEDaSU_SV_EUlSU_E0_NS1_11comp_targetILNS1_3genE10ELNS1_11target_archE1201ELNS1_3gpuE5ELNS1_3repE0EEENS1_30default_config_static_selectorELNS0_4arch9wavefront6targetE0EEEvT1_
	.p2align	8
	.type	_ZN7rocprim17ROCPRIM_400000_NS6detail17trampoline_kernelINS0_14default_configENS1_20scan_config_selectorIN3c107complexIdEEEEZZNS1_9scan_implILNS1_25lookback_scan_determinismE0ELb0ELb0ES3_PKS7_PS7_S7_ZZZN2at6native31launch_logcumsumexp_cuda_kernelERKNSE_10TensorBaseESI_lENKUlvE_clEvENKUlvE1_clEvEUlS7_S7_E_S7_EEDaPvRmT3_T4_T5_mT6_P12ihipStream_tbENKUlT_T0_E_clISt17integral_constantIbLb0EESZ_EEDaSU_SV_EUlSU_E0_NS1_11comp_targetILNS1_3genE10ELNS1_11target_archE1201ELNS1_3gpuE5ELNS1_3repE0EEENS1_30default_config_static_selectorELNS0_4arch9wavefront6targetE0EEEvT1_,@function
_ZN7rocprim17ROCPRIM_400000_NS6detail17trampoline_kernelINS0_14default_configENS1_20scan_config_selectorIN3c107complexIdEEEEZZNS1_9scan_implILNS1_25lookback_scan_determinismE0ELb0ELb0ES3_PKS7_PS7_S7_ZZZN2at6native31launch_logcumsumexp_cuda_kernelERKNSE_10TensorBaseESI_lENKUlvE_clEvENKUlvE1_clEvEUlS7_S7_E_S7_EEDaPvRmT3_T4_T5_mT6_P12ihipStream_tbENKUlT_T0_E_clISt17integral_constantIbLb0EESZ_EEDaSU_SV_EUlSU_E0_NS1_11comp_targetILNS1_3genE10ELNS1_11target_archE1201ELNS1_3gpuE5ELNS1_3repE0EEENS1_30default_config_static_selectorELNS0_4arch9wavefront6targetE0EEEvT1_: ; @_ZN7rocprim17ROCPRIM_400000_NS6detail17trampoline_kernelINS0_14default_configENS1_20scan_config_selectorIN3c107complexIdEEEEZZNS1_9scan_implILNS1_25lookback_scan_determinismE0ELb0ELb0ES3_PKS7_PS7_S7_ZZZN2at6native31launch_logcumsumexp_cuda_kernelERKNSE_10TensorBaseESI_lENKUlvE_clEvENKUlvE1_clEvEUlS7_S7_E_S7_EEDaPvRmT3_T4_T5_mT6_P12ihipStream_tbENKUlT_T0_E_clISt17integral_constantIbLb0EESZ_EEDaSU_SV_EUlSU_E0_NS1_11comp_targetILNS1_3genE10ELNS1_11target_archE1201ELNS1_3gpuE5ELNS1_3repE0EEENS1_30default_config_static_selectorELNS0_4arch9wavefront6targetE0EEEvT1_
; %bb.0:
	.section	.rodata,"a",@progbits
	.p2align	6, 0x0
	.amdhsa_kernel _ZN7rocprim17ROCPRIM_400000_NS6detail17trampoline_kernelINS0_14default_configENS1_20scan_config_selectorIN3c107complexIdEEEEZZNS1_9scan_implILNS1_25lookback_scan_determinismE0ELb0ELb0ES3_PKS7_PS7_S7_ZZZN2at6native31launch_logcumsumexp_cuda_kernelERKNSE_10TensorBaseESI_lENKUlvE_clEvENKUlvE1_clEvEUlS7_S7_E_S7_EEDaPvRmT3_T4_T5_mT6_P12ihipStream_tbENKUlT_T0_E_clISt17integral_constantIbLb0EESZ_EEDaSU_SV_EUlSU_E0_NS1_11comp_targetILNS1_3genE10ELNS1_11target_archE1201ELNS1_3gpuE5ELNS1_3repE0EEENS1_30default_config_static_selectorELNS0_4arch9wavefront6targetE0EEEvT1_
		.amdhsa_group_segment_fixed_size 0
		.amdhsa_private_segment_fixed_size 0
		.amdhsa_kernarg_size 48
		.amdhsa_user_sgpr_count 6
		.amdhsa_user_sgpr_private_segment_buffer 1
		.amdhsa_user_sgpr_dispatch_ptr 0
		.amdhsa_user_sgpr_queue_ptr 0
		.amdhsa_user_sgpr_kernarg_segment_ptr 1
		.amdhsa_user_sgpr_dispatch_id 0
		.amdhsa_user_sgpr_flat_scratch_init 0
		.amdhsa_user_sgpr_private_segment_size 0
		.amdhsa_wavefront_size32 1
		.amdhsa_uses_dynamic_stack 0
		.amdhsa_system_sgpr_private_segment_wavefront_offset 0
		.amdhsa_system_sgpr_workgroup_id_x 1
		.amdhsa_system_sgpr_workgroup_id_y 0
		.amdhsa_system_sgpr_workgroup_id_z 0
		.amdhsa_system_sgpr_workgroup_info 0
		.amdhsa_system_vgpr_workitem_id 0
		.amdhsa_next_free_vgpr 1
		.amdhsa_next_free_sgpr 1
		.amdhsa_reserve_vcc 0
		.amdhsa_reserve_flat_scratch 0
		.amdhsa_float_round_mode_32 0
		.amdhsa_float_round_mode_16_64 0
		.amdhsa_float_denorm_mode_32 3
		.amdhsa_float_denorm_mode_16_64 3
		.amdhsa_dx10_clamp 1
		.amdhsa_ieee_mode 1
		.amdhsa_fp16_overflow 0
		.amdhsa_workgroup_processor_mode 1
		.amdhsa_memory_ordered 1
		.amdhsa_forward_progress 1
		.amdhsa_shared_vgpr_count 0
		.amdhsa_exception_fp_ieee_invalid_op 0
		.amdhsa_exception_fp_denorm_src 0
		.amdhsa_exception_fp_ieee_div_zero 0
		.amdhsa_exception_fp_ieee_overflow 0
		.amdhsa_exception_fp_ieee_underflow 0
		.amdhsa_exception_fp_ieee_inexact 0
		.amdhsa_exception_int_div_zero 0
	.end_amdhsa_kernel
	.section	.text._ZN7rocprim17ROCPRIM_400000_NS6detail17trampoline_kernelINS0_14default_configENS1_20scan_config_selectorIN3c107complexIdEEEEZZNS1_9scan_implILNS1_25lookback_scan_determinismE0ELb0ELb0ES3_PKS7_PS7_S7_ZZZN2at6native31launch_logcumsumexp_cuda_kernelERKNSE_10TensorBaseESI_lENKUlvE_clEvENKUlvE1_clEvEUlS7_S7_E_S7_EEDaPvRmT3_T4_T5_mT6_P12ihipStream_tbENKUlT_T0_E_clISt17integral_constantIbLb0EESZ_EEDaSU_SV_EUlSU_E0_NS1_11comp_targetILNS1_3genE10ELNS1_11target_archE1201ELNS1_3gpuE5ELNS1_3repE0EEENS1_30default_config_static_selectorELNS0_4arch9wavefront6targetE0EEEvT1_,"axG",@progbits,_ZN7rocprim17ROCPRIM_400000_NS6detail17trampoline_kernelINS0_14default_configENS1_20scan_config_selectorIN3c107complexIdEEEEZZNS1_9scan_implILNS1_25lookback_scan_determinismE0ELb0ELb0ES3_PKS7_PS7_S7_ZZZN2at6native31launch_logcumsumexp_cuda_kernelERKNSE_10TensorBaseESI_lENKUlvE_clEvENKUlvE1_clEvEUlS7_S7_E_S7_EEDaPvRmT3_T4_T5_mT6_P12ihipStream_tbENKUlT_T0_E_clISt17integral_constantIbLb0EESZ_EEDaSU_SV_EUlSU_E0_NS1_11comp_targetILNS1_3genE10ELNS1_11target_archE1201ELNS1_3gpuE5ELNS1_3repE0EEENS1_30default_config_static_selectorELNS0_4arch9wavefront6targetE0EEEvT1_,comdat
.Lfunc_end198:
	.size	_ZN7rocprim17ROCPRIM_400000_NS6detail17trampoline_kernelINS0_14default_configENS1_20scan_config_selectorIN3c107complexIdEEEEZZNS1_9scan_implILNS1_25lookback_scan_determinismE0ELb0ELb0ES3_PKS7_PS7_S7_ZZZN2at6native31launch_logcumsumexp_cuda_kernelERKNSE_10TensorBaseESI_lENKUlvE_clEvENKUlvE1_clEvEUlS7_S7_E_S7_EEDaPvRmT3_T4_T5_mT6_P12ihipStream_tbENKUlT_T0_E_clISt17integral_constantIbLb0EESZ_EEDaSU_SV_EUlSU_E0_NS1_11comp_targetILNS1_3genE10ELNS1_11target_archE1201ELNS1_3gpuE5ELNS1_3repE0EEENS1_30default_config_static_selectorELNS0_4arch9wavefront6targetE0EEEvT1_, .Lfunc_end198-_ZN7rocprim17ROCPRIM_400000_NS6detail17trampoline_kernelINS0_14default_configENS1_20scan_config_selectorIN3c107complexIdEEEEZZNS1_9scan_implILNS1_25lookback_scan_determinismE0ELb0ELb0ES3_PKS7_PS7_S7_ZZZN2at6native31launch_logcumsumexp_cuda_kernelERKNSE_10TensorBaseESI_lENKUlvE_clEvENKUlvE1_clEvEUlS7_S7_E_S7_EEDaPvRmT3_T4_T5_mT6_P12ihipStream_tbENKUlT_T0_E_clISt17integral_constantIbLb0EESZ_EEDaSU_SV_EUlSU_E0_NS1_11comp_targetILNS1_3genE10ELNS1_11target_archE1201ELNS1_3gpuE5ELNS1_3repE0EEENS1_30default_config_static_selectorELNS0_4arch9wavefront6targetE0EEEvT1_
                                        ; -- End function
	.set _ZN7rocprim17ROCPRIM_400000_NS6detail17trampoline_kernelINS0_14default_configENS1_20scan_config_selectorIN3c107complexIdEEEEZZNS1_9scan_implILNS1_25lookback_scan_determinismE0ELb0ELb0ES3_PKS7_PS7_S7_ZZZN2at6native31launch_logcumsumexp_cuda_kernelERKNSE_10TensorBaseESI_lENKUlvE_clEvENKUlvE1_clEvEUlS7_S7_E_S7_EEDaPvRmT3_T4_T5_mT6_P12ihipStream_tbENKUlT_T0_E_clISt17integral_constantIbLb0EESZ_EEDaSU_SV_EUlSU_E0_NS1_11comp_targetILNS1_3genE10ELNS1_11target_archE1201ELNS1_3gpuE5ELNS1_3repE0EEENS1_30default_config_static_selectorELNS0_4arch9wavefront6targetE0EEEvT1_.num_vgpr, 0
	.set _ZN7rocprim17ROCPRIM_400000_NS6detail17trampoline_kernelINS0_14default_configENS1_20scan_config_selectorIN3c107complexIdEEEEZZNS1_9scan_implILNS1_25lookback_scan_determinismE0ELb0ELb0ES3_PKS7_PS7_S7_ZZZN2at6native31launch_logcumsumexp_cuda_kernelERKNSE_10TensorBaseESI_lENKUlvE_clEvENKUlvE1_clEvEUlS7_S7_E_S7_EEDaPvRmT3_T4_T5_mT6_P12ihipStream_tbENKUlT_T0_E_clISt17integral_constantIbLb0EESZ_EEDaSU_SV_EUlSU_E0_NS1_11comp_targetILNS1_3genE10ELNS1_11target_archE1201ELNS1_3gpuE5ELNS1_3repE0EEENS1_30default_config_static_selectorELNS0_4arch9wavefront6targetE0EEEvT1_.num_agpr, 0
	.set _ZN7rocprim17ROCPRIM_400000_NS6detail17trampoline_kernelINS0_14default_configENS1_20scan_config_selectorIN3c107complexIdEEEEZZNS1_9scan_implILNS1_25lookback_scan_determinismE0ELb0ELb0ES3_PKS7_PS7_S7_ZZZN2at6native31launch_logcumsumexp_cuda_kernelERKNSE_10TensorBaseESI_lENKUlvE_clEvENKUlvE1_clEvEUlS7_S7_E_S7_EEDaPvRmT3_T4_T5_mT6_P12ihipStream_tbENKUlT_T0_E_clISt17integral_constantIbLb0EESZ_EEDaSU_SV_EUlSU_E0_NS1_11comp_targetILNS1_3genE10ELNS1_11target_archE1201ELNS1_3gpuE5ELNS1_3repE0EEENS1_30default_config_static_selectorELNS0_4arch9wavefront6targetE0EEEvT1_.numbered_sgpr, 0
	.set _ZN7rocprim17ROCPRIM_400000_NS6detail17trampoline_kernelINS0_14default_configENS1_20scan_config_selectorIN3c107complexIdEEEEZZNS1_9scan_implILNS1_25lookback_scan_determinismE0ELb0ELb0ES3_PKS7_PS7_S7_ZZZN2at6native31launch_logcumsumexp_cuda_kernelERKNSE_10TensorBaseESI_lENKUlvE_clEvENKUlvE1_clEvEUlS7_S7_E_S7_EEDaPvRmT3_T4_T5_mT6_P12ihipStream_tbENKUlT_T0_E_clISt17integral_constantIbLb0EESZ_EEDaSU_SV_EUlSU_E0_NS1_11comp_targetILNS1_3genE10ELNS1_11target_archE1201ELNS1_3gpuE5ELNS1_3repE0EEENS1_30default_config_static_selectorELNS0_4arch9wavefront6targetE0EEEvT1_.num_named_barrier, 0
	.set _ZN7rocprim17ROCPRIM_400000_NS6detail17trampoline_kernelINS0_14default_configENS1_20scan_config_selectorIN3c107complexIdEEEEZZNS1_9scan_implILNS1_25lookback_scan_determinismE0ELb0ELb0ES3_PKS7_PS7_S7_ZZZN2at6native31launch_logcumsumexp_cuda_kernelERKNSE_10TensorBaseESI_lENKUlvE_clEvENKUlvE1_clEvEUlS7_S7_E_S7_EEDaPvRmT3_T4_T5_mT6_P12ihipStream_tbENKUlT_T0_E_clISt17integral_constantIbLb0EESZ_EEDaSU_SV_EUlSU_E0_NS1_11comp_targetILNS1_3genE10ELNS1_11target_archE1201ELNS1_3gpuE5ELNS1_3repE0EEENS1_30default_config_static_selectorELNS0_4arch9wavefront6targetE0EEEvT1_.private_seg_size, 0
	.set _ZN7rocprim17ROCPRIM_400000_NS6detail17trampoline_kernelINS0_14default_configENS1_20scan_config_selectorIN3c107complexIdEEEEZZNS1_9scan_implILNS1_25lookback_scan_determinismE0ELb0ELb0ES3_PKS7_PS7_S7_ZZZN2at6native31launch_logcumsumexp_cuda_kernelERKNSE_10TensorBaseESI_lENKUlvE_clEvENKUlvE1_clEvEUlS7_S7_E_S7_EEDaPvRmT3_T4_T5_mT6_P12ihipStream_tbENKUlT_T0_E_clISt17integral_constantIbLb0EESZ_EEDaSU_SV_EUlSU_E0_NS1_11comp_targetILNS1_3genE10ELNS1_11target_archE1201ELNS1_3gpuE5ELNS1_3repE0EEENS1_30default_config_static_selectorELNS0_4arch9wavefront6targetE0EEEvT1_.uses_vcc, 0
	.set _ZN7rocprim17ROCPRIM_400000_NS6detail17trampoline_kernelINS0_14default_configENS1_20scan_config_selectorIN3c107complexIdEEEEZZNS1_9scan_implILNS1_25lookback_scan_determinismE0ELb0ELb0ES3_PKS7_PS7_S7_ZZZN2at6native31launch_logcumsumexp_cuda_kernelERKNSE_10TensorBaseESI_lENKUlvE_clEvENKUlvE1_clEvEUlS7_S7_E_S7_EEDaPvRmT3_T4_T5_mT6_P12ihipStream_tbENKUlT_T0_E_clISt17integral_constantIbLb0EESZ_EEDaSU_SV_EUlSU_E0_NS1_11comp_targetILNS1_3genE10ELNS1_11target_archE1201ELNS1_3gpuE5ELNS1_3repE0EEENS1_30default_config_static_selectorELNS0_4arch9wavefront6targetE0EEEvT1_.uses_flat_scratch, 0
	.set _ZN7rocprim17ROCPRIM_400000_NS6detail17trampoline_kernelINS0_14default_configENS1_20scan_config_selectorIN3c107complexIdEEEEZZNS1_9scan_implILNS1_25lookback_scan_determinismE0ELb0ELb0ES3_PKS7_PS7_S7_ZZZN2at6native31launch_logcumsumexp_cuda_kernelERKNSE_10TensorBaseESI_lENKUlvE_clEvENKUlvE1_clEvEUlS7_S7_E_S7_EEDaPvRmT3_T4_T5_mT6_P12ihipStream_tbENKUlT_T0_E_clISt17integral_constantIbLb0EESZ_EEDaSU_SV_EUlSU_E0_NS1_11comp_targetILNS1_3genE10ELNS1_11target_archE1201ELNS1_3gpuE5ELNS1_3repE0EEENS1_30default_config_static_selectorELNS0_4arch9wavefront6targetE0EEEvT1_.has_dyn_sized_stack, 0
	.set _ZN7rocprim17ROCPRIM_400000_NS6detail17trampoline_kernelINS0_14default_configENS1_20scan_config_selectorIN3c107complexIdEEEEZZNS1_9scan_implILNS1_25lookback_scan_determinismE0ELb0ELb0ES3_PKS7_PS7_S7_ZZZN2at6native31launch_logcumsumexp_cuda_kernelERKNSE_10TensorBaseESI_lENKUlvE_clEvENKUlvE1_clEvEUlS7_S7_E_S7_EEDaPvRmT3_T4_T5_mT6_P12ihipStream_tbENKUlT_T0_E_clISt17integral_constantIbLb0EESZ_EEDaSU_SV_EUlSU_E0_NS1_11comp_targetILNS1_3genE10ELNS1_11target_archE1201ELNS1_3gpuE5ELNS1_3repE0EEENS1_30default_config_static_selectorELNS0_4arch9wavefront6targetE0EEEvT1_.has_recursion, 0
	.set _ZN7rocprim17ROCPRIM_400000_NS6detail17trampoline_kernelINS0_14default_configENS1_20scan_config_selectorIN3c107complexIdEEEEZZNS1_9scan_implILNS1_25lookback_scan_determinismE0ELb0ELb0ES3_PKS7_PS7_S7_ZZZN2at6native31launch_logcumsumexp_cuda_kernelERKNSE_10TensorBaseESI_lENKUlvE_clEvENKUlvE1_clEvEUlS7_S7_E_S7_EEDaPvRmT3_T4_T5_mT6_P12ihipStream_tbENKUlT_T0_E_clISt17integral_constantIbLb0EESZ_EEDaSU_SV_EUlSU_E0_NS1_11comp_targetILNS1_3genE10ELNS1_11target_archE1201ELNS1_3gpuE5ELNS1_3repE0EEENS1_30default_config_static_selectorELNS0_4arch9wavefront6targetE0EEEvT1_.has_indirect_call, 0
	.section	.AMDGPU.csdata,"",@progbits
; Kernel info:
; codeLenInByte = 0
; TotalNumSgprs: 0
; NumVgprs: 0
; ScratchSize: 0
; MemoryBound: 0
; FloatMode: 240
; IeeeMode: 1
; LDSByteSize: 0 bytes/workgroup (compile time only)
; SGPRBlocks: 0
; VGPRBlocks: 0
; NumSGPRsForWavesPerEU: 1
; NumVGPRsForWavesPerEU: 1
; Occupancy: 16
; WaveLimiterHint : 0
; COMPUTE_PGM_RSRC2:SCRATCH_EN: 0
; COMPUTE_PGM_RSRC2:USER_SGPR: 6
; COMPUTE_PGM_RSRC2:TRAP_HANDLER: 0
; COMPUTE_PGM_RSRC2:TGID_X_EN: 1
; COMPUTE_PGM_RSRC2:TGID_Y_EN: 0
; COMPUTE_PGM_RSRC2:TGID_Z_EN: 0
; COMPUTE_PGM_RSRC2:TIDIG_COMP_CNT: 0
	.section	.text._ZN7rocprim17ROCPRIM_400000_NS6detail17trampoline_kernelINS0_14default_configENS1_20scan_config_selectorIN3c107complexIdEEEEZZNS1_9scan_implILNS1_25lookback_scan_determinismE0ELb0ELb0ES3_PKS7_PS7_S7_ZZZN2at6native31launch_logcumsumexp_cuda_kernelERKNSE_10TensorBaseESI_lENKUlvE_clEvENKUlvE1_clEvEUlS7_S7_E_S7_EEDaPvRmT3_T4_T5_mT6_P12ihipStream_tbENKUlT_T0_E_clISt17integral_constantIbLb0EESZ_EEDaSU_SV_EUlSU_E0_NS1_11comp_targetILNS1_3genE10ELNS1_11target_archE1200ELNS1_3gpuE4ELNS1_3repE0EEENS1_30default_config_static_selectorELNS0_4arch9wavefront6targetE0EEEvT1_,"axG",@progbits,_ZN7rocprim17ROCPRIM_400000_NS6detail17trampoline_kernelINS0_14default_configENS1_20scan_config_selectorIN3c107complexIdEEEEZZNS1_9scan_implILNS1_25lookback_scan_determinismE0ELb0ELb0ES3_PKS7_PS7_S7_ZZZN2at6native31launch_logcumsumexp_cuda_kernelERKNSE_10TensorBaseESI_lENKUlvE_clEvENKUlvE1_clEvEUlS7_S7_E_S7_EEDaPvRmT3_T4_T5_mT6_P12ihipStream_tbENKUlT_T0_E_clISt17integral_constantIbLb0EESZ_EEDaSU_SV_EUlSU_E0_NS1_11comp_targetILNS1_3genE10ELNS1_11target_archE1200ELNS1_3gpuE4ELNS1_3repE0EEENS1_30default_config_static_selectorELNS0_4arch9wavefront6targetE0EEEvT1_,comdat
	.globl	_ZN7rocprim17ROCPRIM_400000_NS6detail17trampoline_kernelINS0_14default_configENS1_20scan_config_selectorIN3c107complexIdEEEEZZNS1_9scan_implILNS1_25lookback_scan_determinismE0ELb0ELb0ES3_PKS7_PS7_S7_ZZZN2at6native31launch_logcumsumexp_cuda_kernelERKNSE_10TensorBaseESI_lENKUlvE_clEvENKUlvE1_clEvEUlS7_S7_E_S7_EEDaPvRmT3_T4_T5_mT6_P12ihipStream_tbENKUlT_T0_E_clISt17integral_constantIbLb0EESZ_EEDaSU_SV_EUlSU_E0_NS1_11comp_targetILNS1_3genE10ELNS1_11target_archE1200ELNS1_3gpuE4ELNS1_3repE0EEENS1_30default_config_static_selectorELNS0_4arch9wavefront6targetE0EEEvT1_ ; -- Begin function _ZN7rocprim17ROCPRIM_400000_NS6detail17trampoline_kernelINS0_14default_configENS1_20scan_config_selectorIN3c107complexIdEEEEZZNS1_9scan_implILNS1_25lookback_scan_determinismE0ELb0ELb0ES3_PKS7_PS7_S7_ZZZN2at6native31launch_logcumsumexp_cuda_kernelERKNSE_10TensorBaseESI_lENKUlvE_clEvENKUlvE1_clEvEUlS7_S7_E_S7_EEDaPvRmT3_T4_T5_mT6_P12ihipStream_tbENKUlT_T0_E_clISt17integral_constantIbLb0EESZ_EEDaSU_SV_EUlSU_E0_NS1_11comp_targetILNS1_3genE10ELNS1_11target_archE1200ELNS1_3gpuE4ELNS1_3repE0EEENS1_30default_config_static_selectorELNS0_4arch9wavefront6targetE0EEEvT1_
	.p2align	8
	.type	_ZN7rocprim17ROCPRIM_400000_NS6detail17trampoline_kernelINS0_14default_configENS1_20scan_config_selectorIN3c107complexIdEEEEZZNS1_9scan_implILNS1_25lookback_scan_determinismE0ELb0ELb0ES3_PKS7_PS7_S7_ZZZN2at6native31launch_logcumsumexp_cuda_kernelERKNSE_10TensorBaseESI_lENKUlvE_clEvENKUlvE1_clEvEUlS7_S7_E_S7_EEDaPvRmT3_T4_T5_mT6_P12ihipStream_tbENKUlT_T0_E_clISt17integral_constantIbLb0EESZ_EEDaSU_SV_EUlSU_E0_NS1_11comp_targetILNS1_3genE10ELNS1_11target_archE1200ELNS1_3gpuE4ELNS1_3repE0EEENS1_30default_config_static_selectorELNS0_4arch9wavefront6targetE0EEEvT1_,@function
_ZN7rocprim17ROCPRIM_400000_NS6detail17trampoline_kernelINS0_14default_configENS1_20scan_config_selectorIN3c107complexIdEEEEZZNS1_9scan_implILNS1_25lookback_scan_determinismE0ELb0ELb0ES3_PKS7_PS7_S7_ZZZN2at6native31launch_logcumsumexp_cuda_kernelERKNSE_10TensorBaseESI_lENKUlvE_clEvENKUlvE1_clEvEUlS7_S7_E_S7_EEDaPvRmT3_T4_T5_mT6_P12ihipStream_tbENKUlT_T0_E_clISt17integral_constantIbLb0EESZ_EEDaSU_SV_EUlSU_E0_NS1_11comp_targetILNS1_3genE10ELNS1_11target_archE1200ELNS1_3gpuE4ELNS1_3repE0EEENS1_30default_config_static_selectorELNS0_4arch9wavefront6targetE0EEEvT1_: ; @_ZN7rocprim17ROCPRIM_400000_NS6detail17trampoline_kernelINS0_14default_configENS1_20scan_config_selectorIN3c107complexIdEEEEZZNS1_9scan_implILNS1_25lookback_scan_determinismE0ELb0ELb0ES3_PKS7_PS7_S7_ZZZN2at6native31launch_logcumsumexp_cuda_kernelERKNSE_10TensorBaseESI_lENKUlvE_clEvENKUlvE1_clEvEUlS7_S7_E_S7_EEDaPvRmT3_T4_T5_mT6_P12ihipStream_tbENKUlT_T0_E_clISt17integral_constantIbLb0EESZ_EEDaSU_SV_EUlSU_E0_NS1_11comp_targetILNS1_3genE10ELNS1_11target_archE1200ELNS1_3gpuE4ELNS1_3repE0EEENS1_30default_config_static_selectorELNS0_4arch9wavefront6targetE0EEEvT1_
; %bb.0:
	.section	.rodata,"a",@progbits
	.p2align	6, 0x0
	.amdhsa_kernel _ZN7rocprim17ROCPRIM_400000_NS6detail17trampoline_kernelINS0_14default_configENS1_20scan_config_selectorIN3c107complexIdEEEEZZNS1_9scan_implILNS1_25lookback_scan_determinismE0ELb0ELb0ES3_PKS7_PS7_S7_ZZZN2at6native31launch_logcumsumexp_cuda_kernelERKNSE_10TensorBaseESI_lENKUlvE_clEvENKUlvE1_clEvEUlS7_S7_E_S7_EEDaPvRmT3_T4_T5_mT6_P12ihipStream_tbENKUlT_T0_E_clISt17integral_constantIbLb0EESZ_EEDaSU_SV_EUlSU_E0_NS1_11comp_targetILNS1_3genE10ELNS1_11target_archE1200ELNS1_3gpuE4ELNS1_3repE0EEENS1_30default_config_static_selectorELNS0_4arch9wavefront6targetE0EEEvT1_
		.amdhsa_group_segment_fixed_size 0
		.amdhsa_private_segment_fixed_size 0
		.amdhsa_kernarg_size 48
		.amdhsa_user_sgpr_count 6
		.amdhsa_user_sgpr_private_segment_buffer 1
		.amdhsa_user_sgpr_dispatch_ptr 0
		.amdhsa_user_sgpr_queue_ptr 0
		.amdhsa_user_sgpr_kernarg_segment_ptr 1
		.amdhsa_user_sgpr_dispatch_id 0
		.amdhsa_user_sgpr_flat_scratch_init 0
		.amdhsa_user_sgpr_private_segment_size 0
		.amdhsa_wavefront_size32 1
		.amdhsa_uses_dynamic_stack 0
		.amdhsa_system_sgpr_private_segment_wavefront_offset 0
		.amdhsa_system_sgpr_workgroup_id_x 1
		.amdhsa_system_sgpr_workgroup_id_y 0
		.amdhsa_system_sgpr_workgroup_id_z 0
		.amdhsa_system_sgpr_workgroup_info 0
		.amdhsa_system_vgpr_workitem_id 0
		.amdhsa_next_free_vgpr 1
		.amdhsa_next_free_sgpr 1
		.amdhsa_reserve_vcc 0
		.amdhsa_reserve_flat_scratch 0
		.amdhsa_float_round_mode_32 0
		.amdhsa_float_round_mode_16_64 0
		.amdhsa_float_denorm_mode_32 3
		.amdhsa_float_denorm_mode_16_64 3
		.amdhsa_dx10_clamp 1
		.amdhsa_ieee_mode 1
		.amdhsa_fp16_overflow 0
		.amdhsa_workgroup_processor_mode 1
		.amdhsa_memory_ordered 1
		.amdhsa_forward_progress 1
		.amdhsa_shared_vgpr_count 0
		.amdhsa_exception_fp_ieee_invalid_op 0
		.amdhsa_exception_fp_denorm_src 0
		.amdhsa_exception_fp_ieee_div_zero 0
		.amdhsa_exception_fp_ieee_overflow 0
		.amdhsa_exception_fp_ieee_underflow 0
		.amdhsa_exception_fp_ieee_inexact 0
		.amdhsa_exception_int_div_zero 0
	.end_amdhsa_kernel
	.section	.text._ZN7rocprim17ROCPRIM_400000_NS6detail17trampoline_kernelINS0_14default_configENS1_20scan_config_selectorIN3c107complexIdEEEEZZNS1_9scan_implILNS1_25lookback_scan_determinismE0ELb0ELb0ES3_PKS7_PS7_S7_ZZZN2at6native31launch_logcumsumexp_cuda_kernelERKNSE_10TensorBaseESI_lENKUlvE_clEvENKUlvE1_clEvEUlS7_S7_E_S7_EEDaPvRmT3_T4_T5_mT6_P12ihipStream_tbENKUlT_T0_E_clISt17integral_constantIbLb0EESZ_EEDaSU_SV_EUlSU_E0_NS1_11comp_targetILNS1_3genE10ELNS1_11target_archE1200ELNS1_3gpuE4ELNS1_3repE0EEENS1_30default_config_static_selectorELNS0_4arch9wavefront6targetE0EEEvT1_,"axG",@progbits,_ZN7rocprim17ROCPRIM_400000_NS6detail17trampoline_kernelINS0_14default_configENS1_20scan_config_selectorIN3c107complexIdEEEEZZNS1_9scan_implILNS1_25lookback_scan_determinismE0ELb0ELb0ES3_PKS7_PS7_S7_ZZZN2at6native31launch_logcumsumexp_cuda_kernelERKNSE_10TensorBaseESI_lENKUlvE_clEvENKUlvE1_clEvEUlS7_S7_E_S7_EEDaPvRmT3_T4_T5_mT6_P12ihipStream_tbENKUlT_T0_E_clISt17integral_constantIbLb0EESZ_EEDaSU_SV_EUlSU_E0_NS1_11comp_targetILNS1_3genE10ELNS1_11target_archE1200ELNS1_3gpuE4ELNS1_3repE0EEENS1_30default_config_static_selectorELNS0_4arch9wavefront6targetE0EEEvT1_,comdat
.Lfunc_end199:
	.size	_ZN7rocprim17ROCPRIM_400000_NS6detail17trampoline_kernelINS0_14default_configENS1_20scan_config_selectorIN3c107complexIdEEEEZZNS1_9scan_implILNS1_25lookback_scan_determinismE0ELb0ELb0ES3_PKS7_PS7_S7_ZZZN2at6native31launch_logcumsumexp_cuda_kernelERKNSE_10TensorBaseESI_lENKUlvE_clEvENKUlvE1_clEvEUlS7_S7_E_S7_EEDaPvRmT3_T4_T5_mT6_P12ihipStream_tbENKUlT_T0_E_clISt17integral_constantIbLb0EESZ_EEDaSU_SV_EUlSU_E0_NS1_11comp_targetILNS1_3genE10ELNS1_11target_archE1200ELNS1_3gpuE4ELNS1_3repE0EEENS1_30default_config_static_selectorELNS0_4arch9wavefront6targetE0EEEvT1_, .Lfunc_end199-_ZN7rocprim17ROCPRIM_400000_NS6detail17trampoline_kernelINS0_14default_configENS1_20scan_config_selectorIN3c107complexIdEEEEZZNS1_9scan_implILNS1_25lookback_scan_determinismE0ELb0ELb0ES3_PKS7_PS7_S7_ZZZN2at6native31launch_logcumsumexp_cuda_kernelERKNSE_10TensorBaseESI_lENKUlvE_clEvENKUlvE1_clEvEUlS7_S7_E_S7_EEDaPvRmT3_T4_T5_mT6_P12ihipStream_tbENKUlT_T0_E_clISt17integral_constantIbLb0EESZ_EEDaSU_SV_EUlSU_E0_NS1_11comp_targetILNS1_3genE10ELNS1_11target_archE1200ELNS1_3gpuE4ELNS1_3repE0EEENS1_30default_config_static_selectorELNS0_4arch9wavefront6targetE0EEEvT1_
                                        ; -- End function
	.set _ZN7rocprim17ROCPRIM_400000_NS6detail17trampoline_kernelINS0_14default_configENS1_20scan_config_selectorIN3c107complexIdEEEEZZNS1_9scan_implILNS1_25lookback_scan_determinismE0ELb0ELb0ES3_PKS7_PS7_S7_ZZZN2at6native31launch_logcumsumexp_cuda_kernelERKNSE_10TensorBaseESI_lENKUlvE_clEvENKUlvE1_clEvEUlS7_S7_E_S7_EEDaPvRmT3_T4_T5_mT6_P12ihipStream_tbENKUlT_T0_E_clISt17integral_constantIbLb0EESZ_EEDaSU_SV_EUlSU_E0_NS1_11comp_targetILNS1_3genE10ELNS1_11target_archE1200ELNS1_3gpuE4ELNS1_3repE0EEENS1_30default_config_static_selectorELNS0_4arch9wavefront6targetE0EEEvT1_.num_vgpr, 0
	.set _ZN7rocprim17ROCPRIM_400000_NS6detail17trampoline_kernelINS0_14default_configENS1_20scan_config_selectorIN3c107complexIdEEEEZZNS1_9scan_implILNS1_25lookback_scan_determinismE0ELb0ELb0ES3_PKS7_PS7_S7_ZZZN2at6native31launch_logcumsumexp_cuda_kernelERKNSE_10TensorBaseESI_lENKUlvE_clEvENKUlvE1_clEvEUlS7_S7_E_S7_EEDaPvRmT3_T4_T5_mT6_P12ihipStream_tbENKUlT_T0_E_clISt17integral_constantIbLb0EESZ_EEDaSU_SV_EUlSU_E0_NS1_11comp_targetILNS1_3genE10ELNS1_11target_archE1200ELNS1_3gpuE4ELNS1_3repE0EEENS1_30default_config_static_selectorELNS0_4arch9wavefront6targetE0EEEvT1_.num_agpr, 0
	.set _ZN7rocprim17ROCPRIM_400000_NS6detail17trampoline_kernelINS0_14default_configENS1_20scan_config_selectorIN3c107complexIdEEEEZZNS1_9scan_implILNS1_25lookback_scan_determinismE0ELb0ELb0ES3_PKS7_PS7_S7_ZZZN2at6native31launch_logcumsumexp_cuda_kernelERKNSE_10TensorBaseESI_lENKUlvE_clEvENKUlvE1_clEvEUlS7_S7_E_S7_EEDaPvRmT3_T4_T5_mT6_P12ihipStream_tbENKUlT_T0_E_clISt17integral_constantIbLb0EESZ_EEDaSU_SV_EUlSU_E0_NS1_11comp_targetILNS1_3genE10ELNS1_11target_archE1200ELNS1_3gpuE4ELNS1_3repE0EEENS1_30default_config_static_selectorELNS0_4arch9wavefront6targetE0EEEvT1_.numbered_sgpr, 0
	.set _ZN7rocprim17ROCPRIM_400000_NS6detail17trampoline_kernelINS0_14default_configENS1_20scan_config_selectorIN3c107complexIdEEEEZZNS1_9scan_implILNS1_25lookback_scan_determinismE0ELb0ELb0ES3_PKS7_PS7_S7_ZZZN2at6native31launch_logcumsumexp_cuda_kernelERKNSE_10TensorBaseESI_lENKUlvE_clEvENKUlvE1_clEvEUlS7_S7_E_S7_EEDaPvRmT3_T4_T5_mT6_P12ihipStream_tbENKUlT_T0_E_clISt17integral_constantIbLb0EESZ_EEDaSU_SV_EUlSU_E0_NS1_11comp_targetILNS1_3genE10ELNS1_11target_archE1200ELNS1_3gpuE4ELNS1_3repE0EEENS1_30default_config_static_selectorELNS0_4arch9wavefront6targetE0EEEvT1_.num_named_barrier, 0
	.set _ZN7rocprim17ROCPRIM_400000_NS6detail17trampoline_kernelINS0_14default_configENS1_20scan_config_selectorIN3c107complexIdEEEEZZNS1_9scan_implILNS1_25lookback_scan_determinismE0ELb0ELb0ES3_PKS7_PS7_S7_ZZZN2at6native31launch_logcumsumexp_cuda_kernelERKNSE_10TensorBaseESI_lENKUlvE_clEvENKUlvE1_clEvEUlS7_S7_E_S7_EEDaPvRmT3_T4_T5_mT6_P12ihipStream_tbENKUlT_T0_E_clISt17integral_constantIbLb0EESZ_EEDaSU_SV_EUlSU_E0_NS1_11comp_targetILNS1_3genE10ELNS1_11target_archE1200ELNS1_3gpuE4ELNS1_3repE0EEENS1_30default_config_static_selectorELNS0_4arch9wavefront6targetE0EEEvT1_.private_seg_size, 0
	.set _ZN7rocprim17ROCPRIM_400000_NS6detail17trampoline_kernelINS0_14default_configENS1_20scan_config_selectorIN3c107complexIdEEEEZZNS1_9scan_implILNS1_25lookback_scan_determinismE0ELb0ELb0ES3_PKS7_PS7_S7_ZZZN2at6native31launch_logcumsumexp_cuda_kernelERKNSE_10TensorBaseESI_lENKUlvE_clEvENKUlvE1_clEvEUlS7_S7_E_S7_EEDaPvRmT3_T4_T5_mT6_P12ihipStream_tbENKUlT_T0_E_clISt17integral_constantIbLb0EESZ_EEDaSU_SV_EUlSU_E0_NS1_11comp_targetILNS1_3genE10ELNS1_11target_archE1200ELNS1_3gpuE4ELNS1_3repE0EEENS1_30default_config_static_selectorELNS0_4arch9wavefront6targetE0EEEvT1_.uses_vcc, 0
	.set _ZN7rocprim17ROCPRIM_400000_NS6detail17trampoline_kernelINS0_14default_configENS1_20scan_config_selectorIN3c107complexIdEEEEZZNS1_9scan_implILNS1_25lookback_scan_determinismE0ELb0ELb0ES3_PKS7_PS7_S7_ZZZN2at6native31launch_logcumsumexp_cuda_kernelERKNSE_10TensorBaseESI_lENKUlvE_clEvENKUlvE1_clEvEUlS7_S7_E_S7_EEDaPvRmT3_T4_T5_mT6_P12ihipStream_tbENKUlT_T0_E_clISt17integral_constantIbLb0EESZ_EEDaSU_SV_EUlSU_E0_NS1_11comp_targetILNS1_3genE10ELNS1_11target_archE1200ELNS1_3gpuE4ELNS1_3repE0EEENS1_30default_config_static_selectorELNS0_4arch9wavefront6targetE0EEEvT1_.uses_flat_scratch, 0
	.set _ZN7rocprim17ROCPRIM_400000_NS6detail17trampoline_kernelINS0_14default_configENS1_20scan_config_selectorIN3c107complexIdEEEEZZNS1_9scan_implILNS1_25lookback_scan_determinismE0ELb0ELb0ES3_PKS7_PS7_S7_ZZZN2at6native31launch_logcumsumexp_cuda_kernelERKNSE_10TensorBaseESI_lENKUlvE_clEvENKUlvE1_clEvEUlS7_S7_E_S7_EEDaPvRmT3_T4_T5_mT6_P12ihipStream_tbENKUlT_T0_E_clISt17integral_constantIbLb0EESZ_EEDaSU_SV_EUlSU_E0_NS1_11comp_targetILNS1_3genE10ELNS1_11target_archE1200ELNS1_3gpuE4ELNS1_3repE0EEENS1_30default_config_static_selectorELNS0_4arch9wavefront6targetE0EEEvT1_.has_dyn_sized_stack, 0
	.set _ZN7rocprim17ROCPRIM_400000_NS6detail17trampoline_kernelINS0_14default_configENS1_20scan_config_selectorIN3c107complexIdEEEEZZNS1_9scan_implILNS1_25lookback_scan_determinismE0ELb0ELb0ES3_PKS7_PS7_S7_ZZZN2at6native31launch_logcumsumexp_cuda_kernelERKNSE_10TensorBaseESI_lENKUlvE_clEvENKUlvE1_clEvEUlS7_S7_E_S7_EEDaPvRmT3_T4_T5_mT6_P12ihipStream_tbENKUlT_T0_E_clISt17integral_constantIbLb0EESZ_EEDaSU_SV_EUlSU_E0_NS1_11comp_targetILNS1_3genE10ELNS1_11target_archE1200ELNS1_3gpuE4ELNS1_3repE0EEENS1_30default_config_static_selectorELNS0_4arch9wavefront6targetE0EEEvT1_.has_recursion, 0
	.set _ZN7rocprim17ROCPRIM_400000_NS6detail17trampoline_kernelINS0_14default_configENS1_20scan_config_selectorIN3c107complexIdEEEEZZNS1_9scan_implILNS1_25lookback_scan_determinismE0ELb0ELb0ES3_PKS7_PS7_S7_ZZZN2at6native31launch_logcumsumexp_cuda_kernelERKNSE_10TensorBaseESI_lENKUlvE_clEvENKUlvE1_clEvEUlS7_S7_E_S7_EEDaPvRmT3_T4_T5_mT6_P12ihipStream_tbENKUlT_T0_E_clISt17integral_constantIbLb0EESZ_EEDaSU_SV_EUlSU_E0_NS1_11comp_targetILNS1_3genE10ELNS1_11target_archE1200ELNS1_3gpuE4ELNS1_3repE0EEENS1_30default_config_static_selectorELNS0_4arch9wavefront6targetE0EEEvT1_.has_indirect_call, 0
	.section	.AMDGPU.csdata,"",@progbits
; Kernel info:
; codeLenInByte = 0
; TotalNumSgprs: 0
; NumVgprs: 0
; ScratchSize: 0
; MemoryBound: 0
; FloatMode: 240
; IeeeMode: 1
; LDSByteSize: 0 bytes/workgroup (compile time only)
; SGPRBlocks: 0
; VGPRBlocks: 0
; NumSGPRsForWavesPerEU: 1
; NumVGPRsForWavesPerEU: 1
; Occupancy: 16
; WaveLimiterHint : 0
; COMPUTE_PGM_RSRC2:SCRATCH_EN: 0
; COMPUTE_PGM_RSRC2:USER_SGPR: 6
; COMPUTE_PGM_RSRC2:TRAP_HANDLER: 0
; COMPUTE_PGM_RSRC2:TGID_X_EN: 1
; COMPUTE_PGM_RSRC2:TGID_Y_EN: 0
; COMPUTE_PGM_RSRC2:TGID_Z_EN: 0
; COMPUTE_PGM_RSRC2:TIDIG_COMP_CNT: 0
	.section	.text._ZN7rocprim17ROCPRIM_400000_NS6detail17trampoline_kernelINS0_14default_configENS1_20scan_config_selectorIN3c107complexIdEEEEZZNS1_9scan_implILNS1_25lookback_scan_determinismE0ELb0ELb0ES3_PKS7_PS7_S7_ZZZN2at6native31launch_logcumsumexp_cuda_kernelERKNSE_10TensorBaseESI_lENKUlvE_clEvENKUlvE1_clEvEUlS7_S7_E_S7_EEDaPvRmT3_T4_T5_mT6_P12ihipStream_tbENKUlT_T0_E_clISt17integral_constantIbLb0EESZ_EEDaSU_SV_EUlSU_E0_NS1_11comp_targetILNS1_3genE9ELNS1_11target_archE1100ELNS1_3gpuE3ELNS1_3repE0EEENS1_30default_config_static_selectorELNS0_4arch9wavefront6targetE0EEEvT1_,"axG",@progbits,_ZN7rocprim17ROCPRIM_400000_NS6detail17trampoline_kernelINS0_14default_configENS1_20scan_config_selectorIN3c107complexIdEEEEZZNS1_9scan_implILNS1_25lookback_scan_determinismE0ELb0ELb0ES3_PKS7_PS7_S7_ZZZN2at6native31launch_logcumsumexp_cuda_kernelERKNSE_10TensorBaseESI_lENKUlvE_clEvENKUlvE1_clEvEUlS7_S7_E_S7_EEDaPvRmT3_T4_T5_mT6_P12ihipStream_tbENKUlT_T0_E_clISt17integral_constantIbLb0EESZ_EEDaSU_SV_EUlSU_E0_NS1_11comp_targetILNS1_3genE9ELNS1_11target_archE1100ELNS1_3gpuE3ELNS1_3repE0EEENS1_30default_config_static_selectorELNS0_4arch9wavefront6targetE0EEEvT1_,comdat
	.globl	_ZN7rocprim17ROCPRIM_400000_NS6detail17trampoline_kernelINS0_14default_configENS1_20scan_config_selectorIN3c107complexIdEEEEZZNS1_9scan_implILNS1_25lookback_scan_determinismE0ELb0ELb0ES3_PKS7_PS7_S7_ZZZN2at6native31launch_logcumsumexp_cuda_kernelERKNSE_10TensorBaseESI_lENKUlvE_clEvENKUlvE1_clEvEUlS7_S7_E_S7_EEDaPvRmT3_T4_T5_mT6_P12ihipStream_tbENKUlT_T0_E_clISt17integral_constantIbLb0EESZ_EEDaSU_SV_EUlSU_E0_NS1_11comp_targetILNS1_3genE9ELNS1_11target_archE1100ELNS1_3gpuE3ELNS1_3repE0EEENS1_30default_config_static_selectorELNS0_4arch9wavefront6targetE0EEEvT1_ ; -- Begin function _ZN7rocprim17ROCPRIM_400000_NS6detail17trampoline_kernelINS0_14default_configENS1_20scan_config_selectorIN3c107complexIdEEEEZZNS1_9scan_implILNS1_25lookback_scan_determinismE0ELb0ELb0ES3_PKS7_PS7_S7_ZZZN2at6native31launch_logcumsumexp_cuda_kernelERKNSE_10TensorBaseESI_lENKUlvE_clEvENKUlvE1_clEvEUlS7_S7_E_S7_EEDaPvRmT3_T4_T5_mT6_P12ihipStream_tbENKUlT_T0_E_clISt17integral_constantIbLb0EESZ_EEDaSU_SV_EUlSU_E0_NS1_11comp_targetILNS1_3genE9ELNS1_11target_archE1100ELNS1_3gpuE3ELNS1_3repE0EEENS1_30default_config_static_selectorELNS0_4arch9wavefront6targetE0EEEvT1_
	.p2align	8
	.type	_ZN7rocprim17ROCPRIM_400000_NS6detail17trampoline_kernelINS0_14default_configENS1_20scan_config_selectorIN3c107complexIdEEEEZZNS1_9scan_implILNS1_25lookback_scan_determinismE0ELb0ELb0ES3_PKS7_PS7_S7_ZZZN2at6native31launch_logcumsumexp_cuda_kernelERKNSE_10TensorBaseESI_lENKUlvE_clEvENKUlvE1_clEvEUlS7_S7_E_S7_EEDaPvRmT3_T4_T5_mT6_P12ihipStream_tbENKUlT_T0_E_clISt17integral_constantIbLb0EESZ_EEDaSU_SV_EUlSU_E0_NS1_11comp_targetILNS1_3genE9ELNS1_11target_archE1100ELNS1_3gpuE3ELNS1_3repE0EEENS1_30default_config_static_selectorELNS0_4arch9wavefront6targetE0EEEvT1_,@function
_ZN7rocprim17ROCPRIM_400000_NS6detail17trampoline_kernelINS0_14default_configENS1_20scan_config_selectorIN3c107complexIdEEEEZZNS1_9scan_implILNS1_25lookback_scan_determinismE0ELb0ELb0ES3_PKS7_PS7_S7_ZZZN2at6native31launch_logcumsumexp_cuda_kernelERKNSE_10TensorBaseESI_lENKUlvE_clEvENKUlvE1_clEvEUlS7_S7_E_S7_EEDaPvRmT3_T4_T5_mT6_P12ihipStream_tbENKUlT_T0_E_clISt17integral_constantIbLb0EESZ_EEDaSU_SV_EUlSU_E0_NS1_11comp_targetILNS1_3genE9ELNS1_11target_archE1100ELNS1_3gpuE3ELNS1_3repE0EEENS1_30default_config_static_selectorELNS0_4arch9wavefront6targetE0EEEvT1_: ; @_ZN7rocprim17ROCPRIM_400000_NS6detail17trampoline_kernelINS0_14default_configENS1_20scan_config_selectorIN3c107complexIdEEEEZZNS1_9scan_implILNS1_25lookback_scan_determinismE0ELb0ELb0ES3_PKS7_PS7_S7_ZZZN2at6native31launch_logcumsumexp_cuda_kernelERKNSE_10TensorBaseESI_lENKUlvE_clEvENKUlvE1_clEvEUlS7_S7_E_S7_EEDaPvRmT3_T4_T5_mT6_P12ihipStream_tbENKUlT_T0_E_clISt17integral_constantIbLb0EESZ_EEDaSU_SV_EUlSU_E0_NS1_11comp_targetILNS1_3genE9ELNS1_11target_archE1100ELNS1_3gpuE3ELNS1_3repE0EEENS1_30default_config_static_selectorELNS0_4arch9wavefront6targetE0EEEvT1_
; %bb.0:
	.section	.rodata,"a",@progbits
	.p2align	6, 0x0
	.amdhsa_kernel _ZN7rocprim17ROCPRIM_400000_NS6detail17trampoline_kernelINS0_14default_configENS1_20scan_config_selectorIN3c107complexIdEEEEZZNS1_9scan_implILNS1_25lookback_scan_determinismE0ELb0ELb0ES3_PKS7_PS7_S7_ZZZN2at6native31launch_logcumsumexp_cuda_kernelERKNSE_10TensorBaseESI_lENKUlvE_clEvENKUlvE1_clEvEUlS7_S7_E_S7_EEDaPvRmT3_T4_T5_mT6_P12ihipStream_tbENKUlT_T0_E_clISt17integral_constantIbLb0EESZ_EEDaSU_SV_EUlSU_E0_NS1_11comp_targetILNS1_3genE9ELNS1_11target_archE1100ELNS1_3gpuE3ELNS1_3repE0EEENS1_30default_config_static_selectorELNS0_4arch9wavefront6targetE0EEEvT1_
		.amdhsa_group_segment_fixed_size 0
		.amdhsa_private_segment_fixed_size 0
		.amdhsa_kernarg_size 48
		.amdhsa_user_sgpr_count 6
		.amdhsa_user_sgpr_private_segment_buffer 1
		.amdhsa_user_sgpr_dispatch_ptr 0
		.amdhsa_user_sgpr_queue_ptr 0
		.amdhsa_user_sgpr_kernarg_segment_ptr 1
		.amdhsa_user_sgpr_dispatch_id 0
		.amdhsa_user_sgpr_flat_scratch_init 0
		.amdhsa_user_sgpr_private_segment_size 0
		.amdhsa_wavefront_size32 1
		.amdhsa_uses_dynamic_stack 0
		.amdhsa_system_sgpr_private_segment_wavefront_offset 0
		.amdhsa_system_sgpr_workgroup_id_x 1
		.amdhsa_system_sgpr_workgroup_id_y 0
		.amdhsa_system_sgpr_workgroup_id_z 0
		.amdhsa_system_sgpr_workgroup_info 0
		.amdhsa_system_vgpr_workitem_id 0
		.amdhsa_next_free_vgpr 1
		.amdhsa_next_free_sgpr 1
		.amdhsa_reserve_vcc 0
		.amdhsa_reserve_flat_scratch 0
		.amdhsa_float_round_mode_32 0
		.amdhsa_float_round_mode_16_64 0
		.amdhsa_float_denorm_mode_32 3
		.amdhsa_float_denorm_mode_16_64 3
		.amdhsa_dx10_clamp 1
		.amdhsa_ieee_mode 1
		.amdhsa_fp16_overflow 0
		.amdhsa_workgroup_processor_mode 1
		.amdhsa_memory_ordered 1
		.amdhsa_forward_progress 1
		.amdhsa_shared_vgpr_count 0
		.amdhsa_exception_fp_ieee_invalid_op 0
		.amdhsa_exception_fp_denorm_src 0
		.amdhsa_exception_fp_ieee_div_zero 0
		.amdhsa_exception_fp_ieee_overflow 0
		.amdhsa_exception_fp_ieee_underflow 0
		.amdhsa_exception_fp_ieee_inexact 0
		.amdhsa_exception_int_div_zero 0
	.end_amdhsa_kernel
	.section	.text._ZN7rocprim17ROCPRIM_400000_NS6detail17trampoline_kernelINS0_14default_configENS1_20scan_config_selectorIN3c107complexIdEEEEZZNS1_9scan_implILNS1_25lookback_scan_determinismE0ELb0ELb0ES3_PKS7_PS7_S7_ZZZN2at6native31launch_logcumsumexp_cuda_kernelERKNSE_10TensorBaseESI_lENKUlvE_clEvENKUlvE1_clEvEUlS7_S7_E_S7_EEDaPvRmT3_T4_T5_mT6_P12ihipStream_tbENKUlT_T0_E_clISt17integral_constantIbLb0EESZ_EEDaSU_SV_EUlSU_E0_NS1_11comp_targetILNS1_3genE9ELNS1_11target_archE1100ELNS1_3gpuE3ELNS1_3repE0EEENS1_30default_config_static_selectorELNS0_4arch9wavefront6targetE0EEEvT1_,"axG",@progbits,_ZN7rocprim17ROCPRIM_400000_NS6detail17trampoline_kernelINS0_14default_configENS1_20scan_config_selectorIN3c107complexIdEEEEZZNS1_9scan_implILNS1_25lookback_scan_determinismE0ELb0ELb0ES3_PKS7_PS7_S7_ZZZN2at6native31launch_logcumsumexp_cuda_kernelERKNSE_10TensorBaseESI_lENKUlvE_clEvENKUlvE1_clEvEUlS7_S7_E_S7_EEDaPvRmT3_T4_T5_mT6_P12ihipStream_tbENKUlT_T0_E_clISt17integral_constantIbLb0EESZ_EEDaSU_SV_EUlSU_E0_NS1_11comp_targetILNS1_3genE9ELNS1_11target_archE1100ELNS1_3gpuE3ELNS1_3repE0EEENS1_30default_config_static_selectorELNS0_4arch9wavefront6targetE0EEEvT1_,comdat
.Lfunc_end200:
	.size	_ZN7rocprim17ROCPRIM_400000_NS6detail17trampoline_kernelINS0_14default_configENS1_20scan_config_selectorIN3c107complexIdEEEEZZNS1_9scan_implILNS1_25lookback_scan_determinismE0ELb0ELb0ES3_PKS7_PS7_S7_ZZZN2at6native31launch_logcumsumexp_cuda_kernelERKNSE_10TensorBaseESI_lENKUlvE_clEvENKUlvE1_clEvEUlS7_S7_E_S7_EEDaPvRmT3_T4_T5_mT6_P12ihipStream_tbENKUlT_T0_E_clISt17integral_constantIbLb0EESZ_EEDaSU_SV_EUlSU_E0_NS1_11comp_targetILNS1_3genE9ELNS1_11target_archE1100ELNS1_3gpuE3ELNS1_3repE0EEENS1_30default_config_static_selectorELNS0_4arch9wavefront6targetE0EEEvT1_, .Lfunc_end200-_ZN7rocprim17ROCPRIM_400000_NS6detail17trampoline_kernelINS0_14default_configENS1_20scan_config_selectorIN3c107complexIdEEEEZZNS1_9scan_implILNS1_25lookback_scan_determinismE0ELb0ELb0ES3_PKS7_PS7_S7_ZZZN2at6native31launch_logcumsumexp_cuda_kernelERKNSE_10TensorBaseESI_lENKUlvE_clEvENKUlvE1_clEvEUlS7_S7_E_S7_EEDaPvRmT3_T4_T5_mT6_P12ihipStream_tbENKUlT_T0_E_clISt17integral_constantIbLb0EESZ_EEDaSU_SV_EUlSU_E0_NS1_11comp_targetILNS1_3genE9ELNS1_11target_archE1100ELNS1_3gpuE3ELNS1_3repE0EEENS1_30default_config_static_selectorELNS0_4arch9wavefront6targetE0EEEvT1_
                                        ; -- End function
	.set _ZN7rocprim17ROCPRIM_400000_NS6detail17trampoline_kernelINS0_14default_configENS1_20scan_config_selectorIN3c107complexIdEEEEZZNS1_9scan_implILNS1_25lookback_scan_determinismE0ELb0ELb0ES3_PKS7_PS7_S7_ZZZN2at6native31launch_logcumsumexp_cuda_kernelERKNSE_10TensorBaseESI_lENKUlvE_clEvENKUlvE1_clEvEUlS7_S7_E_S7_EEDaPvRmT3_T4_T5_mT6_P12ihipStream_tbENKUlT_T0_E_clISt17integral_constantIbLb0EESZ_EEDaSU_SV_EUlSU_E0_NS1_11comp_targetILNS1_3genE9ELNS1_11target_archE1100ELNS1_3gpuE3ELNS1_3repE0EEENS1_30default_config_static_selectorELNS0_4arch9wavefront6targetE0EEEvT1_.num_vgpr, 0
	.set _ZN7rocprim17ROCPRIM_400000_NS6detail17trampoline_kernelINS0_14default_configENS1_20scan_config_selectorIN3c107complexIdEEEEZZNS1_9scan_implILNS1_25lookback_scan_determinismE0ELb0ELb0ES3_PKS7_PS7_S7_ZZZN2at6native31launch_logcumsumexp_cuda_kernelERKNSE_10TensorBaseESI_lENKUlvE_clEvENKUlvE1_clEvEUlS7_S7_E_S7_EEDaPvRmT3_T4_T5_mT6_P12ihipStream_tbENKUlT_T0_E_clISt17integral_constantIbLb0EESZ_EEDaSU_SV_EUlSU_E0_NS1_11comp_targetILNS1_3genE9ELNS1_11target_archE1100ELNS1_3gpuE3ELNS1_3repE0EEENS1_30default_config_static_selectorELNS0_4arch9wavefront6targetE0EEEvT1_.num_agpr, 0
	.set _ZN7rocprim17ROCPRIM_400000_NS6detail17trampoline_kernelINS0_14default_configENS1_20scan_config_selectorIN3c107complexIdEEEEZZNS1_9scan_implILNS1_25lookback_scan_determinismE0ELb0ELb0ES3_PKS7_PS7_S7_ZZZN2at6native31launch_logcumsumexp_cuda_kernelERKNSE_10TensorBaseESI_lENKUlvE_clEvENKUlvE1_clEvEUlS7_S7_E_S7_EEDaPvRmT3_T4_T5_mT6_P12ihipStream_tbENKUlT_T0_E_clISt17integral_constantIbLb0EESZ_EEDaSU_SV_EUlSU_E0_NS1_11comp_targetILNS1_3genE9ELNS1_11target_archE1100ELNS1_3gpuE3ELNS1_3repE0EEENS1_30default_config_static_selectorELNS0_4arch9wavefront6targetE0EEEvT1_.numbered_sgpr, 0
	.set _ZN7rocprim17ROCPRIM_400000_NS6detail17trampoline_kernelINS0_14default_configENS1_20scan_config_selectorIN3c107complexIdEEEEZZNS1_9scan_implILNS1_25lookback_scan_determinismE0ELb0ELb0ES3_PKS7_PS7_S7_ZZZN2at6native31launch_logcumsumexp_cuda_kernelERKNSE_10TensorBaseESI_lENKUlvE_clEvENKUlvE1_clEvEUlS7_S7_E_S7_EEDaPvRmT3_T4_T5_mT6_P12ihipStream_tbENKUlT_T0_E_clISt17integral_constantIbLb0EESZ_EEDaSU_SV_EUlSU_E0_NS1_11comp_targetILNS1_3genE9ELNS1_11target_archE1100ELNS1_3gpuE3ELNS1_3repE0EEENS1_30default_config_static_selectorELNS0_4arch9wavefront6targetE0EEEvT1_.num_named_barrier, 0
	.set _ZN7rocprim17ROCPRIM_400000_NS6detail17trampoline_kernelINS0_14default_configENS1_20scan_config_selectorIN3c107complexIdEEEEZZNS1_9scan_implILNS1_25lookback_scan_determinismE0ELb0ELb0ES3_PKS7_PS7_S7_ZZZN2at6native31launch_logcumsumexp_cuda_kernelERKNSE_10TensorBaseESI_lENKUlvE_clEvENKUlvE1_clEvEUlS7_S7_E_S7_EEDaPvRmT3_T4_T5_mT6_P12ihipStream_tbENKUlT_T0_E_clISt17integral_constantIbLb0EESZ_EEDaSU_SV_EUlSU_E0_NS1_11comp_targetILNS1_3genE9ELNS1_11target_archE1100ELNS1_3gpuE3ELNS1_3repE0EEENS1_30default_config_static_selectorELNS0_4arch9wavefront6targetE0EEEvT1_.private_seg_size, 0
	.set _ZN7rocprim17ROCPRIM_400000_NS6detail17trampoline_kernelINS0_14default_configENS1_20scan_config_selectorIN3c107complexIdEEEEZZNS1_9scan_implILNS1_25lookback_scan_determinismE0ELb0ELb0ES3_PKS7_PS7_S7_ZZZN2at6native31launch_logcumsumexp_cuda_kernelERKNSE_10TensorBaseESI_lENKUlvE_clEvENKUlvE1_clEvEUlS7_S7_E_S7_EEDaPvRmT3_T4_T5_mT6_P12ihipStream_tbENKUlT_T0_E_clISt17integral_constantIbLb0EESZ_EEDaSU_SV_EUlSU_E0_NS1_11comp_targetILNS1_3genE9ELNS1_11target_archE1100ELNS1_3gpuE3ELNS1_3repE0EEENS1_30default_config_static_selectorELNS0_4arch9wavefront6targetE0EEEvT1_.uses_vcc, 0
	.set _ZN7rocprim17ROCPRIM_400000_NS6detail17trampoline_kernelINS0_14default_configENS1_20scan_config_selectorIN3c107complexIdEEEEZZNS1_9scan_implILNS1_25lookback_scan_determinismE0ELb0ELb0ES3_PKS7_PS7_S7_ZZZN2at6native31launch_logcumsumexp_cuda_kernelERKNSE_10TensorBaseESI_lENKUlvE_clEvENKUlvE1_clEvEUlS7_S7_E_S7_EEDaPvRmT3_T4_T5_mT6_P12ihipStream_tbENKUlT_T0_E_clISt17integral_constantIbLb0EESZ_EEDaSU_SV_EUlSU_E0_NS1_11comp_targetILNS1_3genE9ELNS1_11target_archE1100ELNS1_3gpuE3ELNS1_3repE0EEENS1_30default_config_static_selectorELNS0_4arch9wavefront6targetE0EEEvT1_.uses_flat_scratch, 0
	.set _ZN7rocprim17ROCPRIM_400000_NS6detail17trampoline_kernelINS0_14default_configENS1_20scan_config_selectorIN3c107complexIdEEEEZZNS1_9scan_implILNS1_25lookback_scan_determinismE0ELb0ELb0ES3_PKS7_PS7_S7_ZZZN2at6native31launch_logcumsumexp_cuda_kernelERKNSE_10TensorBaseESI_lENKUlvE_clEvENKUlvE1_clEvEUlS7_S7_E_S7_EEDaPvRmT3_T4_T5_mT6_P12ihipStream_tbENKUlT_T0_E_clISt17integral_constantIbLb0EESZ_EEDaSU_SV_EUlSU_E0_NS1_11comp_targetILNS1_3genE9ELNS1_11target_archE1100ELNS1_3gpuE3ELNS1_3repE0EEENS1_30default_config_static_selectorELNS0_4arch9wavefront6targetE0EEEvT1_.has_dyn_sized_stack, 0
	.set _ZN7rocprim17ROCPRIM_400000_NS6detail17trampoline_kernelINS0_14default_configENS1_20scan_config_selectorIN3c107complexIdEEEEZZNS1_9scan_implILNS1_25lookback_scan_determinismE0ELb0ELb0ES3_PKS7_PS7_S7_ZZZN2at6native31launch_logcumsumexp_cuda_kernelERKNSE_10TensorBaseESI_lENKUlvE_clEvENKUlvE1_clEvEUlS7_S7_E_S7_EEDaPvRmT3_T4_T5_mT6_P12ihipStream_tbENKUlT_T0_E_clISt17integral_constantIbLb0EESZ_EEDaSU_SV_EUlSU_E0_NS1_11comp_targetILNS1_3genE9ELNS1_11target_archE1100ELNS1_3gpuE3ELNS1_3repE0EEENS1_30default_config_static_selectorELNS0_4arch9wavefront6targetE0EEEvT1_.has_recursion, 0
	.set _ZN7rocprim17ROCPRIM_400000_NS6detail17trampoline_kernelINS0_14default_configENS1_20scan_config_selectorIN3c107complexIdEEEEZZNS1_9scan_implILNS1_25lookback_scan_determinismE0ELb0ELb0ES3_PKS7_PS7_S7_ZZZN2at6native31launch_logcumsumexp_cuda_kernelERKNSE_10TensorBaseESI_lENKUlvE_clEvENKUlvE1_clEvEUlS7_S7_E_S7_EEDaPvRmT3_T4_T5_mT6_P12ihipStream_tbENKUlT_T0_E_clISt17integral_constantIbLb0EESZ_EEDaSU_SV_EUlSU_E0_NS1_11comp_targetILNS1_3genE9ELNS1_11target_archE1100ELNS1_3gpuE3ELNS1_3repE0EEENS1_30default_config_static_selectorELNS0_4arch9wavefront6targetE0EEEvT1_.has_indirect_call, 0
	.section	.AMDGPU.csdata,"",@progbits
; Kernel info:
; codeLenInByte = 0
; TotalNumSgprs: 0
; NumVgprs: 0
; ScratchSize: 0
; MemoryBound: 0
; FloatMode: 240
; IeeeMode: 1
; LDSByteSize: 0 bytes/workgroup (compile time only)
; SGPRBlocks: 0
; VGPRBlocks: 0
; NumSGPRsForWavesPerEU: 1
; NumVGPRsForWavesPerEU: 1
; Occupancy: 16
; WaveLimiterHint : 0
; COMPUTE_PGM_RSRC2:SCRATCH_EN: 0
; COMPUTE_PGM_RSRC2:USER_SGPR: 6
; COMPUTE_PGM_RSRC2:TRAP_HANDLER: 0
; COMPUTE_PGM_RSRC2:TGID_X_EN: 1
; COMPUTE_PGM_RSRC2:TGID_Y_EN: 0
; COMPUTE_PGM_RSRC2:TGID_Z_EN: 0
; COMPUTE_PGM_RSRC2:TIDIG_COMP_CNT: 0
	.section	.text._ZN7rocprim17ROCPRIM_400000_NS6detail17trampoline_kernelINS0_14default_configENS1_20scan_config_selectorIN3c107complexIdEEEEZZNS1_9scan_implILNS1_25lookback_scan_determinismE0ELb0ELb0ES3_PKS7_PS7_S7_ZZZN2at6native31launch_logcumsumexp_cuda_kernelERKNSE_10TensorBaseESI_lENKUlvE_clEvENKUlvE1_clEvEUlS7_S7_E_S7_EEDaPvRmT3_T4_T5_mT6_P12ihipStream_tbENKUlT_T0_E_clISt17integral_constantIbLb0EESZ_EEDaSU_SV_EUlSU_E0_NS1_11comp_targetILNS1_3genE8ELNS1_11target_archE1030ELNS1_3gpuE2ELNS1_3repE0EEENS1_30default_config_static_selectorELNS0_4arch9wavefront6targetE0EEEvT1_,"axG",@progbits,_ZN7rocprim17ROCPRIM_400000_NS6detail17trampoline_kernelINS0_14default_configENS1_20scan_config_selectorIN3c107complexIdEEEEZZNS1_9scan_implILNS1_25lookback_scan_determinismE0ELb0ELb0ES3_PKS7_PS7_S7_ZZZN2at6native31launch_logcumsumexp_cuda_kernelERKNSE_10TensorBaseESI_lENKUlvE_clEvENKUlvE1_clEvEUlS7_S7_E_S7_EEDaPvRmT3_T4_T5_mT6_P12ihipStream_tbENKUlT_T0_E_clISt17integral_constantIbLb0EESZ_EEDaSU_SV_EUlSU_E0_NS1_11comp_targetILNS1_3genE8ELNS1_11target_archE1030ELNS1_3gpuE2ELNS1_3repE0EEENS1_30default_config_static_selectorELNS0_4arch9wavefront6targetE0EEEvT1_,comdat
	.globl	_ZN7rocprim17ROCPRIM_400000_NS6detail17trampoline_kernelINS0_14default_configENS1_20scan_config_selectorIN3c107complexIdEEEEZZNS1_9scan_implILNS1_25lookback_scan_determinismE0ELb0ELb0ES3_PKS7_PS7_S7_ZZZN2at6native31launch_logcumsumexp_cuda_kernelERKNSE_10TensorBaseESI_lENKUlvE_clEvENKUlvE1_clEvEUlS7_S7_E_S7_EEDaPvRmT3_T4_T5_mT6_P12ihipStream_tbENKUlT_T0_E_clISt17integral_constantIbLb0EESZ_EEDaSU_SV_EUlSU_E0_NS1_11comp_targetILNS1_3genE8ELNS1_11target_archE1030ELNS1_3gpuE2ELNS1_3repE0EEENS1_30default_config_static_selectorELNS0_4arch9wavefront6targetE0EEEvT1_ ; -- Begin function _ZN7rocprim17ROCPRIM_400000_NS6detail17trampoline_kernelINS0_14default_configENS1_20scan_config_selectorIN3c107complexIdEEEEZZNS1_9scan_implILNS1_25lookback_scan_determinismE0ELb0ELb0ES3_PKS7_PS7_S7_ZZZN2at6native31launch_logcumsumexp_cuda_kernelERKNSE_10TensorBaseESI_lENKUlvE_clEvENKUlvE1_clEvEUlS7_S7_E_S7_EEDaPvRmT3_T4_T5_mT6_P12ihipStream_tbENKUlT_T0_E_clISt17integral_constantIbLb0EESZ_EEDaSU_SV_EUlSU_E0_NS1_11comp_targetILNS1_3genE8ELNS1_11target_archE1030ELNS1_3gpuE2ELNS1_3repE0EEENS1_30default_config_static_selectorELNS0_4arch9wavefront6targetE0EEEvT1_
	.p2align	8
	.type	_ZN7rocprim17ROCPRIM_400000_NS6detail17trampoline_kernelINS0_14default_configENS1_20scan_config_selectorIN3c107complexIdEEEEZZNS1_9scan_implILNS1_25lookback_scan_determinismE0ELb0ELb0ES3_PKS7_PS7_S7_ZZZN2at6native31launch_logcumsumexp_cuda_kernelERKNSE_10TensorBaseESI_lENKUlvE_clEvENKUlvE1_clEvEUlS7_S7_E_S7_EEDaPvRmT3_T4_T5_mT6_P12ihipStream_tbENKUlT_T0_E_clISt17integral_constantIbLb0EESZ_EEDaSU_SV_EUlSU_E0_NS1_11comp_targetILNS1_3genE8ELNS1_11target_archE1030ELNS1_3gpuE2ELNS1_3repE0EEENS1_30default_config_static_selectorELNS0_4arch9wavefront6targetE0EEEvT1_,@function
_ZN7rocprim17ROCPRIM_400000_NS6detail17trampoline_kernelINS0_14default_configENS1_20scan_config_selectorIN3c107complexIdEEEEZZNS1_9scan_implILNS1_25lookback_scan_determinismE0ELb0ELb0ES3_PKS7_PS7_S7_ZZZN2at6native31launch_logcumsumexp_cuda_kernelERKNSE_10TensorBaseESI_lENKUlvE_clEvENKUlvE1_clEvEUlS7_S7_E_S7_EEDaPvRmT3_T4_T5_mT6_P12ihipStream_tbENKUlT_T0_E_clISt17integral_constantIbLb0EESZ_EEDaSU_SV_EUlSU_E0_NS1_11comp_targetILNS1_3genE8ELNS1_11target_archE1030ELNS1_3gpuE2ELNS1_3repE0EEENS1_30default_config_static_selectorELNS0_4arch9wavefront6targetE0EEEvT1_: ; @_ZN7rocprim17ROCPRIM_400000_NS6detail17trampoline_kernelINS0_14default_configENS1_20scan_config_selectorIN3c107complexIdEEEEZZNS1_9scan_implILNS1_25lookback_scan_determinismE0ELb0ELb0ES3_PKS7_PS7_S7_ZZZN2at6native31launch_logcumsumexp_cuda_kernelERKNSE_10TensorBaseESI_lENKUlvE_clEvENKUlvE1_clEvEUlS7_S7_E_S7_EEDaPvRmT3_T4_T5_mT6_P12ihipStream_tbENKUlT_T0_E_clISt17integral_constantIbLb0EESZ_EEDaSU_SV_EUlSU_E0_NS1_11comp_targetILNS1_3genE8ELNS1_11target_archE1030ELNS1_3gpuE2ELNS1_3repE0EEENS1_30default_config_static_selectorELNS0_4arch9wavefront6targetE0EEEvT1_
; %bb.0:
	s_load_dwordx4 s[8:11], s[4:5], 0x0
	v_mov_b32_e32 v72, v0
	s_add_u32 s0, s0, s7
	s_addc_u32 s1, s1, 0
	s_mov_b32 s32, 0
	v_lshlrev_b32_e32 v73, 4, v72
	s_waitcnt lgkmcnt(0)
	s_load_dwordx4 s[12:15], s[8:9], 0x0
	v_cmp_gt_u32_e64 s27, s10, v72
	s_waitcnt lgkmcnt(0)
	v_mov_b32_e32 v2, s14
	v_mov_b32_e32 v0, s12
	;; [unrolled: 1-line block ×4, first 2 shown]
	s_and_saveexec_b32 s6, s27
	s_cbranch_execz .LBB201_2
; %bb.1:
	global_load_dwordx4 v[0:3], v73, s[8:9]
.LBB201_2:
	s_or_b32 exec_lo, exec_lo, s6
	v_or_b32_e32 v8, 0x100, v72
	v_mov_b32_e32 v6, s14
	v_mov_b32_e32 v4, s12
	;; [unrolled: 1-line block ×4, first 2 shown]
	v_cmp_gt_u32_e64 s33, s10, v8
	s_and_saveexec_b32 s6, s33
	s_cbranch_execz .LBB201_4
; %bb.3:
	v_lshlrev_b32_e32 v4, 4, v8
	global_load_dwordx4 v[4:7], v4, s[8:9]
.LBB201_4:
	s_or_b32 exec_lo, exec_lo, s6
	v_lshrrev_b32_e32 v9, 1, v72
	v_lshrrev_b32_e32 v8, 1, v8
	v_and_b32_e32 v10, 0xf0, v72
	v_lshlrev_b32_e32 v11, 5, v72
	s_load_dwordx2 s[34:35], s[4:5], 0x28
	v_and_b32_e32 v9, 0x70, v9
	v_and_b32_e32 v8, 0xf0, v8
	s_getpc_b64 s[36:37]
	s_add_u32 s36, s36, _ZZZZN2at6native31launch_logcumsumexp_cuda_kernelERKNS_10TensorBaseES3_lENKUlvE_clEvENKUlvE1_clEvENKUlN3c107complexIdEES8_E_clES8_S8_@rel32@lo+4
	s_addc_u32 s37, s37, _ZZZZN2at6native31launch_logcumsumexp_cuda_kernelERKNS_10TensorBaseES3_lENKUlvE_clEvENKUlvE1_clEvENKUlN3c107complexIdEES8_E_clES8_S8_@rel32@hi+12
	v_add_nc_u32_e32 v76, v10, v11
	v_add_nc_u32_e32 v74, v9, v73
	;; [unrolled: 1-line block ×3, first 2 shown]
	s_waitcnt vmcnt(0)
	ds_write_b128 v74, v[0:3]
	ds_write_b128 v75, v[4:7] offset:4096
	s_waitcnt lgkmcnt(0)
	s_barrier
	buffer_gl0_inv
	ds_read_b128 v[40:43], v76
	ds_read_b128 v[44:47], v76 offset:16
	s_waitcnt lgkmcnt(0)
	s_barrier
	buffer_gl0_inv
	v_mov_b32_e32 v0, v40
	v_mov_b32_e32 v1, v41
	;; [unrolled: 1-line block ×8, first 2 shown]
	s_swappc_b64 s[30:31], s[36:37]
	v_mov_b32_e32 v56, v0
	v_mov_b32_e32 v57, v1
	;; [unrolled: 1-line block ×4, first 2 shown]
	s_mov_b32 s38, exec_lo
	ds_write_b128 v74, v[56:59]
	s_waitcnt lgkmcnt(0)
	s_waitcnt_vscnt null, 0x0
	s_barrier
	buffer_gl0_inv
	v_cmpx_gt_u32_e32 32, v72
	s_cbranch_execz .LBB201_16
; %bb.5:
	v_lshlrev_b32_e32 v0, 2, v72
	v_lshlrev_b32_e32 v1, 7, v72
	v_and_b32_e32 v0, 0x3f0, v0
	v_add_nc_u32_e32 v77, v0, v1
	ds_read_b128 v[60:63], v77
	ds_read_b128 v[4:7], v77 offset:16
	s_waitcnt lgkmcnt(1)
	v_mov_b32_e32 v0, v60
	v_mov_b32_e32 v1, v61
	;; [unrolled: 1-line block ×4, first 2 shown]
	s_swappc_b64 s[30:31], s[36:37]
	ds_read_b128 v[4:7], v77 offset:32
	s_swappc_b64 s[30:31], s[36:37]
	ds_read_b128 v[4:7], v77 offset:48
	s_swappc_b64 s[30:31], s[36:37]
	ds_read_b128 v[4:7], v77 offset:64
	s_swappc_b64 s[30:31], s[36:37]
	ds_read_b128 v[4:7], v77 offset:80
	s_swappc_b64 s[30:31], s[36:37]
	ds_read_b128 v[4:7], v77 offset:96
	s_swappc_b64 s[30:31], s[36:37]
	ds_read_b128 v[4:7], v77 offset:112
	s_swappc_b64 s[30:31], s[36:37]
	v_mov_b32_e32 v4, v0
	v_mov_b32_e32 v5, v1
	;; [unrolled: 1-line block ×4, first 2 shown]
	v_mbcnt_lo_u32_b32 v78, -1, 0
	v_mov_b32_dpp v0, v4 row_shr:1 row_mask:0xf bank_mask:0xf
	v_mov_b32_dpp v1, v5 row_shr:1 row_mask:0xf bank_mask:0xf
	;; [unrolled: 1-line block ×4, first 2 shown]
	v_and_b32_e32 v79, 15, v78
	s_mov_b32 s36, exec_lo
	v_cmpx_ne_u32_e32 0, v79
	s_cbranch_execz .LBB201_7
; %bb.6:
	s_getpc_b64 s[4:5]
	s_add_u32 s4, s4, _ZZZZN2at6native31launch_logcumsumexp_cuda_kernelERKNS_10TensorBaseES3_lENKUlvE_clEvENKUlvE1_clEvENKUlN3c107complexIdEES8_E_clES8_S8_@rel32@lo+4
	s_addc_u32 s5, s5, _ZZZZN2at6native31launch_logcumsumexp_cuda_kernelERKNS_10TensorBaseES3_lENKUlvE_clEvENKUlvE1_clEvENKUlN3c107complexIdEES8_E_clES8_S8_@rel32@hi+12
	s_swappc_b64 s[30:31], s[4:5]
	v_mov_b32_e32 v4, v0
	v_mov_b32_e32 v5, v1
	v_mov_b32_e32 v6, v2
	v_mov_b32_e32 v7, v3
.LBB201_7:
	s_or_b32 exec_lo, exec_lo, s36
	v_mov_b32_dpp v0, v4 row_shr:2 row_mask:0xf bank_mask:0xf
	v_mov_b32_dpp v1, v5 row_shr:2 row_mask:0xf bank_mask:0xf
	v_mov_b32_dpp v2, v6 row_shr:2 row_mask:0xf bank_mask:0xf
	v_mov_b32_dpp v3, v7 row_shr:2 row_mask:0xf bank_mask:0xf
	s_mov_b32 s36, exec_lo
	v_cmpx_lt_u32_e32 1, v79
	s_cbranch_execz .LBB201_9
; %bb.8:
	s_getpc_b64 s[4:5]
	s_add_u32 s4, s4, _ZZZZN2at6native31launch_logcumsumexp_cuda_kernelERKNS_10TensorBaseES3_lENKUlvE_clEvENKUlvE1_clEvENKUlN3c107complexIdEES8_E_clES8_S8_@rel32@lo+4
	s_addc_u32 s5, s5, _ZZZZN2at6native31launch_logcumsumexp_cuda_kernelERKNS_10TensorBaseES3_lENKUlvE_clEvENKUlvE1_clEvENKUlN3c107complexIdEES8_E_clES8_S8_@rel32@hi+12
	s_swappc_b64 s[30:31], s[4:5]
	v_mov_b32_e32 v4, v0
	v_mov_b32_e32 v5, v1
	v_mov_b32_e32 v6, v2
	v_mov_b32_e32 v7, v3
.LBB201_9:
	s_or_b32 exec_lo, exec_lo, s36
	v_mov_b32_dpp v0, v4 row_shr:4 row_mask:0xf bank_mask:0xf
	v_mov_b32_dpp v1, v5 row_shr:4 row_mask:0xf bank_mask:0xf
	v_mov_b32_dpp v2, v6 row_shr:4 row_mask:0xf bank_mask:0xf
	v_mov_b32_dpp v3, v7 row_shr:4 row_mask:0xf bank_mask:0xf
	s_mov_b32 s36, exec_lo
	v_cmpx_lt_u32_e32 3, v79
	;; [unrolled: 18-line block ×3, first 2 shown]
	s_cbranch_execz .LBB201_13
; %bb.12:
	s_getpc_b64 s[4:5]
	s_add_u32 s4, s4, _ZZZZN2at6native31launch_logcumsumexp_cuda_kernelERKNS_10TensorBaseES3_lENKUlvE_clEvENKUlvE1_clEvENKUlN3c107complexIdEES8_E_clES8_S8_@rel32@lo+4
	s_addc_u32 s5, s5, _ZZZZN2at6native31launch_logcumsumexp_cuda_kernelERKNS_10TensorBaseES3_lENKUlvE_clEvENKUlvE1_clEvENKUlN3c107complexIdEES8_E_clES8_S8_@rel32@hi+12
	s_swappc_b64 s[30:31], s[4:5]
	v_mov_b32_e32 v4, v0
	v_mov_b32_e32 v5, v1
	;; [unrolled: 1-line block ×4, first 2 shown]
.LBB201_13:
	s_or_b32 exec_lo, exec_lo, s36
	ds_swizzle_b32 v0, v4 offset:swizzle(BROADCAST,32,15)
	ds_swizzle_b32 v1, v5 offset:swizzle(BROADCAST,32,15)
	;; [unrolled: 1-line block ×4, first 2 shown]
	v_and_b32_e32 v8, 16, v78
	s_mov_b32 s36, exec_lo
	v_cmpx_ne_u32_e32 0, v8
	s_cbranch_execz .LBB201_15
; %bb.14:
	s_getpc_b64 s[4:5]
	s_add_u32 s4, s4, _ZZZZN2at6native31launch_logcumsumexp_cuda_kernelERKNS_10TensorBaseES3_lENKUlvE_clEvENKUlvE1_clEvENKUlN3c107complexIdEES8_E_clES8_S8_@rel32@lo+4
	s_addc_u32 s5, s5, _ZZZZN2at6native31launch_logcumsumexp_cuda_kernelERKNS_10TensorBaseES3_lENKUlvE_clEvENKUlvE1_clEvENKUlN3c107complexIdEES8_E_clES8_S8_@rel32@hi+12
	s_swappc_b64 s[30:31], s[4:5]
	v_mov_b32_e32 v4, v0
	v_mov_b32_e32 v5, v1
	v_mov_b32_e32 v6, v2
	v_mov_b32_e32 v7, v3
.LBB201_15:
	s_or_b32 exec_lo, exec_lo, s36
	s_waitcnt lgkmcnt(3)
	v_add_nc_u32_e32 v0, -1, v78
	s_getpc_b64 s[36:37]
	s_add_u32 s36, s36, _ZZZZN2at6native31launch_logcumsumexp_cuda_kernelERKNS_10TensorBaseES3_lENKUlvE_clEvENKUlvE1_clEvENKUlN3c107complexIdEES8_E_clES8_S8_@rel32@lo+4
	s_addc_u32 s37, s37, _ZZZZN2at6native31launch_logcumsumexp_cuda_kernelERKNS_10TensorBaseES3_lENKUlvE_clEvENKUlvE1_clEvENKUlN3c107complexIdEES8_E_clES8_S8_@rel32@hi+12
	v_cmp_gt_i32_e32 vcc_lo, 0, v0
	v_cndmask_b32_e32 v0, v0, v78, vcc_lo
	s_waitcnt lgkmcnt(0)
	v_lshlrev_b32_e32 v3, 2, v0
	ds_bpermute_b32 v0, v3, v4
	ds_bpermute_b32 v1, v3, v5
	ds_bpermute_b32 v2, v3, v6
	ds_bpermute_b32 v3, v3, v7
	v_mov_b32_e32 v4, v60
	v_mov_b32_e32 v5, v61
	;; [unrolled: 1-line block ×4, first 2 shown]
	s_swappc_b64 s[30:31], s[36:37]
	v_cmp_eq_u32_e32 vcc_lo, 0, v72
	; wave barrier
	v_cndmask_b32_e32 v3, v3, v59, vcc_lo
	v_cndmask_b32_e32 v2, v2, v58, vcc_lo
	;; [unrolled: 1-line block ×4, first 2 shown]
	ds_write_b128 v77, v[0:3]
	; wave barrier
	ds_read_b128 v[4:7], v77 offset:16
	s_swappc_b64 s[30:31], s[36:37]
	ds_read_b128 v[4:7], v77 offset:32
	ds_write_b128 v77, v[0:3] offset:16
	s_swappc_b64 s[30:31], s[36:37]
	ds_read_b128 v[4:7], v77 offset:48
	ds_write_b128 v77, v[0:3] offset:32
	;; [unrolled: 3-line block ×6, first 2 shown]
	s_swappc_b64 s[30:31], s[36:37]
	ds_write_b128 v77, v[0:3] offset:112
.LBB201_16:
	s_or_b32 exec_lo, exec_lo, s38
	s_mov_b32 s36, exec_lo
	s_waitcnt lgkmcnt(0)
	s_waitcnt_vscnt null, 0x0
	s_barrier
	buffer_gl0_inv
	v_cmpx_ne_u32_e32 0, v72
	s_cbranch_execz .LBB201_18
; %bb.17:
	v_add_nc_u32_e32 v0, -1, v72
	v_mov_b32_e32 v4, v40
	v_mov_b32_e32 v5, v41
	;; [unrolled: 1-line block ×4, first 2 shown]
	v_lshrrev_b32_e32 v1, 1, v0
	s_getpc_b64 s[38:39]
	s_add_u32 s38, s38, _ZZZZN2at6native31launch_logcumsumexp_cuda_kernelERKNS_10TensorBaseES3_lENKUlvE_clEvENKUlvE1_clEvENKUlN3c107complexIdEES8_E_clES8_S8_@rel32@lo+4
	s_addc_u32 s39, s39, _ZZZZN2at6native31launch_logcumsumexp_cuda_kernelERKNS_10TensorBaseES3_lENKUlvE_clEvENKUlvE1_clEvENKUlN3c107complexIdEES8_E_clES8_S8_@rel32@hi+12
	v_and_b32_e32 v1, 0x7ffffff0, v1
	v_lshl_add_u32 v0, v0, 4, v1
	ds_read_b128 v[0:3], v0
	s_swappc_b64 s[30:31], s[38:39]
	v_mov_b32_e32 v4, v44
	v_mov_b32_e32 v5, v45
	;; [unrolled: 1-line block ×8, first 2 shown]
	;;#ASMSTART
	;;#ASMEND
	s_swappc_b64 s[30:31], s[38:39]
	v_mov_b32_e32 v56, v0
	v_mov_b32_e32 v57, v1
	;; [unrolled: 1-line block ×4, first 2 shown]
.LBB201_18:
	s_or_b32 exec_lo, exec_lo, s36
	s_waitcnt_vscnt null, 0x0
	s_barrier
	buffer_gl0_inv
	ds_write_b128 v76, v[40:43]
	ds_write_b128 v76, v[56:59] offset:16
	s_waitcnt lgkmcnt(0)
	s_barrier
	buffer_gl0_inv
	ds_read_b128 v[0:3], v75 offset:4096
	v_add_co_u32 v4, s4, s34, v73
	v_add_co_ci_u32_e64 v5, null, s35, 0, s4
	s_and_saveexec_b32 s4, s27
	s_cbranch_execnz .LBB201_21
; %bb.19:
	s_or_b32 exec_lo, exec_lo, s4
	s_and_saveexec_b32 s4, s33
	s_cbranch_execnz .LBB201_22
.LBB201_20:
	s_endpgm
.LBB201_21:
	ds_read_b128 v[6:9], v74
	s_waitcnt lgkmcnt(0)
	global_store_dwordx4 v[4:5], v[6:9], off
	s_or_b32 exec_lo, exec_lo, s4
	s_and_saveexec_b32 s4, s33
	s_cbranch_execz .LBB201_20
.LBB201_22:
	v_add_co_u32 v4, vcc_lo, 0x1000, v4
	v_add_co_ci_u32_e64 v5, null, 0, v5, vcc_lo
	s_waitcnt lgkmcnt(0)
	global_store_dwordx4 v[4:5], v[0:3], off
	s_endpgm
	.section	.rodata,"a",@progbits
	.p2align	6, 0x0
	.amdhsa_kernel _ZN7rocprim17ROCPRIM_400000_NS6detail17trampoline_kernelINS0_14default_configENS1_20scan_config_selectorIN3c107complexIdEEEEZZNS1_9scan_implILNS1_25lookback_scan_determinismE0ELb0ELb0ES3_PKS7_PS7_S7_ZZZN2at6native31launch_logcumsumexp_cuda_kernelERKNSE_10TensorBaseESI_lENKUlvE_clEvENKUlvE1_clEvEUlS7_S7_E_S7_EEDaPvRmT3_T4_T5_mT6_P12ihipStream_tbENKUlT_T0_E_clISt17integral_constantIbLb0EESZ_EEDaSU_SV_EUlSU_E0_NS1_11comp_targetILNS1_3genE8ELNS1_11target_archE1030ELNS1_3gpuE2ELNS1_3repE0EEENS1_30default_config_static_selectorELNS0_4arch9wavefront6targetE0EEEvT1_
		.amdhsa_group_segment_fixed_size 8448
		.amdhsa_private_segment_fixed_size 0
		.amdhsa_kernarg_size 48
		.amdhsa_user_sgpr_count 6
		.amdhsa_user_sgpr_private_segment_buffer 1
		.amdhsa_user_sgpr_dispatch_ptr 0
		.amdhsa_user_sgpr_queue_ptr 0
		.amdhsa_user_sgpr_kernarg_segment_ptr 1
		.amdhsa_user_sgpr_dispatch_id 0
		.amdhsa_user_sgpr_flat_scratch_init 0
		.amdhsa_user_sgpr_private_segment_size 0
		.amdhsa_wavefront_size32 1
		.amdhsa_uses_dynamic_stack 0
		.amdhsa_system_sgpr_private_segment_wavefront_offset 0
		.amdhsa_system_sgpr_workgroup_id_x 1
		.amdhsa_system_sgpr_workgroup_id_y 0
		.amdhsa_system_sgpr_workgroup_id_z 0
		.amdhsa_system_sgpr_workgroup_info 0
		.amdhsa_system_vgpr_workitem_id 0
		.amdhsa_next_free_vgpr 86
		.amdhsa_next_free_sgpr 42
		.amdhsa_reserve_vcc 1
		.amdhsa_reserve_flat_scratch 0
		.amdhsa_float_round_mode_32 0
		.amdhsa_float_round_mode_16_64 0
		.amdhsa_float_denorm_mode_32 3
		.amdhsa_float_denorm_mode_16_64 3
		.amdhsa_dx10_clamp 1
		.amdhsa_ieee_mode 1
		.amdhsa_fp16_overflow 0
		.amdhsa_workgroup_processor_mode 1
		.amdhsa_memory_ordered 1
		.amdhsa_forward_progress 1
		.amdhsa_shared_vgpr_count 0
		.amdhsa_exception_fp_ieee_invalid_op 0
		.amdhsa_exception_fp_denorm_src 0
		.amdhsa_exception_fp_ieee_div_zero 0
		.amdhsa_exception_fp_ieee_overflow 0
		.amdhsa_exception_fp_ieee_underflow 0
		.amdhsa_exception_fp_ieee_inexact 0
		.amdhsa_exception_int_div_zero 0
	.end_amdhsa_kernel
	.section	.text._ZN7rocprim17ROCPRIM_400000_NS6detail17trampoline_kernelINS0_14default_configENS1_20scan_config_selectorIN3c107complexIdEEEEZZNS1_9scan_implILNS1_25lookback_scan_determinismE0ELb0ELb0ES3_PKS7_PS7_S7_ZZZN2at6native31launch_logcumsumexp_cuda_kernelERKNSE_10TensorBaseESI_lENKUlvE_clEvENKUlvE1_clEvEUlS7_S7_E_S7_EEDaPvRmT3_T4_T5_mT6_P12ihipStream_tbENKUlT_T0_E_clISt17integral_constantIbLb0EESZ_EEDaSU_SV_EUlSU_E0_NS1_11comp_targetILNS1_3genE8ELNS1_11target_archE1030ELNS1_3gpuE2ELNS1_3repE0EEENS1_30default_config_static_selectorELNS0_4arch9wavefront6targetE0EEEvT1_,"axG",@progbits,_ZN7rocprim17ROCPRIM_400000_NS6detail17trampoline_kernelINS0_14default_configENS1_20scan_config_selectorIN3c107complexIdEEEEZZNS1_9scan_implILNS1_25lookback_scan_determinismE0ELb0ELb0ES3_PKS7_PS7_S7_ZZZN2at6native31launch_logcumsumexp_cuda_kernelERKNSE_10TensorBaseESI_lENKUlvE_clEvENKUlvE1_clEvEUlS7_S7_E_S7_EEDaPvRmT3_T4_T5_mT6_P12ihipStream_tbENKUlT_T0_E_clISt17integral_constantIbLb0EESZ_EEDaSU_SV_EUlSU_E0_NS1_11comp_targetILNS1_3genE8ELNS1_11target_archE1030ELNS1_3gpuE2ELNS1_3repE0EEENS1_30default_config_static_selectorELNS0_4arch9wavefront6targetE0EEEvT1_,comdat
.Lfunc_end201:
	.size	_ZN7rocprim17ROCPRIM_400000_NS6detail17trampoline_kernelINS0_14default_configENS1_20scan_config_selectorIN3c107complexIdEEEEZZNS1_9scan_implILNS1_25lookback_scan_determinismE0ELb0ELb0ES3_PKS7_PS7_S7_ZZZN2at6native31launch_logcumsumexp_cuda_kernelERKNSE_10TensorBaseESI_lENKUlvE_clEvENKUlvE1_clEvEUlS7_S7_E_S7_EEDaPvRmT3_T4_T5_mT6_P12ihipStream_tbENKUlT_T0_E_clISt17integral_constantIbLb0EESZ_EEDaSU_SV_EUlSU_E0_NS1_11comp_targetILNS1_3genE8ELNS1_11target_archE1030ELNS1_3gpuE2ELNS1_3repE0EEENS1_30default_config_static_selectorELNS0_4arch9wavefront6targetE0EEEvT1_, .Lfunc_end201-_ZN7rocprim17ROCPRIM_400000_NS6detail17trampoline_kernelINS0_14default_configENS1_20scan_config_selectorIN3c107complexIdEEEEZZNS1_9scan_implILNS1_25lookback_scan_determinismE0ELb0ELb0ES3_PKS7_PS7_S7_ZZZN2at6native31launch_logcumsumexp_cuda_kernelERKNSE_10TensorBaseESI_lENKUlvE_clEvENKUlvE1_clEvEUlS7_S7_E_S7_EEDaPvRmT3_T4_T5_mT6_P12ihipStream_tbENKUlT_T0_E_clISt17integral_constantIbLb0EESZ_EEDaSU_SV_EUlSU_E0_NS1_11comp_targetILNS1_3genE8ELNS1_11target_archE1030ELNS1_3gpuE2ELNS1_3repE0EEENS1_30default_config_static_selectorELNS0_4arch9wavefront6targetE0EEEvT1_
                                        ; -- End function
	.set _ZN7rocprim17ROCPRIM_400000_NS6detail17trampoline_kernelINS0_14default_configENS1_20scan_config_selectorIN3c107complexIdEEEEZZNS1_9scan_implILNS1_25lookback_scan_determinismE0ELb0ELb0ES3_PKS7_PS7_S7_ZZZN2at6native31launch_logcumsumexp_cuda_kernelERKNSE_10TensorBaseESI_lENKUlvE_clEvENKUlvE1_clEvEUlS7_S7_E_S7_EEDaPvRmT3_T4_T5_mT6_P12ihipStream_tbENKUlT_T0_E_clISt17integral_constantIbLb0EESZ_EEDaSU_SV_EUlSU_E0_NS1_11comp_targetILNS1_3genE8ELNS1_11target_archE1030ELNS1_3gpuE2ELNS1_3repE0EEENS1_30default_config_static_selectorELNS0_4arch9wavefront6targetE0EEEvT1_.num_vgpr, max(80, .L_ZZZZN2at6native31launch_logcumsumexp_cuda_kernelERKNS_10TensorBaseES3_lENKUlvE_clEvENKUlvE1_clEvENKUlN3c107complexIdEES8_E_clES8_S8_.num_vgpr)
	.set _ZN7rocprim17ROCPRIM_400000_NS6detail17trampoline_kernelINS0_14default_configENS1_20scan_config_selectorIN3c107complexIdEEEEZZNS1_9scan_implILNS1_25lookback_scan_determinismE0ELb0ELb0ES3_PKS7_PS7_S7_ZZZN2at6native31launch_logcumsumexp_cuda_kernelERKNSE_10TensorBaseESI_lENKUlvE_clEvENKUlvE1_clEvEUlS7_S7_E_S7_EEDaPvRmT3_T4_T5_mT6_P12ihipStream_tbENKUlT_T0_E_clISt17integral_constantIbLb0EESZ_EEDaSU_SV_EUlSU_E0_NS1_11comp_targetILNS1_3genE8ELNS1_11target_archE1030ELNS1_3gpuE2ELNS1_3repE0EEENS1_30default_config_static_selectorELNS0_4arch9wavefront6targetE0EEEvT1_.num_agpr, max(0, .L_ZZZZN2at6native31launch_logcumsumexp_cuda_kernelERKNS_10TensorBaseES3_lENKUlvE_clEvENKUlvE1_clEvENKUlN3c107complexIdEES8_E_clES8_S8_.num_agpr)
	.set _ZN7rocprim17ROCPRIM_400000_NS6detail17trampoline_kernelINS0_14default_configENS1_20scan_config_selectorIN3c107complexIdEEEEZZNS1_9scan_implILNS1_25lookback_scan_determinismE0ELb0ELb0ES3_PKS7_PS7_S7_ZZZN2at6native31launch_logcumsumexp_cuda_kernelERKNSE_10TensorBaseESI_lENKUlvE_clEvENKUlvE1_clEvEUlS7_S7_E_S7_EEDaPvRmT3_T4_T5_mT6_P12ihipStream_tbENKUlT_T0_E_clISt17integral_constantIbLb0EESZ_EEDaSU_SV_EUlSU_E0_NS1_11comp_targetILNS1_3genE8ELNS1_11target_archE1030ELNS1_3gpuE2ELNS1_3repE0EEENS1_30default_config_static_selectorELNS0_4arch9wavefront6targetE0EEEvT1_.numbered_sgpr, max(40, .L_ZZZZN2at6native31launch_logcumsumexp_cuda_kernelERKNS_10TensorBaseES3_lENKUlvE_clEvENKUlvE1_clEvENKUlN3c107complexIdEES8_E_clES8_S8_.numbered_sgpr)
	.set _ZN7rocprim17ROCPRIM_400000_NS6detail17trampoline_kernelINS0_14default_configENS1_20scan_config_selectorIN3c107complexIdEEEEZZNS1_9scan_implILNS1_25lookback_scan_determinismE0ELb0ELb0ES3_PKS7_PS7_S7_ZZZN2at6native31launch_logcumsumexp_cuda_kernelERKNSE_10TensorBaseESI_lENKUlvE_clEvENKUlvE1_clEvEUlS7_S7_E_S7_EEDaPvRmT3_T4_T5_mT6_P12ihipStream_tbENKUlT_T0_E_clISt17integral_constantIbLb0EESZ_EEDaSU_SV_EUlSU_E0_NS1_11comp_targetILNS1_3genE8ELNS1_11target_archE1030ELNS1_3gpuE2ELNS1_3repE0EEENS1_30default_config_static_selectorELNS0_4arch9wavefront6targetE0EEEvT1_.num_named_barrier, max(0, .L_ZZZZN2at6native31launch_logcumsumexp_cuda_kernelERKNS_10TensorBaseES3_lENKUlvE_clEvENKUlvE1_clEvENKUlN3c107complexIdEES8_E_clES8_S8_.num_named_barrier)
	.set _ZN7rocprim17ROCPRIM_400000_NS6detail17trampoline_kernelINS0_14default_configENS1_20scan_config_selectorIN3c107complexIdEEEEZZNS1_9scan_implILNS1_25lookback_scan_determinismE0ELb0ELb0ES3_PKS7_PS7_S7_ZZZN2at6native31launch_logcumsumexp_cuda_kernelERKNSE_10TensorBaseESI_lENKUlvE_clEvENKUlvE1_clEvEUlS7_S7_E_S7_EEDaPvRmT3_T4_T5_mT6_P12ihipStream_tbENKUlT_T0_E_clISt17integral_constantIbLb0EESZ_EEDaSU_SV_EUlSU_E0_NS1_11comp_targetILNS1_3genE8ELNS1_11target_archE1030ELNS1_3gpuE2ELNS1_3repE0EEENS1_30default_config_static_selectorELNS0_4arch9wavefront6targetE0EEEvT1_.private_seg_size, 0+max(.L_ZZZZN2at6native31launch_logcumsumexp_cuda_kernelERKNS_10TensorBaseES3_lENKUlvE_clEvENKUlvE1_clEvENKUlN3c107complexIdEES8_E_clES8_S8_.private_seg_size)
	.set _ZN7rocprim17ROCPRIM_400000_NS6detail17trampoline_kernelINS0_14default_configENS1_20scan_config_selectorIN3c107complexIdEEEEZZNS1_9scan_implILNS1_25lookback_scan_determinismE0ELb0ELb0ES3_PKS7_PS7_S7_ZZZN2at6native31launch_logcumsumexp_cuda_kernelERKNSE_10TensorBaseESI_lENKUlvE_clEvENKUlvE1_clEvEUlS7_S7_E_S7_EEDaPvRmT3_T4_T5_mT6_P12ihipStream_tbENKUlT_T0_E_clISt17integral_constantIbLb0EESZ_EEDaSU_SV_EUlSU_E0_NS1_11comp_targetILNS1_3genE8ELNS1_11target_archE1030ELNS1_3gpuE2ELNS1_3repE0EEENS1_30default_config_static_selectorELNS0_4arch9wavefront6targetE0EEEvT1_.uses_vcc, or(1, .L_ZZZZN2at6native31launch_logcumsumexp_cuda_kernelERKNS_10TensorBaseES3_lENKUlvE_clEvENKUlvE1_clEvENKUlN3c107complexIdEES8_E_clES8_S8_.uses_vcc)
	.set _ZN7rocprim17ROCPRIM_400000_NS6detail17trampoline_kernelINS0_14default_configENS1_20scan_config_selectorIN3c107complexIdEEEEZZNS1_9scan_implILNS1_25lookback_scan_determinismE0ELb0ELb0ES3_PKS7_PS7_S7_ZZZN2at6native31launch_logcumsumexp_cuda_kernelERKNSE_10TensorBaseESI_lENKUlvE_clEvENKUlvE1_clEvEUlS7_S7_E_S7_EEDaPvRmT3_T4_T5_mT6_P12ihipStream_tbENKUlT_T0_E_clISt17integral_constantIbLb0EESZ_EEDaSU_SV_EUlSU_E0_NS1_11comp_targetILNS1_3genE8ELNS1_11target_archE1030ELNS1_3gpuE2ELNS1_3repE0EEENS1_30default_config_static_selectorELNS0_4arch9wavefront6targetE0EEEvT1_.uses_flat_scratch, or(0, .L_ZZZZN2at6native31launch_logcumsumexp_cuda_kernelERKNS_10TensorBaseES3_lENKUlvE_clEvENKUlvE1_clEvENKUlN3c107complexIdEES8_E_clES8_S8_.uses_flat_scratch)
	.set _ZN7rocprim17ROCPRIM_400000_NS6detail17trampoline_kernelINS0_14default_configENS1_20scan_config_selectorIN3c107complexIdEEEEZZNS1_9scan_implILNS1_25lookback_scan_determinismE0ELb0ELb0ES3_PKS7_PS7_S7_ZZZN2at6native31launch_logcumsumexp_cuda_kernelERKNSE_10TensorBaseESI_lENKUlvE_clEvENKUlvE1_clEvEUlS7_S7_E_S7_EEDaPvRmT3_T4_T5_mT6_P12ihipStream_tbENKUlT_T0_E_clISt17integral_constantIbLb0EESZ_EEDaSU_SV_EUlSU_E0_NS1_11comp_targetILNS1_3genE8ELNS1_11target_archE1030ELNS1_3gpuE2ELNS1_3repE0EEENS1_30default_config_static_selectorELNS0_4arch9wavefront6targetE0EEEvT1_.has_dyn_sized_stack, or(0, .L_ZZZZN2at6native31launch_logcumsumexp_cuda_kernelERKNS_10TensorBaseES3_lENKUlvE_clEvENKUlvE1_clEvENKUlN3c107complexIdEES8_E_clES8_S8_.has_dyn_sized_stack)
	.set _ZN7rocprim17ROCPRIM_400000_NS6detail17trampoline_kernelINS0_14default_configENS1_20scan_config_selectorIN3c107complexIdEEEEZZNS1_9scan_implILNS1_25lookback_scan_determinismE0ELb0ELb0ES3_PKS7_PS7_S7_ZZZN2at6native31launch_logcumsumexp_cuda_kernelERKNSE_10TensorBaseESI_lENKUlvE_clEvENKUlvE1_clEvEUlS7_S7_E_S7_EEDaPvRmT3_T4_T5_mT6_P12ihipStream_tbENKUlT_T0_E_clISt17integral_constantIbLb0EESZ_EEDaSU_SV_EUlSU_E0_NS1_11comp_targetILNS1_3genE8ELNS1_11target_archE1030ELNS1_3gpuE2ELNS1_3repE0EEENS1_30default_config_static_selectorELNS0_4arch9wavefront6targetE0EEEvT1_.has_recursion, or(0, .L_ZZZZN2at6native31launch_logcumsumexp_cuda_kernelERKNS_10TensorBaseES3_lENKUlvE_clEvENKUlvE1_clEvENKUlN3c107complexIdEES8_E_clES8_S8_.has_recursion)
	.set _ZN7rocprim17ROCPRIM_400000_NS6detail17trampoline_kernelINS0_14default_configENS1_20scan_config_selectorIN3c107complexIdEEEEZZNS1_9scan_implILNS1_25lookback_scan_determinismE0ELb0ELb0ES3_PKS7_PS7_S7_ZZZN2at6native31launch_logcumsumexp_cuda_kernelERKNSE_10TensorBaseESI_lENKUlvE_clEvENKUlvE1_clEvEUlS7_S7_E_S7_EEDaPvRmT3_T4_T5_mT6_P12ihipStream_tbENKUlT_T0_E_clISt17integral_constantIbLb0EESZ_EEDaSU_SV_EUlSU_E0_NS1_11comp_targetILNS1_3genE8ELNS1_11target_archE1030ELNS1_3gpuE2ELNS1_3repE0EEENS1_30default_config_static_selectorELNS0_4arch9wavefront6targetE0EEEvT1_.has_indirect_call, or(0, .L_ZZZZN2at6native31launch_logcumsumexp_cuda_kernelERKNS_10TensorBaseES3_lENKUlvE_clEvENKUlvE1_clEvENKUlN3c107complexIdEES8_E_clES8_S8_.has_indirect_call)
	.section	.AMDGPU.csdata,"",@progbits
; Kernel info:
; codeLenInByte = 1576
; TotalNumSgprs: 44
; NumVgprs: 86
; ScratchSize: 0
; MemoryBound: 1
; FloatMode: 240
; IeeeMode: 1
; LDSByteSize: 8448 bytes/workgroup (compile time only)
; SGPRBlocks: 0
; VGPRBlocks: 10
; NumSGPRsForWavesPerEU: 44
; NumVGPRsForWavesPerEU: 86
; Occupancy: 10
; WaveLimiterHint : 0
; COMPUTE_PGM_RSRC2:SCRATCH_EN: 0
; COMPUTE_PGM_RSRC2:USER_SGPR: 6
; COMPUTE_PGM_RSRC2:TRAP_HANDLER: 0
; COMPUTE_PGM_RSRC2:TGID_X_EN: 1
; COMPUTE_PGM_RSRC2:TGID_Y_EN: 0
; COMPUTE_PGM_RSRC2:TGID_Z_EN: 0
; COMPUTE_PGM_RSRC2:TIDIG_COMP_CNT: 0
	.section	.text._ZN7rocprim17ROCPRIM_400000_NS6detail31init_lookback_scan_state_kernelINS1_19lookback_scan_stateIN3c107complexIdEELb1ELb0EEENS1_16block_id_wrapperIjLb1EEEEEvT_jT0_jPNSA_10value_typeE,"axG",@progbits,_ZN7rocprim17ROCPRIM_400000_NS6detail31init_lookback_scan_state_kernelINS1_19lookback_scan_stateIN3c107complexIdEELb1ELb0EEENS1_16block_id_wrapperIjLb1EEEEEvT_jT0_jPNSA_10value_typeE,comdat
	.protected	_ZN7rocprim17ROCPRIM_400000_NS6detail31init_lookback_scan_state_kernelINS1_19lookback_scan_stateIN3c107complexIdEELb1ELb0EEENS1_16block_id_wrapperIjLb1EEEEEvT_jT0_jPNSA_10value_typeE ; -- Begin function _ZN7rocprim17ROCPRIM_400000_NS6detail31init_lookback_scan_state_kernelINS1_19lookback_scan_stateIN3c107complexIdEELb1ELb0EEENS1_16block_id_wrapperIjLb1EEEEEvT_jT0_jPNSA_10value_typeE
	.globl	_ZN7rocprim17ROCPRIM_400000_NS6detail31init_lookback_scan_state_kernelINS1_19lookback_scan_stateIN3c107complexIdEELb1ELb0EEENS1_16block_id_wrapperIjLb1EEEEEvT_jT0_jPNSA_10value_typeE
	.p2align	8
	.type	_ZN7rocprim17ROCPRIM_400000_NS6detail31init_lookback_scan_state_kernelINS1_19lookback_scan_stateIN3c107complexIdEELb1ELb0EEENS1_16block_id_wrapperIjLb1EEEEEvT_jT0_jPNSA_10value_typeE,@function
_ZN7rocprim17ROCPRIM_400000_NS6detail31init_lookback_scan_state_kernelINS1_19lookback_scan_stateIN3c107complexIdEELb1ELb0EEENS1_16block_id_wrapperIjLb1EEEEEvT_jT0_jPNSA_10value_typeE: ; @_ZN7rocprim17ROCPRIM_400000_NS6detail31init_lookback_scan_state_kernelINS1_19lookback_scan_stateIN3c107complexIdEELb1ELb0EEENS1_16block_id_wrapperIjLb1EEEEEvT_jT0_jPNSA_10value_typeE
; %bb.0:
	s_clause 0x3
	s_load_dword s0, s[4:5], 0x44
	s_load_dwordx2 s[10:11], s[4:5], 0x30
	s_load_dwordx2 s[8:9], s[4:5], 0x10
	s_load_dword s14, s[4:5], 0x18
	s_waitcnt lgkmcnt(0)
	s_and_b32 s0, s0, 0xffff
	s_cmp_eq_u64 s[10:11], 0
	v_mad_u64_u32 v[0:1], null, s6, s0, v[0:1]
	s_cbranch_scc1 .LBB202_9
; %bb.1:
	s_load_dword s0, s[4:5], 0x28
	s_mov_b32 s7, 0
	s_mov_b32 s15, exec_lo
	s_waitcnt lgkmcnt(0)
	s_cmp_lt_u32 s0, s14
	s_cselect_b32 s1, s0, 0
	v_cmpx_eq_u32_e64 s1, v0
	s_cbranch_execz .LBB202_8
; %bb.2:
	s_add_i32 s6, s0, 32
	s_load_dwordx4 s[0:3], s[4:5], 0x0
	v_mov_b32_e32 v1, s6
	s_add_u32 s12, s8, s6
	s_addc_u32 s13, s9, 0
	global_load_ubyte v2, v1, s[8:9] glc dlc
	v_mov_b32_e32 v1, 0
	s_waitcnt vmcnt(0)
	v_cmp_ne_u32_sdwa s16, v2, v1 src0_sel:WORD_0 src1_sel:DWORD
	v_readfirstlane_b32 s17, v2
	s_and_b32 vcc_lo, exec_lo, s16
	s_cbranch_vccnz .LBB202_7
; %bb.3:
	s_mov_b32 s16, 1
.LBB202_4:                              ; =>This Loop Header: Depth=1
                                        ;     Child Loop BB202_5 Depth 2
	s_mov_b32 s17, s16
.LBB202_5:                              ;   Parent Loop BB202_4 Depth=1
                                        ; =>  This Inner Loop Header: Depth=2
	s_add_i32 s17, s17, -1
	s_sleep 1
	s_cmp_eq_u32 s17, 0
	s_cbranch_scc0 .LBB202_5
; %bb.6:                                ;   in Loop: Header=BB202_4 Depth=1
	global_load_ubyte v2, v1, s[12:13] glc dlc
	s_cmp_lt_u32 s16, 32
	s_cselect_b32 s17, -1, 0
	s_cmp_lg_u32 s17, 0
	s_addc_u32 s16, s16, 0
	s_waitcnt vmcnt(0)
	v_cmp_ne_u32_sdwa s18, v2, v1 src0_sel:WORD_0 src1_sel:DWORD
	v_readfirstlane_b32 s17, v2
	s_and_b32 vcc_lo, exec_lo, s18
	s_cbranch_vccz .LBB202_4
.LBB202_7:
	s_and_b32 s12, 0xffff, s17
	v_mov_b32_e32 v5, 0
	s_cmp_eq_u32 s12, 1
	s_waitcnt lgkmcnt(0)
	buffer_gl1_inv
	buffer_gl0_inv
	s_cselect_b32 s3, s1, s3
	s_cselect_b32 s2, s0, s2
	s_lshl_b64 s[0:1], s[6:7], 4
	s_add_u32 s0, s2, s0
	s_addc_u32 s1, s3, s1
	global_load_dwordx4 v[1:4], v5, s[0:1]
	s_waitcnt vmcnt(0)
	global_store_dwordx4 v5, v[1:4], s[10:11]
.LBB202_8:
	s_or_b32 exec_lo, exec_lo, s15
.LBB202_9:
	s_mov_b32 s0, exec_lo
	v_cmpx_eq_u32_e32 0, v0
	s_cbranch_execz .LBB202_11
; %bb.10:
	s_load_dwordx2 s[2:3], s[4:5], 0x20
	v_mov_b32_e32 v1, 0
	s_waitcnt lgkmcnt(0)
	global_store_dword v1, v1, s[2:3]
.LBB202_11:
	s_or_b32 exec_lo, exec_lo, s0
	s_mov_b32 s0, exec_lo
	v_cmpx_gt_u32_e64 s14, v0
	s_cbranch_execz .LBB202_13
; %bb.12:
	v_add_nc_u32_e32 v1, 32, v0
	v_mov_b32_e32 v2, 0
	global_store_byte v1, v2, s[8:9]
.LBB202_13:
	s_or_b32 exec_lo, exec_lo, s0
	s_mov_b32 s0, exec_lo
	v_cmpx_gt_u32_e32 32, v0
	s_cbranch_execz .LBB202_15
; %bb.14:
	v_mov_b32_e32 v1, 0xff
	global_store_byte v0, v1, s[8:9]
.LBB202_15:
	s_endpgm
	.section	.rodata,"a",@progbits
	.p2align	6, 0x0
	.amdhsa_kernel _ZN7rocprim17ROCPRIM_400000_NS6detail31init_lookback_scan_state_kernelINS1_19lookback_scan_stateIN3c107complexIdEELb1ELb0EEENS1_16block_id_wrapperIjLb1EEEEEvT_jT0_jPNSA_10value_typeE
		.amdhsa_group_segment_fixed_size 0
		.amdhsa_private_segment_fixed_size 0
		.amdhsa_kernarg_size 312
		.amdhsa_user_sgpr_count 6
		.amdhsa_user_sgpr_private_segment_buffer 1
		.amdhsa_user_sgpr_dispatch_ptr 0
		.amdhsa_user_sgpr_queue_ptr 0
		.amdhsa_user_sgpr_kernarg_segment_ptr 1
		.amdhsa_user_sgpr_dispatch_id 0
		.amdhsa_user_sgpr_flat_scratch_init 0
		.amdhsa_user_sgpr_private_segment_size 0
		.amdhsa_wavefront_size32 1
		.amdhsa_uses_dynamic_stack 0
		.amdhsa_system_sgpr_private_segment_wavefront_offset 0
		.amdhsa_system_sgpr_workgroup_id_x 1
		.amdhsa_system_sgpr_workgroup_id_y 0
		.amdhsa_system_sgpr_workgroup_id_z 0
		.amdhsa_system_sgpr_workgroup_info 0
		.amdhsa_system_vgpr_workitem_id 0
		.amdhsa_next_free_vgpr 6
		.amdhsa_next_free_sgpr 19
		.amdhsa_reserve_vcc 1
		.amdhsa_reserve_flat_scratch 0
		.amdhsa_float_round_mode_32 0
		.amdhsa_float_round_mode_16_64 0
		.amdhsa_float_denorm_mode_32 3
		.amdhsa_float_denorm_mode_16_64 3
		.amdhsa_dx10_clamp 1
		.amdhsa_ieee_mode 1
		.amdhsa_fp16_overflow 0
		.amdhsa_workgroup_processor_mode 1
		.amdhsa_memory_ordered 1
		.amdhsa_forward_progress 1
		.amdhsa_shared_vgpr_count 0
		.amdhsa_exception_fp_ieee_invalid_op 0
		.amdhsa_exception_fp_denorm_src 0
		.amdhsa_exception_fp_ieee_div_zero 0
		.amdhsa_exception_fp_ieee_overflow 0
		.amdhsa_exception_fp_ieee_underflow 0
		.amdhsa_exception_fp_ieee_inexact 0
		.amdhsa_exception_int_div_zero 0
	.end_amdhsa_kernel
	.section	.text._ZN7rocprim17ROCPRIM_400000_NS6detail31init_lookback_scan_state_kernelINS1_19lookback_scan_stateIN3c107complexIdEELb1ELb0EEENS1_16block_id_wrapperIjLb1EEEEEvT_jT0_jPNSA_10value_typeE,"axG",@progbits,_ZN7rocprim17ROCPRIM_400000_NS6detail31init_lookback_scan_state_kernelINS1_19lookback_scan_stateIN3c107complexIdEELb1ELb0EEENS1_16block_id_wrapperIjLb1EEEEEvT_jT0_jPNSA_10value_typeE,comdat
.Lfunc_end202:
	.size	_ZN7rocprim17ROCPRIM_400000_NS6detail31init_lookback_scan_state_kernelINS1_19lookback_scan_stateIN3c107complexIdEELb1ELb0EEENS1_16block_id_wrapperIjLb1EEEEEvT_jT0_jPNSA_10value_typeE, .Lfunc_end202-_ZN7rocprim17ROCPRIM_400000_NS6detail31init_lookback_scan_state_kernelINS1_19lookback_scan_stateIN3c107complexIdEELb1ELb0EEENS1_16block_id_wrapperIjLb1EEEEEvT_jT0_jPNSA_10value_typeE
                                        ; -- End function
	.set _ZN7rocprim17ROCPRIM_400000_NS6detail31init_lookback_scan_state_kernelINS1_19lookback_scan_stateIN3c107complexIdEELb1ELb0EEENS1_16block_id_wrapperIjLb1EEEEEvT_jT0_jPNSA_10value_typeE.num_vgpr, 6
	.set _ZN7rocprim17ROCPRIM_400000_NS6detail31init_lookback_scan_state_kernelINS1_19lookback_scan_stateIN3c107complexIdEELb1ELb0EEENS1_16block_id_wrapperIjLb1EEEEEvT_jT0_jPNSA_10value_typeE.num_agpr, 0
	.set _ZN7rocprim17ROCPRIM_400000_NS6detail31init_lookback_scan_state_kernelINS1_19lookback_scan_stateIN3c107complexIdEELb1ELb0EEENS1_16block_id_wrapperIjLb1EEEEEvT_jT0_jPNSA_10value_typeE.numbered_sgpr, 19
	.set _ZN7rocprim17ROCPRIM_400000_NS6detail31init_lookback_scan_state_kernelINS1_19lookback_scan_stateIN3c107complexIdEELb1ELb0EEENS1_16block_id_wrapperIjLb1EEEEEvT_jT0_jPNSA_10value_typeE.num_named_barrier, 0
	.set _ZN7rocprim17ROCPRIM_400000_NS6detail31init_lookback_scan_state_kernelINS1_19lookback_scan_stateIN3c107complexIdEELb1ELb0EEENS1_16block_id_wrapperIjLb1EEEEEvT_jT0_jPNSA_10value_typeE.private_seg_size, 0
	.set _ZN7rocprim17ROCPRIM_400000_NS6detail31init_lookback_scan_state_kernelINS1_19lookback_scan_stateIN3c107complexIdEELb1ELb0EEENS1_16block_id_wrapperIjLb1EEEEEvT_jT0_jPNSA_10value_typeE.uses_vcc, 1
	.set _ZN7rocprim17ROCPRIM_400000_NS6detail31init_lookback_scan_state_kernelINS1_19lookback_scan_stateIN3c107complexIdEELb1ELb0EEENS1_16block_id_wrapperIjLb1EEEEEvT_jT0_jPNSA_10value_typeE.uses_flat_scratch, 0
	.set _ZN7rocprim17ROCPRIM_400000_NS6detail31init_lookback_scan_state_kernelINS1_19lookback_scan_stateIN3c107complexIdEELb1ELb0EEENS1_16block_id_wrapperIjLb1EEEEEvT_jT0_jPNSA_10value_typeE.has_dyn_sized_stack, 0
	.set _ZN7rocprim17ROCPRIM_400000_NS6detail31init_lookback_scan_state_kernelINS1_19lookback_scan_stateIN3c107complexIdEELb1ELb0EEENS1_16block_id_wrapperIjLb1EEEEEvT_jT0_jPNSA_10value_typeE.has_recursion, 0
	.set _ZN7rocprim17ROCPRIM_400000_NS6detail31init_lookback_scan_state_kernelINS1_19lookback_scan_stateIN3c107complexIdEELb1ELb0EEENS1_16block_id_wrapperIjLb1EEEEEvT_jT0_jPNSA_10value_typeE.has_indirect_call, 0
	.section	.AMDGPU.csdata,"",@progbits
; Kernel info:
; codeLenInByte = 424
; TotalNumSgprs: 21
; NumVgprs: 6
; ScratchSize: 0
; MemoryBound: 0
; FloatMode: 240
; IeeeMode: 1
; LDSByteSize: 0 bytes/workgroup (compile time only)
; SGPRBlocks: 0
; VGPRBlocks: 0
; NumSGPRsForWavesPerEU: 21
; NumVGPRsForWavesPerEU: 6
; Occupancy: 16
; WaveLimiterHint : 0
; COMPUTE_PGM_RSRC2:SCRATCH_EN: 0
; COMPUTE_PGM_RSRC2:USER_SGPR: 6
; COMPUTE_PGM_RSRC2:TRAP_HANDLER: 0
; COMPUTE_PGM_RSRC2:TGID_X_EN: 1
; COMPUTE_PGM_RSRC2:TGID_Y_EN: 0
; COMPUTE_PGM_RSRC2:TGID_Z_EN: 0
; COMPUTE_PGM_RSRC2:TIDIG_COMP_CNT: 0
	.section	.text._ZN7rocprim17ROCPRIM_400000_NS6detail17trampoline_kernelINS0_14default_configENS1_20scan_config_selectorIN3c107complexIdEEEEZZNS1_9scan_implILNS1_25lookback_scan_determinismE0ELb0ELb0ES3_PKS7_PS7_S7_ZZZN2at6native31launch_logcumsumexp_cuda_kernelERKNSE_10TensorBaseESI_lENKUlvE_clEvENKUlvE1_clEvEUlS7_S7_E_S7_EEDaPvRmT3_T4_T5_mT6_P12ihipStream_tbENKUlT_T0_E_clISt17integral_constantIbLb1EESZ_EEDaSU_SV_EUlSU_E_NS1_11comp_targetILNS1_3genE0ELNS1_11target_archE4294967295ELNS1_3gpuE0ELNS1_3repE0EEENS1_30default_config_static_selectorELNS0_4arch9wavefront6targetE0EEEvT1_,"axG",@progbits,_ZN7rocprim17ROCPRIM_400000_NS6detail17trampoline_kernelINS0_14default_configENS1_20scan_config_selectorIN3c107complexIdEEEEZZNS1_9scan_implILNS1_25lookback_scan_determinismE0ELb0ELb0ES3_PKS7_PS7_S7_ZZZN2at6native31launch_logcumsumexp_cuda_kernelERKNSE_10TensorBaseESI_lENKUlvE_clEvENKUlvE1_clEvEUlS7_S7_E_S7_EEDaPvRmT3_T4_T5_mT6_P12ihipStream_tbENKUlT_T0_E_clISt17integral_constantIbLb1EESZ_EEDaSU_SV_EUlSU_E_NS1_11comp_targetILNS1_3genE0ELNS1_11target_archE4294967295ELNS1_3gpuE0ELNS1_3repE0EEENS1_30default_config_static_selectorELNS0_4arch9wavefront6targetE0EEEvT1_,comdat
	.globl	_ZN7rocprim17ROCPRIM_400000_NS6detail17trampoline_kernelINS0_14default_configENS1_20scan_config_selectorIN3c107complexIdEEEEZZNS1_9scan_implILNS1_25lookback_scan_determinismE0ELb0ELb0ES3_PKS7_PS7_S7_ZZZN2at6native31launch_logcumsumexp_cuda_kernelERKNSE_10TensorBaseESI_lENKUlvE_clEvENKUlvE1_clEvEUlS7_S7_E_S7_EEDaPvRmT3_T4_T5_mT6_P12ihipStream_tbENKUlT_T0_E_clISt17integral_constantIbLb1EESZ_EEDaSU_SV_EUlSU_E_NS1_11comp_targetILNS1_3genE0ELNS1_11target_archE4294967295ELNS1_3gpuE0ELNS1_3repE0EEENS1_30default_config_static_selectorELNS0_4arch9wavefront6targetE0EEEvT1_ ; -- Begin function _ZN7rocprim17ROCPRIM_400000_NS6detail17trampoline_kernelINS0_14default_configENS1_20scan_config_selectorIN3c107complexIdEEEEZZNS1_9scan_implILNS1_25lookback_scan_determinismE0ELb0ELb0ES3_PKS7_PS7_S7_ZZZN2at6native31launch_logcumsumexp_cuda_kernelERKNSE_10TensorBaseESI_lENKUlvE_clEvENKUlvE1_clEvEUlS7_S7_E_S7_EEDaPvRmT3_T4_T5_mT6_P12ihipStream_tbENKUlT_T0_E_clISt17integral_constantIbLb1EESZ_EEDaSU_SV_EUlSU_E_NS1_11comp_targetILNS1_3genE0ELNS1_11target_archE4294967295ELNS1_3gpuE0ELNS1_3repE0EEENS1_30default_config_static_selectorELNS0_4arch9wavefront6targetE0EEEvT1_
	.p2align	8
	.type	_ZN7rocprim17ROCPRIM_400000_NS6detail17trampoline_kernelINS0_14default_configENS1_20scan_config_selectorIN3c107complexIdEEEEZZNS1_9scan_implILNS1_25lookback_scan_determinismE0ELb0ELb0ES3_PKS7_PS7_S7_ZZZN2at6native31launch_logcumsumexp_cuda_kernelERKNSE_10TensorBaseESI_lENKUlvE_clEvENKUlvE1_clEvEUlS7_S7_E_S7_EEDaPvRmT3_T4_T5_mT6_P12ihipStream_tbENKUlT_T0_E_clISt17integral_constantIbLb1EESZ_EEDaSU_SV_EUlSU_E_NS1_11comp_targetILNS1_3genE0ELNS1_11target_archE4294967295ELNS1_3gpuE0ELNS1_3repE0EEENS1_30default_config_static_selectorELNS0_4arch9wavefront6targetE0EEEvT1_,@function
_ZN7rocprim17ROCPRIM_400000_NS6detail17trampoline_kernelINS0_14default_configENS1_20scan_config_selectorIN3c107complexIdEEEEZZNS1_9scan_implILNS1_25lookback_scan_determinismE0ELb0ELb0ES3_PKS7_PS7_S7_ZZZN2at6native31launch_logcumsumexp_cuda_kernelERKNSE_10TensorBaseESI_lENKUlvE_clEvENKUlvE1_clEvEUlS7_S7_E_S7_EEDaPvRmT3_T4_T5_mT6_P12ihipStream_tbENKUlT_T0_E_clISt17integral_constantIbLb1EESZ_EEDaSU_SV_EUlSU_E_NS1_11comp_targetILNS1_3genE0ELNS1_11target_archE4294967295ELNS1_3gpuE0ELNS1_3repE0EEENS1_30default_config_static_selectorELNS0_4arch9wavefront6targetE0EEEvT1_: ; @_ZN7rocprim17ROCPRIM_400000_NS6detail17trampoline_kernelINS0_14default_configENS1_20scan_config_selectorIN3c107complexIdEEEEZZNS1_9scan_implILNS1_25lookback_scan_determinismE0ELb0ELb0ES3_PKS7_PS7_S7_ZZZN2at6native31launch_logcumsumexp_cuda_kernelERKNSE_10TensorBaseESI_lENKUlvE_clEvENKUlvE1_clEvEUlS7_S7_E_S7_EEDaPvRmT3_T4_T5_mT6_P12ihipStream_tbENKUlT_T0_E_clISt17integral_constantIbLb1EESZ_EEDaSU_SV_EUlSU_E_NS1_11comp_targetILNS1_3genE0ELNS1_11target_archE4294967295ELNS1_3gpuE0ELNS1_3repE0EEENS1_30default_config_static_selectorELNS0_4arch9wavefront6targetE0EEEvT1_
; %bb.0:
	.section	.rodata,"a",@progbits
	.p2align	6, 0x0
	.amdhsa_kernel _ZN7rocprim17ROCPRIM_400000_NS6detail17trampoline_kernelINS0_14default_configENS1_20scan_config_selectorIN3c107complexIdEEEEZZNS1_9scan_implILNS1_25lookback_scan_determinismE0ELb0ELb0ES3_PKS7_PS7_S7_ZZZN2at6native31launch_logcumsumexp_cuda_kernelERKNSE_10TensorBaseESI_lENKUlvE_clEvENKUlvE1_clEvEUlS7_S7_E_S7_EEDaPvRmT3_T4_T5_mT6_P12ihipStream_tbENKUlT_T0_E_clISt17integral_constantIbLb1EESZ_EEDaSU_SV_EUlSU_E_NS1_11comp_targetILNS1_3genE0ELNS1_11target_archE4294967295ELNS1_3gpuE0ELNS1_3repE0EEENS1_30default_config_static_selectorELNS0_4arch9wavefront6targetE0EEEvT1_
		.amdhsa_group_segment_fixed_size 0
		.amdhsa_private_segment_fixed_size 0
		.amdhsa_kernarg_size 128
		.amdhsa_user_sgpr_count 6
		.amdhsa_user_sgpr_private_segment_buffer 1
		.amdhsa_user_sgpr_dispatch_ptr 0
		.amdhsa_user_sgpr_queue_ptr 0
		.amdhsa_user_sgpr_kernarg_segment_ptr 1
		.amdhsa_user_sgpr_dispatch_id 0
		.amdhsa_user_sgpr_flat_scratch_init 0
		.amdhsa_user_sgpr_private_segment_size 0
		.amdhsa_wavefront_size32 1
		.amdhsa_uses_dynamic_stack 0
		.amdhsa_system_sgpr_private_segment_wavefront_offset 0
		.amdhsa_system_sgpr_workgroup_id_x 1
		.amdhsa_system_sgpr_workgroup_id_y 0
		.amdhsa_system_sgpr_workgroup_id_z 0
		.amdhsa_system_sgpr_workgroup_info 0
		.amdhsa_system_vgpr_workitem_id 0
		.amdhsa_next_free_vgpr 1
		.amdhsa_next_free_sgpr 1
		.amdhsa_reserve_vcc 0
		.amdhsa_reserve_flat_scratch 0
		.amdhsa_float_round_mode_32 0
		.amdhsa_float_round_mode_16_64 0
		.amdhsa_float_denorm_mode_32 3
		.amdhsa_float_denorm_mode_16_64 3
		.amdhsa_dx10_clamp 1
		.amdhsa_ieee_mode 1
		.amdhsa_fp16_overflow 0
		.amdhsa_workgroup_processor_mode 1
		.amdhsa_memory_ordered 1
		.amdhsa_forward_progress 1
		.amdhsa_shared_vgpr_count 0
		.amdhsa_exception_fp_ieee_invalid_op 0
		.amdhsa_exception_fp_denorm_src 0
		.amdhsa_exception_fp_ieee_div_zero 0
		.amdhsa_exception_fp_ieee_overflow 0
		.amdhsa_exception_fp_ieee_underflow 0
		.amdhsa_exception_fp_ieee_inexact 0
		.amdhsa_exception_int_div_zero 0
	.end_amdhsa_kernel
	.section	.text._ZN7rocprim17ROCPRIM_400000_NS6detail17trampoline_kernelINS0_14default_configENS1_20scan_config_selectorIN3c107complexIdEEEEZZNS1_9scan_implILNS1_25lookback_scan_determinismE0ELb0ELb0ES3_PKS7_PS7_S7_ZZZN2at6native31launch_logcumsumexp_cuda_kernelERKNSE_10TensorBaseESI_lENKUlvE_clEvENKUlvE1_clEvEUlS7_S7_E_S7_EEDaPvRmT3_T4_T5_mT6_P12ihipStream_tbENKUlT_T0_E_clISt17integral_constantIbLb1EESZ_EEDaSU_SV_EUlSU_E_NS1_11comp_targetILNS1_3genE0ELNS1_11target_archE4294967295ELNS1_3gpuE0ELNS1_3repE0EEENS1_30default_config_static_selectorELNS0_4arch9wavefront6targetE0EEEvT1_,"axG",@progbits,_ZN7rocprim17ROCPRIM_400000_NS6detail17trampoline_kernelINS0_14default_configENS1_20scan_config_selectorIN3c107complexIdEEEEZZNS1_9scan_implILNS1_25lookback_scan_determinismE0ELb0ELb0ES3_PKS7_PS7_S7_ZZZN2at6native31launch_logcumsumexp_cuda_kernelERKNSE_10TensorBaseESI_lENKUlvE_clEvENKUlvE1_clEvEUlS7_S7_E_S7_EEDaPvRmT3_T4_T5_mT6_P12ihipStream_tbENKUlT_T0_E_clISt17integral_constantIbLb1EESZ_EEDaSU_SV_EUlSU_E_NS1_11comp_targetILNS1_3genE0ELNS1_11target_archE4294967295ELNS1_3gpuE0ELNS1_3repE0EEENS1_30default_config_static_selectorELNS0_4arch9wavefront6targetE0EEEvT1_,comdat
.Lfunc_end203:
	.size	_ZN7rocprim17ROCPRIM_400000_NS6detail17trampoline_kernelINS0_14default_configENS1_20scan_config_selectorIN3c107complexIdEEEEZZNS1_9scan_implILNS1_25lookback_scan_determinismE0ELb0ELb0ES3_PKS7_PS7_S7_ZZZN2at6native31launch_logcumsumexp_cuda_kernelERKNSE_10TensorBaseESI_lENKUlvE_clEvENKUlvE1_clEvEUlS7_S7_E_S7_EEDaPvRmT3_T4_T5_mT6_P12ihipStream_tbENKUlT_T0_E_clISt17integral_constantIbLb1EESZ_EEDaSU_SV_EUlSU_E_NS1_11comp_targetILNS1_3genE0ELNS1_11target_archE4294967295ELNS1_3gpuE0ELNS1_3repE0EEENS1_30default_config_static_selectorELNS0_4arch9wavefront6targetE0EEEvT1_, .Lfunc_end203-_ZN7rocprim17ROCPRIM_400000_NS6detail17trampoline_kernelINS0_14default_configENS1_20scan_config_selectorIN3c107complexIdEEEEZZNS1_9scan_implILNS1_25lookback_scan_determinismE0ELb0ELb0ES3_PKS7_PS7_S7_ZZZN2at6native31launch_logcumsumexp_cuda_kernelERKNSE_10TensorBaseESI_lENKUlvE_clEvENKUlvE1_clEvEUlS7_S7_E_S7_EEDaPvRmT3_T4_T5_mT6_P12ihipStream_tbENKUlT_T0_E_clISt17integral_constantIbLb1EESZ_EEDaSU_SV_EUlSU_E_NS1_11comp_targetILNS1_3genE0ELNS1_11target_archE4294967295ELNS1_3gpuE0ELNS1_3repE0EEENS1_30default_config_static_selectorELNS0_4arch9wavefront6targetE0EEEvT1_
                                        ; -- End function
	.set _ZN7rocprim17ROCPRIM_400000_NS6detail17trampoline_kernelINS0_14default_configENS1_20scan_config_selectorIN3c107complexIdEEEEZZNS1_9scan_implILNS1_25lookback_scan_determinismE0ELb0ELb0ES3_PKS7_PS7_S7_ZZZN2at6native31launch_logcumsumexp_cuda_kernelERKNSE_10TensorBaseESI_lENKUlvE_clEvENKUlvE1_clEvEUlS7_S7_E_S7_EEDaPvRmT3_T4_T5_mT6_P12ihipStream_tbENKUlT_T0_E_clISt17integral_constantIbLb1EESZ_EEDaSU_SV_EUlSU_E_NS1_11comp_targetILNS1_3genE0ELNS1_11target_archE4294967295ELNS1_3gpuE0ELNS1_3repE0EEENS1_30default_config_static_selectorELNS0_4arch9wavefront6targetE0EEEvT1_.num_vgpr, 0
	.set _ZN7rocprim17ROCPRIM_400000_NS6detail17trampoline_kernelINS0_14default_configENS1_20scan_config_selectorIN3c107complexIdEEEEZZNS1_9scan_implILNS1_25lookback_scan_determinismE0ELb0ELb0ES3_PKS7_PS7_S7_ZZZN2at6native31launch_logcumsumexp_cuda_kernelERKNSE_10TensorBaseESI_lENKUlvE_clEvENKUlvE1_clEvEUlS7_S7_E_S7_EEDaPvRmT3_T4_T5_mT6_P12ihipStream_tbENKUlT_T0_E_clISt17integral_constantIbLb1EESZ_EEDaSU_SV_EUlSU_E_NS1_11comp_targetILNS1_3genE0ELNS1_11target_archE4294967295ELNS1_3gpuE0ELNS1_3repE0EEENS1_30default_config_static_selectorELNS0_4arch9wavefront6targetE0EEEvT1_.num_agpr, 0
	.set _ZN7rocprim17ROCPRIM_400000_NS6detail17trampoline_kernelINS0_14default_configENS1_20scan_config_selectorIN3c107complexIdEEEEZZNS1_9scan_implILNS1_25lookback_scan_determinismE0ELb0ELb0ES3_PKS7_PS7_S7_ZZZN2at6native31launch_logcumsumexp_cuda_kernelERKNSE_10TensorBaseESI_lENKUlvE_clEvENKUlvE1_clEvEUlS7_S7_E_S7_EEDaPvRmT3_T4_T5_mT6_P12ihipStream_tbENKUlT_T0_E_clISt17integral_constantIbLb1EESZ_EEDaSU_SV_EUlSU_E_NS1_11comp_targetILNS1_3genE0ELNS1_11target_archE4294967295ELNS1_3gpuE0ELNS1_3repE0EEENS1_30default_config_static_selectorELNS0_4arch9wavefront6targetE0EEEvT1_.numbered_sgpr, 0
	.set _ZN7rocprim17ROCPRIM_400000_NS6detail17trampoline_kernelINS0_14default_configENS1_20scan_config_selectorIN3c107complexIdEEEEZZNS1_9scan_implILNS1_25lookback_scan_determinismE0ELb0ELb0ES3_PKS7_PS7_S7_ZZZN2at6native31launch_logcumsumexp_cuda_kernelERKNSE_10TensorBaseESI_lENKUlvE_clEvENKUlvE1_clEvEUlS7_S7_E_S7_EEDaPvRmT3_T4_T5_mT6_P12ihipStream_tbENKUlT_T0_E_clISt17integral_constantIbLb1EESZ_EEDaSU_SV_EUlSU_E_NS1_11comp_targetILNS1_3genE0ELNS1_11target_archE4294967295ELNS1_3gpuE0ELNS1_3repE0EEENS1_30default_config_static_selectorELNS0_4arch9wavefront6targetE0EEEvT1_.num_named_barrier, 0
	.set _ZN7rocprim17ROCPRIM_400000_NS6detail17trampoline_kernelINS0_14default_configENS1_20scan_config_selectorIN3c107complexIdEEEEZZNS1_9scan_implILNS1_25lookback_scan_determinismE0ELb0ELb0ES3_PKS7_PS7_S7_ZZZN2at6native31launch_logcumsumexp_cuda_kernelERKNSE_10TensorBaseESI_lENKUlvE_clEvENKUlvE1_clEvEUlS7_S7_E_S7_EEDaPvRmT3_T4_T5_mT6_P12ihipStream_tbENKUlT_T0_E_clISt17integral_constantIbLb1EESZ_EEDaSU_SV_EUlSU_E_NS1_11comp_targetILNS1_3genE0ELNS1_11target_archE4294967295ELNS1_3gpuE0ELNS1_3repE0EEENS1_30default_config_static_selectorELNS0_4arch9wavefront6targetE0EEEvT1_.private_seg_size, 0
	.set _ZN7rocprim17ROCPRIM_400000_NS6detail17trampoline_kernelINS0_14default_configENS1_20scan_config_selectorIN3c107complexIdEEEEZZNS1_9scan_implILNS1_25lookback_scan_determinismE0ELb0ELb0ES3_PKS7_PS7_S7_ZZZN2at6native31launch_logcumsumexp_cuda_kernelERKNSE_10TensorBaseESI_lENKUlvE_clEvENKUlvE1_clEvEUlS7_S7_E_S7_EEDaPvRmT3_T4_T5_mT6_P12ihipStream_tbENKUlT_T0_E_clISt17integral_constantIbLb1EESZ_EEDaSU_SV_EUlSU_E_NS1_11comp_targetILNS1_3genE0ELNS1_11target_archE4294967295ELNS1_3gpuE0ELNS1_3repE0EEENS1_30default_config_static_selectorELNS0_4arch9wavefront6targetE0EEEvT1_.uses_vcc, 0
	.set _ZN7rocprim17ROCPRIM_400000_NS6detail17trampoline_kernelINS0_14default_configENS1_20scan_config_selectorIN3c107complexIdEEEEZZNS1_9scan_implILNS1_25lookback_scan_determinismE0ELb0ELb0ES3_PKS7_PS7_S7_ZZZN2at6native31launch_logcumsumexp_cuda_kernelERKNSE_10TensorBaseESI_lENKUlvE_clEvENKUlvE1_clEvEUlS7_S7_E_S7_EEDaPvRmT3_T4_T5_mT6_P12ihipStream_tbENKUlT_T0_E_clISt17integral_constantIbLb1EESZ_EEDaSU_SV_EUlSU_E_NS1_11comp_targetILNS1_3genE0ELNS1_11target_archE4294967295ELNS1_3gpuE0ELNS1_3repE0EEENS1_30default_config_static_selectorELNS0_4arch9wavefront6targetE0EEEvT1_.uses_flat_scratch, 0
	.set _ZN7rocprim17ROCPRIM_400000_NS6detail17trampoline_kernelINS0_14default_configENS1_20scan_config_selectorIN3c107complexIdEEEEZZNS1_9scan_implILNS1_25lookback_scan_determinismE0ELb0ELb0ES3_PKS7_PS7_S7_ZZZN2at6native31launch_logcumsumexp_cuda_kernelERKNSE_10TensorBaseESI_lENKUlvE_clEvENKUlvE1_clEvEUlS7_S7_E_S7_EEDaPvRmT3_T4_T5_mT6_P12ihipStream_tbENKUlT_T0_E_clISt17integral_constantIbLb1EESZ_EEDaSU_SV_EUlSU_E_NS1_11comp_targetILNS1_3genE0ELNS1_11target_archE4294967295ELNS1_3gpuE0ELNS1_3repE0EEENS1_30default_config_static_selectorELNS0_4arch9wavefront6targetE0EEEvT1_.has_dyn_sized_stack, 0
	.set _ZN7rocprim17ROCPRIM_400000_NS6detail17trampoline_kernelINS0_14default_configENS1_20scan_config_selectorIN3c107complexIdEEEEZZNS1_9scan_implILNS1_25lookback_scan_determinismE0ELb0ELb0ES3_PKS7_PS7_S7_ZZZN2at6native31launch_logcumsumexp_cuda_kernelERKNSE_10TensorBaseESI_lENKUlvE_clEvENKUlvE1_clEvEUlS7_S7_E_S7_EEDaPvRmT3_T4_T5_mT6_P12ihipStream_tbENKUlT_T0_E_clISt17integral_constantIbLb1EESZ_EEDaSU_SV_EUlSU_E_NS1_11comp_targetILNS1_3genE0ELNS1_11target_archE4294967295ELNS1_3gpuE0ELNS1_3repE0EEENS1_30default_config_static_selectorELNS0_4arch9wavefront6targetE0EEEvT1_.has_recursion, 0
	.set _ZN7rocprim17ROCPRIM_400000_NS6detail17trampoline_kernelINS0_14default_configENS1_20scan_config_selectorIN3c107complexIdEEEEZZNS1_9scan_implILNS1_25lookback_scan_determinismE0ELb0ELb0ES3_PKS7_PS7_S7_ZZZN2at6native31launch_logcumsumexp_cuda_kernelERKNSE_10TensorBaseESI_lENKUlvE_clEvENKUlvE1_clEvEUlS7_S7_E_S7_EEDaPvRmT3_T4_T5_mT6_P12ihipStream_tbENKUlT_T0_E_clISt17integral_constantIbLb1EESZ_EEDaSU_SV_EUlSU_E_NS1_11comp_targetILNS1_3genE0ELNS1_11target_archE4294967295ELNS1_3gpuE0ELNS1_3repE0EEENS1_30default_config_static_selectorELNS0_4arch9wavefront6targetE0EEEvT1_.has_indirect_call, 0
	.section	.AMDGPU.csdata,"",@progbits
; Kernel info:
; codeLenInByte = 0
; TotalNumSgprs: 0
; NumVgprs: 0
; ScratchSize: 0
; MemoryBound: 0
; FloatMode: 240
; IeeeMode: 1
; LDSByteSize: 0 bytes/workgroup (compile time only)
; SGPRBlocks: 0
; VGPRBlocks: 0
; NumSGPRsForWavesPerEU: 1
; NumVGPRsForWavesPerEU: 1
; Occupancy: 16
; WaveLimiterHint : 0
; COMPUTE_PGM_RSRC2:SCRATCH_EN: 0
; COMPUTE_PGM_RSRC2:USER_SGPR: 6
; COMPUTE_PGM_RSRC2:TRAP_HANDLER: 0
; COMPUTE_PGM_RSRC2:TGID_X_EN: 1
; COMPUTE_PGM_RSRC2:TGID_Y_EN: 0
; COMPUTE_PGM_RSRC2:TGID_Z_EN: 0
; COMPUTE_PGM_RSRC2:TIDIG_COMP_CNT: 0
	.section	.text._ZN7rocprim17ROCPRIM_400000_NS6detail17trampoline_kernelINS0_14default_configENS1_20scan_config_selectorIN3c107complexIdEEEEZZNS1_9scan_implILNS1_25lookback_scan_determinismE0ELb0ELb0ES3_PKS7_PS7_S7_ZZZN2at6native31launch_logcumsumexp_cuda_kernelERKNSE_10TensorBaseESI_lENKUlvE_clEvENKUlvE1_clEvEUlS7_S7_E_S7_EEDaPvRmT3_T4_T5_mT6_P12ihipStream_tbENKUlT_T0_E_clISt17integral_constantIbLb1EESZ_EEDaSU_SV_EUlSU_E_NS1_11comp_targetILNS1_3genE5ELNS1_11target_archE942ELNS1_3gpuE9ELNS1_3repE0EEENS1_30default_config_static_selectorELNS0_4arch9wavefront6targetE0EEEvT1_,"axG",@progbits,_ZN7rocprim17ROCPRIM_400000_NS6detail17trampoline_kernelINS0_14default_configENS1_20scan_config_selectorIN3c107complexIdEEEEZZNS1_9scan_implILNS1_25lookback_scan_determinismE0ELb0ELb0ES3_PKS7_PS7_S7_ZZZN2at6native31launch_logcumsumexp_cuda_kernelERKNSE_10TensorBaseESI_lENKUlvE_clEvENKUlvE1_clEvEUlS7_S7_E_S7_EEDaPvRmT3_T4_T5_mT6_P12ihipStream_tbENKUlT_T0_E_clISt17integral_constantIbLb1EESZ_EEDaSU_SV_EUlSU_E_NS1_11comp_targetILNS1_3genE5ELNS1_11target_archE942ELNS1_3gpuE9ELNS1_3repE0EEENS1_30default_config_static_selectorELNS0_4arch9wavefront6targetE0EEEvT1_,comdat
	.globl	_ZN7rocprim17ROCPRIM_400000_NS6detail17trampoline_kernelINS0_14default_configENS1_20scan_config_selectorIN3c107complexIdEEEEZZNS1_9scan_implILNS1_25lookback_scan_determinismE0ELb0ELb0ES3_PKS7_PS7_S7_ZZZN2at6native31launch_logcumsumexp_cuda_kernelERKNSE_10TensorBaseESI_lENKUlvE_clEvENKUlvE1_clEvEUlS7_S7_E_S7_EEDaPvRmT3_T4_T5_mT6_P12ihipStream_tbENKUlT_T0_E_clISt17integral_constantIbLb1EESZ_EEDaSU_SV_EUlSU_E_NS1_11comp_targetILNS1_3genE5ELNS1_11target_archE942ELNS1_3gpuE9ELNS1_3repE0EEENS1_30default_config_static_selectorELNS0_4arch9wavefront6targetE0EEEvT1_ ; -- Begin function _ZN7rocprim17ROCPRIM_400000_NS6detail17trampoline_kernelINS0_14default_configENS1_20scan_config_selectorIN3c107complexIdEEEEZZNS1_9scan_implILNS1_25lookback_scan_determinismE0ELb0ELb0ES3_PKS7_PS7_S7_ZZZN2at6native31launch_logcumsumexp_cuda_kernelERKNSE_10TensorBaseESI_lENKUlvE_clEvENKUlvE1_clEvEUlS7_S7_E_S7_EEDaPvRmT3_T4_T5_mT6_P12ihipStream_tbENKUlT_T0_E_clISt17integral_constantIbLb1EESZ_EEDaSU_SV_EUlSU_E_NS1_11comp_targetILNS1_3genE5ELNS1_11target_archE942ELNS1_3gpuE9ELNS1_3repE0EEENS1_30default_config_static_selectorELNS0_4arch9wavefront6targetE0EEEvT1_
	.p2align	8
	.type	_ZN7rocprim17ROCPRIM_400000_NS6detail17trampoline_kernelINS0_14default_configENS1_20scan_config_selectorIN3c107complexIdEEEEZZNS1_9scan_implILNS1_25lookback_scan_determinismE0ELb0ELb0ES3_PKS7_PS7_S7_ZZZN2at6native31launch_logcumsumexp_cuda_kernelERKNSE_10TensorBaseESI_lENKUlvE_clEvENKUlvE1_clEvEUlS7_S7_E_S7_EEDaPvRmT3_T4_T5_mT6_P12ihipStream_tbENKUlT_T0_E_clISt17integral_constantIbLb1EESZ_EEDaSU_SV_EUlSU_E_NS1_11comp_targetILNS1_3genE5ELNS1_11target_archE942ELNS1_3gpuE9ELNS1_3repE0EEENS1_30default_config_static_selectorELNS0_4arch9wavefront6targetE0EEEvT1_,@function
_ZN7rocprim17ROCPRIM_400000_NS6detail17trampoline_kernelINS0_14default_configENS1_20scan_config_selectorIN3c107complexIdEEEEZZNS1_9scan_implILNS1_25lookback_scan_determinismE0ELb0ELb0ES3_PKS7_PS7_S7_ZZZN2at6native31launch_logcumsumexp_cuda_kernelERKNSE_10TensorBaseESI_lENKUlvE_clEvENKUlvE1_clEvEUlS7_S7_E_S7_EEDaPvRmT3_T4_T5_mT6_P12ihipStream_tbENKUlT_T0_E_clISt17integral_constantIbLb1EESZ_EEDaSU_SV_EUlSU_E_NS1_11comp_targetILNS1_3genE5ELNS1_11target_archE942ELNS1_3gpuE9ELNS1_3repE0EEENS1_30default_config_static_selectorELNS0_4arch9wavefront6targetE0EEEvT1_: ; @_ZN7rocprim17ROCPRIM_400000_NS6detail17trampoline_kernelINS0_14default_configENS1_20scan_config_selectorIN3c107complexIdEEEEZZNS1_9scan_implILNS1_25lookback_scan_determinismE0ELb0ELb0ES3_PKS7_PS7_S7_ZZZN2at6native31launch_logcumsumexp_cuda_kernelERKNSE_10TensorBaseESI_lENKUlvE_clEvENKUlvE1_clEvEUlS7_S7_E_S7_EEDaPvRmT3_T4_T5_mT6_P12ihipStream_tbENKUlT_T0_E_clISt17integral_constantIbLb1EESZ_EEDaSU_SV_EUlSU_E_NS1_11comp_targetILNS1_3genE5ELNS1_11target_archE942ELNS1_3gpuE9ELNS1_3repE0EEENS1_30default_config_static_selectorELNS0_4arch9wavefront6targetE0EEEvT1_
; %bb.0:
	.section	.rodata,"a",@progbits
	.p2align	6, 0x0
	.amdhsa_kernel _ZN7rocprim17ROCPRIM_400000_NS6detail17trampoline_kernelINS0_14default_configENS1_20scan_config_selectorIN3c107complexIdEEEEZZNS1_9scan_implILNS1_25lookback_scan_determinismE0ELb0ELb0ES3_PKS7_PS7_S7_ZZZN2at6native31launch_logcumsumexp_cuda_kernelERKNSE_10TensorBaseESI_lENKUlvE_clEvENKUlvE1_clEvEUlS7_S7_E_S7_EEDaPvRmT3_T4_T5_mT6_P12ihipStream_tbENKUlT_T0_E_clISt17integral_constantIbLb1EESZ_EEDaSU_SV_EUlSU_E_NS1_11comp_targetILNS1_3genE5ELNS1_11target_archE942ELNS1_3gpuE9ELNS1_3repE0EEENS1_30default_config_static_selectorELNS0_4arch9wavefront6targetE0EEEvT1_
		.amdhsa_group_segment_fixed_size 0
		.amdhsa_private_segment_fixed_size 0
		.amdhsa_kernarg_size 128
		.amdhsa_user_sgpr_count 6
		.amdhsa_user_sgpr_private_segment_buffer 1
		.amdhsa_user_sgpr_dispatch_ptr 0
		.amdhsa_user_sgpr_queue_ptr 0
		.amdhsa_user_sgpr_kernarg_segment_ptr 1
		.amdhsa_user_sgpr_dispatch_id 0
		.amdhsa_user_sgpr_flat_scratch_init 0
		.amdhsa_user_sgpr_private_segment_size 0
		.amdhsa_wavefront_size32 1
		.amdhsa_uses_dynamic_stack 0
		.amdhsa_system_sgpr_private_segment_wavefront_offset 0
		.amdhsa_system_sgpr_workgroup_id_x 1
		.amdhsa_system_sgpr_workgroup_id_y 0
		.amdhsa_system_sgpr_workgroup_id_z 0
		.amdhsa_system_sgpr_workgroup_info 0
		.amdhsa_system_vgpr_workitem_id 0
		.amdhsa_next_free_vgpr 1
		.amdhsa_next_free_sgpr 1
		.amdhsa_reserve_vcc 0
		.amdhsa_reserve_flat_scratch 0
		.amdhsa_float_round_mode_32 0
		.amdhsa_float_round_mode_16_64 0
		.amdhsa_float_denorm_mode_32 3
		.amdhsa_float_denorm_mode_16_64 3
		.amdhsa_dx10_clamp 1
		.amdhsa_ieee_mode 1
		.amdhsa_fp16_overflow 0
		.amdhsa_workgroup_processor_mode 1
		.amdhsa_memory_ordered 1
		.amdhsa_forward_progress 1
		.amdhsa_shared_vgpr_count 0
		.amdhsa_exception_fp_ieee_invalid_op 0
		.amdhsa_exception_fp_denorm_src 0
		.amdhsa_exception_fp_ieee_div_zero 0
		.amdhsa_exception_fp_ieee_overflow 0
		.amdhsa_exception_fp_ieee_underflow 0
		.amdhsa_exception_fp_ieee_inexact 0
		.amdhsa_exception_int_div_zero 0
	.end_amdhsa_kernel
	.section	.text._ZN7rocprim17ROCPRIM_400000_NS6detail17trampoline_kernelINS0_14default_configENS1_20scan_config_selectorIN3c107complexIdEEEEZZNS1_9scan_implILNS1_25lookback_scan_determinismE0ELb0ELb0ES3_PKS7_PS7_S7_ZZZN2at6native31launch_logcumsumexp_cuda_kernelERKNSE_10TensorBaseESI_lENKUlvE_clEvENKUlvE1_clEvEUlS7_S7_E_S7_EEDaPvRmT3_T4_T5_mT6_P12ihipStream_tbENKUlT_T0_E_clISt17integral_constantIbLb1EESZ_EEDaSU_SV_EUlSU_E_NS1_11comp_targetILNS1_3genE5ELNS1_11target_archE942ELNS1_3gpuE9ELNS1_3repE0EEENS1_30default_config_static_selectorELNS0_4arch9wavefront6targetE0EEEvT1_,"axG",@progbits,_ZN7rocprim17ROCPRIM_400000_NS6detail17trampoline_kernelINS0_14default_configENS1_20scan_config_selectorIN3c107complexIdEEEEZZNS1_9scan_implILNS1_25lookback_scan_determinismE0ELb0ELb0ES3_PKS7_PS7_S7_ZZZN2at6native31launch_logcumsumexp_cuda_kernelERKNSE_10TensorBaseESI_lENKUlvE_clEvENKUlvE1_clEvEUlS7_S7_E_S7_EEDaPvRmT3_T4_T5_mT6_P12ihipStream_tbENKUlT_T0_E_clISt17integral_constantIbLb1EESZ_EEDaSU_SV_EUlSU_E_NS1_11comp_targetILNS1_3genE5ELNS1_11target_archE942ELNS1_3gpuE9ELNS1_3repE0EEENS1_30default_config_static_selectorELNS0_4arch9wavefront6targetE0EEEvT1_,comdat
.Lfunc_end204:
	.size	_ZN7rocprim17ROCPRIM_400000_NS6detail17trampoline_kernelINS0_14default_configENS1_20scan_config_selectorIN3c107complexIdEEEEZZNS1_9scan_implILNS1_25lookback_scan_determinismE0ELb0ELb0ES3_PKS7_PS7_S7_ZZZN2at6native31launch_logcumsumexp_cuda_kernelERKNSE_10TensorBaseESI_lENKUlvE_clEvENKUlvE1_clEvEUlS7_S7_E_S7_EEDaPvRmT3_T4_T5_mT6_P12ihipStream_tbENKUlT_T0_E_clISt17integral_constantIbLb1EESZ_EEDaSU_SV_EUlSU_E_NS1_11comp_targetILNS1_3genE5ELNS1_11target_archE942ELNS1_3gpuE9ELNS1_3repE0EEENS1_30default_config_static_selectorELNS0_4arch9wavefront6targetE0EEEvT1_, .Lfunc_end204-_ZN7rocprim17ROCPRIM_400000_NS6detail17trampoline_kernelINS0_14default_configENS1_20scan_config_selectorIN3c107complexIdEEEEZZNS1_9scan_implILNS1_25lookback_scan_determinismE0ELb0ELb0ES3_PKS7_PS7_S7_ZZZN2at6native31launch_logcumsumexp_cuda_kernelERKNSE_10TensorBaseESI_lENKUlvE_clEvENKUlvE1_clEvEUlS7_S7_E_S7_EEDaPvRmT3_T4_T5_mT6_P12ihipStream_tbENKUlT_T0_E_clISt17integral_constantIbLb1EESZ_EEDaSU_SV_EUlSU_E_NS1_11comp_targetILNS1_3genE5ELNS1_11target_archE942ELNS1_3gpuE9ELNS1_3repE0EEENS1_30default_config_static_selectorELNS0_4arch9wavefront6targetE0EEEvT1_
                                        ; -- End function
	.set _ZN7rocprim17ROCPRIM_400000_NS6detail17trampoline_kernelINS0_14default_configENS1_20scan_config_selectorIN3c107complexIdEEEEZZNS1_9scan_implILNS1_25lookback_scan_determinismE0ELb0ELb0ES3_PKS7_PS7_S7_ZZZN2at6native31launch_logcumsumexp_cuda_kernelERKNSE_10TensorBaseESI_lENKUlvE_clEvENKUlvE1_clEvEUlS7_S7_E_S7_EEDaPvRmT3_T4_T5_mT6_P12ihipStream_tbENKUlT_T0_E_clISt17integral_constantIbLb1EESZ_EEDaSU_SV_EUlSU_E_NS1_11comp_targetILNS1_3genE5ELNS1_11target_archE942ELNS1_3gpuE9ELNS1_3repE0EEENS1_30default_config_static_selectorELNS0_4arch9wavefront6targetE0EEEvT1_.num_vgpr, 0
	.set _ZN7rocprim17ROCPRIM_400000_NS6detail17trampoline_kernelINS0_14default_configENS1_20scan_config_selectorIN3c107complexIdEEEEZZNS1_9scan_implILNS1_25lookback_scan_determinismE0ELb0ELb0ES3_PKS7_PS7_S7_ZZZN2at6native31launch_logcumsumexp_cuda_kernelERKNSE_10TensorBaseESI_lENKUlvE_clEvENKUlvE1_clEvEUlS7_S7_E_S7_EEDaPvRmT3_T4_T5_mT6_P12ihipStream_tbENKUlT_T0_E_clISt17integral_constantIbLb1EESZ_EEDaSU_SV_EUlSU_E_NS1_11comp_targetILNS1_3genE5ELNS1_11target_archE942ELNS1_3gpuE9ELNS1_3repE0EEENS1_30default_config_static_selectorELNS0_4arch9wavefront6targetE0EEEvT1_.num_agpr, 0
	.set _ZN7rocprim17ROCPRIM_400000_NS6detail17trampoline_kernelINS0_14default_configENS1_20scan_config_selectorIN3c107complexIdEEEEZZNS1_9scan_implILNS1_25lookback_scan_determinismE0ELb0ELb0ES3_PKS7_PS7_S7_ZZZN2at6native31launch_logcumsumexp_cuda_kernelERKNSE_10TensorBaseESI_lENKUlvE_clEvENKUlvE1_clEvEUlS7_S7_E_S7_EEDaPvRmT3_T4_T5_mT6_P12ihipStream_tbENKUlT_T0_E_clISt17integral_constantIbLb1EESZ_EEDaSU_SV_EUlSU_E_NS1_11comp_targetILNS1_3genE5ELNS1_11target_archE942ELNS1_3gpuE9ELNS1_3repE0EEENS1_30default_config_static_selectorELNS0_4arch9wavefront6targetE0EEEvT1_.numbered_sgpr, 0
	.set _ZN7rocprim17ROCPRIM_400000_NS6detail17trampoline_kernelINS0_14default_configENS1_20scan_config_selectorIN3c107complexIdEEEEZZNS1_9scan_implILNS1_25lookback_scan_determinismE0ELb0ELb0ES3_PKS7_PS7_S7_ZZZN2at6native31launch_logcumsumexp_cuda_kernelERKNSE_10TensorBaseESI_lENKUlvE_clEvENKUlvE1_clEvEUlS7_S7_E_S7_EEDaPvRmT3_T4_T5_mT6_P12ihipStream_tbENKUlT_T0_E_clISt17integral_constantIbLb1EESZ_EEDaSU_SV_EUlSU_E_NS1_11comp_targetILNS1_3genE5ELNS1_11target_archE942ELNS1_3gpuE9ELNS1_3repE0EEENS1_30default_config_static_selectorELNS0_4arch9wavefront6targetE0EEEvT1_.num_named_barrier, 0
	.set _ZN7rocprim17ROCPRIM_400000_NS6detail17trampoline_kernelINS0_14default_configENS1_20scan_config_selectorIN3c107complexIdEEEEZZNS1_9scan_implILNS1_25lookback_scan_determinismE0ELb0ELb0ES3_PKS7_PS7_S7_ZZZN2at6native31launch_logcumsumexp_cuda_kernelERKNSE_10TensorBaseESI_lENKUlvE_clEvENKUlvE1_clEvEUlS7_S7_E_S7_EEDaPvRmT3_T4_T5_mT6_P12ihipStream_tbENKUlT_T0_E_clISt17integral_constantIbLb1EESZ_EEDaSU_SV_EUlSU_E_NS1_11comp_targetILNS1_3genE5ELNS1_11target_archE942ELNS1_3gpuE9ELNS1_3repE0EEENS1_30default_config_static_selectorELNS0_4arch9wavefront6targetE0EEEvT1_.private_seg_size, 0
	.set _ZN7rocprim17ROCPRIM_400000_NS6detail17trampoline_kernelINS0_14default_configENS1_20scan_config_selectorIN3c107complexIdEEEEZZNS1_9scan_implILNS1_25lookback_scan_determinismE0ELb0ELb0ES3_PKS7_PS7_S7_ZZZN2at6native31launch_logcumsumexp_cuda_kernelERKNSE_10TensorBaseESI_lENKUlvE_clEvENKUlvE1_clEvEUlS7_S7_E_S7_EEDaPvRmT3_T4_T5_mT6_P12ihipStream_tbENKUlT_T0_E_clISt17integral_constantIbLb1EESZ_EEDaSU_SV_EUlSU_E_NS1_11comp_targetILNS1_3genE5ELNS1_11target_archE942ELNS1_3gpuE9ELNS1_3repE0EEENS1_30default_config_static_selectorELNS0_4arch9wavefront6targetE0EEEvT1_.uses_vcc, 0
	.set _ZN7rocprim17ROCPRIM_400000_NS6detail17trampoline_kernelINS0_14default_configENS1_20scan_config_selectorIN3c107complexIdEEEEZZNS1_9scan_implILNS1_25lookback_scan_determinismE0ELb0ELb0ES3_PKS7_PS7_S7_ZZZN2at6native31launch_logcumsumexp_cuda_kernelERKNSE_10TensorBaseESI_lENKUlvE_clEvENKUlvE1_clEvEUlS7_S7_E_S7_EEDaPvRmT3_T4_T5_mT6_P12ihipStream_tbENKUlT_T0_E_clISt17integral_constantIbLb1EESZ_EEDaSU_SV_EUlSU_E_NS1_11comp_targetILNS1_3genE5ELNS1_11target_archE942ELNS1_3gpuE9ELNS1_3repE0EEENS1_30default_config_static_selectorELNS0_4arch9wavefront6targetE0EEEvT1_.uses_flat_scratch, 0
	.set _ZN7rocprim17ROCPRIM_400000_NS6detail17trampoline_kernelINS0_14default_configENS1_20scan_config_selectorIN3c107complexIdEEEEZZNS1_9scan_implILNS1_25lookback_scan_determinismE0ELb0ELb0ES3_PKS7_PS7_S7_ZZZN2at6native31launch_logcumsumexp_cuda_kernelERKNSE_10TensorBaseESI_lENKUlvE_clEvENKUlvE1_clEvEUlS7_S7_E_S7_EEDaPvRmT3_T4_T5_mT6_P12ihipStream_tbENKUlT_T0_E_clISt17integral_constantIbLb1EESZ_EEDaSU_SV_EUlSU_E_NS1_11comp_targetILNS1_3genE5ELNS1_11target_archE942ELNS1_3gpuE9ELNS1_3repE0EEENS1_30default_config_static_selectorELNS0_4arch9wavefront6targetE0EEEvT1_.has_dyn_sized_stack, 0
	.set _ZN7rocprim17ROCPRIM_400000_NS6detail17trampoline_kernelINS0_14default_configENS1_20scan_config_selectorIN3c107complexIdEEEEZZNS1_9scan_implILNS1_25lookback_scan_determinismE0ELb0ELb0ES3_PKS7_PS7_S7_ZZZN2at6native31launch_logcumsumexp_cuda_kernelERKNSE_10TensorBaseESI_lENKUlvE_clEvENKUlvE1_clEvEUlS7_S7_E_S7_EEDaPvRmT3_T4_T5_mT6_P12ihipStream_tbENKUlT_T0_E_clISt17integral_constantIbLb1EESZ_EEDaSU_SV_EUlSU_E_NS1_11comp_targetILNS1_3genE5ELNS1_11target_archE942ELNS1_3gpuE9ELNS1_3repE0EEENS1_30default_config_static_selectorELNS0_4arch9wavefront6targetE0EEEvT1_.has_recursion, 0
	.set _ZN7rocprim17ROCPRIM_400000_NS6detail17trampoline_kernelINS0_14default_configENS1_20scan_config_selectorIN3c107complexIdEEEEZZNS1_9scan_implILNS1_25lookback_scan_determinismE0ELb0ELb0ES3_PKS7_PS7_S7_ZZZN2at6native31launch_logcumsumexp_cuda_kernelERKNSE_10TensorBaseESI_lENKUlvE_clEvENKUlvE1_clEvEUlS7_S7_E_S7_EEDaPvRmT3_T4_T5_mT6_P12ihipStream_tbENKUlT_T0_E_clISt17integral_constantIbLb1EESZ_EEDaSU_SV_EUlSU_E_NS1_11comp_targetILNS1_3genE5ELNS1_11target_archE942ELNS1_3gpuE9ELNS1_3repE0EEENS1_30default_config_static_selectorELNS0_4arch9wavefront6targetE0EEEvT1_.has_indirect_call, 0
	.section	.AMDGPU.csdata,"",@progbits
; Kernel info:
; codeLenInByte = 0
; TotalNumSgprs: 0
; NumVgprs: 0
; ScratchSize: 0
; MemoryBound: 0
; FloatMode: 240
; IeeeMode: 1
; LDSByteSize: 0 bytes/workgroup (compile time only)
; SGPRBlocks: 0
; VGPRBlocks: 0
; NumSGPRsForWavesPerEU: 1
; NumVGPRsForWavesPerEU: 1
; Occupancy: 16
; WaveLimiterHint : 0
; COMPUTE_PGM_RSRC2:SCRATCH_EN: 0
; COMPUTE_PGM_RSRC2:USER_SGPR: 6
; COMPUTE_PGM_RSRC2:TRAP_HANDLER: 0
; COMPUTE_PGM_RSRC2:TGID_X_EN: 1
; COMPUTE_PGM_RSRC2:TGID_Y_EN: 0
; COMPUTE_PGM_RSRC2:TGID_Z_EN: 0
; COMPUTE_PGM_RSRC2:TIDIG_COMP_CNT: 0
	.section	.text._ZN7rocprim17ROCPRIM_400000_NS6detail17trampoline_kernelINS0_14default_configENS1_20scan_config_selectorIN3c107complexIdEEEEZZNS1_9scan_implILNS1_25lookback_scan_determinismE0ELb0ELb0ES3_PKS7_PS7_S7_ZZZN2at6native31launch_logcumsumexp_cuda_kernelERKNSE_10TensorBaseESI_lENKUlvE_clEvENKUlvE1_clEvEUlS7_S7_E_S7_EEDaPvRmT3_T4_T5_mT6_P12ihipStream_tbENKUlT_T0_E_clISt17integral_constantIbLb1EESZ_EEDaSU_SV_EUlSU_E_NS1_11comp_targetILNS1_3genE4ELNS1_11target_archE910ELNS1_3gpuE8ELNS1_3repE0EEENS1_30default_config_static_selectorELNS0_4arch9wavefront6targetE0EEEvT1_,"axG",@progbits,_ZN7rocprim17ROCPRIM_400000_NS6detail17trampoline_kernelINS0_14default_configENS1_20scan_config_selectorIN3c107complexIdEEEEZZNS1_9scan_implILNS1_25lookback_scan_determinismE0ELb0ELb0ES3_PKS7_PS7_S7_ZZZN2at6native31launch_logcumsumexp_cuda_kernelERKNSE_10TensorBaseESI_lENKUlvE_clEvENKUlvE1_clEvEUlS7_S7_E_S7_EEDaPvRmT3_T4_T5_mT6_P12ihipStream_tbENKUlT_T0_E_clISt17integral_constantIbLb1EESZ_EEDaSU_SV_EUlSU_E_NS1_11comp_targetILNS1_3genE4ELNS1_11target_archE910ELNS1_3gpuE8ELNS1_3repE0EEENS1_30default_config_static_selectorELNS0_4arch9wavefront6targetE0EEEvT1_,comdat
	.globl	_ZN7rocprim17ROCPRIM_400000_NS6detail17trampoline_kernelINS0_14default_configENS1_20scan_config_selectorIN3c107complexIdEEEEZZNS1_9scan_implILNS1_25lookback_scan_determinismE0ELb0ELb0ES3_PKS7_PS7_S7_ZZZN2at6native31launch_logcumsumexp_cuda_kernelERKNSE_10TensorBaseESI_lENKUlvE_clEvENKUlvE1_clEvEUlS7_S7_E_S7_EEDaPvRmT3_T4_T5_mT6_P12ihipStream_tbENKUlT_T0_E_clISt17integral_constantIbLb1EESZ_EEDaSU_SV_EUlSU_E_NS1_11comp_targetILNS1_3genE4ELNS1_11target_archE910ELNS1_3gpuE8ELNS1_3repE0EEENS1_30default_config_static_selectorELNS0_4arch9wavefront6targetE0EEEvT1_ ; -- Begin function _ZN7rocprim17ROCPRIM_400000_NS6detail17trampoline_kernelINS0_14default_configENS1_20scan_config_selectorIN3c107complexIdEEEEZZNS1_9scan_implILNS1_25lookback_scan_determinismE0ELb0ELb0ES3_PKS7_PS7_S7_ZZZN2at6native31launch_logcumsumexp_cuda_kernelERKNSE_10TensorBaseESI_lENKUlvE_clEvENKUlvE1_clEvEUlS7_S7_E_S7_EEDaPvRmT3_T4_T5_mT6_P12ihipStream_tbENKUlT_T0_E_clISt17integral_constantIbLb1EESZ_EEDaSU_SV_EUlSU_E_NS1_11comp_targetILNS1_3genE4ELNS1_11target_archE910ELNS1_3gpuE8ELNS1_3repE0EEENS1_30default_config_static_selectorELNS0_4arch9wavefront6targetE0EEEvT1_
	.p2align	8
	.type	_ZN7rocprim17ROCPRIM_400000_NS6detail17trampoline_kernelINS0_14default_configENS1_20scan_config_selectorIN3c107complexIdEEEEZZNS1_9scan_implILNS1_25lookback_scan_determinismE0ELb0ELb0ES3_PKS7_PS7_S7_ZZZN2at6native31launch_logcumsumexp_cuda_kernelERKNSE_10TensorBaseESI_lENKUlvE_clEvENKUlvE1_clEvEUlS7_S7_E_S7_EEDaPvRmT3_T4_T5_mT6_P12ihipStream_tbENKUlT_T0_E_clISt17integral_constantIbLb1EESZ_EEDaSU_SV_EUlSU_E_NS1_11comp_targetILNS1_3genE4ELNS1_11target_archE910ELNS1_3gpuE8ELNS1_3repE0EEENS1_30default_config_static_selectorELNS0_4arch9wavefront6targetE0EEEvT1_,@function
_ZN7rocprim17ROCPRIM_400000_NS6detail17trampoline_kernelINS0_14default_configENS1_20scan_config_selectorIN3c107complexIdEEEEZZNS1_9scan_implILNS1_25lookback_scan_determinismE0ELb0ELb0ES3_PKS7_PS7_S7_ZZZN2at6native31launch_logcumsumexp_cuda_kernelERKNSE_10TensorBaseESI_lENKUlvE_clEvENKUlvE1_clEvEUlS7_S7_E_S7_EEDaPvRmT3_T4_T5_mT6_P12ihipStream_tbENKUlT_T0_E_clISt17integral_constantIbLb1EESZ_EEDaSU_SV_EUlSU_E_NS1_11comp_targetILNS1_3genE4ELNS1_11target_archE910ELNS1_3gpuE8ELNS1_3repE0EEENS1_30default_config_static_selectorELNS0_4arch9wavefront6targetE0EEEvT1_: ; @_ZN7rocprim17ROCPRIM_400000_NS6detail17trampoline_kernelINS0_14default_configENS1_20scan_config_selectorIN3c107complexIdEEEEZZNS1_9scan_implILNS1_25lookback_scan_determinismE0ELb0ELb0ES3_PKS7_PS7_S7_ZZZN2at6native31launch_logcumsumexp_cuda_kernelERKNSE_10TensorBaseESI_lENKUlvE_clEvENKUlvE1_clEvEUlS7_S7_E_S7_EEDaPvRmT3_T4_T5_mT6_P12ihipStream_tbENKUlT_T0_E_clISt17integral_constantIbLb1EESZ_EEDaSU_SV_EUlSU_E_NS1_11comp_targetILNS1_3genE4ELNS1_11target_archE910ELNS1_3gpuE8ELNS1_3repE0EEENS1_30default_config_static_selectorELNS0_4arch9wavefront6targetE0EEEvT1_
; %bb.0:
	.section	.rodata,"a",@progbits
	.p2align	6, 0x0
	.amdhsa_kernel _ZN7rocprim17ROCPRIM_400000_NS6detail17trampoline_kernelINS0_14default_configENS1_20scan_config_selectorIN3c107complexIdEEEEZZNS1_9scan_implILNS1_25lookback_scan_determinismE0ELb0ELb0ES3_PKS7_PS7_S7_ZZZN2at6native31launch_logcumsumexp_cuda_kernelERKNSE_10TensorBaseESI_lENKUlvE_clEvENKUlvE1_clEvEUlS7_S7_E_S7_EEDaPvRmT3_T4_T5_mT6_P12ihipStream_tbENKUlT_T0_E_clISt17integral_constantIbLb1EESZ_EEDaSU_SV_EUlSU_E_NS1_11comp_targetILNS1_3genE4ELNS1_11target_archE910ELNS1_3gpuE8ELNS1_3repE0EEENS1_30default_config_static_selectorELNS0_4arch9wavefront6targetE0EEEvT1_
		.amdhsa_group_segment_fixed_size 0
		.amdhsa_private_segment_fixed_size 0
		.amdhsa_kernarg_size 128
		.amdhsa_user_sgpr_count 6
		.amdhsa_user_sgpr_private_segment_buffer 1
		.amdhsa_user_sgpr_dispatch_ptr 0
		.amdhsa_user_sgpr_queue_ptr 0
		.amdhsa_user_sgpr_kernarg_segment_ptr 1
		.amdhsa_user_sgpr_dispatch_id 0
		.amdhsa_user_sgpr_flat_scratch_init 0
		.amdhsa_user_sgpr_private_segment_size 0
		.amdhsa_wavefront_size32 1
		.amdhsa_uses_dynamic_stack 0
		.amdhsa_system_sgpr_private_segment_wavefront_offset 0
		.amdhsa_system_sgpr_workgroup_id_x 1
		.amdhsa_system_sgpr_workgroup_id_y 0
		.amdhsa_system_sgpr_workgroup_id_z 0
		.amdhsa_system_sgpr_workgroup_info 0
		.amdhsa_system_vgpr_workitem_id 0
		.amdhsa_next_free_vgpr 1
		.amdhsa_next_free_sgpr 1
		.amdhsa_reserve_vcc 0
		.amdhsa_reserve_flat_scratch 0
		.amdhsa_float_round_mode_32 0
		.amdhsa_float_round_mode_16_64 0
		.amdhsa_float_denorm_mode_32 3
		.amdhsa_float_denorm_mode_16_64 3
		.amdhsa_dx10_clamp 1
		.amdhsa_ieee_mode 1
		.amdhsa_fp16_overflow 0
		.amdhsa_workgroup_processor_mode 1
		.amdhsa_memory_ordered 1
		.amdhsa_forward_progress 1
		.amdhsa_shared_vgpr_count 0
		.amdhsa_exception_fp_ieee_invalid_op 0
		.amdhsa_exception_fp_denorm_src 0
		.amdhsa_exception_fp_ieee_div_zero 0
		.amdhsa_exception_fp_ieee_overflow 0
		.amdhsa_exception_fp_ieee_underflow 0
		.amdhsa_exception_fp_ieee_inexact 0
		.amdhsa_exception_int_div_zero 0
	.end_amdhsa_kernel
	.section	.text._ZN7rocprim17ROCPRIM_400000_NS6detail17trampoline_kernelINS0_14default_configENS1_20scan_config_selectorIN3c107complexIdEEEEZZNS1_9scan_implILNS1_25lookback_scan_determinismE0ELb0ELb0ES3_PKS7_PS7_S7_ZZZN2at6native31launch_logcumsumexp_cuda_kernelERKNSE_10TensorBaseESI_lENKUlvE_clEvENKUlvE1_clEvEUlS7_S7_E_S7_EEDaPvRmT3_T4_T5_mT6_P12ihipStream_tbENKUlT_T0_E_clISt17integral_constantIbLb1EESZ_EEDaSU_SV_EUlSU_E_NS1_11comp_targetILNS1_3genE4ELNS1_11target_archE910ELNS1_3gpuE8ELNS1_3repE0EEENS1_30default_config_static_selectorELNS0_4arch9wavefront6targetE0EEEvT1_,"axG",@progbits,_ZN7rocprim17ROCPRIM_400000_NS6detail17trampoline_kernelINS0_14default_configENS1_20scan_config_selectorIN3c107complexIdEEEEZZNS1_9scan_implILNS1_25lookback_scan_determinismE0ELb0ELb0ES3_PKS7_PS7_S7_ZZZN2at6native31launch_logcumsumexp_cuda_kernelERKNSE_10TensorBaseESI_lENKUlvE_clEvENKUlvE1_clEvEUlS7_S7_E_S7_EEDaPvRmT3_T4_T5_mT6_P12ihipStream_tbENKUlT_T0_E_clISt17integral_constantIbLb1EESZ_EEDaSU_SV_EUlSU_E_NS1_11comp_targetILNS1_3genE4ELNS1_11target_archE910ELNS1_3gpuE8ELNS1_3repE0EEENS1_30default_config_static_selectorELNS0_4arch9wavefront6targetE0EEEvT1_,comdat
.Lfunc_end205:
	.size	_ZN7rocprim17ROCPRIM_400000_NS6detail17trampoline_kernelINS0_14default_configENS1_20scan_config_selectorIN3c107complexIdEEEEZZNS1_9scan_implILNS1_25lookback_scan_determinismE0ELb0ELb0ES3_PKS7_PS7_S7_ZZZN2at6native31launch_logcumsumexp_cuda_kernelERKNSE_10TensorBaseESI_lENKUlvE_clEvENKUlvE1_clEvEUlS7_S7_E_S7_EEDaPvRmT3_T4_T5_mT6_P12ihipStream_tbENKUlT_T0_E_clISt17integral_constantIbLb1EESZ_EEDaSU_SV_EUlSU_E_NS1_11comp_targetILNS1_3genE4ELNS1_11target_archE910ELNS1_3gpuE8ELNS1_3repE0EEENS1_30default_config_static_selectorELNS0_4arch9wavefront6targetE0EEEvT1_, .Lfunc_end205-_ZN7rocprim17ROCPRIM_400000_NS6detail17trampoline_kernelINS0_14default_configENS1_20scan_config_selectorIN3c107complexIdEEEEZZNS1_9scan_implILNS1_25lookback_scan_determinismE0ELb0ELb0ES3_PKS7_PS7_S7_ZZZN2at6native31launch_logcumsumexp_cuda_kernelERKNSE_10TensorBaseESI_lENKUlvE_clEvENKUlvE1_clEvEUlS7_S7_E_S7_EEDaPvRmT3_T4_T5_mT6_P12ihipStream_tbENKUlT_T0_E_clISt17integral_constantIbLb1EESZ_EEDaSU_SV_EUlSU_E_NS1_11comp_targetILNS1_3genE4ELNS1_11target_archE910ELNS1_3gpuE8ELNS1_3repE0EEENS1_30default_config_static_selectorELNS0_4arch9wavefront6targetE0EEEvT1_
                                        ; -- End function
	.set _ZN7rocprim17ROCPRIM_400000_NS6detail17trampoline_kernelINS0_14default_configENS1_20scan_config_selectorIN3c107complexIdEEEEZZNS1_9scan_implILNS1_25lookback_scan_determinismE0ELb0ELb0ES3_PKS7_PS7_S7_ZZZN2at6native31launch_logcumsumexp_cuda_kernelERKNSE_10TensorBaseESI_lENKUlvE_clEvENKUlvE1_clEvEUlS7_S7_E_S7_EEDaPvRmT3_T4_T5_mT6_P12ihipStream_tbENKUlT_T0_E_clISt17integral_constantIbLb1EESZ_EEDaSU_SV_EUlSU_E_NS1_11comp_targetILNS1_3genE4ELNS1_11target_archE910ELNS1_3gpuE8ELNS1_3repE0EEENS1_30default_config_static_selectorELNS0_4arch9wavefront6targetE0EEEvT1_.num_vgpr, 0
	.set _ZN7rocprim17ROCPRIM_400000_NS6detail17trampoline_kernelINS0_14default_configENS1_20scan_config_selectorIN3c107complexIdEEEEZZNS1_9scan_implILNS1_25lookback_scan_determinismE0ELb0ELb0ES3_PKS7_PS7_S7_ZZZN2at6native31launch_logcumsumexp_cuda_kernelERKNSE_10TensorBaseESI_lENKUlvE_clEvENKUlvE1_clEvEUlS7_S7_E_S7_EEDaPvRmT3_T4_T5_mT6_P12ihipStream_tbENKUlT_T0_E_clISt17integral_constantIbLb1EESZ_EEDaSU_SV_EUlSU_E_NS1_11comp_targetILNS1_3genE4ELNS1_11target_archE910ELNS1_3gpuE8ELNS1_3repE0EEENS1_30default_config_static_selectorELNS0_4arch9wavefront6targetE0EEEvT1_.num_agpr, 0
	.set _ZN7rocprim17ROCPRIM_400000_NS6detail17trampoline_kernelINS0_14default_configENS1_20scan_config_selectorIN3c107complexIdEEEEZZNS1_9scan_implILNS1_25lookback_scan_determinismE0ELb0ELb0ES3_PKS7_PS7_S7_ZZZN2at6native31launch_logcumsumexp_cuda_kernelERKNSE_10TensorBaseESI_lENKUlvE_clEvENKUlvE1_clEvEUlS7_S7_E_S7_EEDaPvRmT3_T4_T5_mT6_P12ihipStream_tbENKUlT_T0_E_clISt17integral_constantIbLb1EESZ_EEDaSU_SV_EUlSU_E_NS1_11comp_targetILNS1_3genE4ELNS1_11target_archE910ELNS1_3gpuE8ELNS1_3repE0EEENS1_30default_config_static_selectorELNS0_4arch9wavefront6targetE0EEEvT1_.numbered_sgpr, 0
	.set _ZN7rocprim17ROCPRIM_400000_NS6detail17trampoline_kernelINS0_14default_configENS1_20scan_config_selectorIN3c107complexIdEEEEZZNS1_9scan_implILNS1_25lookback_scan_determinismE0ELb0ELb0ES3_PKS7_PS7_S7_ZZZN2at6native31launch_logcumsumexp_cuda_kernelERKNSE_10TensorBaseESI_lENKUlvE_clEvENKUlvE1_clEvEUlS7_S7_E_S7_EEDaPvRmT3_T4_T5_mT6_P12ihipStream_tbENKUlT_T0_E_clISt17integral_constantIbLb1EESZ_EEDaSU_SV_EUlSU_E_NS1_11comp_targetILNS1_3genE4ELNS1_11target_archE910ELNS1_3gpuE8ELNS1_3repE0EEENS1_30default_config_static_selectorELNS0_4arch9wavefront6targetE0EEEvT1_.num_named_barrier, 0
	.set _ZN7rocprim17ROCPRIM_400000_NS6detail17trampoline_kernelINS0_14default_configENS1_20scan_config_selectorIN3c107complexIdEEEEZZNS1_9scan_implILNS1_25lookback_scan_determinismE0ELb0ELb0ES3_PKS7_PS7_S7_ZZZN2at6native31launch_logcumsumexp_cuda_kernelERKNSE_10TensorBaseESI_lENKUlvE_clEvENKUlvE1_clEvEUlS7_S7_E_S7_EEDaPvRmT3_T4_T5_mT6_P12ihipStream_tbENKUlT_T0_E_clISt17integral_constantIbLb1EESZ_EEDaSU_SV_EUlSU_E_NS1_11comp_targetILNS1_3genE4ELNS1_11target_archE910ELNS1_3gpuE8ELNS1_3repE0EEENS1_30default_config_static_selectorELNS0_4arch9wavefront6targetE0EEEvT1_.private_seg_size, 0
	.set _ZN7rocprim17ROCPRIM_400000_NS6detail17trampoline_kernelINS0_14default_configENS1_20scan_config_selectorIN3c107complexIdEEEEZZNS1_9scan_implILNS1_25lookback_scan_determinismE0ELb0ELb0ES3_PKS7_PS7_S7_ZZZN2at6native31launch_logcumsumexp_cuda_kernelERKNSE_10TensorBaseESI_lENKUlvE_clEvENKUlvE1_clEvEUlS7_S7_E_S7_EEDaPvRmT3_T4_T5_mT6_P12ihipStream_tbENKUlT_T0_E_clISt17integral_constantIbLb1EESZ_EEDaSU_SV_EUlSU_E_NS1_11comp_targetILNS1_3genE4ELNS1_11target_archE910ELNS1_3gpuE8ELNS1_3repE0EEENS1_30default_config_static_selectorELNS0_4arch9wavefront6targetE0EEEvT1_.uses_vcc, 0
	.set _ZN7rocprim17ROCPRIM_400000_NS6detail17trampoline_kernelINS0_14default_configENS1_20scan_config_selectorIN3c107complexIdEEEEZZNS1_9scan_implILNS1_25lookback_scan_determinismE0ELb0ELb0ES3_PKS7_PS7_S7_ZZZN2at6native31launch_logcumsumexp_cuda_kernelERKNSE_10TensorBaseESI_lENKUlvE_clEvENKUlvE1_clEvEUlS7_S7_E_S7_EEDaPvRmT3_T4_T5_mT6_P12ihipStream_tbENKUlT_T0_E_clISt17integral_constantIbLb1EESZ_EEDaSU_SV_EUlSU_E_NS1_11comp_targetILNS1_3genE4ELNS1_11target_archE910ELNS1_3gpuE8ELNS1_3repE0EEENS1_30default_config_static_selectorELNS0_4arch9wavefront6targetE0EEEvT1_.uses_flat_scratch, 0
	.set _ZN7rocprim17ROCPRIM_400000_NS6detail17trampoline_kernelINS0_14default_configENS1_20scan_config_selectorIN3c107complexIdEEEEZZNS1_9scan_implILNS1_25lookback_scan_determinismE0ELb0ELb0ES3_PKS7_PS7_S7_ZZZN2at6native31launch_logcumsumexp_cuda_kernelERKNSE_10TensorBaseESI_lENKUlvE_clEvENKUlvE1_clEvEUlS7_S7_E_S7_EEDaPvRmT3_T4_T5_mT6_P12ihipStream_tbENKUlT_T0_E_clISt17integral_constantIbLb1EESZ_EEDaSU_SV_EUlSU_E_NS1_11comp_targetILNS1_3genE4ELNS1_11target_archE910ELNS1_3gpuE8ELNS1_3repE0EEENS1_30default_config_static_selectorELNS0_4arch9wavefront6targetE0EEEvT1_.has_dyn_sized_stack, 0
	.set _ZN7rocprim17ROCPRIM_400000_NS6detail17trampoline_kernelINS0_14default_configENS1_20scan_config_selectorIN3c107complexIdEEEEZZNS1_9scan_implILNS1_25lookback_scan_determinismE0ELb0ELb0ES3_PKS7_PS7_S7_ZZZN2at6native31launch_logcumsumexp_cuda_kernelERKNSE_10TensorBaseESI_lENKUlvE_clEvENKUlvE1_clEvEUlS7_S7_E_S7_EEDaPvRmT3_T4_T5_mT6_P12ihipStream_tbENKUlT_T0_E_clISt17integral_constantIbLb1EESZ_EEDaSU_SV_EUlSU_E_NS1_11comp_targetILNS1_3genE4ELNS1_11target_archE910ELNS1_3gpuE8ELNS1_3repE0EEENS1_30default_config_static_selectorELNS0_4arch9wavefront6targetE0EEEvT1_.has_recursion, 0
	.set _ZN7rocprim17ROCPRIM_400000_NS6detail17trampoline_kernelINS0_14default_configENS1_20scan_config_selectorIN3c107complexIdEEEEZZNS1_9scan_implILNS1_25lookback_scan_determinismE0ELb0ELb0ES3_PKS7_PS7_S7_ZZZN2at6native31launch_logcumsumexp_cuda_kernelERKNSE_10TensorBaseESI_lENKUlvE_clEvENKUlvE1_clEvEUlS7_S7_E_S7_EEDaPvRmT3_T4_T5_mT6_P12ihipStream_tbENKUlT_T0_E_clISt17integral_constantIbLb1EESZ_EEDaSU_SV_EUlSU_E_NS1_11comp_targetILNS1_3genE4ELNS1_11target_archE910ELNS1_3gpuE8ELNS1_3repE0EEENS1_30default_config_static_selectorELNS0_4arch9wavefront6targetE0EEEvT1_.has_indirect_call, 0
	.section	.AMDGPU.csdata,"",@progbits
; Kernel info:
; codeLenInByte = 0
; TotalNumSgprs: 0
; NumVgprs: 0
; ScratchSize: 0
; MemoryBound: 0
; FloatMode: 240
; IeeeMode: 1
; LDSByteSize: 0 bytes/workgroup (compile time only)
; SGPRBlocks: 0
; VGPRBlocks: 0
; NumSGPRsForWavesPerEU: 1
; NumVGPRsForWavesPerEU: 1
; Occupancy: 16
; WaveLimiterHint : 0
; COMPUTE_PGM_RSRC2:SCRATCH_EN: 0
; COMPUTE_PGM_RSRC2:USER_SGPR: 6
; COMPUTE_PGM_RSRC2:TRAP_HANDLER: 0
; COMPUTE_PGM_RSRC2:TGID_X_EN: 1
; COMPUTE_PGM_RSRC2:TGID_Y_EN: 0
; COMPUTE_PGM_RSRC2:TGID_Z_EN: 0
; COMPUTE_PGM_RSRC2:TIDIG_COMP_CNT: 0
	.section	.text._ZN7rocprim17ROCPRIM_400000_NS6detail17trampoline_kernelINS0_14default_configENS1_20scan_config_selectorIN3c107complexIdEEEEZZNS1_9scan_implILNS1_25lookback_scan_determinismE0ELb0ELb0ES3_PKS7_PS7_S7_ZZZN2at6native31launch_logcumsumexp_cuda_kernelERKNSE_10TensorBaseESI_lENKUlvE_clEvENKUlvE1_clEvEUlS7_S7_E_S7_EEDaPvRmT3_T4_T5_mT6_P12ihipStream_tbENKUlT_T0_E_clISt17integral_constantIbLb1EESZ_EEDaSU_SV_EUlSU_E_NS1_11comp_targetILNS1_3genE3ELNS1_11target_archE908ELNS1_3gpuE7ELNS1_3repE0EEENS1_30default_config_static_selectorELNS0_4arch9wavefront6targetE0EEEvT1_,"axG",@progbits,_ZN7rocprim17ROCPRIM_400000_NS6detail17trampoline_kernelINS0_14default_configENS1_20scan_config_selectorIN3c107complexIdEEEEZZNS1_9scan_implILNS1_25lookback_scan_determinismE0ELb0ELb0ES3_PKS7_PS7_S7_ZZZN2at6native31launch_logcumsumexp_cuda_kernelERKNSE_10TensorBaseESI_lENKUlvE_clEvENKUlvE1_clEvEUlS7_S7_E_S7_EEDaPvRmT3_T4_T5_mT6_P12ihipStream_tbENKUlT_T0_E_clISt17integral_constantIbLb1EESZ_EEDaSU_SV_EUlSU_E_NS1_11comp_targetILNS1_3genE3ELNS1_11target_archE908ELNS1_3gpuE7ELNS1_3repE0EEENS1_30default_config_static_selectorELNS0_4arch9wavefront6targetE0EEEvT1_,comdat
	.globl	_ZN7rocprim17ROCPRIM_400000_NS6detail17trampoline_kernelINS0_14default_configENS1_20scan_config_selectorIN3c107complexIdEEEEZZNS1_9scan_implILNS1_25lookback_scan_determinismE0ELb0ELb0ES3_PKS7_PS7_S7_ZZZN2at6native31launch_logcumsumexp_cuda_kernelERKNSE_10TensorBaseESI_lENKUlvE_clEvENKUlvE1_clEvEUlS7_S7_E_S7_EEDaPvRmT3_T4_T5_mT6_P12ihipStream_tbENKUlT_T0_E_clISt17integral_constantIbLb1EESZ_EEDaSU_SV_EUlSU_E_NS1_11comp_targetILNS1_3genE3ELNS1_11target_archE908ELNS1_3gpuE7ELNS1_3repE0EEENS1_30default_config_static_selectorELNS0_4arch9wavefront6targetE0EEEvT1_ ; -- Begin function _ZN7rocprim17ROCPRIM_400000_NS6detail17trampoline_kernelINS0_14default_configENS1_20scan_config_selectorIN3c107complexIdEEEEZZNS1_9scan_implILNS1_25lookback_scan_determinismE0ELb0ELb0ES3_PKS7_PS7_S7_ZZZN2at6native31launch_logcumsumexp_cuda_kernelERKNSE_10TensorBaseESI_lENKUlvE_clEvENKUlvE1_clEvEUlS7_S7_E_S7_EEDaPvRmT3_T4_T5_mT6_P12ihipStream_tbENKUlT_T0_E_clISt17integral_constantIbLb1EESZ_EEDaSU_SV_EUlSU_E_NS1_11comp_targetILNS1_3genE3ELNS1_11target_archE908ELNS1_3gpuE7ELNS1_3repE0EEENS1_30default_config_static_selectorELNS0_4arch9wavefront6targetE0EEEvT1_
	.p2align	8
	.type	_ZN7rocprim17ROCPRIM_400000_NS6detail17trampoline_kernelINS0_14default_configENS1_20scan_config_selectorIN3c107complexIdEEEEZZNS1_9scan_implILNS1_25lookback_scan_determinismE0ELb0ELb0ES3_PKS7_PS7_S7_ZZZN2at6native31launch_logcumsumexp_cuda_kernelERKNSE_10TensorBaseESI_lENKUlvE_clEvENKUlvE1_clEvEUlS7_S7_E_S7_EEDaPvRmT3_T4_T5_mT6_P12ihipStream_tbENKUlT_T0_E_clISt17integral_constantIbLb1EESZ_EEDaSU_SV_EUlSU_E_NS1_11comp_targetILNS1_3genE3ELNS1_11target_archE908ELNS1_3gpuE7ELNS1_3repE0EEENS1_30default_config_static_selectorELNS0_4arch9wavefront6targetE0EEEvT1_,@function
_ZN7rocprim17ROCPRIM_400000_NS6detail17trampoline_kernelINS0_14default_configENS1_20scan_config_selectorIN3c107complexIdEEEEZZNS1_9scan_implILNS1_25lookback_scan_determinismE0ELb0ELb0ES3_PKS7_PS7_S7_ZZZN2at6native31launch_logcumsumexp_cuda_kernelERKNSE_10TensorBaseESI_lENKUlvE_clEvENKUlvE1_clEvEUlS7_S7_E_S7_EEDaPvRmT3_T4_T5_mT6_P12ihipStream_tbENKUlT_T0_E_clISt17integral_constantIbLb1EESZ_EEDaSU_SV_EUlSU_E_NS1_11comp_targetILNS1_3genE3ELNS1_11target_archE908ELNS1_3gpuE7ELNS1_3repE0EEENS1_30default_config_static_selectorELNS0_4arch9wavefront6targetE0EEEvT1_: ; @_ZN7rocprim17ROCPRIM_400000_NS6detail17trampoline_kernelINS0_14default_configENS1_20scan_config_selectorIN3c107complexIdEEEEZZNS1_9scan_implILNS1_25lookback_scan_determinismE0ELb0ELb0ES3_PKS7_PS7_S7_ZZZN2at6native31launch_logcumsumexp_cuda_kernelERKNSE_10TensorBaseESI_lENKUlvE_clEvENKUlvE1_clEvEUlS7_S7_E_S7_EEDaPvRmT3_T4_T5_mT6_P12ihipStream_tbENKUlT_T0_E_clISt17integral_constantIbLb1EESZ_EEDaSU_SV_EUlSU_E_NS1_11comp_targetILNS1_3genE3ELNS1_11target_archE908ELNS1_3gpuE7ELNS1_3repE0EEENS1_30default_config_static_selectorELNS0_4arch9wavefront6targetE0EEEvT1_
; %bb.0:
	.section	.rodata,"a",@progbits
	.p2align	6, 0x0
	.amdhsa_kernel _ZN7rocprim17ROCPRIM_400000_NS6detail17trampoline_kernelINS0_14default_configENS1_20scan_config_selectorIN3c107complexIdEEEEZZNS1_9scan_implILNS1_25lookback_scan_determinismE0ELb0ELb0ES3_PKS7_PS7_S7_ZZZN2at6native31launch_logcumsumexp_cuda_kernelERKNSE_10TensorBaseESI_lENKUlvE_clEvENKUlvE1_clEvEUlS7_S7_E_S7_EEDaPvRmT3_T4_T5_mT6_P12ihipStream_tbENKUlT_T0_E_clISt17integral_constantIbLb1EESZ_EEDaSU_SV_EUlSU_E_NS1_11comp_targetILNS1_3genE3ELNS1_11target_archE908ELNS1_3gpuE7ELNS1_3repE0EEENS1_30default_config_static_selectorELNS0_4arch9wavefront6targetE0EEEvT1_
		.amdhsa_group_segment_fixed_size 0
		.amdhsa_private_segment_fixed_size 0
		.amdhsa_kernarg_size 128
		.amdhsa_user_sgpr_count 6
		.amdhsa_user_sgpr_private_segment_buffer 1
		.amdhsa_user_sgpr_dispatch_ptr 0
		.amdhsa_user_sgpr_queue_ptr 0
		.amdhsa_user_sgpr_kernarg_segment_ptr 1
		.amdhsa_user_sgpr_dispatch_id 0
		.amdhsa_user_sgpr_flat_scratch_init 0
		.amdhsa_user_sgpr_private_segment_size 0
		.amdhsa_wavefront_size32 1
		.amdhsa_uses_dynamic_stack 0
		.amdhsa_system_sgpr_private_segment_wavefront_offset 0
		.amdhsa_system_sgpr_workgroup_id_x 1
		.amdhsa_system_sgpr_workgroup_id_y 0
		.amdhsa_system_sgpr_workgroup_id_z 0
		.amdhsa_system_sgpr_workgroup_info 0
		.amdhsa_system_vgpr_workitem_id 0
		.amdhsa_next_free_vgpr 1
		.amdhsa_next_free_sgpr 1
		.amdhsa_reserve_vcc 0
		.amdhsa_reserve_flat_scratch 0
		.amdhsa_float_round_mode_32 0
		.amdhsa_float_round_mode_16_64 0
		.amdhsa_float_denorm_mode_32 3
		.amdhsa_float_denorm_mode_16_64 3
		.amdhsa_dx10_clamp 1
		.amdhsa_ieee_mode 1
		.amdhsa_fp16_overflow 0
		.amdhsa_workgroup_processor_mode 1
		.amdhsa_memory_ordered 1
		.amdhsa_forward_progress 1
		.amdhsa_shared_vgpr_count 0
		.amdhsa_exception_fp_ieee_invalid_op 0
		.amdhsa_exception_fp_denorm_src 0
		.amdhsa_exception_fp_ieee_div_zero 0
		.amdhsa_exception_fp_ieee_overflow 0
		.amdhsa_exception_fp_ieee_underflow 0
		.amdhsa_exception_fp_ieee_inexact 0
		.amdhsa_exception_int_div_zero 0
	.end_amdhsa_kernel
	.section	.text._ZN7rocprim17ROCPRIM_400000_NS6detail17trampoline_kernelINS0_14default_configENS1_20scan_config_selectorIN3c107complexIdEEEEZZNS1_9scan_implILNS1_25lookback_scan_determinismE0ELb0ELb0ES3_PKS7_PS7_S7_ZZZN2at6native31launch_logcumsumexp_cuda_kernelERKNSE_10TensorBaseESI_lENKUlvE_clEvENKUlvE1_clEvEUlS7_S7_E_S7_EEDaPvRmT3_T4_T5_mT6_P12ihipStream_tbENKUlT_T0_E_clISt17integral_constantIbLb1EESZ_EEDaSU_SV_EUlSU_E_NS1_11comp_targetILNS1_3genE3ELNS1_11target_archE908ELNS1_3gpuE7ELNS1_3repE0EEENS1_30default_config_static_selectorELNS0_4arch9wavefront6targetE0EEEvT1_,"axG",@progbits,_ZN7rocprim17ROCPRIM_400000_NS6detail17trampoline_kernelINS0_14default_configENS1_20scan_config_selectorIN3c107complexIdEEEEZZNS1_9scan_implILNS1_25lookback_scan_determinismE0ELb0ELb0ES3_PKS7_PS7_S7_ZZZN2at6native31launch_logcumsumexp_cuda_kernelERKNSE_10TensorBaseESI_lENKUlvE_clEvENKUlvE1_clEvEUlS7_S7_E_S7_EEDaPvRmT3_T4_T5_mT6_P12ihipStream_tbENKUlT_T0_E_clISt17integral_constantIbLb1EESZ_EEDaSU_SV_EUlSU_E_NS1_11comp_targetILNS1_3genE3ELNS1_11target_archE908ELNS1_3gpuE7ELNS1_3repE0EEENS1_30default_config_static_selectorELNS0_4arch9wavefront6targetE0EEEvT1_,comdat
.Lfunc_end206:
	.size	_ZN7rocprim17ROCPRIM_400000_NS6detail17trampoline_kernelINS0_14default_configENS1_20scan_config_selectorIN3c107complexIdEEEEZZNS1_9scan_implILNS1_25lookback_scan_determinismE0ELb0ELb0ES3_PKS7_PS7_S7_ZZZN2at6native31launch_logcumsumexp_cuda_kernelERKNSE_10TensorBaseESI_lENKUlvE_clEvENKUlvE1_clEvEUlS7_S7_E_S7_EEDaPvRmT3_T4_T5_mT6_P12ihipStream_tbENKUlT_T0_E_clISt17integral_constantIbLb1EESZ_EEDaSU_SV_EUlSU_E_NS1_11comp_targetILNS1_3genE3ELNS1_11target_archE908ELNS1_3gpuE7ELNS1_3repE0EEENS1_30default_config_static_selectorELNS0_4arch9wavefront6targetE0EEEvT1_, .Lfunc_end206-_ZN7rocprim17ROCPRIM_400000_NS6detail17trampoline_kernelINS0_14default_configENS1_20scan_config_selectorIN3c107complexIdEEEEZZNS1_9scan_implILNS1_25lookback_scan_determinismE0ELb0ELb0ES3_PKS7_PS7_S7_ZZZN2at6native31launch_logcumsumexp_cuda_kernelERKNSE_10TensorBaseESI_lENKUlvE_clEvENKUlvE1_clEvEUlS7_S7_E_S7_EEDaPvRmT3_T4_T5_mT6_P12ihipStream_tbENKUlT_T0_E_clISt17integral_constantIbLb1EESZ_EEDaSU_SV_EUlSU_E_NS1_11comp_targetILNS1_3genE3ELNS1_11target_archE908ELNS1_3gpuE7ELNS1_3repE0EEENS1_30default_config_static_selectorELNS0_4arch9wavefront6targetE0EEEvT1_
                                        ; -- End function
	.set _ZN7rocprim17ROCPRIM_400000_NS6detail17trampoline_kernelINS0_14default_configENS1_20scan_config_selectorIN3c107complexIdEEEEZZNS1_9scan_implILNS1_25lookback_scan_determinismE0ELb0ELb0ES3_PKS7_PS7_S7_ZZZN2at6native31launch_logcumsumexp_cuda_kernelERKNSE_10TensorBaseESI_lENKUlvE_clEvENKUlvE1_clEvEUlS7_S7_E_S7_EEDaPvRmT3_T4_T5_mT6_P12ihipStream_tbENKUlT_T0_E_clISt17integral_constantIbLb1EESZ_EEDaSU_SV_EUlSU_E_NS1_11comp_targetILNS1_3genE3ELNS1_11target_archE908ELNS1_3gpuE7ELNS1_3repE0EEENS1_30default_config_static_selectorELNS0_4arch9wavefront6targetE0EEEvT1_.num_vgpr, 0
	.set _ZN7rocprim17ROCPRIM_400000_NS6detail17trampoline_kernelINS0_14default_configENS1_20scan_config_selectorIN3c107complexIdEEEEZZNS1_9scan_implILNS1_25lookback_scan_determinismE0ELb0ELb0ES3_PKS7_PS7_S7_ZZZN2at6native31launch_logcumsumexp_cuda_kernelERKNSE_10TensorBaseESI_lENKUlvE_clEvENKUlvE1_clEvEUlS7_S7_E_S7_EEDaPvRmT3_T4_T5_mT6_P12ihipStream_tbENKUlT_T0_E_clISt17integral_constantIbLb1EESZ_EEDaSU_SV_EUlSU_E_NS1_11comp_targetILNS1_3genE3ELNS1_11target_archE908ELNS1_3gpuE7ELNS1_3repE0EEENS1_30default_config_static_selectorELNS0_4arch9wavefront6targetE0EEEvT1_.num_agpr, 0
	.set _ZN7rocprim17ROCPRIM_400000_NS6detail17trampoline_kernelINS0_14default_configENS1_20scan_config_selectorIN3c107complexIdEEEEZZNS1_9scan_implILNS1_25lookback_scan_determinismE0ELb0ELb0ES3_PKS7_PS7_S7_ZZZN2at6native31launch_logcumsumexp_cuda_kernelERKNSE_10TensorBaseESI_lENKUlvE_clEvENKUlvE1_clEvEUlS7_S7_E_S7_EEDaPvRmT3_T4_T5_mT6_P12ihipStream_tbENKUlT_T0_E_clISt17integral_constantIbLb1EESZ_EEDaSU_SV_EUlSU_E_NS1_11comp_targetILNS1_3genE3ELNS1_11target_archE908ELNS1_3gpuE7ELNS1_3repE0EEENS1_30default_config_static_selectorELNS0_4arch9wavefront6targetE0EEEvT1_.numbered_sgpr, 0
	.set _ZN7rocprim17ROCPRIM_400000_NS6detail17trampoline_kernelINS0_14default_configENS1_20scan_config_selectorIN3c107complexIdEEEEZZNS1_9scan_implILNS1_25lookback_scan_determinismE0ELb0ELb0ES3_PKS7_PS7_S7_ZZZN2at6native31launch_logcumsumexp_cuda_kernelERKNSE_10TensorBaseESI_lENKUlvE_clEvENKUlvE1_clEvEUlS7_S7_E_S7_EEDaPvRmT3_T4_T5_mT6_P12ihipStream_tbENKUlT_T0_E_clISt17integral_constantIbLb1EESZ_EEDaSU_SV_EUlSU_E_NS1_11comp_targetILNS1_3genE3ELNS1_11target_archE908ELNS1_3gpuE7ELNS1_3repE0EEENS1_30default_config_static_selectorELNS0_4arch9wavefront6targetE0EEEvT1_.num_named_barrier, 0
	.set _ZN7rocprim17ROCPRIM_400000_NS6detail17trampoline_kernelINS0_14default_configENS1_20scan_config_selectorIN3c107complexIdEEEEZZNS1_9scan_implILNS1_25lookback_scan_determinismE0ELb0ELb0ES3_PKS7_PS7_S7_ZZZN2at6native31launch_logcumsumexp_cuda_kernelERKNSE_10TensorBaseESI_lENKUlvE_clEvENKUlvE1_clEvEUlS7_S7_E_S7_EEDaPvRmT3_T4_T5_mT6_P12ihipStream_tbENKUlT_T0_E_clISt17integral_constantIbLb1EESZ_EEDaSU_SV_EUlSU_E_NS1_11comp_targetILNS1_3genE3ELNS1_11target_archE908ELNS1_3gpuE7ELNS1_3repE0EEENS1_30default_config_static_selectorELNS0_4arch9wavefront6targetE0EEEvT1_.private_seg_size, 0
	.set _ZN7rocprim17ROCPRIM_400000_NS6detail17trampoline_kernelINS0_14default_configENS1_20scan_config_selectorIN3c107complexIdEEEEZZNS1_9scan_implILNS1_25lookback_scan_determinismE0ELb0ELb0ES3_PKS7_PS7_S7_ZZZN2at6native31launch_logcumsumexp_cuda_kernelERKNSE_10TensorBaseESI_lENKUlvE_clEvENKUlvE1_clEvEUlS7_S7_E_S7_EEDaPvRmT3_T4_T5_mT6_P12ihipStream_tbENKUlT_T0_E_clISt17integral_constantIbLb1EESZ_EEDaSU_SV_EUlSU_E_NS1_11comp_targetILNS1_3genE3ELNS1_11target_archE908ELNS1_3gpuE7ELNS1_3repE0EEENS1_30default_config_static_selectorELNS0_4arch9wavefront6targetE0EEEvT1_.uses_vcc, 0
	.set _ZN7rocprim17ROCPRIM_400000_NS6detail17trampoline_kernelINS0_14default_configENS1_20scan_config_selectorIN3c107complexIdEEEEZZNS1_9scan_implILNS1_25lookback_scan_determinismE0ELb0ELb0ES3_PKS7_PS7_S7_ZZZN2at6native31launch_logcumsumexp_cuda_kernelERKNSE_10TensorBaseESI_lENKUlvE_clEvENKUlvE1_clEvEUlS7_S7_E_S7_EEDaPvRmT3_T4_T5_mT6_P12ihipStream_tbENKUlT_T0_E_clISt17integral_constantIbLb1EESZ_EEDaSU_SV_EUlSU_E_NS1_11comp_targetILNS1_3genE3ELNS1_11target_archE908ELNS1_3gpuE7ELNS1_3repE0EEENS1_30default_config_static_selectorELNS0_4arch9wavefront6targetE0EEEvT1_.uses_flat_scratch, 0
	.set _ZN7rocprim17ROCPRIM_400000_NS6detail17trampoline_kernelINS0_14default_configENS1_20scan_config_selectorIN3c107complexIdEEEEZZNS1_9scan_implILNS1_25lookback_scan_determinismE0ELb0ELb0ES3_PKS7_PS7_S7_ZZZN2at6native31launch_logcumsumexp_cuda_kernelERKNSE_10TensorBaseESI_lENKUlvE_clEvENKUlvE1_clEvEUlS7_S7_E_S7_EEDaPvRmT3_T4_T5_mT6_P12ihipStream_tbENKUlT_T0_E_clISt17integral_constantIbLb1EESZ_EEDaSU_SV_EUlSU_E_NS1_11comp_targetILNS1_3genE3ELNS1_11target_archE908ELNS1_3gpuE7ELNS1_3repE0EEENS1_30default_config_static_selectorELNS0_4arch9wavefront6targetE0EEEvT1_.has_dyn_sized_stack, 0
	.set _ZN7rocprim17ROCPRIM_400000_NS6detail17trampoline_kernelINS0_14default_configENS1_20scan_config_selectorIN3c107complexIdEEEEZZNS1_9scan_implILNS1_25lookback_scan_determinismE0ELb0ELb0ES3_PKS7_PS7_S7_ZZZN2at6native31launch_logcumsumexp_cuda_kernelERKNSE_10TensorBaseESI_lENKUlvE_clEvENKUlvE1_clEvEUlS7_S7_E_S7_EEDaPvRmT3_T4_T5_mT6_P12ihipStream_tbENKUlT_T0_E_clISt17integral_constantIbLb1EESZ_EEDaSU_SV_EUlSU_E_NS1_11comp_targetILNS1_3genE3ELNS1_11target_archE908ELNS1_3gpuE7ELNS1_3repE0EEENS1_30default_config_static_selectorELNS0_4arch9wavefront6targetE0EEEvT1_.has_recursion, 0
	.set _ZN7rocprim17ROCPRIM_400000_NS6detail17trampoline_kernelINS0_14default_configENS1_20scan_config_selectorIN3c107complexIdEEEEZZNS1_9scan_implILNS1_25lookback_scan_determinismE0ELb0ELb0ES3_PKS7_PS7_S7_ZZZN2at6native31launch_logcumsumexp_cuda_kernelERKNSE_10TensorBaseESI_lENKUlvE_clEvENKUlvE1_clEvEUlS7_S7_E_S7_EEDaPvRmT3_T4_T5_mT6_P12ihipStream_tbENKUlT_T0_E_clISt17integral_constantIbLb1EESZ_EEDaSU_SV_EUlSU_E_NS1_11comp_targetILNS1_3genE3ELNS1_11target_archE908ELNS1_3gpuE7ELNS1_3repE0EEENS1_30default_config_static_selectorELNS0_4arch9wavefront6targetE0EEEvT1_.has_indirect_call, 0
	.section	.AMDGPU.csdata,"",@progbits
; Kernel info:
; codeLenInByte = 0
; TotalNumSgprs: 0
; NumVgprs: 0
; ScratchSize: 0
; MemoryBound: 0
; FloatMode: 240
; IeeeMode: 1
; LDSByteSize: 0 bytes/workgroup (compile time only)
; SGPRBlocks: 0
; VGPRBlocks: 0
; NumSGPRsForWavesPerEU: 1
; NumVGPRsForWavesPerEU: 1
; Occupancy: 16
; WaveLimiterHint : 0
; COMPUTE_PGM_RSRC2:SCRATCH_EN: 0
; COMPUTE_PGM_RSRC2:USER_SGPR: 6
; COMPUTE_PGM_RSRC2:TRAP_HANDLER: 0
; COMPUTE_PGM_RSRC2:TGID_X_EN: 1
; COMPUTE_PGM_RSRC2:TGID_Y_EN: 0
; COMPUTE_PGM_RSRC2:TGID_Z_EN: 0
; COMPUTE_PGM_RSRC2:TIDIG_COMP_CNT: 0
	.section	.text._ZN7rocprim17ROCPRIM_400000_NS6detail17trampoline_kernelINS0_14default_configENS1_20scan_config_selectorIN3c107complexIdEEEEZZNS1_9scan_implILNS1_25lookback_scan_determinismE0ELb0ELb0ES3_PKS7_PS7_S7_ZZZN2at6native31launch_logcumsumexp_cuda_kernelERKNSE_10TensorBaseESI_lENKUlvE_clEvENKUlvE1_clEvEUlS7_S7_E_S7_EEDaPvRmT3_T4_T5_mT6_P12ihipStream_tbENKUlT_T0_E_clISt17integral_constantIbLb1EESZ_EEDaSU_SV_EUlSU_E_NS1_11comp_targetILNS1_3genE2ELNS1_11target_archE906ELNS1_3gpuE6ELNS1_3repE0EEENS1_30default_config_static_selectorELNS0_4arch9wavefront6targetE0EEEvT1_,"axG",@progbits,_ZN7rocprim17ROCPRIM_400000_NS6detail17trampoline_kernelINS0_14default_configENS1_20scan_config_selectorIN3c107complexIdEEEEZZNS1_9scan_implILNS1_25lookback_scan_determinismE0ELb0ELb0ES3_PKS7_PS7_S7_ZZZN2at6native31launch_logcumsumexp_cuda_kernelERKNSE_10TensorBaseESI_lENKUlvE_clEvENKUlvE1_clEvEUlS7_S7_E_S7_EEDaPvRmT3_T4_T5_mT6_P12ihipStream_tbENKUlT_T0_E_clISt17integral_constantIbLb1EESZ_EEDaSU_SV_EUlSU_E_NS1_11comp_targetILNS1_3genE2ELNS1_11target_archE906ELNS1_3gpuE6ELNS1_3repE0EEENS1_30default_config_static_selectorELNS0_4arch9wavefront6targetE0EEEvT1_,comdat
	.globl	_ZN7rocprim17ROCPRIM_400000_NS6detail17trampoline_kernelINS0_14default_configENS1_20scan_config_selectorIN3c107complexIdEEEEZZNS1_9scan_implILNS1_25lookback_scan_determinismE0ELb0ELb0ES3_PKS7_PS7_S7_ZZZN2at6native31launch_logcumsumexp_cuda_kernelERKNSE_10TensorBaseESI_lENKUlvE_clEvENKUlvE1_clEvEUlS7_S7_E_S7_EEDaPvRmT3_T4_T5_mT6_P12ihipStream_tbENKUlT_T0_E_clISt17integral_constantIbLb1EESZ_EEDaSU_SV_EUlSU_E_NS1_11comp_targetILNS1_3genE2ELNS1_11target_archE906ELNS1_3gpuE6ELNS1_3repE0EEENS1_30default_config_static_selectorELNS0_4arch9wavefront6targetE0EEEvT1_ ; -- Begin function _ZN7rocprim17ROCPRIM_400000_NS6detail17trampoline_kernelINS0_14default_configENS1_20scan_config_selectorIN3c107complexIdEEEEZZNS1_9scan_implILNS1_25lookback_scan_determinismE0ELb0ELb0ES3_PKS7_PS7_S7_ZZZN2at6native31launch_logcumsumexp_cuda_kernelERKNSE_10TensorBaseESI_lENKUlvE_clEvENKUlvE1_clEvEUlS7_S7_E_S7_EEDaPvRmT3_T4_T5_mT6_P12ihipStream_tbENKUlT_T0_E_clISt17integral_constantIbLb1EESZ_EEDaSU_SV_EUlSU_E_NS1_11comp_targetILNS1_3genE2ELNS1_11target_archE906ELNS1_3gpuE6ELNS1_3repE0EEENS1_30default_config_static_selectorELNS0_4arch9wavefront6targetE0EEEvT1_
	.p2align	8
	.type	_ZN7rocprim17ROCPRIM_400000_NS6detail17trampoline_kernelINS0_14default_configENS1_20scan_config_selectorIN3c107complexIdEEEEZZNS1_9scan_implILNS1_25lookback_scan_determinismE0ELb0ELb0ES3_PKS7_PS7_S7_ZZZN2at6native31launch_logcumsumexp_cuda_kernelERKNSE_10TensorBaseESI_lENKUlvE_clEvENKUlvE1_clEvEUlS7_S7_E_S7_EEDaPvRmT3_T4_T5_mT6_P12ihipStream_tbENKUlT_T0_E_clISt17integral_constantIbLb1EESZ_EEDaSU_SV_EUlSU_E_NS1_11comp_targetILNS1_3genE2ELNS1_11target_archE906ELNS1_3gpuE6ELNS1_3repE0EEENS1_30default_config_static_selectorELNS0_4arch9wavefront6targetE0EEEvT1_,@function
_ZN7rocprim17ROCPRIM_400000_NS6detail17trampoline_kernelINS0_14default_configENS1_20scan_config_selectorIN3c107complexIdEEEEZZNS1_9scan_implILNS1_25lookback_scan_determinismE0ELb0ELb0ES3_PKS7_PS7_S7_ZZZN2at6native31launch_logcumsumexp_cuda_kernelERKNSE_10TensorBaseESI_lENKUlvE_clEvENKUlvE1_clEvEUlS7_S7_E_S7_EEDaPvRmT3_T4_T5_mT6_P12ihipStream_tbENKUlT_T0_E_clISt17integral_constantIbLb1EESZ_EEDaSU_SV_EUlSU_E_NS1_11comp_targetILNS1_3genE2ELNS1_11target_archE906ELNS1_3gpuE6ELNS1_3repE0EEENS1_30default_config_static_selectorELNS0_4arch9wavefront6targetE0EEEvT1_: ; @_ZN7rocprim17ROCPRIM_400000_NS6detail17trampoline_kernelINS0_14default_configENS1_20scan_config_selectorIN3c107complexIdEEEEZZNS1_9scan_implILNS1_25lookback_scan_determinismE0ELb0ELb0ES3_PKS7_PS7_S7_ZZZN2at6native31launch_logcumsumexp_cuda_kernelERKNSE_10TensorBaseESI_lENKUlvE_clEvENKUlvE1_clEvEUlS7_S7_E_S7_EEDaPvRmT3_T4_T5_mT6_P12ihipStream_tbENKUlT_T0_E_clISt17integral_constantIbLb1EESZ_EEDaSU_SV_EUlSU_E_NS1_11comp_targetILNS1_3genE2ELNS1_11target_archE906ELNS1_3gpuE6ELNS1_3repE0EEENS1_30default_config_static_selectorELNS0_4arch9wavefront6targetE0EEEvT1_
; %bb.0:
	.section	.rodata,"a",@progbits
	.p2align	6, 0x0
	.amdhsa_kernel _ZN7rocprim17ROCPRIM_400000_NS6detail17trampoline_kernelINS0_14default_configENS1_20scan_config_selectorIN3c107complexIdEEEEZZNS1_9scan_implILNS1_25lookback_scan_determinismE0ELb0ELb0ES3_PKS7_PS7_S7_ZZZN2at6native31launch_logcumsumexp_cuda_kernelERKNSE_10TensorBaseESI_lENKUlvE_clEvENKUlvE1_clEvEUlS7_S7_E_S7_EEDaPvRmT3_T4_T5_mT6_P12ihipStream_tbENKUlT_T0_E_clISt17integral_constantIbLb1EESZ_EEDaSU_SV_EUlSU_E_NS1_11comp_targetILNS1_3genE2ELNS1_11target_archE906ELNS1_3gpuE6ELNS1_3repE0EEENS1_30default_config_static_selectorELNS0_4arch9wavefront6targetE0EEEvT1_
		.amdhsa_group_segment_fixed_size 0
		.amdhsa_private_segment_fixed_size 0
		.amdhsa_kernarg_size 128
		.amdhsa_user_sgpr_count 6
		.amdhsa_user_sgpr_private_segment_buffer 1
		.amdhsa_user_sgpr_dispatch_ptr 0
		.amdhsa_user_sgpr_queue_ptr 0
		.amdhsa_user_sgpr_kernarg_segment_ptr 1
		.amdhsa_user_sgpr_dispatch_id 0
		.amdhsa_user_sgpr_flat_scratch_init 0
		.amdhsa_user_sgpr_private_segment_size 0
		.amdhsa_wavefront_size32 1
		.amdhsa_uses_dynamic_stack 0
		.amdhsa_system_sgpr_private_segment_wavefront_offset 0
		.amdhsa_system_sgpr_workgroup_id_x 1
		.amdhsa_system_sgpr_workgroup_id_y 0
		.amdhsa_system_sgpr_workgroup_id_z 0
		.amdhsa_system_sgpr_workgroup_info 0
		.amdhsa_system_vgpr_workitem_id 0
		.amdhsa_next_free_vgpr 1
		.amdhsa_next_free_sgpr 1
		.amdhsa_reserve_vcc 0
		.amdhsa_reserve_flat_scratch 0
		.amdhsa_float_round_mode_32 0
		.amdhsa_float_round_mode_16_64 0
		.amdhsa_float_denorm_mode_32 3
		.amdhsa_float_denorm_mode_16_64 3
		.amdhsa_dx10_clamp 1
		.amdhsa_ieee_mode 1
		.amdhsa_fp16_overflow 0
		.amdhsa_workgroup_processor_mode 1
		.amdhsa_memory_ordered 1
		.amdhsa_forward_progress 1
		.amdhsa_shared_vgpr_count 0
		.amdhsa_exception_fp_ieee_invalid_op 0
		.amdhsa_exception_fp_denorm_src 0
		.amdhsa_exception_fp_ieee_div_zero 0
		.amdhsa_exception_fp_ieee_overflow 0
		.amdhsa_exception_fp_ieee_underflow 0
		.amdhsa_exception_fp_ieee_inexact 0
		.amdhsa_exception_int_div_zero 0
	.end_amdhsa_kernel
	.section	.text._ZN7rocprim17ROCPRIM_400000_NS6detail17trampoline_kernelINS0_14default_configENS1_20scan_config_selectorIN3c107complexIdEEEEZZNS1_9scan_implILNS1_25lookback_scan_determinismE0ELb0ELb0ES3_PKS7_PS7_S7_ZZZN2at6native31launch_logcumsumexp_cuda_kernelERKNSE_10TensorBaseESI_lENKUlvE_clEvENKUlvE1_clEvEUlS7_S7_E_S7_EEDaPvRmT3_T4_T5_mT6_P12ihipStream_tbENKUlT_T0_E_clISt17integral_constantIbLb1EESZ_EEDaSU_SV_EUlSU_E_NS1_11comp_targetILNS1_3genE2ELNS1_11target_archE906ELNS1_3gpuE6ELNS1_3repE0EEENS1_30default_config_static_selectorELNS0_4arch9wavefront6targetE0EEEvT1_,"axG",@progbits,_ZN7rocprim17ROCPRIM_400000_NS6detail17trampoline_kernelINS0_14default_configENS1_20scan_config_selectorIN3c107complexIdEEEEZZNS1_9scan_implILNS1_25lookback_scan_determinismE0ELb0ELb0ES3_PKS7_PS7_S7_ZZZN2at6native31launch_logcumsumexp_cuda_kernelERKNSE_10TensorBaseESI_lENKUlvE_clEvENKUlvE1_clEvEUlS7_S7_E_S7_EEDaPvRmT3_T4_T5_mT6_P12ihipStream_tbENKUlT_T0_E_clISt17integral_constantIbLb1EESZ_EEDaSU_SV_EUlSU_E_NS1_11comp_targetILNS1_3genE2ELNS1_11target_archE906ELNS1_3gpuE6ELNS1_3repE0EEENS1_30default_config_static_selectorELNS0_4arch9wavefront6targetE0EEEvT1_,comdat
.Lfunc_end207:
	.size	_ZN7rocprim17ROCPRIM_400000_NS6detail17trampoline_kernelINS0_14default_configENS1_20scan_config_selectorIN3c107complexIdEEEEZZNS1_9scan_implILNS1_25lookback_scan_determinismE0ELb0ELb0ES3_PKS7_PS7_S7_ZZZN2at6native31launch_logcumsumexp_cuda_kernelERKNSE_10TensorBaseESI_lENKUlvE_clEvENKUlvE1_clEvEUlS7_S7_E_S7_EEDaPvRmT3_T4_T5_mT6_P12ihipStream_tbENKUlT_T0_E_clISt17integral_constantIbLb1EESZ_EEDaSU_SV_EUlSU_E_NS1_11comp_targetILNS1_3genE2ELNS1_11target_archE906ELNS1_3gpuE6ELNS1_3repE0EEENS1_30default_config_static_selectorELNS0_4arch9wavefront6targetE0EEEvT1_, .Lfunc_end207-_ZN7rocprim17ROCPRIM_400000_NS6detail17trampoline_kernelINS0_14default_configENS1_20scan_config_selectorIN3c107complexIdEEEEZZNS1_9scan_implILNS1_25lookback_scan_determinismE0ELb0ELb0ES3_PKS7_PS7_S7_ZZZN2at6native31launch_logcumsumexp_cuda_kernelERKNSE_10TensorBaseESI_lENKUlvE_clEvENKUlvE1_clEvEUlS7_S7_E_S7_EEDaPvRmT3_T4_T5_mT6_P12ihipStream_tbENKUlT_T0_E_clISt17integral_constantIbLb1EESZ_EEDaSU_SV_EUlSU_E_NS1_11comp_targetILNS1_3genE2ELNS1_11target_archE906ELNS1_3gpuE6ELNS1_3repE0EEENS1_30default_config_static_selectorELNS0_4arch9wavefront6targetE0EEEvT1_
                                        ; -- End function
	.set _ZN7rocprim17ROCPRIM_400000_NS6detail17trampoline_kernelINS0_14default_configENS1_20scan_config_selectorIN3c107complexIdEEEEZZNS1_9scan_implILNS1_25lookback_scan_determinismE0ELb0ELb0ES3_PKS7_PS7_S7_ZZZN2at6native31launch_logcumsumexp_cuda_kernelERKNSE_10TensorBaseESI_lENKUlvE_clEvENKUlvE1_clEvEUlS7_S7_E_S7_EEDaPvRmT3_T4_T5_mT6_P12ihipStream_tbENKUlT_T0_E_clISt17integral_constantIbLb1EESZ_EEDaSU_SV_EUlSU_E_NS1_11comp_targetILNS1_3genE2ELNS1_11target_archE906ELNS1_3gpuE6ELNS1_3repE0EEENS1_30default_config_static_selectorELNS0_4arch9wavefront6targetE0EEEvT1_.num_vgpr, 0
	.set _ZN7rocprim17ROCPRIM_400000_NS6detail17trampoline_kernelINS0_14default_configENS1_20scan_config_selectorIN3c107complexIdEEEEZZNS1_9scan_implILNS1_25lookback_scan_determinismE0ELb0ELb0ES3_PKS7_PS7_S7_ZZZN2at6native31launch_logcumsumexp_cuda_kernelERKNSE_10TensorBaseESI_lENKUlvE_clEvENKUlvE1_clEvEUlS7_S7_E_S7_EEDaPvRmT3_T4_T5_mT6_P12ihipStream_tbENKUlT_T0_E_clISt17integral_constantIbLb1EESZ_EEDaSU_SV_EUlSU_E_NS1_11comp_targetILNS1_3genE2ELNS1_11target_archE906ELNS1_3gpuE6ELNS1_3repE0EEENS1_30default_config_static_selectorELNS0_4arch9wavefront6targetE0EEEvT1_.num_agpr, 0
	.set _ZN7rocprim17ROCPRIM_400000_NS6detail17trampoline_kernelINS0_14default_configENS1_20scan_config_selectorIN3c107complexIdEEEEZZNS1_9scan_implILNS1_25lookback_scan_determinismE0ELb0ELb0ES3_PKS7_PS7_S7_ZZZN2at6native31launch_logcumsumexp_cuda_kernelERKNSE_10TensorBaseESI_lENKUlvE_clEvENKUlvE1_clEvEUlS7_S7_E_S7_EEDaPvRmT3_T4_T5_mT6_P12ihipStream_tbENKUlT_T0_E_clISt17integral_constantIbLb1EESZ_EEDaSU_SV_EUlSU_E_NS1_11comp_targetILNS1_3genE2ELNS1_11target_archE906ELNS1_3gpuE6ELNS1_3repE0EEENS1_30default_config_static_selectorELNS0_4arch9wavefront6targetE0EEEvT1_.numbered_sgpr, 0
	.set _ZN7rocprim17ROCPRIM_400000_NS6detail17trampoline_kernelINS0_14default_configENS1_20scan_config_selectorIN3c107complexIdEEEEZZNS1_9scan_implILNS1_25lookback_scan_determinismE0ELb0ELb0ES3_PKS7_PS7_S7_ZZZN2at6native31launch_logcumsumexp_cuda_kernelERKNSE_10TensorBaseESI_lENKUlvE_clEvENKUlvE1_clEvEUlS7_S7_E_S7_EEDaPvRmT3_T4_T5_mT6_P12ihipStream_tbENKUlT_T0_E_clISt17integral_constantIbLb1EESZ_EEDaSU_SV_EUlSU_E_NS1_11comp_targetILNS1_3genE2ELNS1_11target_archE906ELNS1_3gpuE6ELNS1_3repE0EEENS1_30default_config_static_selectorELNS0_4arch9wavefront6targetE0EEEvT1_.num_named_barrier, 0
	.set _ZN7rocprim17ROCPRIM_400000_NS6detail17trampoline_kernelINS0_14default_configENS1_20scan_config_selectorIN3c107complexIdEEEEZZNS1_9scan_implILNS1_25lookback_scan_determinismE0ELb0ELb0ES3_PKS7_PS7_S7_ZZZN2at6native31launch_logcumsumexp_cuda_kernelERKNSE_10TensorBaseESI_lENKUlvE_clEvENKUlvE1_clEvEUlS7_S7_E_S7_EEDaPvRmT3_T4_T5_mT6_P12ihipStream_tbENKUlT_T0_E_clISt17integral_constantIbLb1EESZ_EEDaSU_SV_EUlSU_E_NS1_11comp_targetILNS1_3genE2ELNS1_11target_archE906ELNS1_3gpuE6ELNS1_3repE0EEENS1_30default_config_static_selectorELNS0_4arch9wavefront6targetE0EEEvT1_.private_seg_size, 0
	.set _ZN7rocprim17ROCPRIM_400000_NS6detail17trampoline_kernelINS0_14default_configENS1_20scan_config_selectorIN3c107complexIdEEEEZZNS1_9scan_implILNS1_25lookback_scan_determinismE0ELb0ELb0ES3_PKS7_PS7_S7_ZZZN2at6native31launch_logcumsumexp_cuda_kernelERKNSE_10TensorBaseESI_lENKUlvE_clEvENKUlvE1_clEvEUlS7_S7_E_S7_EEDaPvRmT3_T4_T5_mT6_P12ihipStream_tbENKUlT_T0_E_clISt17integral_constantIbLb1EESZ_EEDaSU_SV_EUlSU_E_NS1_11comp_targetILNS1_3genE2ELNS1_11target_archE906ELNS1_3gpuE6ELNS1_3repE0EEENS1_30default_config_static_selectorELNS0_4arch9wavefront6targetE0EEEvT1_.uses_vcc, 0
	.set _ZN7rocprim17ROCPRIM_400000_NS6detail17trampoline_kernelINS0_14default_configENS1_20scan_config_selectorIN3c107complexIdEEEEZZNS1_9scan_implILNS1_25lookback_scan_determinismE0ELb0ELb0ES3_PKS7_PS7_S7_ZZZN2at6native31launch_logcumsumexp_cuda_kernelERKNSE_10TensorBaseESI_lENKUlvE_clEvENKUlvE1_clEvEUlS7_S7_E_S7_EEDaPvRmT3_T4_T5_mT6_P12ihipStream_tbENKUlT_T0_E_clISt17integral_constantIbLb1EESZ_EEDaSU_SV_EUlSU_E_NS1_11comp_targetILNS1_3genE2ELNS1_11target_archE906ELNS1_3gpuE6ELNS1_3repE0EEENS1_30default_config_static_selectorELNS0_4arch9wavefront6targetE0EEEvT1_.uses_flat_scratch, 0
	.set _ZN7rocprim17ROCPRIM_400000_NS6detail17trampoline_kernelINS0_14default_configENS1_20scan_config_selectorIN3c107complexIdEEEEZZNS1_9scan_implILNS1_25lookback_scan_determinismE0ELb0ELb0ES3_PKS7_PS7_S7_ZZZN2at6native31launch_logcumsumexp_cuda_kernelERKNSE_10TensorBaseESI_lENKUlvE_clEvENKUlvE1_clEvEUlS7_S7_E_S7_EEDaPvRmT3_T4_T5_mT6_P12ihipStream_tbENKUlT_T0_E_clISt17integral_constantIbLb1EESZ_EEDaSU_SV_EUlSU_E_NS1_11comp_targetILNS1_3genE2ELNS1_11target_archE906ELNS1_3gpuE6ELNS1_3repE0EEENS1_30default_config_static_selectorELNS0_4arch9wavefront6targetE0EEEvT1_.has_dyn_sized_stack, 0
	.set _ZN7rocprim17ROCPRIM_400000_NS6detail17trampoline_kernelINS0_14default_configENS1_20scan_config_selectorIN3c107complexIdEEEEZZNS1_9scan_implILNS1_25lookback_scan_determinismE0ELb0ELb0ES3_PKS7_PS7_S7_ZZZN2at6native31launch_logcumsumexp_cuda_kernelERKNSE_10TensorBaseESI_lENKUlvE_clEvENKUlvE1_clEvEUlS7_S7_E_S7_EEDaPvRmT3_T4_T5_mT6_P12ihipStream_tbENKUlT_T0_E_clISt17integral_constantIbLb1EESZ_EEDaSU_SV_EUlSU_E_NS1_11comp_targetILNS1_3genE2ELNS1_11target_archE906ELNS1_3gpuE6ELNS1_3repE0EEENS1_30default_config_static_selectorELNS0_4arch9wavefront6targetE0EEEvT1_.has_recursion, 0
	.set _ZN7rocprim17ROCPRIM_400000_NS6detail17trampoline_kernelINS0_14default_configENS1_20scan_config_selectorIN3c107complexIdEEEEZZNS1_9scan_implILNS1_25lookback_scan_determinismE0ELb0ELb0ES3_PKS7_PS7_S7_ZZZN2at6native31launch_logcumsumexp_cuda_kernelERKNSE_10TensorBaseESI_lENKUlvE_clEvENKUlvE1_clEvEUlS7_S7_E_S7_EEDaPvRmT3_T4_T5_mT6_P12ihipStream_tbENKUlT_T0_E_clISt17integral_constantIbLb1EESZ_EEDaSU_SV_EUlSU_E_NS1_11comp_targetILNS1_3genE2ELNS1_11target_archE906ELNS1_3gpuE6ELNS1_3repE0EEENS1_30default_config_static_selectorELNS0_4arch9wavefront6targetE0EEEvT1_.has_indirect_call, 0
	.section	.AMDGPU.csdata,"",@progbits
; Kernel info:
; codeLenInByte = 0
; TotalNumSgprs: 0
; NumVgprs: 0
; ScratchSize: 0
; MemoryBound: 0
; FloatMode: 240
; IeeeMode: 1
; LDSByteSize: 0 bytes/workgroup (compile time only)
; SGPRBlocks: 0
; VGPRBlocks: 0
; NumSGPRsForWavesPerEU: 1
; NumVGPRsForWavesPerEU: 1
; Occupancy: 16
; WaveLimiterHint : 0
; COMPUTE_PGM_RSRC2:SCRATCH_EN: 0
; COMPUTE_PGM_RSRC2:USER_SGPR: 6
; COMPUTE_PGM_RSRC2:TRAP_HANDLER: 0
; COMPUTE_PGM_RSRC2:TGID_X_EN: 1
; COMPUTE_PGM_RSRC2:TGID_Y_EN: 0
; COMPUTE_PGM_RSRC2:TGID_Z_EN: 0
; COMPUTE_PGM_RSRC2:TIDIG_COMP_CNT: 0
	.section	.text._ZN7rocprim17ROCPRIM_400000_NS6detail17trampoline_kernelINS0_14default_configENS1_20scan_config_selectorIN3c107complexIdEEEEZZNS1_9scan_implILNS1_25lookback_scan_determinismE0ELb0ELb0ES3_PKS7_PS7_S7_ZZZN2at6native31launch_logcumsumexp_cuda_kernelERKNSE_10TensorBaseESI_lENKUlvE_clEvENKUlvE1_clEvEUlS7_S7_E_S7_EEDaPvRmT3_T4_T5_mT6_P12ihipStream_tbENKUlT_T0_E_clISt17integral_constantIbLb1EESZ_EEDaSU_SV_EUlSU_E_NS1_11comp_targetILNS1_3genE10ELNS1_11target_archE1201ELNS1_3gpuE5ELNS1_3repE0EEENS1_30default_config_static_selectorELNS0_4arch9wavefront6targetE0EEEvT1_,"axG",@progbits,_ZN7rocprim17ROCPRIM_400000_NS6detail17trampoline_kernelINS0_14default_configENS1_20scan_config_selectorIN3c107complexIdEEEEZZNS1_9scan_implILNS1_25lookback_scan_determinismE0ELb0ELb0ES3_PKS7_PS7_S7_ZZZN2at6native31launch_logcumsumexp_cuda_kernelERKNSE_10TensorBaseESI_lENKUlvE_clEvENKUlvE1_clEvEUlS7_S7_E_S7_EEDaPvRmT3_T4_T5_mT6_P12ihipStream_tbENKUlT_T0_E_clISt17integral_constantIbLb1EESZ_EEDaSU_SV_EUlSU_E_NS1_11comp_targetILNS1_3genE10ELNS1_11target_archE1201ELNS1_3gpuE5ELNS1_3repE0EEENS1_30default_config_static_selectorELNS0_4arch9wavefront6targetE0EEEvT1_,comdat
	.globl	_ZN7rocprim17ROCPRIM_400000_NS6detail17trampoline_kernelINS0_14default_configENS1_20scan_config_selectorIN3c107complexIdEEEEZZNS1_9scan_implILNS1_25lookback_scan_determinismE0ELb0ELb0ES3_PKS7_PS7_S7_ZZZN2at6native31launch_logcumsumexp_cuda_kernelERKNSE_10TensorBaseESI_lENKUlvE_clEvENKUlvE1_clEvEUlS7_S7_E_S7_EEDaPvRmT3_T4_T5_mT6_P12ihipStream_tbENKUlT_T0_E_clISt17integral_constantIbLb1EESZ_EEDaSU_SV_EUlSU_E_NS1_11comp_targetILNS1_3genE10ELNS1_11target_archE1201ELNS1_3gpuE5ELNS1_3repE0EEENS1_30default_config_static_selectorELNS0_4arch9wavefront6targetE0EEEvT1_ ; -- Begin function _ZN7rocprim17ROCPRIM_400000_NS6detail17trampoline_kernelINS0_14default_configENS1_20scan_config_selectorIN3c107complexIdEEEEZZNS1_9scan_implILNS1_25lookback_scan_determinismE0ELb0ELb0ES3_PKS7_PS7_S7_ZZZN2at6native31launch_logcumsumexp_cuda_kernelERKNSE_10TensorBaseESI_lENKUlvE_clEvENKUlvE1_clEvEUlS7_S7_E_S7_EEDaPvRmT3_T4_T5_mT6_P12ihipStream_tbENKUlT_T0_E_clISt17integral_constantIbLb1EESZ_EEDaSU_SV_EUlSU_E_NS1_11comp_targetILNS1_3genE10ELNS1_11target_archE1201ELNS1_3gpuE5ELNS1_3repE0EEENS1_30default_config_static_selectorELNS0_4arch9wavefront6targetE0EEEvT1_
	.p2align	8
	.type	_ZN7rocprim17ROCPRIM_400000_NS6detail17trampoline_kernelINS0_14default_configENS1_20scan_config_selectorIN3c107complexIdEEEEZZNS1_9scan_implILNS1_25lookback_scan_determinismE0ELb0ELb0ES3_PKS7_PS7_S7_ZZZN2at6native31launch_logcumsumexp_cuda_kernelERKNSE_10TensorBaseESI_lENKUlvE_clEvENKUlvE1_clEvEUlS7_S7_E_S7_EEDaPvRmT3_T4_T5_mT6_P12ihipStream_tbENKUlT_T0_E_clISt17integral_constantIbLb1EESZ_EEDaSU_SV_EUlSU_E_NS1_11comp_targetILNS1_3genE10ELNS1_11target_archE1201ELNS1_3gpuE5ELNS1_3repE0EEENS1_30default_config_static_selectorELNS0_4arch9wavefront6targetE0EEEvT1_,@function
_ZN7rocprim17ROCPRIM_400000_NS6detail17trampoline_kernelINS0_14default_configENS1_20scan_config_selectorIN3c107complexIdEEEEZZNS1_9scan_implILNS1_25lookback_scan_determinismE0ELb0ELb0ES3_PKS7_PS7_S7_ZZZN2at6native31launch_logcumsumexp_cuda_kernelERKNSE_10TensorBaseESI_lENKUlvE_clEvENKUlvE1_clEvEUlS7_S7_E_S7_EEDaPvRmT3_T4_T5_mT6_P12ihipStream_tbENKUlT_T0_E_clISt17integral_constantIbLb1EESZ_EEDaSU_SV_EUlSU_E_NS1_11comp_targetILNS1_3genE10ELNS1_11target_archE1201ELNS1_3gpuE5ELNS1_3repE0EEENS1_30default_config_static_selectorELNS0_4arch9wavefront6targetE0EEEvT1_: ; @_ZN7rocprim17ROCPRIM_400000_NS6detail17trampoline_kernelINS0_14default_configENS1_20scan_config_selectorIN3c107complexIdEEEEZZNS1_9scan_implILNS1_25lookback_scan_determinismE0ELb0ELb0ES3_PKS7_PS7_S7_ZZZN2at6native31launch_logcumsumexp_cuda_kernelERKNSE_10TensorBaseESI_lENKUlvE_clEvENKUlvE1_clEvEUlS7_S7_E_S7_EEDaPvRmT3_T4_T5_mT6_P12ihipStream_tbENKUlT_T0_E_clISt17integral_constantIbLb1EESZ_EEDaSU_SV_EUlSU_E_NS1_11comp_targetILNS1_3genE10ELNS1_11target_archE1201ELNS1_3gpuE5ELNS1_3repE0EEENS1_30default_config_static_selectorELNS0_4arch9wavefront6targetE0EEEvT1_
; %bb.0:
	.section	.rodata,"a",@progbits
	.p2align	6, 0x0
	.amdhsa_kernel _ZN7rocprim17ROCPRIM_400000_NS6detail17trampoline_kernelINS0_14default_configENS1_20scan_config_selectorIN3c107complexIdEEEEZZNS1_9scan_implILNS1_25lookback_scan_determinismE0ELb0ELb0ES3_PKS7_PS7_S7_ZZZN2at6native31launch_logcumsumexp_cuda_kernelERKNSE_10TensorBaseESI_lENKUlvE_clEvENKUlvE1_clEvEUlS7_S7_E_S7_EEDaPvRmT3_T4_T5_mT6_P12ihipStream_tbENKUlT_T0_E_clISt17integral_constantIbLb1EESZ_EEDaSU_SV_EUlSU_E_NS1_11comp_targetILNS1_3genE10ELNS1_11target_archE1201ELNS1_3gpuE5ELNS1_3repE0EEENS1_30default_config_static_selectorELNS0_4arch9wavefront6targetE0EEEvT1_
		.amdhsa_group_segment_fixed_size 0
		.amdhsa_private_segment_fixed_size 0
		.amdhsa_kernarg_size 128
		.amdhsa_user_sgpr_count 6
		.amdhsa_user_sgpr_private_segment_buffer 1
		.amdhsa_user_sgpr_dispatch_ptr 0
		.amdhsa_user_sgpr_queue_ptr 0
		.amdhsa_user_sgpr_kernarg_segment_ptr 1
		.amdhsa_user_sgpr_dispatch_id 0
		.amdhsa_user_sgpr_flat_scratch_init 0
		.amdhsa_user_sgpr_private_segment_size 0
		.amdhsa_wavefront_size32 1
		.amdhsa_uses_dynamic_stack 0
		.amdhsa_system_sgpr_private_segment_wavefront_offset 0
		.amdhsa_system_sgpr_workgroup_id_x 1
		.amdhsa_system_sgpr_workgroup_id_y 0
		.amdhsa_system_sgpr_workgroup_id_z 0
		.amdhsa_system_sgpr_workgroup_info 0
		.amdhsa_system_vgpr_workitem_id 0
		.amdhsa_next_free_vgpr 1
		.amdhsa_next_free_sgpr 1
		.amdhsa_reserve_vcc 0
		.amdhsa_reserve_flat_scratch 0
		.amdhsa_float_round_mode_32 0
		.amdhsa_float_round_mode_16_64 0
		.amdhsa_float_denorm_mode_32 3
		.amdhsa_float_denorm_mode_16_64 3
		.amdhsa_dx10_clamp 1
		.amdhsa_ieee_mode 1
		.amdhsa_fp16_overflow 0
		.amdhsa_workgroup_processor_mode 1
		.amdhsa_memory_ordered 1
		.amdhsa_forward_progress 1
		.amdhsa_shared_vgpr_count 0
		.amdhsa_exception_fp_ieee_invalid_op 0
		.amdhsa_exception_fp_denorm_src 0
		.amdhsa_exception_fp_ieee_div_zero 0
		.amdhsa_exception_fp_ieee_overflow 0
		.amdhsa_exception_fp_ieee_underflow 0
		.amdhsa_exception_fp_ieee_inexact 0
		.amdhsa_exception_int_div_zero 0
	.end_amdhsa_kernel
	.section	.text._ZN7rocprim17ROCPRIM_400000_NS6detail17trampoline_kernelINS0_14default_configENS1_20scan_config_selectorIN3c107complexIdEEEEZZNS1_9scan_implILNS1_25lookback_scan_determinismE0ELb0ELb0ES3_PKS7_PS7_S7_ZZZN2at6native31launch_logcumsumexp_cuda_kernelERKNSE_10TensorBaseESI_lENKUlvE_clEvENKUlvE1_clEvEUlS7_S7_E_S7_EEDaPvRmT3_T4_T5_mT6_P12ihipStream_tbENKUlT_T0_E_clISt17integral_constantIbLb1EESZ_EEDaSU_SV_EUlSU_E_NS1_11comp_targetILNS1_3genE10ELNS1_11target_archE1201ELNS1_3gpuE5ELNS1_3repE0EEENS1_30default_config_static_selectorELNS0_4arch9wavefront6targetE0EEEvT1_,"axG",@progbits,_ZN7rocprim17ROCPRIM_400000_NS6detail17trampoline_kernelINS0_14default_configENS1_20scan_config_selectorIN3c107complexIdEEEEZZNS1_9scan_implILNS1_25lookback_scan_determinismE0ELb0ELb0ES3_PKS7_PS7_S7_ZZZN2at6native31launch_logcumsumexp_cuda_kernelERKNSE_10TensorBaseESI_lENKUlvE_clEvENKUlvE1_clEvEUlS7_S7_E_S7_EEDaPvRmT3_T4_T5_mT6_P12ihipStream_tbENKUlT_T0_E_clISt17integral_constantIbLb1EESZ_EEDaSU_SV_EUlSU_E_NS1_11comp_targetILNS1_3genE10ELNS1_11target_archE1201ELNS1_3gpuE5ELNS1_3repE0EEENS1_30default_config_static_selectorELNS0_4arch9wavefront6targetE0EEEvT1_,comdat
.Lfunc_end208:
	.size	_ZN7rocprim17ROCPRIM_400000_NS6detail17trampoline_kernelINS0_14default_configENS1_20scan_config_selectorIN3c107complexIdEEEEZZNS1_9scan_implILNS1_25lookback_scan_determinismE0ELb0ELb0ES3_PKS7_PS7_S7_ZZZN2at6native31launch_logcumsumexp_cuda_kernelERKNSE_10TensorBaseESI_lENKUlvE_clEvENKUlvE1_clEvEUlS7_S7_E_S7_EEDaPvRmT3_T4_T5_mT6_P12ihipStream_tbENKUlT_T0_E_clISt17integral_constantIbLb1EESZ_EEDaSU_SV_EUlSU_E_NS1_11comp_targetILNS1_3genE10ELNS1_11target_archE1201ELNS1_3gpuE5ELNS1_3repE0EEENS1_30default_config_static_selectorELNS0_4arch9wavefront6targetE0EEEvT1_, .Lfunc_end208-_ZN7rocprim17ROCPRIM_400000_NS6detail17trampoline_kernelINS0_14default_configENS1_20scan_config_selectorIN3c107complexIdEEEEZZNS1_9scan_implILNS1_25lookback_scan_determinismE0ELb0ELb0ES3_PKS7_PS7_S7_ZZZN2at6native31launch_logcumsumexp_cuda_kernelERKNSE_10TensorBaseESI_lENKUlvE_clEvENKUlvE1_clEvEUlS7_S7_E_S7_EEDaPvRmT3_T4_T5_mT6_P12ihipStream_tbENKUlT_T0_E_clISt17integral_constantIbLb1EESZ_EEDaSU_SV_EUlSU_E_NS1_11comp_targetILNS1_3genE10ELNS1_11target_archE1201ELNS1_3gpuE5ELNS1_3repE0EEENS1_30default_config_static_selectorELNS0_4arch9wavefront6targetE0EEEvT1_
                                        ; -- End function
	.set _ZN7rocprim17ROCPRIM_400000_NS6detail17trampoline_kernelINS0_14default_configENS1_20scan_config_selectorIN3c107complexIdEEEEZZNS1_9scan_implILNS1_25lookback_scan_determinismE0ELb0ELb0ES3_PKS7_PS7_S7_ZZZN2at6native31launch_logcumsumexp_cuda_kernelERKNSE_10TensorBaseESI_lENKUlvE_clEvENKUlvE1_clEvEUlS7_S7_E_S7_EEDaPvRmT3_T4_T5_mT6_P12ihipStream_tbENKUlT_T0_E_clISt17integral_constantIbLb1EESZ_EEDaSU_SV_EUlSU_E_NS1_11comp_targetILNS1_3genE10ELNS1_11target_archE1201ELNS1_3gpuE5ELNS1_3repE0EEENS1_30default_config_static_selectorELNS0_4arch9wavefront6targetE0EEEvT1_.num_vgpr, 0
	.set _ZN7rocprim17ROCPRIM_400000_NS6detail17trampoline_kernelINS0_14default_configENS1_20scan_config_selectorIN3c107complexIdEEEEZZNS1_9scan_implILNS1_25lookback_scan_determinismE0ELb0ELb0ES3_PKS7_PS7_S7_ZZZN2at6native31launch_logcumsumexp_cuda_kernelERKNSE_10TensorBaseESI_lENKUlvE_clEvENKUlvE1_clEvEUlS7_S7_E_S7_EEDaPvRmT3_T4_T5_mT6_P12ihipStream_tbENKUlT_T0_E_clISt17integral_constantIbLb1EESZ_EEDaSU_SV_EUlSU_E_NS1_11comp_targetILNS1_3genE10ELNS1_11target_archE1201ELNS1_3gpuE5ELNS1_3repE0EEENS1_30default_config_static_selectorELNS0_4arch9wavefront6targetE0EEEvT1_.num_agpr, 0
	.set _ZN7rocprim17ROCPRIM_400000_NS6detail17trampoline_kernelINS0_14default_configENS1_20scan_config_selectorIN3c107complexIdEEEEZZNS1_9scan_implILNS1_25lookback_scan_determinismE0ELb0ELb0ES3_PKS7_PS7_S7_ZZZN2at6native31launch_logcumsumexp_cuda_kernelERKNSE_10TensorBaseESI_lENKUlvE_clEvENKUlvE1_clEvEUlS7_S7_E_S7_EEDaPvRmT3_T4_T5_mT6_P12ihipStream_tbENKUlT_T0_E_clISt17integral_constantIbLb1EESZ_EEDaSU_SV_EUlSU_E_NS1_11comp_targetILNS1_3genE10ELNS1_11target_archE1201ELNS1_3gpuE5ELNS1_3repE0EEENS1_30default_config_static_selectorELNS0_4arch9wavefront6targetE0EEEvT1_.numbered_sgpr, 0
	.set _ZN7rocprim17ROCPRIM_400000_NS6detail17trampoline_kernelINS0_14default_configENS1_20scan_config_selectorIN3c107complexIdEEEEZZNS1_9scan_implILNS1_25lookback_scan_determinismE0ELb0ELb0ES3_PKS7_PS7_S7_ZZZN2at6native31launch_logcumsumexp_cuda_kernelERKNSE_10TensorBaseESI_lENKUlvE_clEvENKUlvE1_clEvEUlS7_S7_E_S7_EEDaPvRmT3_T4_T5_mT6_P12ihipStream_tbENKUlT_T0_E_clISt17integral_constantIbLb1EESZ_EEDaSU_SV_EUlSU_E_NS1_11comp_targetILNS1_3genE10ELNS1_11target_archE1201ELNS1_3gpuE5ELNS1_3repE0EEENS1_30default_config_static_selectorELNS0_4arch9wavefront6targetE0EEEvT1_.num_named_barrier, 0
	.set _ZN7rocprim17ROCPRIM_400000_NS6detail17trampoline_kernelINS0_14default_configENS1_20scan_config_selectorIN3c107complexIdEEEEZZNS1_9scan_implILNS1_25lookback_scan_determinismE0ELb0ELb0ES3_PKS7_PS7_S7_ZZZN2at6native31launch_logcumsumexp_cuda_kernelERKNSE_10TensorBaseESI_lENKUlvE_clEvENKUlvE1_clEvEUlS7_S7_E_S7_EEDaPvRmT3_T4_T5_mT6_P12ihipStream_tbENKUlT_T0_E_clISt17integral_constantIbLb1EESZ_EEDaSU_SV_EUlSU_E_NS1_11comp_targetILNS1_3genE10ELNS1_11target_archE1201ELNS1_3gpuE5ELNS1_3repE0EEENS1_30default_config_static_selectorELNS0_4arch9wavefront6targetE0EEEvT1_.private_seg_size, 0
	.set _ZN7rocprim17ROCPRIM_400000_NS6detail17trampoline_kernelINS0_14default_configENS1_20scan_config_selectorIN3c107complexIdEEEEZZNS1_9scan_implILNS1_25lookback_scan_determinismE0ELb0ELb0ES3_PKS7_PS7_S7_ZZZN2at6native31launch_logcumsumexp_cuda_kernelERKNSE_10TensorBaseESI_lENKUlvE_clEvENKUlvE1_clEvEUlS7_S7_E_S7_EEDaPvRmT3_T4_T5_mT6_P12ihipStream_tbENKUlT_T0_E_clISt17integral_constantIbLb1EESZ_EEDaSU_SV_EUlSU_E_NS1_11comp_targetILNS1_3genE10ELNS1_11target_archE1201ELNS1_3gpuE5ELNS1_3repE0EEENS1_30default_config_static_selectorELNS0_4arch9wavefront6targetE0EEEvT1_.uses_vcc, 0
	.set _ZN7rocprim17ROCPRIM_400000_NS6detail17trampoline_kernelINS0_14default_configENS1_20scan_config_selectorIN3c107complexIdEEEEZZNS1_9scan_implILNS1_25lookback_scan_determinismE0ELb0ELb0ES3_PKS7_PS7_S7_ZZZN2at6native31launch_logcumsumexp_cuda_kernelERKNSE_10TensorBaseESI_lENKUlvE_clEvENKUlvE1_clEvEUlS7_S7_E_S7_EEDaPvRmT3_T4_T5_mT6_P12ihipStream_tbENKUlT_T0_E_clISt17integral_constantIbLb1EESZ_EEDaSU_SV_EUlSU_E_NS1_11comp_targetILNS1_3genE10ELNS1_11target_archE1201ELNS1_3gpuE5ELNS1_3repE0EEENS1_30default_config_static_selectorELNS0_4arch9wavefront6targetE0EEEvT1_.uses_flat_scratch, 0
	.set _ZN7rocprim17ROCPRIM_400000_NS6detail17trampoline_kernelINS0_14default_configENS1_20scan_config_selectorIN3c107complexIdEEEEZZNS1_9scan_implILNS1_25lookback_scan_determinismE0ELb0ELb0ES3_PKS7_PS7_S7_ZZZN2at6native31launch_logcumsumexp_cuda_kernelERKNSE_10TensorBaseESI_lENKUlvE_clEvENKUlvE1_clEvEUlS7_S7_E_S7_EEDaPvRmT3_T4_T5_mT6_P12ihipStream_tbENKUlT_T0_E_clISt17integral_constantIbLb1EESZ_EEDaSU_SV_EUlSU_E_NS1_11comp_targetILNS1_3genE10ELNS1_11target_archE1201ELNS1_3gpuE5ELNS1_3repE0EEENS1_30default_config_static_selectorELNS0_4arch9wavefront6targetE0EEEvT1_.has_dyn_sized_stack, 0
	.set _ZN7rocprim17ROCPRIM_400000_NS6detail17trampoline_kernelINS0_14default_configENS1_20scan_config_selectorIN3c107complexIdEEEEZZNS1_9scan_implILNS1_25lookback_scan_determinismE0ELb0ELb0ES3_PKS7_PS7_S7_ZZZN2at6native31launch_logcumsumexp_cuda_kernelERKNSE_10TensorBaseESI_lENKUlvE_clEvENKUlvE1_clEvEUlS7_S7_E_S7_EEDaPvRmT3_T4_T5_mT6_P12ihipStream_tbENKUlT_T0_E_clISt17integral_constantIbLb1EESZ_EEDaSU_SV_EUlSU_E_NS1_11comp_targetILNS1_3genE10ELNS1_11target_archE1201ELNS1_3gpuE5ELNS1_3repE0EEENS1_30default_config_static_selectorELNS0_4arch9wavefront6targetE0EEEvT1_.has_recursion, 0
	.set _ZN7rocprim17ROCPRIM_400000_NS6detail17trampoline_kernelINS0_14default_configENS1_20scan_config_selectorIN3c107complexIdEEEEZZNS1_9scan_implILNS1_25lookback_scan_determinismE0ELb0ELb0ES3_PKS7_PS7_S7_ZZZN2at6native31launch_logcumsumexp_cuda_kernelERKNSE_10TensorBaseESI_lENKUlvE_clEvENKUlvE1_clEvEUlS7_S7_E_S7_EEDaPvRmT3_T4_T5_mT6_P12ihipStream_tbENKUlT_T0_E_clISt17integral_constantIbLb1EESZ_EEDaSU_SV_EUlSU_E_NS1_11comp_targetILNS1_3genE10ELNS1_11target_archE1201ELNS1_3gpuE5ELNS1_3repE0EEENS1_30default_config_static_selectorELNS0_4arch9wavefront6targetE0EEEvT1_.has_indirect_call, 0
	.section	.AMDGPU.csdata,"",@progbits
; Kernel info:
; codeLenInByte = 0
; TotalNumSgprs: 0
; NumVgprs: 0
; ScratchSize: 0
; MemoryBound: 0
; FloatMode: 240
; IeeeMode: 1
; LDSByteSize: 0 bytes/workgroup (compile time only)
; SGPRBlocks: 0
; VGPRBlocks: 0
; NumSGPRsForWavesPerEU: 1
; NumVGPRsForWavesPerEU: 1
; Occupancy: 16
; WaveLimiterHint : 0
; COMPUTE_PGM_RSRC2:SCRATCH_EN: 0
; COMPUTE_PGM_RSRC2:USER_SGPR: 6
; COMPUTE_PGM_RSRC2:TRAP_HANDLER: 0
; COMPUTE_PGM_RSRC2:TGID_X_EN: 1
; COMPUTE_PGM_RSRC2:TGID_Y_EN: 0
; COMPUTE_PGM_RSRC2:TGID_Z_EN: 0
; COMPUTE_PGM_RSRC2:TIDIG_COMP_CNT: 0
	.section	.text._ZN7rocprim17ROCPRIM_400000_NS6detail17trampoline_kernelINS0_14default_configENS1_20scan_config_selectorIN3c107complexIdEEEEZZNS1_9scan_implILNS1_25lookback_scan_determinismE0ELb0ELb0ES3_PKS7_PS7_S7_ZZZN2at6native31launch_logcumsumexp_cuda_kernelERKNSE_10TensorBaseESI_lENKUlvE_clEvENKUlvE1_clEvEUlS7_S7_E_S7_EEDaPvRmT3_T4_T5_mT6_P12ihipStream_tbENKUlT_T0_E_clISt17integral_constantIbLb1EESZ_EEDaSU_SV_EUlSU_E_NS1_11comp_targetILNS1_3genE10ELNS1_11target_archE1200ELNS1_3gpuE4ELNS1_3repE0EEENS1_30default_config_static_selectorELNS0_4arch9wavefront6targetE0EEEvT1_,"axG",@progbits,_ZN7rocprim17ROCPRIM_400000_NS6detail17trampoline_kernelINS0_14default_configENS1_20scan_config_selectorIN3c107complexIdEEEEZZNS1_9scan_implILNS1_25lookback_scan_determinismE0ELb0ELb0ES3_PKS7_PS7_S7_ZZZN2at6native31launch_logcumsumexp_cuda_kernelERKNSE_10TensorBaseESI_lENKUlvE_clEvENKUlvE1_clEvEUlS7_S7_E_S7_EEDaPvRmT3_T4_T5_mT6_P12ihipStream_tbENKUlT_T0_E_clISt17integral_constantIbLb1EESZ_EEDaSU_SV_EUlSU_E_NS1_11comp_targetILNS1_3genE10ELNS1_11target_archE1200ELNS1_3gpuE4ELNS1_3repE0EEENS1_30default_config_static_selectorELNS0_4arch9wavefront6targetE0EEEvT1_,comdat
	.globl	_ZN7rocprim17ROCPRIM_400000_NS6detail17trampoline_kernelINS0_14default_configENS1_20scan_config_selectorIN3c107complexIdEEEEZZNS1_9scan_implILNS1_25lookback_scan_determinismE0ELb0ELb0ES3_PKS7_PS7_S7_ZZZN2at6native31launch_logcumsumexp_cuda_kernelERKNSE_10TensorBaseESI_lENKUlvE_clEvENKUlvE1_clEvEUlS7_S7_E_S7_EEDaPvRmT3_T4_T5_mT6_P12ihipStream_tbENKUlT_T0_E_clISt17integral_constantIbLb1EESZ_EEDaSU_SV_EUlSU_E_NS1_11comp_targetILNS1_3genE10ELNS1_11target_archE1200ELNS1_3gpuE4ELNS1_3repE0EEENS1_30default_config_static_selectorELNS0_4arch9wavefront6targetE0EEEvT1_ ; -- Begin function _ZN7rocprim17ROCPRIM_400000_NS6detail17trampoline_kernelINS0_14default_configENS1_20scan_config_selectorIN3c107complexIdEEEEZZNS1_9scan_implILNS1_25lookback_scan_determinismE0ELb0ELb0ES3_PKS7_PS7_S7_ZZZN2at6native31launch_logcumsumexp_cuda_kernelERKNSE_10TensorBaseESI_lENKUlvE_clEvENKUlvE1_clEvEUlS7_S7_E_S7_EEDaPvRmT3_T4_T5_mT6_P12ihipStream_tbENKUlT_T0_E_clISt17integral_constantIbLb1EESZ_EEDaSU_SV_EUlSU_E_NS1_11comp_targetILNS1_3genE10ELNS1_11target_archE1200ELNS1_3gpuE4ELNS1_3repE0EEENS1_30default_config_static_selectorELNS0_4arch9wavefront6targetE0EEEvT1_
	.p2align	8
	.type	_ZN7rocprim17ROCPRIM_400000_NS6detail17trampoline_kernelINS0_14default_configENS1_20scan_config_selectorIN3c107complexIdEEEEZZNS1_9scan_implILNS1_25lookback_scan_determinismE0ELb0ELb0ES3_PKS7_PS7_S7_ZZZN2at6native31launch_logcumsumexp_cuda_kernelERKNSE_10TensorBaseESI_lENKUlvE_clEvENKUlvE1_clEvEUlS7_S7_E_S7_EEDaPvRmT3_T4_T5_mT6_P12ihipStream_tbENKUlT_T0_E_clISt17integral_constantIbLb1EESZ_EEDaSU_SV_EUlSU_E_NS1_11comp_targetILNS1_3genE10ELNS1_11target_archE1200ELNS1_3gpuE4ELNS1_3repE0EEENS1_30default_config_static_selectorELNS0_4arch9wavefront6targetE0EEEvT1_,@function
_ZN7rocprim17ROCPRIM_400000_NS6detail17trampoline_kernelINS0_14default_configENS1_20scan_config_selectorIN3c107complexIdEEEEZZNS1_9scan_implILNS1_25lookback_scan_determinismE0ELb0ELb0ES3_PKS7_PS7_S7_ZZZN2at6native31launch_logcumsumexp_cuda_kernelERKNSE_10TensorBaseESI_lENKUlvE_clEvENKUlvE1_clEvEUlS7_S7_E_S7_EEDaPvRmT3_T4_T5_mT6_P12ihipStream_tbENKUlT_T0_E_clISt17integral_constantIbLb1EESZ_EEDaSU_SV_EUlSU_E_NS1_11comp_targetILNS1_3genE10ELNS1_11target_archE1200ELNS1_3gpuE4ELNS1_3repE0EEENS1_30default_config_static_selectorELNS0_4arch9wavefront6targetE0EEEvT1_: ; @_ZN7rocprim17ROCPRIM_400000_NS6detail17trampoline_kernelINS0_14default_configENS1_20scan_config_selectorIN3c107complexIdEEEEZZNS1_9scan_implILNS1_25lookback_scan_determinismE0ELb0ELb0ES3_PKS7_PS7_S7_ZZZN2at6native31launch_logcumsumexp_cuda_kernelERKNSE_10TensorBaseESI_lENKUlvE_clEvENKUlvE1_clEvEUlS7_S7_E_S7_EEDaPvRmT3_T4_T5_mT6_P12ihipStream_tbENKUlT_T0_E_clISt17integral_constantIbLb1EESZ_EEDaSU_SV_EUlSU_E_NS1_11comp_targetILNS1_3genE10ELNS1_11target_archE1200ELNS1_3gpuE4ELNS1_3repE0EEENS1_30default_config_static_selectorELNS0_4arch9wavefront6targetE0EEEvT1_
; %bb.0:
	.section	.rodata,"a",@progbits
	.p2align	6, 0x0
	.amdhsa_kernel _ZN7rocprim17ROCPRIM_400000_NS6detail17trampoline_kernelINS0_14default_configENS1_20scan_config_selectorIN3c107complexIdEEEEZZNS1_9scan_implILNS1_25lookback_scan_determinismE0ELb0ELb0ES3_PKS7_PS7_S7_ZZZN2at6native31launch_logcumsumexp_cuda_kernelERKNSE_10TensorBaseESI_lENKUlvE_clEvENKUlvE1_clEvEUlS7_S7_E_S7_EEDaPvRmT3_T4_T5_mT6_P12ihipStream_tbENKUlT_T0_E_clISt17integral_constantIbLb1EESZ_EEDaSU_SV_EUlSU_E_NS1_11comp_targetILNS1_3genE10ELNS1_11target_archE1200ELNS1_3gpuE4ELNS1_3repE0EEENS1_30default_config_static_selectorELNS0_4arch9wavefront6targetE0EEEvT1_
		.amdhsa_group_segment_fixed_size 0
		.amdhsa_private_segment_fixed_size 0
		.amdhsa_kernarg_size 128
		.amdhsa_user_sgpr_count 6
		.amdhsa_user_sgpr_private_segment_buffer 1
		.amdhsa_user_sgpr_dispatch_ptr 0
		.amdhsa_user_sgpr_queue_ptr 0
		.amdhsa_user_sgpr_kernarg_segment_ptr 1
		.amdhsa_user_sgpr_dispatch_id 0
		.amdhsa_user_sgpr_flat_scratch_init 0
		.amdhsa_user_sgpr_private_segment_size 0
		.amdhsa_wavefront_size32 1
		.amdhsa_uses_dynamic_stack 0
		.amdhsa_system_sgpr_private_segment_wavefront_offset 0
		.amdhsa_system_sgpr_workgroup_id_x 1
		.amdhsa_system_sgpr_workgroup_id_y 0
		.amdhsa_system_sgpr_workgroup_id_z 0
		.amdhsa_system_sgpr_workgroup_info 0
		.amdhsa_system_vgpr_workitem_id 0
		.amdhsa_next_free_vgpr 1
		.amdhsa_next_free_sgpr 1
		.amdhsa_reserve_vcc 0
		.amdhsa_reserve_flat_scratch 0
		.amdhsa_float_round_mode_32 0
		.amdhsa_float_round_mode_16_64 0
		.amdhsa_float_denorm_mode_32 3
		.amdhsa_float_denorm_mode_16_64 3
		.amdhsa_dx10_clamp 1
		.amdhsa_ieee_mode 1
		.amdhsa_fp16_overflow 0
		.amdhsa_workgroup_processor_mode 1
		.amdhsa_memory_ordered 1
		.amdhsa_forward_progress 1
		.amdhsa_shared_vgpr_count 0
		.amdhsa_exception_fp_ieee_invalid_op 0
		.amdhsa_exception_fp_denorm_src 0
		.amdhsa_exception_fp_ieee_div_zero 0
		.amdhsa_exception_fp_ieee_overflow 0
		.amdhsa_exception_fp_ieee_underflow 0
		.amdhsa_exception_fp_ieee_inexact 0
		.amdhsa_exception_int_div_zero 0
	.end_amdhsa_kernel
	.section	.text._ZN7rocprim17ROCPRIM_400000_NS6detail17trampoline_kernelINS0_14default_configENS1_20scan_config_selectorIN3c107complexIdEEEEZZNS1_9scan_implILNS1_25lookback_scan_determinismE0ELb0ELb0ES3_PKS7_PS7_S7_ZZZN2at6native31launch_logcumsumexp_cuda_kernelERKNSE_10TensorBaseESI_lENKUlvE_clEvENKUlvE1_clEvEUlS7_S7_E_S7_EEDaPvRmT3_T4_T5_mT6_P12ihipStream_tbENKUlT_T0_E_clISt17integral_constantIbLb1EESZ_EEDaSU_SV_EUlSU_E_NS1_11comp_targetILNS1_3genE10ELNS1_11target_archE1200ELNS1_3gpuE4ELNS1_3repE0EEENS1_30default_config_static_selectorELNS0_4arch9wavefront6targetE0EEEvT1_,"axG",@progbits,_ZN7rocprim17ROCPRIM_400000_NS6detail17trampoline_kernelINS0_14default_configENS1_20scan_config_selectorIN3c107complexIdEEEEZZNS1_9scan_implILNS1_25lookback_scan_determinismE0ELb0ELb0ES3_PKS7_PS7_S7_ZZZN2at6native31launch_logcumsumexp_cuda_kernelERKNSE_10TensorBaseESI_lENKUlvE_clEvENKUlvE1_clEvEUlS7_S7_E_S7_EEDaPvRmT3_T4_T5_mT6_P12ihipStream_tbENKUlT_T0_E_clISt17integral_constantIbLb1EESZ_EEDaSU_SV_EUlSU_E_NS1_11comp_targetILNS1_3genE10ELNS1_11target_archE1200ELNS1_3gpuE4ELNS1_3repE0EEENS1_30default_config_static_selectorELNS0_4arch9wavefront6targetE0EEEvT1_,comdat
.Lfunc_end209:
	.size	_ZN7rocprim17ROCPRIM_400000_NS6detail17trampoline_kernelINS0_14default_configENS1_20scan_config_selectorIN3c107complexIdEEEEZZNS1_9scan_implILNS1_25lookback_scan_determinismE0ELb0ELb0ES3_PKS7_PS7_S7_ZZZN2at6native31launch_logcumsumexp_cuda_kernelERKNSE_10TensorBaseESI_lENKUlvE_clEvENKUlvE1_clEvEUlS7_S7_E_S7_EEDaPvRmT3_T4_T5_mT6_P12ihipStream_tbENKUlT_T0_E_clISt17integral_constantIbLb1EESZ_EEDaSU_SV_EUlSU_E_NS1_11comp_targetILNS1_3genE10ELNS1_11target_archE1200ELNS1_3gpuE4ELNS1_3repE0EEENS1_30default_config_static_selectorELNS0_4arch9wavefront6targetE0EEEvT1_, .Lfunc_end209-_ZN7rocprim17ROCPRIM_400000_NS6detail17trampoline_kernelINS0_14default_configENS1_20scan_config_selectorIN3c107complexIdEEEEZZNS1_9scan_implILNS1_25lookback_scan_determinismE0ELb0ELb0ES3_PKS7_PS7_S7_ZZZN2at6native31launch_logcumsumexp_cuda_kernelERKNSE_10TensorBaseESI_lENKUlvE_clEvENKUlvE1_clEvEUlS7_S7_E_S7_EEDaPvRmT3_T4_T5_mT6_P12ihipStream_tbENKUlT_T0_E_clISt17integral_constantIbLb1EESZ_EEDaSU_SV_EUlSU_E_NS1_11comp_targetILNS1_3genE10ELNS1_11target_archE1200ELNS1_3gpuE4ELNS1_3repE0EEENS1_30default_config_static_selectorELNS0_4arch9wavefront6targetE0EEEvT1_
                                        ; -- End function
	.set _ZN7rocprim17ROCPRIM_400000_NS6detail17trampoline_kernelINS0_14default_configENS1_20scan_config_selectorIN3c107complexIdEEEEZZNS1_9scan_implILNS1_25lookback_scan_determinismE0ELb0ELb0ES3_PKS7_PS7_S7_ZZZN2at6native31launch_logcumsumexp_cuda_kernelERKNSE_10TensorBaseESI_lENKUlvE_clEvENKUlvE1_clEvEUlS7_S7_E_S7_EEDaPvRmT3_T4_T5_mT6_P12ihipStream_tbENKUlT_T0_E_clISt17integral_constantIbLb1EESZ_EEDaSU_SV_EUlSU_E_NS1_11comp_targetILNS1_3genE10ELNS1_11target_archE1200ELNS1_3gpuE4ELNS1_3repE0EEENS1_30default_config_static_selectorELNS0_4arch9wavefront6targetE0EEEvT1_.num_vgpr, 0
	.set _ZN7rocprim17ROCPRIM_400000_NS6detail17trampoline_kernelINS0_14default_configENS1_20scan_config_selectorIN3c107complexIdEEEEZZNS1_9scan_implILNS1_25lookback_scan_determinismE0ELb0ELb0ES3_PKS7_PS7_S7_ZZZN2at6native31launch_logcumsumexp_cuda_kernelERKNSE_10TensorBaseESI_lENKUlvE_clEvENKUlvE1_clEvEUlS7_S7_E_S7_EEDaPvRmT3_T4_T5_mT6_P12ihipStream_tbENKUlT_T0_E_clISt17integral_constantIbLb1EESZ_EEDaSU_SV_EUlSU_E_NS1_11comp_targetILNS1_3genE10ELNS1_11target_archE1200ELNS1_3gpuE4ELNS1_3repE0EEENS1_30default_config_static_selectorELNS0_4arch9wavefront6targetE0EEEvT1_.num_agpr, 0
	.set _ZN7rocprim17ROCPRIM_400000_NS6detail17trampoline_kernelINS0_14default_configENS1_20scan_config_selectorIN3c107complexIdEEEEZZNS1_9scan_implILNS1_25lookback_scan_determinismE0ELb0ELb0ES3_PKS7_PS7_S7_ZZZN2at6native31launch_logcumsumexp_cuda_kernelERKNSE_10TensorBaseESI_lENKUlvE_clEvENKUlvE1_clEvEUlS7_S7_E_S7_EEDaPvRmT3_T4_T5_mT6_P12ihipStream_tbENKUlT_T0_E_clISt17integral_constantIbLb1EESZ_EEDaSU_SV_EUlSU_E_NS1_11comp_targetILNS1_3genE10ELNS1_11target_archE1200ELNS1_3gpuE4ELNS1_3repE0EEENS1_30default_config_static_selectorELNS0_4arch9wavefront6targetE0EEEvT1_.numbered_sgpr, 0
	.set _ZN7rocprim17ROCPRIM_400000_NS6detail17trampoline_kernelINS0_14default_configENS1_20scan_config_selectorIN3c107complexIdEEEEZZNS1_9scan_implILNS1_25lookback_scan_determinismE0ELb0ELb0ES3_PKS7_PS7_S7_ZZZN2at6native31launch_logcumsumexp_cuda_kernelERKNSE_10TensorBaseESI_lENKUlvE_clEvENKUlvE1_clEvEUlS7_S7_E_S7_EEDaPvRmT3_T4_T5_mT6_P12ihipStream_tbENKUlT_T0_E_clISt17integral_constantIbLb1EESZ_EEDaSU_SV_EUlSU_E_NS1_11comp_targetILNS1_3genE10ELNS1_11target_archE1200ELNS1_3gpuE4ELNS1_3repE0EEENS1_30default_config_static_selectorELNS0_4arch9wavefront6targetE0EEEvT1_.num_named_barrier, 0
	.set _ZN7rocprim17ROCPRIM_400000_NS6detail17trampoline_kernelINS0_14default_configENS1_20scan_config_selectorIN3c107complexIdEEEEZZNS1_9scan_implILNS1_25lookback_scan_determinismE0ELb0ELb0ES3_PKS7_PS7_S7_ZZZN2at6native31launch_logcumsumexp_cuda_kernelERKNSE_10TensorBaseESI_lENKUlvE_clEvENKUlvE1_clEvEUlS7_S7_E_S7_EEDaPvRmT3_T4_T5_mT6_P12ihipStream_tbENKUlT_T0_E_clISt17integral_constantIbLb1EESZ_EEDaSU_SV_EUlSU_E_NS1_11comp_targetILNS1_3genE10ELNS1_11target_archE1200ELNS1_3gpuE4ELNS1_3repE0EEENS1_30default_config_static_selectorELNS0_4arch9wavefront6targetE0EEEvT1_.private_seg_size, 0
	.set _ZN7rocprim17ROCPRIM_400000_NS6detail17trampoline_kernelINS0_14default_configENS1_20scan_config_selectorIN3c107complexIdEEEEZZNS1_9scan_implILNS1_25lookback_scan_determinismE0ELb0ELb0ES3_PKS7_PS7_S7_ZZZN2at6native31launch_logcumsumexp_cuda_kernelERKNSE_10TensorBaseESI_lENKUlvE_clEvENKUlvE1_clEvEUlS7_S7_E_S7_EEDaPvRmT3_T4_T5_mT6_P12ihipStream_tbENKUlT_T0_E_clISt17integral_constantIbLb1EESZ_EEDaSU_SV_EUlSU_E_NS1_11comp_targetILNS1_3genE10ELNS1_11target_archE1200ELNS1_3gpuE4ELNS1_3repE0EEENS1_30default_config_static_selectorELNS0_4arch9wavefront6targetE0EEEvT1_.uses_vcc, 0
	.set _ZN7rocprim17ROCPRIM_400000_NS6detail17trampoline_kernelINS0_14default_configENS1_20scan_config_selectorIN3c107complexIdEEEEZZNS1_9scan_implILNS1_25lookback_scan_determinismE0ELb0ELb0ES3_PKS7_PS7_S7_ZZZN2at6native31launch_logcumsumexp_cuda_kernelERKNSE_10TensorBaseESI_lENKUlvE_clEvENKUlvE1_clEvEUlS7_S7_E_S7_EEDaPvRmT3_T4_T5_mT6_P12ihipStream_tbENKUlT_T0_E_clISt17integral_constantIbLb1EESZ_EEDaSU_SV_EUlSU_E_NS1_11comp_targetILNS1_3genE10ELNS1_11target_archE1200ELNS1_3gpuE4ELNS1_3repE0EEENS1_30default_config_static_selectorELNS0_4arch9wavefront6targetE0EEEvT1_.uses_flat_scratch, 0
	.set _ZN7rocprim17ROCPRIM_400000_NS6detail17trampoline_kernelINS0_14default_configENS1_20scan_config_selectorIN3c107complexIdEEEEZZNS1_9scan_implILNS1_25lookback_scan_determinismE0ELb0ELb0ES3_PKS7_PS7_S7_ZZZN2at6native31launch_logcumsumexp_cuda_kernelERKNSE_10TensorBaseESI_lENKUlvE_clEvENKUlvE1_clEvEUlS7_S7_E_S7_EEDaPvRmT3_T4_T5_mT6_P12ihipStream_tbENKUlT_T0_E_clISt17integral_constantIbLb1EESZ_EEDaSU_SV_EUlSU_E_NS1_11comp_targetILNS1_3genE10ELNS1_11target_archE1200ELNS1_3gpuE4ELNS1_3repE0EEENS1_30default_config_static_selectorELNS0_4arch9wavefront6targetE0EEEvT1_.has_dyn_sized_stack, 0
	.set _ZN7rocprim17ROCPRIM_400000_NS6detail17trampoline_kernelINS0_14default_configENS1_20scan_config_selectorIN3c107complexIdEEEEZZNS1_9scan_implILNS1_25lookback_scan_determinismE0ELb0ELb0ES3_PKS7_PS7_S7_ZZZN2at6native31launch_logcumsumexp_cuda_kernelERKNSE_10TensorBaseESI_lENKUlvE_clEvENKUlvE1_clEvEUlS7_S7_E_S7_EEDaPvRmT3_T4_T5_mT6_P12ihipStream_tbENKUlT_T0_E_clISt17integral_constantIbLb1EESZ_EEDaSU_SV_EUlSU_E_NS1_11comp_targetILNS1_3genE10ELNS1_11target_archE1200ELNS1_3gpuE4ELNS1_3repE0EEENS1_30default_config_static_selectorELNS0_4arch9wavefront6targetE0EEEvT1_.has_recursion, 0
	.set _ZN7rocprim17ROCPRIM_400000_NS6detail17trampoline_kernelINS0_14default_configENS1_20scan_config_selectorIN3c107complexIdEEEEZZNS1_9scan_implILNS1_25lookback_scan_determinismE0ELb0ELb0ES3_PKS7_PS7_S7_ZZZN2at6native31launch_logcumsumexp_cuda_kernelERKNSE_10TensorBaseESI_lENKUlvE_clEvENKUlvE1_clEvEUlS7_S7_E_S7_EEDaPvRmT3_T4_T5_mT6_P12ihipStream_tbENKUlT_T0_E_clISt17integral_constantIbLb1EESZ_EEDaSU_SV_EUlSU_E_NS1_11comp_targetILNS1_3genE10ELNS1_11target_archE1200ELNS1_3gpuE4ELNS1_3repE0EEENS1_30default_config_static_selectorELNS0_4arch9wavefront6targetE0EEEvT1_.has_indirect_call, 0
	.section	.AMDGPU.csdata,"",@progbits
; Kernel info:
; codeLenInByte = 0
; TotalNumSgprs: 0
; NumVgprs: 0
; ScratchSize: 0
; MemoryBound: 0
; FloatMode: 240
; IeeeMode: 1
; LDSByteSize: 0 bytes/workgroup (compile time only)
; SGPRBlocks: 0
; VGPRBlocks: 0
; NumSGPRsForWavesPerEU: 1
; NumVGPRsForWavesPerEU: 1
; Occupancy: 16
; WaveLimiterHint : 0
; COMPUTE_PGM_RSRC2:SCRATCH_EN: 0
; COMPUTE_PGM_RSRC2:USER_SGPR: 6
; COMPUTE_PGM_RSRC2:TRAP_HANDLER: 0
; COMPUTE_PGM_RSRC2:TGID_X_EN: 1
; COMPUTE_PGM_RSRC2:TGID_Y_EN: 0
; COMPUTE_PGM_RSRC2:TGID_Z_EN: 0
; COMPUTE_PGM_RSRC2:TIDIG_COMP_CNT: 0
	.section	.text._ZN7rocprim17ROCPRIM_400000_NS6detail17trampoline_kernelINS0_14default_configENS1_20scan_config_selectorIN3c107complexIdEEEEZZNS1_9scan_implILNS1_25lookback_scan_determinismE0ELb0ELb0ES3_PKS7_PS7_S7_ZZZN2at6native31launch_logcumsumexp_cuda_kernelERKNSE_10TensorBaseESI_lENKUlvE_clEvENKUlvE1_clEvEUlS7_S7_E_S7_EEDaPvRmT3_T4_T5_mT6_P12ihipStream_tbENKUlT_T0_E_clISt17integral_constantIbLb1EESZ_EEDaSU_SV_EUlSU_E_NS1_11comp_targetILNS1_3genE9ELNS1_11target_archE1100ELNS1_3gpuE3ELNS1_3repE0EEENS1_30default_config_static_selectorELNS0_4arch9wavefront6targetE0EEEvT1_,"axG",@progbits,_ZN7rocprim17ROCPRIM_400000_NS6detail17trampoline_kernelINS0_14default_configENS1_20scan_config_selectorIN3c107complexIdEEEEZZNS1_9scan_implILNS1_25lookback_scan_determinismE0ELb0ELb0ES3_PKS7_PS7_S7_ZZZN2at6native31launch_logcumsumexp_cuda_kernelERKNSE_10TensorBaseESI_lENKUlvE_clEvENKUlvE1_clEvEUlS7_S7_E_S7_EEDaPvRmT3_T4_T5_mT6_P12ihipStream_tbENKUlT_T0_E_clISt17integral_constantIbLb1EESZ_EEDaSU_SV_EUlSU_E_NS1_11comp_targetILNS1_3genE9ELNS1_11target_archE1100ELNS1_3gpuE3ELNS1_3repE0EEENS1_30default_config_static_selectorELNS0_4arch9wavefront6targetE0EEEvT1_,comdat
	.globl	_ZN7rocprim17ROCPRIM_400000_NS6detail17trampoline_kernelINS0_14default_configENS1_20scan_config_selectorIN3c107complexIdEEEEZZNS1_9scan_implILNS1_25lookback_scan_determinismE0ELb0ELb0ES3_PKS7_PS7_S7_ZZZN2at6native31launch_logcumsumexp_cuda_kernelERKNSE_10TensorBaseESI_lENKUlvE_clEvENKUlvE1_clEvEUlS7_S7_E_S7_EEDaPvRmT3_T4_T5_mT6_P12ihipStream_tbENKUlT_T0_E_clISt17integral_constantIbLb1EESZ_EEDaSU_SV_EUlSU_E_NS1_11comp_targetILNS1_3genE9ELNS1_11target_archE1100ELNS1_3gpuE3ELNS1_3repE0EEENS1_30default_config_static_selectorELNS0_4arch9wavefront6targetE0EEEvT1_ ; -- Begin function _ZN7rocprim17ROCPRIM_400000_NS6detail17trampoline_kernelINS0_14default_configENS1_20scan_config_selectorIN3c107complexIdEEEEZZNS1_9scan_implILNS1_25lookback_scan_determinismE0ELb0ELb0ES3_PKS7_PS7_S7_ZZZN2at6native31launch_logcumsumexp_cuda_kernelERKNSE_10TensorBaseESI_lENKUlvE_clEvENKUlvE1_clEvEUlS7_S7_E_S7_EEDaPvRmT3_T4_T5_mT6_P12ihipStream_tbENKUlT_T0_E_clISt17integral_constantIbLb1EESZ_EEDaSU_SV_EUlSU_E_NS1_11comp_targetILNS1_3genE9ELNS1_11target_archE1100ELNS1_3gpuE3ELNS1_3repE0EEENS1_30default_config_static_selectorELNS0_4arch9wavefront6targetE0EEEvT1_
	.p2align	8
	.type	_ZN7rocprim17ROCPRIM_400000_NS6detail17trampoline_kernelINS0_14default_configENS1_20scan_config_selectorIN3c107complexIdEEEEZZNS1_9scan_implILNS1_25lookback_scan_determinismE0ELb0ELb0ES3_PKS7_PS7_S7_ZZZN2at6native31launch_logcumsumexp_cuda_kernelERKNSE_10TensorBaseESI_lENKUlvE_clEvENKUlvE1_clEvEUlS7_S7_E_S7_EEDaPvRmT3_T4_T5_mT6_P12ihipStream_tbENKUlT_T0_E_clISt17integral_constantIbLb1EESZ_EEDaSU_SV_EUlSU_E_NS1_11comp_targetILNS1_3genE9ELNS1_11target_archE1100ELNS1_3gpuE3ELNS1_3repE0EEENS1_30default_config_static_selectorELNS0_4arch9wavefront6targetE0EEEvT1_,@function
_ZN7rocprim17ROCPRIM_400000_NS6detail17trampoline_kernelINS0_14default_configENS1_20scan_config_selectorIN3c107complexIdEEEEZZNS1_9scan_implILNS1_25lookback_scan_determinismE0ELb0ELb0ES3_PKS7_PS7_S7_ZZZN2at6native31launch_logcumsumexp_cuda_kernelERKNSE_10TensorBaseESI_lENKUlvE_clEvENKUlvE1_clEvEUlS7_S7_E_S7_EEDaPvRmT3_T4_T5_mT6_P12ihipStream_tbENKUlT_T0_E_clISt17integral_constantIbLb1EESZ_EEDaSU_SV_EUlSU_E_NS1_11comp_targetILNS1_3genE9ELNS1_11target_archE1100ELNS1_3gpuE3ELNS1_3repE0EEENS1_30default_config_static_selectorELNS0_4arch9wavefront6targetE0EEEvT1_: ; @_ZN7rocprim17ROCPRIM_400000_NS6detail17trampoline_kernelINS0_14default_configENS1_20scan_config_selectorIN3c107complexIdEEEEZZNS1_9scan_implILNS1_25lookback_scan_determinismE0ELb0ELb0ES3_PKS7_PS7_S7_ZZZN2at6native31launch_logcumsumexp_cuda_kernelERKNSE_10TensorBaseESI_lENKUlvE_clEvENKUlvE1_clEvEUlS7_S7_E_S7_EEDaPvRmT3_T4_T5_mT6_P12ihipStream_tbENKUlT_T0_E_clISt17integral_constantIbLb1EESZ_EEDaSU_SV_EUlSU_E_NS1_11comp_targetILNS1_3genE9ELNS1_11target_archE1100ELNS1_3gpuE3ELNS1_3repE0EEENS1_30default_config_static_selectorELNS0_4arch9wavefront6targetE0EEEvT1_
; %bb.0:
	.section	.rodata,"a",@progbits
	.p2align	6, 0x0
	.amdhsa_kernel _ZN7rocprim17ROCPRIM_400000_NS6detail17trampoline_kernelINS0_14default_configENS1_20scan_config_selectorIN3c107complexIdEEEEZZNS1_9scan_implILNS1_25lookback_scan_determinismE0ELb0ELb0ES3_PKS7_PS7_S7_ZZZN2at6native31launch_logcumsumexp_cuda_kernelERKNSE_10TensorBaseESI_lENKUlvE_clEvENKUlvE1_clEvEUlS7_S7_E_S7_EEDaPvRmT3_T4_T5_mT6_P12ihipStream_tbENKUlT_T0_E_clISt17integral_constantIbLb1EESZ_EEDaSU_SV_EUlSU_E_NS1_11comp_targetILNS1_3genE9ELNS1_11target_archE1100ELNS1_3gpuE3ELNS1_3repE0EEENS1_30default_config_static_selectorELNS0_4arch9wavefront6targetE0EEEvT1_
		.amdhsa_group_segment_fixed_size 0
		.amdhsa_private_segment_fixed_size 0
		.amdhsa_kernarg_size 128
		.amdhsa_user_sgpr_count 6
		.amdhsa_user_sgpr_private_segment_buffer 1
		.amdhsa_user_sgpr_dispatch_ptr 0
		.amdhsa_user_sgpr_queue_ptr 0
		.amdhsa_user_sgpr_kernarg_segment_ptr 1
		.amdhsa_user_sgpr_dispatch_id 0
		.amdhsa_user_sgpr_flat_scratch_init 0
		.amdhsa_user_sgpr_private_segment_size 0
		.amdhsa_wavefront_size32 1
		.amdhsa_uses_dynamic_stack 0
		.amdhsa_system_sgpr_private_segment_wavefront_offset 0
		.amdhsa_system_sgpr_workgroup_id_x 1
		.amdhsa_system_sgpr_workgroup_id_y 0
		.amdhsa_system_sgpr_workgroup_id_z 0
		.amdhsa_system_sgpr_workgroup_info 0
		.amdhsa_system_vgpr_workitem_id 0
		.amdhsa_next_free_vgpr 1
		.amdhsa_next_free_sgpr 1
		.amdhsa_reserve_vcc 0
		.amdhsa_reserve_flat_scratch 0
		.amdhsa_float_round_mode_32 0
		.amdhsa_float_round_mode_16_64 0
		.amdhsa_float_denorm_mode_32 3
		.amdhsa_float_denorm_mode_16_64 3
		.amdhsa_dx10_clamp 1
		.amdhsa_ieee_mode 1
		.amdhsa_fp16_overflow 0
		.amdhsa_workgroup_processor_mode 1
		.amdhsa_memory_ordered 1
		.amdhsa_forward_progress 1
		.amdhsa_shared_vgpr_count 0
		.amdhsa_exception_fp_ieee_invalid_op 0
		.amdhsa_exception_fp_denorm_src 0
		.amdhsa_exception_fp_ieee_div_zero 0
		.amdhsa_exception_fp_ieee_overflow 0
		.amdhsa_exception_fp_ieee_underflow 0
		.amdhsa_exception_fp_ieee_inexact 0
		.amdhsa_exception_int_div_zero 0
	.end_amdhsa_kernel
	.section	.text._ZN7rocprim17ROCPRIM_400000_NS6detail17trampoline_kernelINS0_14default_configENS1_20scan_config_selectorIN3c107complexIdEEEEZZNS1_9scan_implILNS1_25lookback_scan_determinismE0ELb0ELb0ES3_PKS7_PS7_S7_ZZZN2at6native31launch_logcumsumexp_cuda_kernelERKNSE_10TensorBaseESI_lENKUlvE_clEvENKUlvE1_clEvEUlS7_S7_E_S7_EEDaPvRmT3_T4_T5_mT6_P12ihipStream_tbENKUlT_T0_E_clISt17integral_constantIbLb1EESZ_EEDaSU_SV_EUlSU_E_NS1_11comp_targetILNS1_3genE9ELNS1_11target_archE1100ELNS1_3gpuE3ELNS1_3repE0EEENS1_30default_config_static_selectorELNS0_4arch9wavefront6targetE0EEEvT1_,"axG",@progbits,_ZN7rocprim17ROCPRIM_400000_NS6detail17trampoline_kernelINS0_14default_configENS1_20scan_config_selectorIN3c107complexIdEEEEZZNS1_9scan_implILNS1_25lookback_scan_determinismE0ELb0ELb0ES3_PKS7_PS7_S7_ZZZN2at6native31launch_logcumsumexp_cuda_kernelERKNSE_10TensorBaseESI_lENKUlvE_clEvENKUlvE1_clEvEUlS7_S7_E_S7_EEDaPvRmT3_T4_T5_mT6_P12ihipStream_tbENKUlT_T0_E_clISt17integral_constantIbLb1EESZ_EEDaSU_SV_EUlSU_E_NS1_11comp_targetILNS1_3genE9ELNS1_11target_archE1100ELNS1_3gpuE3ELNS1_3repE0EEENS1_30default_config_static_selectorELNS0_4arch9wavefront6targetE0EEEvT1_,comdat
.Lfunc_end210:
	.size	_ZN7rocprim17ROCPRIM_400000_NS6detail17trampoline_kernelINS0_14default_configENS1_20scan_config_selectorIN3c107complexIdEEEEZZNS1_9scan_implILNS1_25lookback_scan_determinismE0ELb0ELb0ES3_PKS7_PS7_S7_ZZZN2at6native31launch_logcumsumexp_cuda_kernelERKNSE_10TensorBaseESI_lENKUlvE_clEvENKUlvE1_clEvEUlS7_S7_E_S7_EEDaPvRmT3_T4_T5_mT6_P12ihipStream_tbENKUlT_T0_E_clISt17integral_constantIbLb1EESZ_EEDaSU_SV_EUlSU_E_NS1_11comp_targetILNS1_3genE9ELNS1_11target_archE1100ELNS1_3gpuE3ELNS1_3repE0EEENS1_30default_config_static_selectorELNS0_4arch9wavefront6targetE0EEEvT1_, .Lfunc_end210-_ZN7rocprim17ROCPRIM_400000_NS6detail17trampoline_kernelINS0_14default_configENS1_20scan_config_selectorIN3c107complexIdEEEEZZNS1_9scan_implILNS1_25lookback_scan_determinismE0ELb0ELb0ES3_PKS7_PS7_S7_ZZZN2at6native31launch_logcumsumexp_cuda_kernelERKNSE_10TensorBaseESI_lENKUlvE_clEvENKUlvE1_clEvEUlS7_S7_E_S7_EEDaPvRmT3_T4_T5_mT6_P12ihipStream_tbENKUlT_T0_E_clISt17integral_constantIbLb1EESZ_EEDaSU_SV_EUlSU_E_NS1_11comp_targetILNS1_3genE9ELNS1_11target_archE1100ELNS1_3gpuE3ELNS1_3repE0EEENS1_30default_config_static_selectorELNS0_4arch9wavefront6targetE0EEEvT1_
                                        ; -- End function
	.set _ZN7rocprim17ROCPRIM_400000_NS6detail17trampoline_kernelINS0_14default_configENS1_20scan_config_selectorIN3c107complexIdEEEEZZNS1_9scan_implILNS1_25lookback_scan_determinismE0ELb0ELb0ES3_PKS7_PS7_S7_ZZZN2at6native31launch_logcumsumexp_cuda_kernelERKNSE_10TensorBaseESI_lENKUlvE_clEvENKUlvE1_clEvEUlS7_S7_E_S7_EEDaPvRmT3_T4_T5_mT6_P12ihipStream_tbENKUlT_T0_E_clISt17integral_constantIbLb1EESZ_EEDaSU_SV_EUlSU_E_NS1_11comp_targetILNS1_3genE9ELNS1_11target_archE1100ELNS1_3gpuE3ELNS1_3repE0EEENS1_30default_config_static_selectorELNS0_4arch9wavefront6targetE0EEEvT1_.num_vgpr, 0
	.set _ZN7rocprim17ROCPRIM_400000_NS6detail17trampoline_kernelINS0_14default_configENS1_20scan_config_selectorIN3c107complexIdEEEEZZNS1_9scan_implILNS1_25lookback_scan_determinismE0ELb0ELb0ES3_PKS7_PS7_S7_ZZZN2at6native31launch_logcumsumexp_cuda_kernelERKNSE_10TensorBaseESI_lENKUlvE_clEvENKUlvE1_clEvEUlS7_S7_E_S7_EEDaPvRmT3_T4_T5_mT6_P12ihipStream_tbENKUlT_T0_E_clISt17integral_constantIbLb1EESZ_EEDaSU_SV_EUlSU_E_NS1_11comp_targetILNS1_3genE9ELNS1_11target_archE1100ELNS1_3gpuE3ELNS1_3repE0EEENS1_30default_config_static_selectorELNS0_4arch9wavefront6targetE0EEEvT1_.num_agpr, 0
	.set _ZN7rocprim17ROCPRIM_400000_NS6detail17trampoline_kernelINS0_14default_configENS1_20scan_config_selectorIN3c107complexIdEEEEZZNS1_9scan_implILNS1_25lookback_scan_determinismE0ELb0ELb0ES3_PKS7_PS7_S7_ZZZN2at6native31launch_logcumsumexp_cuda_kernelERKNSE_10TensorBaseESI_lENKUlvE_clEvENKUlvE1_clEvEUlS7_S7_E_S7_EEDaPvRmT3_T4_T5_mT6_P12ihipStream_tbENKUlT_T0_E_clISt17integral_constantIbLb1EESZ_EEDaSU_SV_EUlSU_E_NS1_11comp_targetILNS1_3genE9ELNS1_11target_archE1100ELNS1_3gpuE3ELNS1_3repE0EEENS1_30default_config_static_selectorELNS0_4arch9wavefront6targetE0EEEvT1_.numbered_sgpr, 0
	.set _ZN7rocprim17ROCPRIM_400000_NS6detail17trampoline_kernelINS0_14default_configENS1_20scan_config_selectorIN3c107complexIdEEEEZZNS1_9scan_implILNS1_25lookback_scan_determinismE0ELb0ELb0ES3_PKS7_PS7_S7_ZZZN2at6native31launch_logcumsumexp_cuda_kernelERKNSE_10TensorBaseESI_lENKUlvE_clEvENKUlvE1_clEvEUlS7_S7_E_S7_EEDaPvRmT3_T4_T5_mT6_P12ihipStream_tbENKUlT_T0_E_clISt17integral_constantIbLb1EESZ_EEDaSU_SV_EUlSU_E_NS1_11comp_targetILNS1_3genE9ELNS1_11target_archE1100ELNS1_3gpuE3ELNS1_3repE0EEENS1_30default_config_static_selectorELNS0_4arch9wavefront6targetE0EEEvT1_.num_named_barrier, 0
	.set _ZN7rocprim17ROCPRIM_400000_NS6detail17trampoline_kernelINS0_14default_configENS1_20scan_config_selectorIN3c107complexIdEEEEZZNS1_9scan_implILNS1_25lookback_scan_determinismE0ELb0ELb0ES3_PKS7_PS7_S7_ZZZN2at6native31launch_logcumsumexp_cuda_kernelERKNSE_10TensorBaseESI_lENKUlvE_clEvENKUlvE1_clEvEUlS7_S7_E_S7_EEDaPvRmT3_T4_T5_mT6_P12ihipStream_tbENKUlT_T0_E_clISt17integral_constantIbLb1EESZ_EEDaSU_SV_EUlSU_E_NS1_11comp_targetILNS1_3genE9ELNS1_11target_archE1100ELNS1_3gpuE3ELNS1_3repE0EEENS1_30default_config_static_selectorELNS0_4arch9wavefront6targetE0EEEvT1_.private_seg_size, 0
	.set _ZN7rocprim17ROCPRIM_400000_NS6detail17trampoline_kernelINS0_14default_configENS1_20scan_config_selectorIN3c107complexIdEEEEZZNS1_9scan_implILNS1_25lookback_scan_determinismE0ELb0ELb0ES3_PKS7_PS7_S7_ZZZN2at6native31launch_logcumsumexp_cuda_kernelERKNSE_10TensorBaseESI_lENKUlvE_clEvENKUlvE1_clEvEUlS7_S7_E_S7_EEDaPvRmT3_T4_T5_mT6_P12ihipStream_tbENKUlT_T0_E_clISt17integral_constantIbLb1EESZ_EEDaSU_SV_EUlSU_E_NS1_11comp_targetILNS1_3genE9ELNS1_11target_archE1100ELNS1_3gpuE3ELNS1_3repE0EEENS1_30default_config_static_selectorELNS0_4arch9wavefront6targetE0EEEvT1_.uses_vcc, 0
	.set _ZN7rocprim17ROCPRIM_400000_NS6detail17trampoline_kernelINS0_14default_configENS1_20scan_config_selectorIN3c107complexIdEEEEZZNS1_9scan_implILNS1_25lookback_scan_determinismE0ELb0ELb0ES3_PKS7_PS7_S7_ZZZN2at6native31launch_logcumsumexp_cuda_kernelERKNSE_10TensorBaseESI_lENKUlvE_clEvENKUlvE1_clEvEUlS7_S7_E_S7_EEDaPvRmT3_T4_T5_mT6_P12ihipStream_tbENKUlT_T0_E_clISt17integral_constantIbLb1EESZ_EEDaSU_SV_EUlSU_E_NS1_11comp_targetILNS1_3genE9ELNS1_11target_archE1100ELNS1_3gpuE3ELNS1_3repE0EEENS1_30default_config_static_selectorELNS0_4arch9wavefront6targetE0EEEvT1_.uses_flat_scratch, 0
	.set _ZN7rocprim17ROCPRIM_400000_NS6detail17trampoline_kernelINS0_14default_configENS1_20scan_config_selectorIN3c107complexIdEEEEZZNS1_9scan_implILNS1_25lookback_scan_determinismE0ELb0ELb0ES3_PKS7_PS7_S7_ZZZN2at6native31launch_logcumsumexp_cuda_kernelERKNSE_10TensorBaseESI_lENKUlvE_clEvENKUlvE1_clEvEUlS7_S7_E_S7_EEDaPvRmT3_T4_T5_mT6_P12ihipStream_tbENKUlT_T0_E_clISt17integral_constantIbLb1EESZ_EEDaSU_SV_EUlSU_E_NS1_11comp_targetILNS1_3genE9ELNS1_11target_archE1100ELNS1_3gpuE3ELNS1_3repE0EEENS1_30default_config_static_selectorELNS0_4arch9wavefront6targetE0EEEvT1_.has_dyn_sized_stack, 0
	.set _ZN7rocprim17ROCPRIM_400000_NS6detail17trampoline_kernelINS0_14default_configENS1_20scan_config_selectorIN3c107complexIdEEEEZZNS1_9scan_implILNS1_25lookback_scan_determinismE0ELb0ELb0ES3_PKS7_PS7_S7_ZZZN2at6native31launch_logcumsumexp_cuda_kernelERKNSE_10TensorBaseESI_lENKUlvE_clEvENKUlvE1_clEvEUlS7_S7_E_S7_EEDaPvRmT3_T4_T5_mT6_P12ihipStream_tbENKUlT_T0_E_clISt17integral_constantIbLb1EESZ_EEDaSU_SV_EUlSU_E_NS1_11comp_targetILNS1_3genE9ELNS1_11target_archE1100ELNS1_3gpuE3ELNS1_3repE0EEENS1_30default_config_static_selectorELNS0_4arch9wavefront6targetE0EEEvT1_.has_recursion, 0
	.set _ZN7rocprim17ROCPRIM_400000_NS6detail17trampoline_kernelINS0_14default_configENS1_20scan_config_selectorIN3c107complexIdEEEEZZNS1_9scan_implILNS1_25lookback_scan_determinismE0ELb0ELb0ES3_PKS7_PS7_S7_ZZZN2at6native31launch_logcumsumexp_cuda_kernelERKNSE_10TensorBaseESI_lENKUlvE_clEvENKUlvE1_clEvEUlS7_S7_E_S7_EEDaPvRmT3_T4_T5_mT6_P12ihipStream_tbENKUlT_T0_E_clISt17integral_constantIbLb1EESZ_EEDaSU_SV_EUlSU_E_NS1_11comp_targetILNS1_3genE9ELNS1_11target_archE1100ELNS1_3gpuE3ELNS1_3repE0EEENS1_30default_config_static_selectorELNS0_4arch9wavefront6targetE0EEEvT1_.has_indirect_call, 0
	.section	.AMDGPU.csdata,"",@progbits
; Kernel info:
; codeLenInByte = 0
; TotalNumSgprs: 0
; NumVgprs: 0
; ScratchSize: 0
; MemoryBound: 0
; FloatMode: 240
; IeeeMode: 1
; LDSByteSize: 0 bytes/workgroup (compile time only)
; SGPRBlocks: 0
; VGPRBlocks: 0
; NumSGPRsForWavesPerEU: 1
; NumVGPRsForWavesPerEU: 1
; Occupancy: 16
; WaveLimiterHint : 0
; COMPUTE_PGM_RSRC2:SCRATCH_EN: 0
; COMPUTE_PGM_RSRC2:USER_SGPR: 6
; COMPUTE_PGM_RSRC2:TRAP_HANDLER: 0
; COMPUTE_PGM_RSRC2:TGID_X_EN: 1
; COMPUTE_PGM_RSRC2:TGID_Y_EN: 0
; COMPUTE_PGM_RSRC2:TGID_Z_EN: 0
; COMPUTE_PGM_RSRC2:TIDIG_COMP_CNT: 0
	.section	.text._ZN7rocprim17ROCPRIM_400000_NS6detail17trampoline_kernelINS0_14default_configENS1_20scan_config_selectorIN3c107complexIdEEEEZZNS1_9scan_implILNS1_25lookback_scan_determinismE0ELb0ELb0ES3_PKS7_PS7_S7_ZZZN2at6native31launch_logcumsumexp_cuda_kernelERKNSE_10TensorBaseESI_lENKUlvE_clEvENKUlvE1_clEvEUlS7_S7_E_S7_EEDaPvRmT3_T4_T5_mT6_P12ihipStream_tbENKUlT_T0_E_clISt17integral_constantIbLb1EESZ_EEDaSU_SV_EUlSU_E_NS1_11comp_targetILNS1_3genE8ELNS1_11target_archE1030ELNS1_3gpuE2ELNS1_3repE0EEENS1_30default_config_static_selectorELNS0_4arch9wavefront6targetE0EEEvT1_,"axG",@progbits,_ZN7rocprim17ROCPRIM_400000_NS6detail17trampoline_kernelINS0_14default_configENS1_20scan_config_selectorIN3c107complexIdEEEEZZNS1_9scan_implILNS1_25lookback_scan_determinismE0ELb0ELb0ES3_PKS7_PS7_S7_ZZZN2at6native31launch_logcumsumexp_cuda_kernelERKNSE_10TensorBaseESI_lENKUlvE_clEvENKUlvE1_clEvEUlS7_S7_E_S7_EEDaPvRmT3_T4_T5_mT6_P12ihipStream_tbENKUlT_T0_E_clISt17integral_constantIbLb1EESZ_EEDaSU_SV_EUlSU_E_NS1_11comp_targetILNS1_3genE8ELNS1_11target_archE1030ELNS1_3gpuE2ELNS1_3repE0EEENS1_30default_config_static_selectorELNS0_4arch9wavefront6targetE0EEEvT1_,comdat
	.globl	_ZN7rocprim17ROCPRIM_400000_NS6detail17trampoline_kernelINS0_14default_configENS1_20scan_config_selectorIN3c107complexIdEEEEZZNS1_9scan_implILNS1_25lookback_scan_determinismE0ELb0ELb0ES3_PKS7_PS7_S7_ZZZN2at6native31launch_logcumsumexp_cuda_kernelERKNSE_10TensorBaseESI_lENKUlvE_clEvENKUlvE1_clEvEUlS7_S7_E_S7_EEDaPvRmT3_T4_T5_mT6_P12ihipStream_tbENKUlT_T0_E_clISt17integral_constantIbLb1EESZ_EEDaSU_SV_EUlSU_E_NS1_11comp_targetILNS1_3genE8ELNS1_11target_archE1030ELNS1_3gpuE2ELNS1_3repE0EEENS1_30default_config_static_selectorELNS0_4arch9wavefront6targetE0EEEvT1_ ; -- Begin function _ZN7rocprim17ROCPRIM_400000_NS6detail17trampoline_kernelINS0_14default_configENS1_20scan_config_selectorIN3c107complexIdEEEEZZNS1_9scan_implILNS1_25lookback_scan_determinismE0ELb0ELb0ES3_PKS7_PS7_S7_ZZZN2at6native31launch_logcumsumexp_cuda_kernelERKNSE_10TensorBaseESI_lENKUlvE_clEvENKUlvE1_clEvEUlS7_S7_E_S7_EEDaPvRmT3_T4_T5_mT6_P12ihipStream_tbENKUlT_T0_E_clISt17integral_constantIbLb1EESZ_EEDaSU_SV_EUlSU_E_NS1_11comp_targetILNS1_3genE8ELNS1_11target_archE1030ELNS1_3gpuE2ELNS1_3repE0EEENS1_30default_config_static_selectorELNS0_4arch9wavefront6targetE0EEEvT1_
	.p2align	8
	.type	_ZN7rocprim17ROCPRIM_400000_NS6detail17trampoline_kernelINS0_14default_configENS1_20scan_config_selectorIN3c107complexIdEEEEZZNS1_9scan_implILNS1_25lookback_scan_determinismE0ELb0ELb0ES3_PKS7_PS7_S7_ZZZN2at6native31launch_logcumsumexp_cuda_kernelERKNSE_10TensorBaseESI_lENKUlvE_clEvENKUlvE1_clEvEUlS7_S7_E_S7_EEDaPvRmT3_T4_T5_mT6_P12ihipStream_tbENKUlT_T0_E_clISt17integral_constantIbLb1EESZ_EEDaSU_SV_EUlSU_E_NS1_11comp_targetILNS1_3genE8ELNS1_11target_archE1030ELNS1_3gpuE2ELNS1_3repE0EEENS1_30default_config_static_selectorELNS0_4arch9wavefront6targetE0EEEvT1_,@function
_ZN7rocprim17ROCPRIM_400000_NS6detail17trampoline_kernelINS0_14default_configENS1_20scan_config_selectorIN3c107complexIdEEEEZZNS1_9scan_implILNS1_25lookback_scan_determinismE0ELb0ELb0ES3_PKS7_PS7_S7_ZZZN2at6native31launch_logcumsumexp_cuda_kernelERKNSE_10TensorBaseESI_lENKUlvE_clEvENKUlvE1_clEvEUlS7_S7_E_S7_EEDaPvRmT3_T4_T5_mT6_P12ihipStream_tbENKUlT_T0_E_clISt17integral_constantIbLb1EESZ_EEDaSU_SV_EUlSU_E_NS1_11comp_targetILNS1_3genE8ELNS1_11target_archE1030ELNS1_3gpuE2ELNS1_3repE0EEENS1_30default_config_static_selectorELNS0_4arch9wavefront6targetE0EEEvT1_: ; @_ZN7rocprim17ROCPRIM_400000_NS6detail17trampoline_kernelINS0_14default_configENS1_20scan_config_selectorIN3c107complexIdEEEEZZNS1_9scan_implILNS1_25lookback_scan_determinismE0ELb0ELb0ES3_PKS7_PS7_S7_ZZZN2at6native31launch_logcumsumexp_cuda_kernelERKNSE_10TensorBaseESI_lENKUlvE_clEvENKUlvE1_clEvEUlS7_S7_E_S7_EEDaPvRmT3_T4_T5_mT6_P12ihipStream_tbENKUlT_T0_E_clISt17integral_constantIbLb1EESZ_EEDaSU_SV_EUlSU_E_NS1_11comp_targetILNS1_3genE8ELNS1_11target_archE1030ELNS1_3gpuE2ELNS1_3repE0EEENS1_30default_config_static_selectorELNS0_4arch9wavefront6targetE0EEEvT1_
; %bb.0:
	s_endpgm
	.section	.rodata,"a",@progbits
	.p2align	6, 0x0
	.amdhsa_kernel _ZN7rocprim17ROCPRIM_400000_NS6detail17trampoline_kernelINS0_14default_configENS1_20scan_config_selectorIN3c107complexIdEEEEZZNS1_9scan_implILNS1_25lookback_scan_determinismE0ELb0ELb0ES3_PKS7_PS7_S7_ZZZN2at6native31launch_logcumsumexp_cuda_kernelERKNSE_10TensorBaseESI_lENKUlvE_clEvENKUlvE1_clEvEUlS7_S7_E_S7_EEDaPvRmT3_T4_T5_mT6_P12ihipStream_tbENKUlT_T0_E_clISt17integral_constantIbLb1EESZ_EEDaSU_SV_EUlSU_E_NS1_11comp_targetILNS1_3genE8ELNS1_11target_archE1030ELNS1_3gpuE2ELNS1_3repE0EEENS1_30default_config_static_selectorELNS0_4arch9wavefront6targetE0EEEvT1_
		.amdhsa_group_segment_fixed_size 0
		.amdhsa_private_segment_fixed_size 0
		.amdhsa_kernarg_size 128
		.amdhsa_user_sgpr_count 6
		.amdhsa_user_sgpr_private_segment_buffer 1
		.amdhsa_user_sgpr_dispatch_ptr 0
		.amdhsa_user_sgpr_queue_ptr 0
		.amdhsa_user_sgpr_kernarg_segment_ptr 1
		.amdhsa_user_sgpr_dispatch_id 0
		.amdhsa_user_sgpr_flat_scratch_init 0
		.amdhsa_user_sgpr_private_segment_size 0
		.amdhsa_wavefront_size32 1
		.amdhsa_uses_dynamic_stack 0
		.amdhsa_system_sgpr_private_segment_wavefront_offset 0
		.amdhsa_system_sgpr_workgroup_id_x 1
		.amdhsa_system_sgpr_workgroup_id_y 0
		.amdhsa_system_sgpr_workgroup_id_z 0
		.amdhsa_system_sgpr_workgroup_info 0
		.amdhsa_system_vgpr_workitem_id 0
		.amdhsa_next_free_vgpr 1
		.amdhsa_next_free_sgpr 1
		.amdhsa_reserve_vcc 0
		.amdhsa_reserve_flat_scratch 0
		.amdhsa_float_round_mode_32 0
		.amdhsa_float_round_mode_16_64 0
		.amdhsa_float_denorm_mode_32 3
		.amdhsa_float_denorm_mode_16_64 3
		.amdhsa_dx10_clamp 1
		.amdhsa_ieee_mode 1
		.amdhsa_fp16_overflow 0
		.amdhsa_workgroup_processor_mode 1
		.amdhsa_memory_ordered 1
		.amdhsa_forward_progress 1
		.amdhsa_shared_vgpr_count 0
		.amdhsa_exception_fp_ieee_invalid_op 0
		.amdhsa_exception_fp_denorm_src 0
		.amdhsa_exception_fp_ieee_div_zero 0
		.amdhsa_exception_fp_ieee_overflow 0
		.amdhsa_exception_fp_ieee_underflow 0
		.amdhsa_exception_fp_ieee_inexact 0
		.amdhsa_exception_int_div_zero 0
	.end_amdhsa_kernel
	.section	.text._ZN7rocprim17ROCPRIM_400000_NS6detail17trampoline_kernelINS0_14default_configENS1_20scan_config_selectorIN3c107complexIdEEEEZZNS1_9scan_implILNS1_25lookback_scan_determinismE0ELb0ELb0ES3_PKS7_PS7_S7_ZZZN2at6native31launch_logcumsumexp_cuda_kernelERKNSE_10TensorBaseESI_lENKUlvE_clEvENKUlvE1_clEvEUlS7_S7_E_S7_EEDaPvRmT3_T4_T5_mT6_P12ihipStream_tbENKUlT_T0_E_clISt17integral_constantIbLb1EESZ_EEDaSU_SV_EUlSU_E_NS1_11comp_targetILNS1_3genE8ELNS1_11target_archE1030ELNS1_3gpuE2ELNS1_3repE0EEENS1_30default_config_static_selectorELNS0_4arch9wavefront6targetE0EEEvT1_,"axG",@progbits,_ZN7rocprim17ROCPRIM_400000_NS6detail17trampoline_kernelINS0_14default_configENS1_20scan_config_selectorIN3c107complexIdEEEEZZNS1_9scan_implILNS1_25lookback_scan_determinismE0ELb0ELb0ES3_PKS7_PS7_S7_ZZZN2at6native31launch_logcumsumexp_cuda_kernelERKNSE_10TensorBaseESI_lENKUlvE_clEvENKUlvE1_clEvEUlS7_S7_E_S7_EEDaPvRmT3_T4_T5_mT6_P12ihipStream_tbENKUlT_T0_E_clISt17integral_constantIbLb1EESZ_EEDaSU_SV_EUlSU_E_NS1_11comp_targetILNS1_3genE8ELNS1_11target_archE1030ELNS1_3gpuE2ELNS1_3repE0EEENS1_30default_config_static_selectorELNS0_4arch9wavefront6targetE0EEEvT1_,comdat
.Lfunc_end211:
	.size	_ZN7rocprim17ROCPRIM_400000_NS6detail17trampoline_kernelINS0_14default_configENS1_20scan_config_selectorIN3c107complexIdEEEEZZNS1_9scan_implILNS1_25lookback_scan_determinismE0ELb0ELb0ES3_PKS7_PS7_S7_ZZZN2at6native31launch_logcumsumexp_cuda_kernelERKNSE_10TensorBaseESI_lENKUlvE_clEvENKUlvE1_clEvEUlS7_S7_E_S7_EEDaPvRmT3_T4_T5_mT6_P12ihipStream_tbENKUlT_T0_E_clISt17integral_constantIbLb1EESZ_EEDaSU_SV_EUlSU_E_NS1_11comp_targetILNS1_3genE8ELNS1_11target_archE1030ELNS1_3gpuE2ELNS1_3repE0EEENS1_30default_config_static_selectorELNS0_4arch9wavefront6targetE0EEEvT1_, .Lfunc_end211-_ZN7rocprim17ROCPRIM_400000_NS6detail17trampoline_kernelINS0_14default_configENS1_20scan_config_selectorIN3c107complexIdEEEEZZNS1_9scan_implILNS1_25lookback_scan_determinismE0ELb0ELb0ES3_PKS7_PS7_S7_ZZZN2at6native31launch_logcumsumexp_cuda_kernelERKNSE_10TensorBaseESI_lENKUlvE_clEvENKUlvE1_clEvEUlS7_S7_E_S7_EEDaPvRmT3_T4_T5_mT6_P12ihipStream_tbENKUlT_T0_E_clISt17integral_constantIbLb1EESZ_EEDaSU_SV_EUlSU_E_NS1_11comp_targetILNS1_3genE8ELNS1_11target_archE1030ELNS1_3gpuE2ELNS1_3repE0EEENS1_30default_config_static_selectorELNS0_4arch9wavefront6targetE0EEEvT1_
                                        ; -- End function
	.set _ZN7rocprim17ROCPRIM_400000_NS6detail17trampoline_kernelINS0_14default_configENS1_20scan_config_selectorIN3c107complexIdEEEEZZNS1_9scan_implILNS1_25lookback_scan_determinismE0ELb0ELb0ES3_PKS7_PS7_S7_ZZZN2at6native31launch_logcumsumexp_cuda_kernelERKNSE_10TensorBaseESI_lENKUlvE_clEvENKUlvE1_clEvEUlS7_S7_E_S7_EEDaPvRmT3_T4_T5_mT6_P12ihipStream_tbENKUlT_T0_E_clISt17integral_constantIbLb1EESZ_EEDaSU_SV_EUlSU_E_NS1_11comp_targetILNS1_3genE8ELNS1_11target_archE1030ELNS1_3gpuE2ELNS1_3repE0EEENS1_30default_config_static_selectorELNS0_4arch9wavefront6targetE0EEEvT1_.num_vgpr, 0
	.set _ZN7rocprim17ROCPRIM_400000_NS6detail17trampoline_kernelINS0_14default_configENS1_20scan_config_selectorIN3c107complexIdEEEEZZNS1_9scan_implILNS1_25lookback_scan_determinismE0ELb0ELb0ES3_PKS7_PS7_S7_ZZZN2at6native31launch_logcumsumexp_cuda_kernelERKNSE_10TensorBaseESI_lENKUlvE_clEvENKUlvE1_clEvEUlS7_S7_E_S7_EEDaPvRmT3_T4_T5_mT6_P12ihipStream_tbENKUlT_T0_E_clISt17integral_constantIbLb1EESZ_EEDaSU_SV_EUlSU_E_NS1_11comp_targetILNS1_3genE8ELNS1_11target_archE1030ELNS1_3gpuE2ELNS1_3repE0EEENS1_30default_config_static_selectorELNS0_4arch9wavefront6targetE0EEEvT1_.num_agpr, 0
	.set _ZN7rocprim17ROCPRIM_400000_NS6detail17trampoline_kernelINS0_14default_configENS1_20scan_config_selectorIN3c107complexIdEEEEZZNS1_9scan_implILNS1_25lookback_scan_determinismE0ELb0ELb0ES3_PKS7_PS7_S7_ZZZN2at6native31launch_logcumsumexp_cuda_kernelERKNSE_10TensorBaseESI_lENKUlvE_clEvENKUlvE1_clEvEUlS7_S7_E_S7_EEDaPvRmT3_T4_T5_mT6_P12ihipStream_tbENKUlT_T0_E_clISt17integral_constantIbLb1EESZ_EEDaSU_SV_EUlSU_E_NS1_11comp_targetILNS1_3genE8ELNS1_11target_archE1030ELNS1_3gpuE2ELNS1_3repE0EEENS1_30default_config_static_selectorELNS0_4arch9wavefront6targetE0EEEvT1_.numbered_sgpr, 0
	.set _ZN7rocprim17ROCPRIM_400000_NS6detail17trampoline_kernelINS0_14default_configENS1_20scan_config_selectorIN3c107complexIdEEEEZZNS1_9scan_implILNS1_25lookback_scan_determinismE0ELb0ELb0ES3_PKS7_PS7_S7_ZZZN2at6native31launch_logcumsumexp_cuda_kernelERKNSE_10TensorBaseESI_lENKUlvE_clEvENKUlvE1_clEvEUlS7_S7_E_S7_EEDaPvRmT3_T4_T5_mT6_P12ihipStream_tbENKUlT_T0_E_clISt17integral_constantIbLb1EESZ_EEDaSU_SV_EUlSU_E_NS1_11comp_targetILNS1_3genE8ELNS1_11target_archE1030ELNS1_3gpuE2ELNS1_3repE0EEENS1_30default_config_static_selectorELNS0_4arch9wavefront6targetE0EEEvT1_.num_named_barrier, 0
	.set _ZN7rocprim17ROCPRIM_400000_NS6detail17trampoline_kernelINS0_14default_configENS1_20scan_config_selectorIN3c107complexIdEEEEZZNS1_9scan_implILNS1_25lookback_scan_determinismE0ELb0ELb0ES3_PKS7_PS7_S7_ZZZN2at6native31launch_logcumsumexp_cuda_kernelERKNSE_10TensorBaseESI_lENKUlvE_clEvENKUlvE1_clEvEUlS7_S7_E_S7_EEDaPvRmT3_T4_T5_mT6_P12ihipStream_tbENKUlT_T0_E_clISt17integral_constantIbLb1EESZ_EEDaSU_SV_EUlSU_E_NS1_11comp_targetILNS1_3genE8ELNS1_11target_archE1030ELNS1_3gpuE2ELNS1_3repE0EEENS1_30default_config_static_selectorELNS0_4arch9wavefront6targetE0EEEvT1_.private_seg_size, 0
	.set _ZN7rocprim17ROCPRIM_400000_NS6detail17trampoline_kernelINS0_14default_configENS1_20scan_config_selectorIN3c107complexIdEEEEZZNS1_9scan_implILNS1_25lookback_scan_determinismE0ELb0ELb0ES3_PKS7_PS7_S7_ZZZN2at6native31launch_logcumsumexp_cuda_kernelERKNSE_10TensorBaseESI_lENKUlvE_clEvENKUlvE1_clEvEUlS7_S7_E_S7_EEDaPvRmT3_T4_T5_mT6_P12ihipStream_tbENKUlT_T0_E_clISt17integral_constantIbLb1EESZ_EEDaSU_SV_EUlSU_E_NS1_11comp_targetILNS1_3genE8ELNS1_11target_archE1030ELNS1_3gpuE2ELNS1_3repE0EEENS1_30default_config_static_selectorELNS0_4arch9wavefront6targetE0EEEvT1_.uses_vcc, 0
	.set _ZN7rocprim17ROCPRIM_400000_NS6detail17trampoline_kernelINS0_14default_configENS1_20scan_config_selectorIN3c107complexIdEEEEZZNS1_9scan_implILNS1_25lookback_scan_determinismE0ELb0ELb0ES3_PKS7_PS7_S7_ZZZN2at6native31launch_logcumsumexp_cuda_kernelERKNSE_10TensorBaseESI_lENKUlvE_clEvENKUlvE1_clEvEUlS7_S7_E_S7_EEDaPvRmT3_T4_T5_mT6_P12ihipStream_tbENKUlT_T0_E_clISt17integral_constantIbLb1EESZ_EEDaSU_SV_EUlSU_E_NS1_11comp_targetILNS1_3genE8ELNS1_11target_archE1030ELNS1_3gpuE2ELNS1_3repE0EEENS1_30default_config_static_selectorELNS0_4arch9wavefront6targetE0EEEvT1_.uses_flat_scratch, 0
	.set _ZN7rocprim17ROCPRIM_400000_NS6detail17trampoline_kernelINS0_14default_configENS1_20scan_config_selectorIN3c107complexIdEEEEZZNS1_9scan_implILNS1_25lookback_scan_determinismE0ELb0ELb0ES3_PKS7_PS7_S7_ZZZN2at6native31launch_logcumsumexp_cuda_kernelERKNSE_10TensorBaseESI_lENKUlvE_clEvENKUlvE1_clEvEUlS7_S7_E_S7_EEDaPvRmT3_T4_T5_mT6_P12ihipStream_tbENKUlT_T0_E_clISt17integral_constantIbLb1EESZ_EEDaSU_SV_EUlSU_E_NS1_11comp_targetILNS1_3genE8ELNS1_11target_archE1030ELNS1_3gpuE2ELNS1_3repE0EEENS1_30default_config_static_selectorELNS0_4arch9wavefront6targetE0EEEvT1_.has_dyn_sized_stack, 0
	.set _ZN7rocprim17ROCPRIM_400000_NS6detail17trampoline_kernelINS0_14default_configENS1_20scan_config_selectorIN3c107complexIdEEEEZZNS1_9scan_implILNS1_25lookback_scan_determinismE0ELb0ELb0ES3_PKS7_PS7_S7_ZZZN2at6native31launch_logcumsumexp_cuda_kernelERKNSE_10TensorBaseESI_lENKUlvE_clEvENKUlvE1_clEvEUlS7_S7_E_S7_EEDaPvRmT3_T4_T5_mT6_P12ihipStream_tbENKUlT_T0_E_clISt17integral_constantIbLb1EESZ_EEDaSU_SV_EUlSU_E_NS1_11comp_targetILNS1_3genE8ELNS1_11target_archE1030ELNS1_3gpuE2ELNS1_3repE0EEENS1_30default_config_static_selectorELNS0_4arch9wavefront6targetE0EEEvT1_.has_recursion, 0
	.set _ZN7rocprim17ROCPRIM_400000_NS6detail17trampoline_kernelINS0_14default_configENS1_20scan_config_selectorIN3c107complexIdEEEEZZNS1_9scan_implILNS1_25lookback_scan_determinismE0ELb0ELb0ES3_PKS7_PS7_S7_ZZZN2at6native31launch_logcumsumexp_cuda_kernelERKNSE_10TensorBaseESI_lENKUlvE_clEvENKUlvE1_clEvEUlS7_S7_E_S7_EEDaPvRmT3_T4_T5_mT6_P12ihipStream_tbENKUlT_T0_E_clISt17integral_constantIbLb1EESZ_EEDaSU_SV_EUlSU_E_NS1_11comp_targetILNS1_3genE8ELNS1_11target_archE1030ELNS1_3gpuE2ELNS1_3repE0EEENS1_30default_config_static_selectorELNS0_4arch9wavefront6targetE0EEEvT1_.has_indirect_call, 0
	.section	.AMDGPU.csdata,"",@progbits
; Kernel info:
; codeLenInByte = 4
; TotalNumSgprs: 0
; NumVgprs: 0
; ScratchSize: 0
; MemoryBound: 0
; FloatMode: 240
; IeeeMode: 1
; LDSByteSize: 0 bytes/workgroup (compile time only)
; SGPRBlocks: 0
; VGPRBlocks: 0
; NumSGPRsForWavesPerEU: 1
; NumVGPRsForWavesPerEU: 1
; Occupancy: 16
; WaveLimiterHint : 0
; COMPUTE_PGM_RSRC2:SCRATCH_EN: 0
; COMPUTE_PGM_RSRC2:USER_SGPR: 6
; COMPUTE_PGM_RSRC2:TRAP_HANDLER: 0
; COMPUTE_PGM_RSRC2:TGID_X_EN: 1
; COMPUTE_PGM_RSRC2:TGID_Y_EN: 0
; COMPUTE_PGM_RSRC2:TGID_Z_EN: 0
; COMPUTE_PGM_RSRC2:TIDIG_COMP_CNT: 0
	.section	.text._ZN7rocprim17ROCPRIM_400000_NS6detail17trampoline_kernelINS0_14default_configENS1_20scan_config_selectorIN3c107complexIdEEEEZZNS1_9scan_implILNS1_25lookback_scan_determinismE0ELb0ELb0ES3_PKS7_PS7_S7_ZZZN2at6native31launch_logcumsumexp_cuda_kernelERKNSE_10TensorBaseESI_lENKUlvE_clEvENKUlvE1_clEvEUlS7_S7_E_S7_EEDaPvRmT3_T4_T5_mT6_P12ihipStream_tbENKUlT_T0_E_clISt17integral_constantIbLb1EESZ_EEDaSU_SV_EUlSU_E0_NS1_11comp_targetILNS1_3genE0ELNS1_11target_archE4294967295ELNS1_3gpuE0ELNS1_3repE0EEENS1_30default_config_static_selectorELNS0_4arch9wavefront6targetE0EEEvT1_,"axG",@progbits,_ZN7rocprim17ROCPRIM_400000_NS6detail17trampoline_kernelINS0_14default_configENS1_20scan_config_selectorIN3c107complexIdEEEEZZNS1_9scan_implILNS1_25lookback_scan_determinismE0ELb0ELb0ES3_PKS7_PS7_S7_ZZZN2at6native31launch_logcumsumexp_cuda_kernelERKNSE_10TensorBaseESI_lENKUlvE_clEvENKUlvE1_clEvEUlS7_S7_E_S7_EEDaPvRmT3_T4_T5_mT6_P12ihipStream_tbENKUlT_T0_E_clISt17integral_constantIbLb1EESZ_EEDaSU_SV_EUlSU_E0_NS1_11comp_targetILNS1_3genE0ELNS1_11target_archE4294967295ELNS1_3gpuE0ELNS1_3repE0EEENS1_30default_config_static_selectorELNS0_4arch9wavefront6targetE0EEEvT1_,comdat
	.globl	_ZN7rocprim17ROCPRIM_400000_NS6detail17trampoline_kernelINS0_14default_configENS1_20scan_config_selectorIN3c107complexIdEEEEZZNS1_9scan_implILNS1_25lookback_scan_determinismE0ELb0ELb0ES3_PKS7_PS7_S7_ZZZN2at6native31launch_logcumsumexp_cuda_kernelERKNSE_10TensorBaseESI_lENKUlvE_clEvENKUlvE1_clEvEUlS7_S7_E_S7_EEDaPvRmT3_T4_T5_mT6_P12ihipStream_tbENKUlT_T0_E_clISt17integral_constantIbLb1EESZ_EEDaSU_SV_EUlSU_E0_NS1_11comp_targetILNS1_3genE0ELNS1_11target_archE4294967295ELNS1_3gpuE0ELNS1_3repE0EEENS1_30default_config_static_selectorELNS0_4arch9wavefront6targetE0EEEvT1_ ; -- Begin function _ZN7rocprim17ROCPRIM_400000_NS6detail17trampoline_kernelINS0_14default_configENS1_20scan_config_selectorIN3c107complexIdEEEEZZNS1_9scan_implILNS1_25lookback_scan_determinismE0ELb0ELb0ES3_PKS7_PS7_S7_ZZZN2at6native31launch_logcumsumexp_cuda_kernelERKNSE_10TensorBaseESI_lENKUlvE_clEvENKUlvE1_clEvEUlS7_S7_E_S7_EEDaPvRmT3_T4_T5_mT6_P12ihipStream_tbENKUlT_T0_E_clISt17integral_constantIbLb1EESZ_EEDaSU_SV_EUlSU_E0_NS1_11comp_targetILNS1_3genE0ELNS1_11target_archE4294967295ELNS1_3gpuE0ELNS1_3repE0EEENS1_30default_config_static_selectorELNS0_4arch9wavefront6targetE0EEEvT1_
	.p2align	8
	.type	_ZN7rocprim17ROCPRIM_400000_NS6detail17trampoline_kernelINS0_14default_configENS1_20scan_config_selectorIN3c107complexIdEEEEZZNS1_9scan_implILNS1_25lookback_scan_determinismE0ELb0ELb0ES3_PKS7_PS7_S7_ZZZN2at6native31launch_logcumsumexp_cuda_kernelERKNSE_10TensorBaseESI_lENKUlvE_clEvENKUlvE1_clEvEUlS7_S7_E_S7_EEDaPvRmT3_T4_T5_mT6_P12ihipStream_tbENKUlT_T0_E_clISt17integral_constantIbLb1EESZ_EEDaSU_SV_EUlSU_E0_NS1_11comp_targetILNS1_3genE0ELNS1_11target_archE4294967295ELNS1_3gpuE0ELNS1_3repE0EEENS1_30default_config_static_selectorELNS0_4arch9wavefront6targetE0EEEvT1_,@function
_ZN7rocprim17ROCPRIM_400000_NS6detail17trampoline_kernelINS0_14default_configENS1_20scan_config_selectorIN3c107complexIdEEEEZZNS1_9scan_implILNS1_25lookback_scan_determinismE0ELb0ELb0ES3_PKS7_PS7_S7_ZZZN2at6native31launch_logcumsumexp_cuda_kernelERKNSE_10TensorBaseESI_lENKUlvE_clEvENKUlvE1_clEvEUlS7_S7_E_S7_EEDaPvRmT3_T4_T5_mT6_P12ihipStream_tbENKUlT_T0_E_clISt17integral_constantIbLb1EESZ_EEDaSU_SV_EUlSU_E0_NS1_11comp_targetILNS1_3genE0ELNS1_11target_archE4294967295ELNS1_3gpuE0ELNS1_3repE0EEENS1_30default_config_static_selectorELNS0_4arch9wavefront6targetE0EEEvT1_: ; @_ZN7rocprim17ROCPRIM_400000_NS6detail17trampoline_kernelINS0_14default_configENS1_20scan_config_selectorIN3c107complexIdEEEEZZNS1_9scan_implILNS1_25lookback_scan_determinismE0ELb0ELb0ES3_PKS7_PS7_S7_ZZZN2at6native31launch_logcumsumexp_cuda_kernelERKNSE_10TensorBaseESI_lENKUlvE_clEvENKUlvE1_clEvEUlS7_S7_E_S7_EEDaPvRmT3_T4_T5_mT6_P12ihipStream_tbENKUlT_T0_E_clISt17integral_constantIbLb1EESZ_EEDaSU_SV_EUlSU_E0_NS1_11comp_targetILNS1_3genE0ELNS1_11target_archE4294967295ELNS1_3gpuE0ELNS1_3repE0EEENS1_30default_config_static_selectorELNS0_4arch9wavefront6targetE0EEEvT1_
; %bb.0:
	.section	.rodata,"a",@progbits
	.p2align	6, 0x0
	.amdhsa_kernel _ZN7rocprim17ROCPRIM_400000_NS6detail17trampoline_kernelINS0_14default_configENS1_20scan_config_selectorIN3c107complexIdEEEEZZNS1_9scan_implILNS1_25lookback_scan_determinismE0ELb0ELb0ES3_PKS7_PS7_S7_ZZZN2at6native31launch_logcumsumexp_cuda_kernelERKNSE_10TensorBaseESI_lENKUlvE_clEvENKUlvE1_clEvEUlS7_S7_E_S7_EEDaPvRmT3_T4_T5_mT6_P12ihipStream_tbENKUlT_T0_E_clISt17integral_constantIbLb1EESZ_EEDaSU_SV_EUlSU_E0_NS1_11comp_targetILNS1_3genE0ELNS1_11target_archE4294967295ELNS1_3gpuE0ELNS1_3repE0EEENS1_30default_config_static_selectorELNS0_4arch9wavefront6targetE0EEEvT1_
		.amdhsa_group_segment_fixed_size 0
		.amdhsa_private_segment_fixed_size 0
		.amdhsa_kernarg_size 48
		.amdhsa_user_sgpr_count 6
		.amdhsa_user_sgpr_private_segment_buffer 1
		.amdhsa_user_sgpr_dispatch_ptr 0
		.amdhsa_user_sgpr_queue_ptr 0
		.amdhsa_user_sgpr_kernarg_segment_ptr 1
		.amdhsa_user_sgpr_dispatch_id 0
		.amdhsa_user_sgpr_flat_scratch_init 0
		.amdhsa_user_sgpr_private_segment_size 0
		.amdhsa_wavefront_size32 1
		.amdhsa_uses_dynamic_stack 0
		.amdhsa_system_sgpr_private_segment_wavefront_offset 0
		.amdhsa_system_sgpr_workgroup_id_x 1
		.amdhsa_system_sgpr_workgroup_id_y 0
		.amdhsa_system_sgpr_workgroup_id_z 0
		.amdhsa_system_sgpr_workgroup_info 0
		.amdhsa_system_vgpr_workitem_id 0
		.amdhsa_next_free_vgpr 1
		.amdhsa_next_free_sgpr 1
		.amdhsa_reserve_vcc 0
		.amdhsa_reserve_flat_scratch 0
		.amdhsa_float_round_mode_32 0
		.amdhsa_float_round_mode_16_64 0
		.amdhsa_float_denorm_mode_32 3
		.amdhsa_float_denorm_mode_16_64 3
		.amdhsa_dx10_clamp 1
		.amdhsa_ieee_mode 1
		.amdhsa_fp16_overflow 0
		.amdhsa_workgroup_processor_mode 1
		.amdhsa_memory_ordered 1
		.amdhsa_forward_progress 1
		.amdhsa_shared_vgpr_count 0
		.amdhsa_exception_fp_ieee_invalid_op 0
		.amdhsa_exception_fp_denorm_src 0
		.amdhsa_exception_fp_ieee_div_zero 0
		.amdhsa_exception_fp_ieee_overflow 0
		.amdhsa_exception_fp_ieee_underflow 0
		.amdhsa_exception_fp_ieee_inexact 0
		.amdhsa_exception_int_div_zero 0
	.end_amdhsa_kernel
	.section	.text._ZN7rocprim17ROCPRIM_400000_NS6detail17trampoline_kernelINS0_14default_configENS1_20scan_config_selectorIN3c107complexIdEEEEZZNS1_9scan_implILNS1_25lookback_scan_determinismE0ELb0ELb0ES3_PKS7_PS7_S7_ZZZN2at6native31launch_logcumsumexp_cuda_kernelERKNSE_10TensorBaseESI_lENKUlvE_clEvENKUlvE1_clEvEUlS7_S7_E_S7_EEDaPvRmT3_T4_T5_mT6_P12ihipStream_tbENKUlT_T0_E_clISt17integral_constantIbLb1EESZ_EEDaSU_SV_EUlSU_E0_NS1_11comp_targetILNS1_3genE0ELNS1_11target_archE4294967295ELNS1_3gpuE0ELNS1_3repE0EEENS1_30default_config_static_selectorELNS0_4arch9wavefront6targetE0EEEvT1_,"axG",@progbits,_ZN7rocprim17ROCPRIM_400000_NS6detail17trampoline_kernelINS0_14default_configENS1_20scan_config_selectorIN3c107complexIdEEEEZZNS1_9scan_implILNS1_25lookback_scan_determinismE0ELb0ELb0ES3_PKS7_PS7_S7_ZZZN2at6native31launch_logcumsumexp_cuda_kernelERKNSE_10TensorBaseESI_lENKUlvE_clEvENKUlvE1_clEvEUlS7_S7_E_S7_EEDaPvRmT3_T4_T5_mT6_P12ihipStream_tbENKUlT_T0_E_clISt17integral_constantIbLb1EESZ_EEDaSU_SV_EUlSU_E0_NS1_11comp_targetILNS1_3genE0ELNS1_11target_archE4294967295ELNS1_3gpuE0ELNS1_3repE0EEENS1_30default_config_static_selectorELNS0_4arch9wavefront6targetE0EEEvT1_,comdat
.Lfunc_end212:
	.size	_ZN7rocprim17ROCPRIM_400000_NS6detail17trampoline_kernelINS0_14default_configENS1_20scan_config_selectorIN3c107complexIdEEEEZZNS1_9scan_implILNS1_25lookback_scan_determinismE0ELb0ELb0ES3_PKS7_PS7_S7_ZZZN2at6native31launch_logcumsumexp_cuda_kernelERKNSE_10TensorBaseESI_lENKUlvE_clEvENKUlvE1_clEvEUlS7_S7_E_S7_EEDaPvRmT3_T4_T5_mT6_P12ihipStream_tbENKUlT_T0_E_clISt17integral_constantIbLb1EESZ_EEDaSU_SV_EUlSU_E0_NS1_11comp_targetILNS1_3genE0ELNS1_11target_archE4294967295ELNS1_3gpuE0ELNS1_3repE0EEENS1_30default_config_static_selectorELNS0_4arch9wavefront6targetE0EEEvT1_, .Lfunc_end212-_ZN7rocprim17ROCPRIM_400000_NS6detail17trampoline_kernelINS0_14default_configENS1_20scan_config_selectorIN3c107complexIdEEEEZZNS1_9scan_implILNS1_25lookback_scan_determinismE0ELb0ELb0ES3_PKS7_PS7_S7_ZZZN2at6native31launch_logcumsumexp_cuda_kernelERKNSE_10TensorBaseESI_lENKUlvE_clEvENKUlvE1_clEvEUlS7_S7_E_S7_EEDaPvRmT3_T4_T5_mT6_P12ihipStream_tbENKUlT_T0_E_clISt17integral_constantIbLb1EESZ_EEDaSU_SV_EUlSU_E0_NS1_11comp_targetILNS1_3genE0ELNS1_11target_archE4294967295ELNS1_3gpuE0ELNS1_3repE0EEENS1_30default_config_static_selectorELNS0_4arch9wavefront6targetE0EEEvT1_
                                        ; -- End function
	.set _ZN7rocprim17ROCPRIM_400000_NS6detail17trampoline_kernelINS0_14default_configENS1_20scan_config_selectorIN3c107complexIdEEEEZZNS1_9scan_implILNS1_25lookback_scan_determinismE0ELb0ELb0ES3_PKS7_PS7_S7_ZZZN2at6native31launch_logcumsumexp_cuda_kernelERKNSE_10TensorBaseESI_lENKUlvE_clEvENKUlvE1_clEvEUlS7_S7_E_S7_EEDaPvRmT3_T4_T5_mT6_P12ihipStream_tbENKUlT_T0_E_clISt17integral_constantIbLb1EESZ_EEDaSU_SV_EUlSU_E0_NS1_11comp_targetILNS1_3genE0ELNS1_11target_archE4294967295ELNS1_3gpuE0ELNS1_3repE0EEENS1_30default_config_static_selectorELNS0_4arch9wavefront6targetE0EEEvT1_.num_vgpr, 0
	.set _ZN7rocprim17ROCPRIM_400000_NS6detail17trampoline_kernelINS0_14default_configENS1_20scan_config_selectorIN3c107complexIdEEEEZZNS1_9scan_implILNS1_25lookback_scan_determinismE0ELb0ELb0ES3_PKS7_PS7_S7_ZZZN2at6native31launch_logcumsumexp_cuda_kernelERKNSE_10TensorBaseESI_lENKUlvE_clEvENKUlvE1_clEvEUlS7_S7_E_S7_EEDaPvRmT3_T4_T5_mT6_P12ihipStream_tbENKUlT_T0_E_clISt17integral_constantIbLb1EESZ_EEDaSU_SV_EUlSU_E0_NS1_11comp_targetILNS1_3genE0ELNS1_11target_archE4294967295ELNS1_3gpuE0ELNS1_3repE0EEENS1_30default_config_static_selectorELNS0_4arch9wavefront6targetE0EEEvT1_.num_agpr, 0
	.set _ZN7rocprim17ROCPRIM_400000_NS6detail17trampoline_kernelINS0_14default_configENS1_20scan_config_selectorIN3c107complexIdEEEEZZNS1_9scan_implILNS1_25lookback_scan_determinismE0ELb0ELb0ES3_PKS7_PS7_S7_ZZZN2at6native31launch_logcumsumexp_cuda_kernelERKNSE_10TensorBaseESI_lENKUlvE_clEvENKUlvE1_clEvEUlS7_S7_E_S7_EEDaPvRmT3_T4_T5_mT6_P12ihipStream_tbENKUlT_T0_E_clISt17integral_constantIbLb1EESZ_EEDaSU_SV_EUlSU_E0_NS1_11comp_targetILNS1_3genE0ELNS1_11target_archE4294967295ELNS1_3gpuE0ELNS1_3repE0EEENS1_30default_config_static_selectorELNS0_4arch9wavefront6targetE0EEEvT1_.numbered_sgpr, 0
	.set _ZN7rocprim17ROCPRIM_400000_NS6detail17trampoline_kernelINS0_14default_configENS1_20scan_config_selectorIN3c107complexIdEEEEZZNS1_9scan_implILNS1_25lookback_scan_determinismE0ELb0ELb0ES3_PKS7_PS7_S7_ZZZN2at6native31launch_logcumsumexp_cuda_kernelERKNSE_10TensorBaseESI_lENKUlvE_clEvENKUlvE1_clEvEUlS7_S7_E_S7_EEDaPvRmT3_T4_T5_mT6_P12ihipStream_tbENKUlT_T0_E_clISt17integral_constantIbLb1EESZ_EEDaSU_SV_EUlSU_E0_NS1_11comp_targetILNS1_3genE0ELNS1_11target_archE4294967295ELNS1_3gpuE0ELNS1_3repE0EEENS1_30default_config_static_selectorELNS0_4arch9wavefront6targetE0EEEvT1_.num_named_barrier, 0
	.set _ZN7rocprim17ROCPRIM_400000_NS6detail17trampoline_kernelINS0_14default_configENS1_20scan_config_selectorIN3c107complexIdEEEEZZNS1_9scan_implILNS1_25lookback_scan_determinismE0ELb0ELb0ES3_PKS7_PS7_S7_ZZZN2at6native31launch_logcumsumexp_cuda_kernelERKNSE_10TensorBaseESI_lENKUlvE_clEvENKUlvE1_clEvEUlS7_S7_E_S7_EEDaPvRmT3_T4_T5_mT6_P12ihipStream_tbENKUlT_T0_E_clISt17integral_constantIbLb1EESZ_EEDaSU_SV_EUlSU_E0_NS1_11comp_targetILNS1_3genE0ELNS1_11target_archE4294967295ELNS1_3gpuE0ELNS1_3repE0EEENS1_30default_config_static_selectorELNS0_4arch9wavefront6targetE0EEEvT1_.private_seg_size, 0
	.set _ZN7rocprim17ROCPRIM_400000_NS6detail17trampoline_kernelINS0_14default_configENS1_20scan_config_selectorIN3c107complexIdEEEEZZNS1_9scan_implILNS1_25lookback_scan_determinismE0ELb0ELb0ES3_PKS7_PS7_S7_ZZZN2at6native31launch_logcumsumexp_cuda_kernelERKNSE_10TensorBaseESI_lENKUlvE_clEvENKUlvE1_clEvEUlS7_S7_E_S7_EEDaPvRmT3_T4_T5_mT6_P12ihipStream_tbENKUlT_T0_E_clISt17integral_constantIbLb1EESZ_EEDaSU_SV_EUlSU_E0_NS1_11comp_targetILNS1_3genE0ELNS1_11target_archE4294967295ELNS1_3gpuE0ELNS1_3repE0EEENS1_30default_config_static_selectorELNS0_4arch9wavefront6targetE0EEEvT1_.uses_vcc, 0
	.set _ZN7rocprim17ROCPRIM_400000_NS6detail17trampoline_kernelINS0_14default_configENS1_20scan_config_selectorIN3c107complexIdEEEEZZNS1_9scan_implILNS1_25lookback_scan_determinismE0ELb0ELb0ES3_PKS7_PS7_S7_ZZZN2at6native31launch_logcumsumexp_cuda_kernelERKNSE_10TensorBaseESI_lENKUlvE_clEvENKUlvE1_clEvEUlS7_S7_E_S7_EEDaPvRmT3_T4_T5_mT6_P12ihipStream_tbENKUlT_T0_E_clISt17integral_constantIbLb1EESZ_EEDaSU_SV_EUlSU_E0_NS1_11comp_targetILNS1_3genE0ELNS1_11target_archE4294967295ELNS1_3gpuE0ELNS1_3repE0EEENS1_30default_config_static_selectorELNS0_4arch9wavefront6targetE0EEEvT1_.uses_flat_scratch, 0
	.set _ZN7rocprim17ROCPRIM_400000_NS6detail17trampoline_kernelINS0_14default_configENS1_20scan_config_selectorIN3c107complexIdEEEEZZNS1_9scan_implILNS1_25lookback_scan_determinismE0ELb0ELb0ES3_PKS7_PS7_S7_ZZZN2at6native31launch_logcumsumexp_cuda_kernelERKNSE_10TensorBaseESI_lENKUlvE_clEvENKUlvE1_clEvEUlS7_S7_E_S7_EEDaPvRmT3_T4_T5_mT6_P12ihipStream_tbENKUlT_T0_E_clISt17integral_constantIbLb1EESZ_EEDaSU_SV_EUlSU_E0_NS1_11comp_targetILNS1_3genE0ELNS1_11target_archE4294967295ELNS1_3gpuE0ELNS1_3repE0EEENS1_30default_config_static_selectorELNS0_4arch9wavefront6targetE0EEEvT1_.has_dyn_sized_stack, 0
	.set _ZN7rocprim17ROCPRIM_400000_NS6detail17trampoline_kernelINS0_14default_configENS1_20scan_config_selectorIN3c107complexIdEEEEZZNS1_9scan_implILNS1_25lookback_scan_determinismE0ELb0ELb0ES3_PKS7_PS7_S7_ZZZN2at6native31launch_logcumsumexp_cuda_kernelERKNSE_10TensorBaseESI_lENKUlvE_clEvENKUlvE1_clEvEUlS7_S7_E_S7_EEDaPvRmT3_T4_T5_mT6_P12ihipStream_tbENKUlT_T0_E_clISt17integral_constantIbLb1EESZ_EEDaSU_SV_EUlSU_E0_NS1_11comp_targetILNS1_3genE0ELNS1_11target_archE4294967295ELNS1_3gpuE0ELNS1_3repE0EEENS1_30default_config_static_selectorELNS0_4arch9wavefront6targetE0EEEvT1_.has_recursion, 0
	.set _ZN7rocprim17ROCPRIM_400000_NS6detail17trampoline_kernelINS0_14default_configENS1_20scan_config_selectorIN3c107complexIdEEEEZZNS1_9scan_implILNS1_25lookback_scan_determinismE0ELb0ELb0ES3_PKS7_PS7_S7_ZZZN2at6native31launch_logcumsumexp_cuda_kernelERKNSE_10TensorBaseESI_lENKUlvE_clEvENKUlvE1_clEvEUlS7_S7_E_S7_EEDaPvRmT3_T4_T5_mT6_P12ihipStream_tbENKUlT_T0_E_clISt17integral_constantIbLb1EESZ_EEDaSU_SV_EUlSU_E0_NS1_11comp_targetILNS1_3genE0ELNS1_11target_archE4294967295ELNS1_3gpuE0ELNS1_3repE0EEENS1_30default_config_static_selectorELNS0_4arch9wavefront6targetE0EEEvT1_.has_indirect_call, 0
	.section	.AMDGPU.csdata,"",@progbits
; Kernel info:
; codeLenInByte = 0
; TotalNumSgprs: 0
; NumVgprs: 0
; ScratchSize: 0
; MemoryBound: 0
; FloatMode: 240
; IeeeMode: 1
; LDSByteSize: 0 bytes/workgroup (compile time only)
; SGPRBlocks: 0
; VGPRBlocks: 0
; NumSGPRsForWavesPerEU: 1
; NumVGPRsForWavesPerEU: 1
; Occupancy: 16
; WaveLimiterHint : 0
; COMPUTE_PGM_RSRC2:SCRATCH_EN: 0
; COMPUTE_PGM_RSRC2:USER_SGPR: 6
; COMPUTE_PGM_RSRC2:TRAP_HANDLER: 0
; COMPUTE_PGM_RSRC2:TGID_X_EN: 1
; COMPUTE_PGM_RSRC2:TGID_Y_EN: 0
; COMPUTE_PGM_RSRC2:TGID_Z_EN: 0
; COMPUTE_PGM_RSRC2:TIDIG_COMP_CNT: 0
	.section	.text._ZN7rocprim17ROCPRIM_400000_NS6detail17trampoline_kernelINS0_14default_configENS1_20scan_config_selectorIN3c107complexIdEEEEZZNS1_9scan_implILNS1_25lookback_scan_determinismE0ELb0ELb0ES3_PKS7_PS7_S7_ZZZN2at6native31launch_logcumsumexp_cuda_kernelERKNSE_10TensorBaseESI_lENKUlvE_clEvENKUlvE1_clEvEUlS7_S7_E_S7_EEDaPvRmT3_T4_T5_mT6_P12ihipStream_tbENKUlT_T0_E_clISt17integral_constantIbLb1EESZ_EEDaSU_SV_EUlSU_E0_NS1_11comp_targetILNS1_3genE5ELNS1_11target_archE942ELNS1_3gpuE9ELNS1_3repE0EEENS1_30default_config_static_selectorELNS0_4arch9wavefront6targetE0EEEvT1_,"axG",@progbits,_ZN7rocprim17ROCPRIM_400000_NS6detail17trampoline_kernelINS0_14default_configENS1_20scan_config_selectorIN3c107complexIdEEEEZZNS1_9scan_implILNS1_25lookback_scan_determinismE0ELb0ELb0ES3_PKS7_PS7_S7_ZZZN2at6native31launch_logcumsumexp_cuda_kernelERKNSE_10TensorBaseESI_lENKUlvE_clEvENKUlvE1_clEvEUlS7_S7_E_S7_EEDaPvRmT3_T4_T5_mT6_P12ihipStream_tbENKUlT_T0_E_clISt17integral_constantIbLb1EESZ_EEDaSU_SV_EUlSU_E0_NS1_11comp_targetILNS1_3genE5ELNS1_11target_archE942ELNS1_3gpuE9ELNS1_3repE0EEENS1_30default_config_static_selectorELNS0_4arch9wavefront6targetE0EEEvT1_,comdat
	.globl	_ZN7rocprim17ROCPRIM_400000_NS6detail17trampoline_kernelINS0_14default_configENS1_20scan_config_selectorIN3c107complexIdEEEEZZNS1_9scan_implILNS1_25lookback_scan_determinismE0ELb0ELb0ES3_PKS7_PS7_S7_ZZZN2at6native31launch_logcumsumexp_cuda_kernelERKNSE_10TensorBaseESI_lENKUlvE_clEvENKUlvE1_clEvEUlS7_S7_E_S7_EEDaPvRmT3_T4_T5_mT6_P12ihipStream_tbENKUlT_T0_E_clISt17integral_constantIbLb1EESZ_EEDaSU_SV_EUlSU_E0_NS1_11comp_targetILNS1_3genE5ELNS1_11target_archE942ELNS1_3gpuE9ELNS1_3repE0EEENS1_30default_config_static_selectorELNS0_4arch9wavefront6targetE0EEEvT1_ ; -- Begin function _ZN7rocprim17ROCPRIM_400000_NS6detail17trampoline_kernelINS0_14default_configENS1_20scan_config_selectorIN3c107complexIdEEEEZZNS1_9scan_implILNS1_25lookback_scan_determinismE0ELb0ELb0ES3_PKS7_PS7_S7_ZZZN2at6native31launch_logcumsumexp_cuda_kernelERKNSE_10TensorBaseESI_lENKUlvE_clEvENKUlvE1_clEvEUlS7_S7_E_S7_EEDaPvRmT3_T4_T5_mT6_P12ihipStream_tbENKUlT_T0_E_clISt17integral_constantIbLb1EESZ_EEDaSU_SV_EUlSU_E0_NS1_11comp_targetILNS1_3genE5ELNS1_11target_archE942ELNS1_3gpuE9ELNS1_3repE0EEENS1_30default_config_static_selectorELNS0_4arch9wavefront6targetE0EEEvT1_
	.p2align	8
	.type	_ZN7rocprim17ROCPRIM_400000_NS6detail17trampoline_kernelINS0_14default_configENS1_20scan_config_selectorIN3c107complexIdEEEEZZNS1_9scan_implILNS1_25lookback_scan_determinismE0ELb0ELb0ES3_PKS7_PS7_S7_ZZZN2at6native31launch_logcumsumexp_cuda_kernelERKNSE_10TensorBaseESI_lENKUlvE_clEvENKUlvE1_clEvEUlS7_S7_E_S7_EEDaPvRmT3_T4_T5_mT6_P12ihipStream_tbENKUlT_T0_E_clISt17integral_constantIbLb1EESZ_EEDaSU_SV_EUlSU_E0_NS1_11comp_targetILNS1_3genE5ELNS1_11target_archE942ELNS1_3gpuE9ELNS1_3repE0EEENS1_30default_config_static_selectorELNS0_4arch9wavefront6targetE0EEEvT1_,@function
_ZN7rocprim17ROCPRIM_400000_NS6detail17trampoline_kernelINS0_14default_configENS1_20scan_config_selectorIN3c107complexIdEEEEZZNS1_9scan_implILNS1_25lookback_scan_determinismE0ELb0ELb0ES3_PKS7_PS7_S7_ZZZN2at6native31launch_logcumsumexp_cuda_kernelERKNSE_10TensorBaseESI_lENKUlvE_clEvENKUlvE1_clEvEUlS7_S7_E_S7_EEDaPvRmT3_T4_T5_mT6_P12ihipStream_tbENKUlT_T0_E_clISt17integral_constantIbLb1EESZ_EEDaSU_SV_EUlSU_E0_NS1_11comp_targetILNS1_3genE5ELNS1_11target_archE942ELNS1_3gpuE9ELNS1_3repE0EEENS1_30default_config_static_selectorELNS0_4arch9wavefront6targetE0EEEvT1_: ; @_ZN7rocprim17ROCPRIM_400000_NS6detail17trampoline_kernelINS0_14default_configENS1_20scan_config_selectorIN3c107complexIdEEEEZZNS1_9scan_implILNS1_25lookback_scan_determinismE0ELb0ELb0ES3_PKS7_PS7_S7_ZZZN2at6native31launch_logcumsumexp_cuda_kernelERKNSE_10TensorBaseESI_lENKUlvE_clEvENKUlvE1_clEvEUlS7_S7_E_S7_EEDaPvRmT3_T4_T5_mT6_P12ihipStream_tbENKUlT_T0_E_clISt17integral_constantIbLb1EESZ_EEDaSU_SV_EUlSU_E0_NS1_11comp_targetILNS1_3genE5ELNS1_11target_archE942ELNS1_3gpuE9ELNS1_3repE0EEENS1_30default_config_static_selectorELNS0_4arch9wavefront6targetE0EEEvT1_
; %bb.0:
	.section	.rodata,"a",@progbits
	.p2align	6, 0x0
	.amdhsa_kernel _ZN7rocprim17ROCPRIM_400000_NS6detail17trampoline_kernelINS0_14default_configENS1_20scan_config_selectorIN3c107complexIdEEEEZZNS1_9scan_implILNS1_25lookback_scan_determinismE0ELb0ELb0ES3_PKS7_PS7_S7_ZZZN2at6native31launch_logcumsumexp_cuda_kernelERKNSE_10TensorBaseESI_lENKUlvE_clEvENKUlvE1_clEvEUlS7_S7_E_S7_EEDaPvRmT3_T4_T5_mT6_P12ihipStream_tbENKUlT_T0_E_clISt17integral_constantIbLb1EESZ_EEDaSU_SV_EUlSU_E0_NS1_11comp_targetILNS1_3genE5ELNS1_11target_archE942ELNS1_3gpuE9ELNS1_3repE0EEENS1_30default_config_static_selectorELNS0_4arch9wavefront6targetE0EEEvT1_
		.amdhsa_group_segment_fixed_size 0
		.amdhsa_private_segment_fixed_size 0
		.amdhsa_kernarg_size 48
		.amdhsa_user_sgpr_count 6
		.amdhsa_user_sgpr_private_segment_buffer 1
		.amdhsa_user_sgpr_dispatch_ptr 0
		.amdhsa_user_sgpr_queue_ptr 0
		.amdhsa_user_sgpr_kernarg_segment_ptr 1
		.amdhsa_user_sgpr_dispatch_id 0
		.amdhsa_user_sgpr_flat_scratch_init 0
		.amdhsa_user_sgpr_private_segment_size 0
		.amdhsa_wavefront_size32 1
		.amdhsa_uses_dynamic_stack 0
		.amdhsa_system_sgpr_private_segment_wavefront_offset 0
		.amdhsa_system_sgpr_workgroup_id_x 1
		.amdhsa_system_sgpr_workgroup_id_y 0
		.amdhsa_system_sgpr_workgroup_id_z 0
		.amdhsa_system_sgpr_workgroup_info 0
		.amdhsa_system_vgpr_workitem_id 0
		.amdhsa_next_free_vgpr 1
		.amdhsa_next_free_sgpr 1
		.amdhsa_reserve_vcc 0
		.amdhsa_reserve_flat_scratch 0
		.amdhsa_float_round_mode_32 0
		.amdhsa_float_round_mode_16_64 0
		.amdhsa_float_denorm_mode_32 3
		.amdhsa_float_denorm_mode_16_64 3
		.amdhsa_dx10_clamp 1
		.amdhsa_ieee_mode 1
		.amdhsa_fp16_overflow 0
		.amdhsa_workgroup_processor_mode 1
		.amdhsa_memory_ordered 1
		.amdhsa_forward_progress 1
		.amdhsa_shared_vgpr_count 0
		.amdhsa_exception_fp_ieee_invalid_op 0
		.amdhsa_exception_fp_denorm_src 0
		.amdhsa_exception_fp_ieee_div_zero 0
		.amdhsa_exception_fp_ieee_overflow 0
		.amdhsa_exception_fp_ieee_underflow 0
		.amdhsa_exception_fp_ieee_inexact 0
		.amdhsa_exception_int_div_zero 0
	.end_amdhsa_kernel
	.section	.text._ZN7rocprim17ROCPRIM_400000_NS6detail17trampoline_kernelINS0_14default_configENS1_20scan_config_selectorIN3c107complexIdEEEEZZNS1_9scan_implILNS1_25lookback_scan_determinismE0ELb0ELb0ES3_PKS7_PS7_S7_ZZZN2at6native31launch_logcumsumexp_cuda_kernelERKNSE_10TensorBaseESI_lENKUlvE_clEvENKUlvE1_clEvEUlS7_S7_E_S7_EEDaPvRmT3_T4_T5_mT6_P12ihipStream_tbENKUlT_T0_E_clISt17integral_constantIbLb1EESZ_EEDaSU_SV_EUlSU_E0_NS1_11comp_targetILNS1_3genE5ELNS1_11target_archE942ELNS1_3gpuE9ELNS1_3repE0EEENS1_30default_config_static_selectorELNS0_4arch9wavefront6targetE0EEEvT1_,"axG",@progbits,_ZN7rocprim17ROCPRIM_400000_NS6detail17trampoline_kernelINS0_14default_configENS1_20scan_config_selectorIN3c107complexIdEEEEZZNS1_9scan_implILNS1_25lookback_scan_determinismE0ELb0ELb0ES3_PKS7_PS7_S7_ZZZN2at6native31launch_logcumsumexp_cuda_kernelERKNSE_10TensorBaseESI_lENKUlvE_clEvENKUlvE1_clEvEUlS7_S7_E_S7_EEDaPvRmT3_T4_T5_mT6_P12ihipStream_tbENKUlT_T0_E_clISt17integral_constantIbLb1EESZ_EEDaSU_SV_EUlSU_E0_NS1_11comp_targetILNS1_3genE5ELNS1_11target_archE942ELNS1_3gpuE9ELNS1_3repE0EEENS1_30default_config_static_selectorELNS0_4arch9wavefront6targetE0EEEvT1_,comdat
.Lfunc_end213:
	.size	_ZN7rocprim17ROCPRIM_400000_NS6detail17trampoline_kernelINS0_14default_configENS1_20scan_config_selectorIN3c107complexIdEEEEZZNS1_9scan_implILNS1_25lookback_scan_determinismE0ELb0ELb0ES3_PKS7_PS7_S7_ZZZN2at6native31launch_logcumsumexp_cuda_kernelERKNSE_10TensorBaseESI_lENKUlvE_clEvENKUlvE1_clEvEUlS7_S7_E_S7_EEDaPvRmT3_T4_T5_mT6_P12ihipStream_tbENKUlT_T0_E_clISt17integral_constantIbLb1EESZ_EEDaSU_SV_EUlSU_E0_NS1_11comp_targetILNS1_3genE5ELNS1_11target_archE942ELNS1_3gpuE9ELNS1_3repE0EEENS1_30default_config_static_selectorELNS0_4arch9wavefront6targetE0EEEvT1_, .Lfunc_end213-_ZN7rocprim17ROCPRIM_400000_NS6detail17trampoline_kernelINS0_14default_configENS1_20scan_config_selectorIN3c107complexIdEEEEZZNS1_9scan_implILNS1_25lookback_scan_determinismE0ELb0ELb0ES3_PKS7_PS7_S7_ZZZN2at6native31launch_logcumsumexp_cuda_kernelERKNSE_10TensorBaseESI_lENKUlvE_clEvENKUlvE1_clEvEUlS7_S7_E_S7_EEDaPvRmT3_T4_T5_mT6_P12ihipStream_tbENKUlT_T0_E_clISt17integral_constantIbLb1EESZ_EEDaSU_SV_EUlSU_E0_NS1_11comp_targetILNS1_3genE5ELNS1_11target_archE942ELNS1_3gpuE9ELNS1_3repE0EEENS1_30default_config_static_selectorELNS0_4arch9wavefront6targetE0EEEvT1_
                                        ; -- End function
	.set _ZN7rocprim17ROCPRIM_400000_NS6detail17trampoline_kernelINS0_14default_configENS1_20scan_config_selectorIN3c107complexIdEEEEZZNS1_9scan_implILNS1_25lookback_scan_determinismE0ELb0ELb0ES3_PKS7_PS7_S7_ZZZN2at6native31launch_logcumsumexp_cuda_kernelERKNSE_10TensorBaseESI_lENKUlvE_clEvENKUlvE1_clEvEUlS7_S7_E_S7_EEDaPvRmT3_T4_T5_mT6_P12ihipStream_tbENKUlT_T0_E_clISt17integral_constantIbLb1EESZ_EEDaSU_SV_EUlSU_E0_NS1_11comp_targetILNS1_3genE5ELNS1_11target_archE942ELNS1_3gpuE9ELNS1_3repE0EEENS1_30default_config_static_selectorELNS0_4arch9wavefront6targetE0EEEvT1_.num_vgpr, 0
	.set _ZN7rocprim17ROCPRIM_400000_NS6detail17trampoline_kernelINS0_14default_configENS1_20scan_config_selectorIN3c107complexIdEEEEZZNS1_9scan_implILNS1_25lookback_scan_determinismE0ELb0ELb0ES3_PKS7_PS7_S7_ZZZN2at6native31launch_logcumsumexp_cuda_kernelERKNSE_10TensorBaseESI_lENKUlvE_clEvENKUlvE1_clEvEUlS7_S7_E_S7_EEDaPvRmT3_T4_T5_mT6_P12ihipStream_tbENKUlT_T0_E_clISt17integral_constantIbLb1EESZ_EEDaSU_SV_EUlSU_E0_NS1_11comp_targetILNS1_3genE5ELNS1_11target_archE942ELNS1_3gpuE9ELNS1_3repE0EEENS1_30default_config_static_selectorELNS0_4arch9wavefront6targetE0EEEvT1_.num_agpr, 0
	.set _ZN7rocprim17ROCPRIM_400000_NS6detail17trampoline_kernelINS0_14default_configENS1_20scan_config_selectorIN3c107complexIdEEEEZZNS1_9scan_implILNS1_25lookback_scan_determinismE0ELb0ELb0ES3_PKS7_PS7_S7_ZZZN2at6native31launch_logcumsumexp_cuda_kernelERKNSE_10TensorBaseESI_lENKUlvE_clEvENKUlvE1_clEvEUlS7_S7_E_S7_EEDaPvRmT3_T4_T5_mT6_P12ihipStream_tbENKUlT_T0_E_clISt17integral_constantIbLb1EESZ_EEDaSU_SV_EUlSU_E0_NS1_11comp_targetILNS1_3genE5ELNS1_11target_archE942ELNS1_3gpuE9ELNS1_3repE0EEENS1_30default_config_static_selectorELNS0_4arch9wavefront6targetE0EEEvT1_.numbered_sgpr, 0
	.set _ZN7rocprim17ROCPRIM_400000_NS6detail17trampoline_kernelINS0_14default_configENS1_20scan_config_selectorIN3c107complexIdEEEEZZNS1_9scan_implILNS1_25lookback_scan_determinismE0ELb0ELb0ES3_PKS7_PS7_S7_ZZZN2at6native31launch_logcumsumexp_cuda_kernelERKNSE_10TensorBaseESI_lENKUlvE_clEvENKUlvE1_clEvEUlS7_S7_E_S7_EEDaPvRmT3_T4_T5_mT6_P12ihipStream_tbENKUlT_T0_E_clISt17integral_constantIbLb1EESZ_EEDaSU_SV_EUlSU_E0_NS1_11comp_targetILNS1_3genE5ELNS1_11target_archE942ELNS1_3gpuE9ELNS1_3repE0EEENS1_30default_config_static_selectorELNS0_4arch9wavefront6targetE0EEEvT1_.num_named_barrier, 0
	.set _ZN7rocprim17ROCPRIM_400000_NS6detail17trampoline_kernelINS0_14default_configENS1_20scan_config_selectorIN3c107complexIdEEEEZZNS1_9scan_implILNS1_25lookback_scan_determinismE0ELb0ELb0ES3_PKS7_PS7_S7_ZZZN2at6native31launch_logcumsumexp_cuda_kernelERKNSE_10TensorBaseESI_lENKUlvE_clEvENKUlvE1_clEvEUlS7_S7_E_S7_EEDaPvRmT3_T4_T5_mT6_P12ihipStream_tbENKUlT_T0_E_clISt17integral_constantIbLb1EESZ_EEDaSU_SV_EUlSU_E0_NS1_11comp_targetILNS1_3genE5ELNS1_11target_archE942ELNS1_3gpuE9ELNS1_3repE0EEENS1_30default_config_static_selectorELNS0_4arch9wavefront6targetE0EEEvT1_.private_seg_size, 0
	.set _ZN7rocprim17ROCPRIM_400000_NS6detail17trampoline_kernelINS0_14default_configENS1_20scan_config_selectorIN3c107complexIdEEEEZZNS1_9scan_implILNS1_25lookback_scan_determinismE0ELb0ELb0ES3_PKS7_PS7_S7_ZZZN2at6native31launch_logcumsumexp_cuda_kernelERKNSE_10TensorBaseESI_lENKUlvE_clEvENKUlvE1_clEvEUlS7_S7_E_S7_EEDaPvRmT3_T4_T5_mT6_P12ihipStream_tbENKUlT_T0_E_clISt17integral_constantIbLb1EESZ_EEDaSU_SV_EUlSU_E0_NS1_11comp_targetILNS1_3genE5ELNS1_11target_archE942ELNS1_3gpuE9ELNS1_3repE0EEENS1_30default_config_static_selectorELNS0_4arch9wavefront6targetE0EEEvT1_.uses_vcc, 0
	.set _ZN7rocprim17ROCPRIM_400000_NS6detail17trampoline_kernelINS0_14default_configENS1_20scan_config_selectorIN3c107complexIdEEEEZZNS1_9scan_implILNS1_25lookback_scan_determinismE0ELb0ELb0ES3_PKS7_PS7_S7_ZZZN2at6native31launch_logcumsumexp_cuda_kernelERKNSE_10TensorBaseESI_lENKUlvE_clEvENKUlvE1_clEvEUlS7_S7_E_S7_EEDaPvRmT3_T4_T5_mT6_P12ihipStream_tbENKUlT_T0_E_clISt17integral_constantIbLb1EESZ_EEDaSU_SV_EUlSU_E0_NS1_11comp_targetILNS1_3genE5ELNS1_11target_archE942ELNS1_3gpuE9ELNS1_3repE0EEENS1_30default_config_static_selectorELNS0_4arch9wavefront6targetE0EEEvT1_.uses_flat_scratch, 0
	.set _ZN7rocprim17ROCPRIM_400000_NS6detail17trampoline_kernelINS0_14default_configENS1_20scan_config_selectorIN3c107complexIdEEEEZZNS1_9scan_implILNS1_25lookback_scan_determinismE0ELb0ELb0ES3_PKS7_PS7_S7_ZZZN2at6native31launch_logcumsumexp_cuda_kernelERKNSE_10TensorBaseESI_lENKUlvE_clEvENKUlvE1_clEvEUlS7_S7_E_S7_EEDaPvRmT3_T4_T5_mT6_P12ihipStream_tbENKUlT_T0_E_clISt17integral_constantIbLb1EESZ_EEDaSU_SV_EUlSU_E0_NS1_11comp_targetILNS1_3genE5ELNS1_11target_archE942ELNS1_3gpuE9ELNS1_3repE0EEENS1_30default_config_static_selectorELNS0_4arch9wavefront6targetE0EEEvT1_.has_dyn_sized_stack, 0
	.set _ZN7rocprim17ROCPRIM_400000_NS6detail17trampoline_kernelINS0_14default_configENS1_20scan_config_selectorIN3c107complexIdEEEEZZNS1_9scan_implILNS1_25lookback_scan_determinismE0ELb0ELb0ES3_PKS7_PS7_S7_ZZZN2at6native31launch_logcumsumexp_cuda_kernelERKNSE_10TensorBaseESI_lENKUlvE_clEvENKUlvE1_clEvEUlS7_S7_E_S7_EEDaPvRmT3_T4_T5_mT6_P12ihipStream_tbENKUlT_T0_E_clISt17integral_constantIbLb1EESZ_EEDaSU_SV_EUlSU_E0_NS1_11comp_targetILNS1_3genE5ELNS1_11target_archE942ELNS1_3gpuE9ELNS1_3repE0EEENS1_30default_config_static_selectorELNS0_4arch9wavefront6targetE0EEEvT1_.has_recursion, 0
	.set _ZN7rocprim17ROCPRIM_400000_NS6detail17trampoline_kernelINS0_14default_configENS1_20scan_config_selectorIN3c107complexIdEEEEZZNS1_9scan_implILNS1_25lookback_scan_determinismE0ELb0ELb0ES3_PKS7_PS7_S7_ZZZN2at6native31launch_logcumsumexp_cuda_kernelERKNSE_10TensorBaseESI_lENKUlvE_clEvENKUlvE1_clEvEUlS7_S7_E_S7_EEDaPvRmT3_T4_T5_mT6_P12ihipStream_tbENKUlT_T0_E_clISt17integral_constantIbLb1EESZ_EEDaSU_SV_EUlSU_E0_NS1_11comp_targetILNS1_3genE5ELNS1_11target_archE942ELNS1_3gpuE9ELNS1_3repE0EEENS1_30default_config_static_selectorELNS0_4arch9wavefront6targetE0EEEvT1_.has_indirect_call, 0
	.section	.AMDGPU.csdata,"",@progbits
; Kernel info:
; codeLenInByte = 0
; TotalNumSgprs: 0
; NumVgprs: 0
; ScratchSize: 0
; MemoryBound: 0
; FloatMode: 240
; IeeeMode: 1
; LDSByteSize: 0 bytes/workgroup (compile time only)
; SGPRBlocks: 0
; VGPRBlocks: 0
; NumSGPRsForWavesPerEU: 1
; NumVGPRsForWavesPerEU: 1
; Occupancy: 16
; WaveLimiterHint : 0
; COMPUTE_PGM_RSRC2:SCRATCH_EN: 0
; COMPUTE_PGM_RSRC2:USER_SGPR: 6
; COMPUTE_PGM_RSRC2:TRAP_HANDLER: 0
; COMPUTE_PGM_RSRC2:TGID_X_EN: 1
; COMPUTE_PGM_RSRC2:TGID_Y_EN: 0
; COMPUTE_PGM_RSRC2:TGID_Z_EN: 0
; COMPUTE_PGM_RSRC2:TIDIG_COMP_CNT: 0
	.section	.text._ZN7rocprim17ROCPRIM_400000_NS6detail17trampoline_kernelINS0_14default_configENS1_20scan_config_selectorIN3c107complexIdEEEEZZNS1_9scan_implILNS1_25lookback_scan_determinismE0ELb0ELb0ES3_PKS7_PS7_S7_ZZZN2at6native31launch_logcumsumexp_cuda_kernelERKNSE_10TensorBaseESI_lENKUlvE_clEvENKUlvE1_clEvEUlS7_S7_E_S7_EEDaPvRmT3_T4_T5_mT6_P12ihipStream_tbENKUlT_T0_E_clISt17integral_constantIbLb1EESZ_EEDaSU_SV_EUlSU_E0_NS1_11comp_targetILNS1_3genE4ELNS1_11target_archE910ELNS1_3gpuE8ELNS1_3repE0EEENS1_30default_config_static_selectorELNS0_4arch9wavefront6targetE0EEEvT1_,"axG",@progbits,_ZN7rocprim17ROCPRIM_400000_NS6detail17trampoline_kernelINS0_14default_configENS1_20scan_config_selectorIN3c107complexIdEEEEZZNS1_9scan_implILNS1_25lookback_scan_determinismE0ELb0ELb0ES3_PKS7_PS7_S7_ZZZN2at6native31launch_logcumsumexp_cuda_kernelERKNSE_10TensorBaseESI_lENKUlvE_clEvENKUlvE1_clEvEUlS7_S7_E_S7_EEDaPvRmT3_T4_T5_mT6_P12ihipStream_tbENKUlT_T0_E_clISt17integral_constantIbLb1EESZ_EEDaSU_SV_EUlSU_E0_NS1_11comp_targetILNS1_3genE4ELNS1_11target_archE910ELNS1_3gpuE8ELNS1_3repE0EEENS1_30default_config_static_selectorELNS0_4arch9wavefront6targetE0EEEvT1_,comdat
	.globl	_ZN7rocprim17ROCPRIM_400000_NS6detail17trampoline_kernelINS0_14default_configENS1_20scan_config_selectorIN3c107complexIdEEEEZZNS1_9scan_implILNS1_25lookback_scan_determinismE0ELb0ELb0ES3_PKS7_PS7_S7_ZZZN2at6native31launch_logcumsumexp_cuda_kernelERKNSE_10TensorBaseESI_lENKUlvE_clEvENKUlvE1_clEvEUlS7_S7_E_S7_EEDaPvRmT3_T4_T5_mT6_P12ihipStream_tbENKUlT_T0_E_clISt17integral_constantIbLb1EESZ_EEDaSU_SV_EUlSU_E0_NS1_11comp_targetILNS1_3genE4ELNS1_11target_archE910ELNS1_3gpuE8ELNS1_3repE0EEENS1_30default_config_static_selectorELNS0_4arch9wavefront6targetE0EEEvT1_ ; -- Begin function _ZN7rocprim17ROCPRIM_400000_NS6detail17trampoline_kernelINS0_14default_configENS1_20scan_config_selectorIN3c107complexIdEEEEZZNS1_9scan_implILNS1_25lookback_scan_determinismE0ELb0ELb0ES3_PKS7_PS7_S7_ZZZN2at6native31launch_logcumsumexp_cuda_kernelERKNSE_10TensorBaseESI_lENKUlvE_clEvENKUlvE1_clEvEUlS7_S7_E_S7_EEDaPvRmT3_T4_T5_mT6_P12ihipStream_tbENKUlT_T0_E_clISt17integral_constantIbLb1EESZ_EEDaSU_SV_EUlSU_E0_NS1_11comp_targetILNS1_3genE4ELNS1_11target_archE910ELNS1_3gpuE8ELNS1_3repE0EEENS1_30default_config_static_selectorELNS0_4arch9wavefront6targetE0EEEvT1_
	.p2align	8
	.type	_ZN7rocprim17ROCPRIM_400000_NS6detail17trampoline_kernelINS0_14default_configENS1_20scan_config_selectorIN3c107complexIdEEEEZZNS1_9scan_implILNS1_25lookback_scan_determinismE0ELb0ELb0ES3_PKS7_PS7_S7_ZZZN2at6native31launch_logcumsumexp_cuda_kernelERKNSE_10TensorBaseESI_lENKUlvE_clEvENKUlvE1_clEvEUlS7_S7_E_S7_EEDaPvRmT3_T4_T5_mT6_P12ihipStream_tbENKUlT_T0_E_clISt17integral_constantIbLb1EESZ_EEDaSU_SV_EUlSU_E0_NS1_11comp_targetILNS1_3genE4ELNS1_11target_archE910ELNS1_3gpuE8ELNS1_3repE0EEENS1_30default_config_static_selectorELNS0_4arch9wavefront6targetE0EEEvT1_,@function
_ZN7rocprim17ROCPRIM_400000_NS6detail17trampoline_kernelINS0_14default_configENS1_20scan_config_selectorIN3c107complexIdEEEEZZNS1_9scan_implILNS1_25lookback_scan_determinismE0ELb0ELb0ES3_PKS7_PS7_S7_ZZZN2at6native31launch_logcumsumexp_cuda_kernelERKNSE_10TensorBaseESI_lENKUlvE_clEvENKUlvE1_clEvEUlS7_S7_E_S7_EEDaPvRmT3_T4_T5_mT6_P12ihipStream_tbENKUlT_T0_E_clISt17integral_constantIbLb1EESZ_EEDaSU_SV_EUlSU_E0_NS1_11comp_targetILNS1_3genE4ELNS1_11target_archE910ELNS1_3gpuE8ELNS1_3repE0EEENS1_30default_config_static_selectorELNS0_4arch9wavefront6targetE0EEEvT1_: ; @_ZN7rocprim17ROCPRIM_400000_NS6detail17trampoline_kernelINS0_14default_configENS1_20scan_config_selectorIN3c107complexIdEEEEZZNS1_9scan_implILNS1_25lookback_scan_determinismE0ELb0ELb0ES3_PKS7_PS7_S7_ZZZN2at6native31launch_logcumsumexp_cuda_kernelERKNSE_10TensorBaseESI_lENKUlvE_clEvENKUlvE1_clEvEUlS7_S7_E_S7_EEDaPvRmT3_T4_T5_mT6_P12ihipStream_tbENKUlT_T0_E_clISt17integral_constantIbLb1EESZ_EEDaSU_SV_EUlSU_E0_NS1_11comp_targetILNS1_3genE4ELNS1_11target_archE910ELNS1_3gpuE8ELNS1_3repE0EEENS1_30default_config_static_selectorELNS0_4arch9wavefront6targetE0EEEvT1_
; %bb.0:
	.section	.rodata,"a",@progbits
	.p2align	6, 0x0
	.amdhsa_kernel _ZN7rocprim17ROCPRIM_400000_NS6detail17trampoline_kernelINS0_14default_configENS1_20scan_config_selectorIN3c107complexIdEEEEZZNS1_9scan_implILNS1_25lookback_scan_determinismE0ELb0ELb0ES3_PKS7_PS7_S7_ZZZN2at6native31launch_logcumsumexp_cuda_kernelERKNSE_10TensorBaseESI_lENKUlvE_clEvENKUlvE1_clEvEUlS7_S7_E_S7_EEDaPvRmT3_T4_T5_mT6_P12ihipStream_tbENKUlT_T0_E_clISt17integral_constantIbLb1EESZ_EEDaSU_SV_EUlSU_E0_NS1_11comp_targetILNS1_3genE4ELNS1_11target_archE910ELNS1_3gpuE8ELNS1_3repE0EEENS1_30default_config_static_selectorELNS0_4arch9wavefront6targetE0EEEvT1_
		.amdhsa_group_segment_fixed_size 0
		.amdhsa_private_segment_fixed_size 0
		.amdhsa_kernarg_size 48
		.amdhsa_user_sgpr_count 6
		.amdhsa_user_sgpr_private_segment_buffer 1
		.amdhsa_user_sgpr_dispatch_ptr 0
		.amdhsa_user_sgpr_queue_ptr 0
		.amdhsa_user_sgpr_kernarg_segment_ptr 1
		.amdhsa_user_sgpr_dispatch_id 0
		.amdhsa_user_sgpr_flat_scratch_init 0
		.amdhsa_user_sgpr_private_segment_size 0
		.amdhsa_wavefront_size32 1
		.amdhsa_uses_dynamic_stack 0
		.amdhsa_system_sgpr_private_segment_wavefront_offset 0
		.amdhsa_system_sgpr_workgroup_id_x 1
		.amdhsa_system_sgpr_workgroup_id_y 0
		.amdhsa_system_sgpr_workgroup_id_z 0
		.amdhsa_system_sgpr_workgroup_info 0
		.amdhsa_system_vgpr_workitem_id 0
		.amdhsa_next_free_vgpr 1
		.amdhsa_next_free_sgpr 1
		.amdhsa_reserve_vcc 0
		.amdhsa_reserve_flat_scratch 0
		.amdhsa_float_round_mode_32 0
		.amdhsa_float_round_mode_16_64 0
		.amdhsa_float_denorm_mode_32 3
		.amdhsa_float_denorm_mode_16_64 3
		.amdhsa_dx10_clamp 1
		.amdhsa_ieee_mode 1
		.amdhsa_fp16_overflow 0
		.amdhsa_workgroup_processor_mode 1
		.amdhsa_memory_ordered 1
		.amdhsa_forward_progress 1
		.amdhsa_shared_vgpr_count 0
		.amdhsa_exception_fp_ieee_invalid_op 0
		.amdhsa_exception_fp_denorm_src 0
		.amdhsa_exception_fp_ieee_div_zero 0
		.amdhsa_exception_fp_ieee_overflow 0
		.amdhsa_exception_fp_ieee_underflow 0
		.amdhsa_exception_fp_ieee_inexact 0
		.amdhsa_exception_int_div_zero 0
	.end_amdhsa_kernel
	.section	.text._ZN7rocprim17ROCPRIM_400000_NS6detail17trampoline_kernelINS0_14default_configENS1_20scan_config_selectorIN3c107complexIdEEEEZZNS1_9scan_implILNS1_25lookback_scan_determinismE0ELb0ELb0ES3_PKS7_PS7_S7_ZZZN2at6native31launch_logcumsumexp_cuda_kernelERKNSE_10TensorBaseESI_lENKUlvE_clEvENKUlvE1_clEvEUlS7_S7_E_S7_EEDaPvRmT3_T4_T5_mT6_P12ihipStream_tbENKUlT_T0_E_clISt17integral_constantIbLb1EESZ_EEDaSU_SV_EUlSU_E0_NS1_11comp_targetILNS1_3genE4ELNS1_11target_archE910ELNS1_3gpuE8ELNS1_3repE0EEENS1_30default_config_static_selectorELNS0_4arch9wavefront6targetE0EEEvT1_,"axG",@progbits,_ZN7rocprim17ROCPRIM_400000_NS6detail17trampoline_kernelINS0_14default_configENS1_20scan_config_selectorIN3c107complexIdEEEEZZNS1_9scan_implILNS1_25lookback_scan_determinismE0ELb0ELb0ES3_PKS7_PS7_S7_ZZZN2at6native31launch_logcumsumexp_cuda_kernelERKNSE_10TensorBaseESI_lENKUlvE_clEvENKUlvE1_clEvEUlS7_S7_E_S7_EEDaPvRmT3_T4_T5_mT6_P12ihipStream_tbENKUlT_T0_E_clISt17integral_constantIbLb1EESZ_EEDaSU_SV_EUlSU_E0_NS1_11comp_targetILNS1_3genE4ELNS1_11target_archE910ELNS1_3gpuE8ELNS1_3repE0EEENS1_30default_config_static_selectorELNS0_4arch9wavefront6targetE0EEEvT1_,comdat
.Lfunc_end214:
	.size	_ZN7rocprim17ROCPRIM_400000_NS6detail17trampoline_kernelINS0_14default_configENS1_20scan_config_selectorIN3c107complexIdEEEEZZNS1_9scan_implILNS1_25lookback_scan_determinismE0ELb0ELb0ES3_PKS7_PS7_S7_ZZZN2at6native31launch_logcumsumexp_cuda_kernelERKNSE_10TensorBaseESI_lENKUlvE_clEvENKUlvE1_clEvEUlS7_S7_E_S7_EEDaPvRmT3_T4_T5_mT6_P12ihipStream_tbENKUlT_T0_E_clISt17integral_constantIbLb1EESZ_EEDaSU_SV_EUlSU_E0_NS1_11comp_targetILNS1_3genE4ELNS1_11target_archE910ELNS1_3gpuE8ELNS1_3repE0EEENS1_30default_config_static_selectorELNS0_4arch9wavefront6targetE0EEEvT1_, .Lfunc_end214-_ZN7rocprim17ROCPRIM_400000_NS6detail17trampoline_kernelINS0_14default_configENS1_20scan_config_selectorIN3c107complexIdEEEEZZNS1_9scan_implILNS1_25lookback_scan_determinismE0ELb0ELb0ES3_PKS7_PS7_S7_ZZZN2at6native31launch_logcumsumexp_cuda_kernelERKNSE_10TensorBaseESI_lENKUlvE_clEvENKUlvE1_clEvEUlS7_S7_E_S7_EEDaPvRmT3_T4_T5_mT6_P12ihipStream_tbENKUlT_T0_E_clISt17integral_constantIbLb1EESZ_EEDaSU_SV_EUlSU_E0_NS1_11comp_targetILNS1_3genE4ELNS1_11target_archE910ELNS1_3gpuE8ELNS1_3repE0EEENS1_30default_config_static_selectorELNS0_4arch9wavefront6targetE0EEEvT1_
                                        ; -- End function
	.set _ZN7rocprim17ROCPRIM_400000_NS6detail17trampoline_kernelINS0_14default_configENS1_20scan_config_selectorIN3c107complexIdEEEEZZNS1_9scan_implILNS1_25lookback_scan_determinismE0ELb0ELb0ES3_PKS7_PS7_S7_ZZZN2at6native31launch_logcumsumexp_cuda_kernelERKNSE_10TensorBaseESI_lENKUlvE_clEvENKUlvE1_clEvEUlS7_S7_E_S7_EEDaPvRmT3_T4_T5_mT6_P12ihipStream_tbENKUlT_T0_E_clISt17integral_constantIbLb1EESZ_EEDaSU_SV_EUlSU_E0_NS1_11comp_targetILNS1_3genE4ELNS1_11target_archE910ELNS1_3gpuE8ELNS1_3repE0EEENS1_30default_config_static_selectorELNS0_4arch9wavefront6targetE0EEEvT1_.num_vgpr, 0
	.set _ZN7rocprim17ROCPRIM_400000_NS6detail17trampoline_kernelINS0_14default_configENS1_20scan_config_selectorIN3c107complexIdEEEEZZNS1_9scan_implILNS1_25lookback_scan_determinismE0ELb0ELb0ES3_PKS7_PS7_S7_ZZZN2at6native31launch_logcumsumexp_cuda_kernelERKNSE_10TensorBaseESI_lENKUlvE_clEvENKUlvE1_clEvEUlS7_S7_E_S7_EEDaPvRmT3_T4_T5_mT6_P12ihipStream_tbENKUlT_T0_E_clISt17integral_constantIbLb1EESZ_EEDaSU_SV_EUlSU_E0_NS1_11comp_targetILNS1_3genE4ELNS1_11target_archE910ELNS1_3gpuE8ELNS1_3repE0EEENS1_30default_config_static_selectorELNS0_4arch9wavefront6targetE0EEEvT1_.num_agpr, 0
	.set _ZN7rocprim17ROCPRIM_400000_NS6detail17trampoline_kernelINS0_14default_configENS1_20scan_config_selectorIN3c107complexIdEEEEZZNS1_9scan_implILNS1_25lookback_scan_determinismE0ELb0ELb0ES3_PKS7_PS7_S7_ZZZN2at6native31launch_logcumsumexp_cuda_kernelERKNSE_10TensorBaseESI_lENKUlvE_clEvENKUlvE1_clEvEUlS7_S7_E_S7_EEDaPvRmT3_T4_T5_mT6_P12ihipStream_tbENKUlT_T0_E_clISt17integral_constantIbLb1EESZ_EEDaSU_SV_EUlSU_E0_NS1_11comp_targetILNS1_3genE4ELNS1_11target_archE910ELNS1_3gpuE8ELNS1_3repE0EEENS1_30default_config_static_selectorELNS0_4arch9wavefront6targetE0EEEvT1_.numbered_sgpr, 0
	.set _ZN7rocprim17ROCPRIM_400000_NS6detail17trampoline_kernelINS0_14default_configENS1_20scan_config_selectorIN3c107complexIdEEEEZZNS1_9scan_implILNS1_25lookback_scan_determinismE0ELb0ELb0ES3_PKS7_PS7_S7_ZZZN2at6native31launch_logcumsumexp_cuda_kernelERKNSE_10TensorBaseESI_lENKUlvE_clEvENKUlvE1_clEvEUlS7_S7_E_S7_EEDaPvRmT3_T4_T5_mT6_P12ihipStream_tbENKUlT_T0_E_clISt17integral_constantIbLb1EESZ_EEDaSU_SV_EUlSU_E0_NS1_11comp_targetILNS1_3genE4ELNS1_11target_archE910ELNS1_3gpuE8ELNS1_3repE0EEENS1_30default_config_static_selectorELNS0_4arch9wavefront6targetE0EEEvT1_.num_named_barrier, 0
	.set _ZN7rocprim17ROCPRIM_400000_NS6detail17trampoline_kernelINS0_14default_configENS1_20scan_config_selectorIN3c107complexIdEEEEZZNS1_9scan_implILNS1_25lookback_scan_determinismE0ELb0ELb0ES3_PKS7_PS7_S7_ZZZN2at6native31launch_logcumsumexp_cuda_kernelERKNSE_10TensorBaseESI_lENKUlvE_clEvENKUlvE1_clEvEUlS7_S7_E_S7_EEDaPvRmT3_T4_T5_mT6_P12ihipStream_tbENKUlT_T0_E_clISt17integral_constantIbLb1EESZ_EEDaSU_SV_EUlSU_E0_NS1_11comp_targetILNS1_3genE4ELNS1_11target_archE910ELNS1_3gpuE8ELNS1_3repE0EEENS1_30default_config_static_selectorELNS0_4arch9wavefront6targetE0EEEvT1_.private_seg_size, 0
	.set _ZN7rocprim17ROCPRIM_400000_NS6detail17trampoline_kernelINS0_14default_configENS1_20scan_config_selectorIN3c107complexIdEEEEZZNS1_9scan_implILNS1_25lookback_scan_determinismE0ELb0ELb0ES3_PKS7_PS7_S7_ZZZN2at6native31launch_logcumsumexp_cuda_kernelERKNSE_10TensorBaseESI_lENKUlvE_clEvENKUlvE1_clEvEUlS7_S7_E_S7_EEDaPvRmT3_T4_T5_mT6_P12ihipStream_tbENKUlT_T0_E_clISt17integral_constantIbLb1EESZ_EEDaSU_SV_EUlSU_E0_NS1_11comp_targetILNS1_3genE4ELNS1_11target_archE910ELNS1_3gpuE8ELNS1_3repE0EEENS1_30default_config_static_selectorELNS0_4arch9wavefront6targetE0EEEvT1_.uses_vcc, 0
	.set _ZN7rocprim17ROCPRIM_400000_NS6detail17trampoline_kernelINS0_14default_configENS1_20scan_config_selectorIN3c107complexIdEEEEZZNS1_9scan_implILNS1_25lookback_scan_determinismE0ELb0ELb0ES3_PKS7_PS7_S7_ZZZN2at6native31launch_logcumsumexp_cuda_kernelERKNSE_10TensorBaseESI_lENKUlvE_clEvENKUlvE1_clEvEUlS7_S7_E_S7_EEDaPvRmT3_T4_T5_mT6_P12ihipStream_tbENKUlT_T0_E_clISt17integral_constantIbLb1EESZ_EEDaSU_SV_EUlSU_E0_NS1_11comp_targetILNS1_3genE4ELNS1_11target_archE910ELNS1_3gpuE8ELNS1_3repE0EEENS1_30default_config_static_selectorELNS0_4arch9wavefront6targetE0EEEvT1_.uses_flat_scratch, 0
	.set _ZN7rocprim17ROCPRIM_400000_NS6detail17trampoline_kernelINS0_14default_configENS1_20scan_config_selectorIN3c107complexIdEEEEZZNS1_9scan_implILNS1_25lookback_scan_determinismE0ELb0ELb0ES3_PKS7_PS7_S7_ZZZN2at6native31launch_logcumsumexp_cuda_kernelERKNSE_10TensorBaseESI_lENKUlvE_clEvENKUlvE1_clEvEUlS7_S7_E_S7_EEDaPvRmT3_T4_T5_mT6_P12ihipStream_tbENKUlT_T0_E_clISt17integral_constantIbLb1EESZ_EEDaSU_SV_EUlSU_E0_NS1_11comp_targetILNS1_3genE4ELNS1_11target_archE910ELNS1_3gpuE8ELNS1_3repE0EEENS1_30default_config_static_selectorELNS0_4arch9wavefront6targetE0EEEvT1_.has_dyn_sized_stack, 0
	.set _ZN7rocprim17ROCPRIM_400000_NS6detail17trampoline_kernelINS0_14default_configENS1_20scan_config_selectorIN3c107complexIdEEEEZZNS1_9scan_implILNS1_25lookback_scan_determinismE0ELb0ELb0ES3_PKS7_PS7_S7_ZZZN2at6native31launch_logcumsumexp_cuda_kernelERKNSE_10TensorBaseESI_lENKUlvE_clEvENKUlvE1_clEvEUlS7_S7_E_S7_EEDaPvRmT3_T4_T5_mT6_P12ihipStream_tbENKUlT_T0_E_clISt17integral_constantIbLb1EESZ_EEDaSU_SV_EUlSU_E0_NS1_11comp_targetILNS1_3genE4ELNS1_11target_archE910ELNS1_3gpuE8ELNS1_3repE0EEENS1_30default_config_static_selectorELNS0_4arch9wavefront6targetE0EEEvT1_.has_recursion, 0
	.set _ZN7rocprim17ROCPRIM_400000_NS6detail17trampoline_kernelINS0_14default_configENS1_20scan_config_selectorIN3c107complexIdEEEEZZNS1_9scan_implILNS1_25lookback_scan_determinismE0ELb0ELb0ES3_PKS7_PS7_S7_ZZZN2at6native31launch_logcumsumexp_cuda_kernelERKNSE_10TensorBaseESI_lENKUlvE_clEvENKUlvE1_clEvEUlS7_S7_E_S7_EEDaPvRmT3_T4_T5_mT6_P12ihipStream_tbENKUlT_T0_E_clISt17integral_constantIbLb1EESZ_EEDaSU_SV_EUlSU_E0_NS1_11comp_targetILNS1_3genE4ELNS1_11target_archE910ELNS1_3gpuE8ELNS1_3repE0EEENS1_30default_config_static_selectorELNS0_4arch9wavefront6targetE0EEEvT1_.has_indirect_call, 0
	.section	.AMDGPU.csdata,"",@progbits
; Kernel info:
; codeLenInByte = 0
; TotalNumSgprs: 0
; NumVgprs: 0
; ScratchSize: 0
; MemoryBound: 0
; FloatMode: 240
; IeeeMode: 1
; LDSByteSize: 0 bytes/workgroup (compile time only)
; SGPRBlocks: 0
; VGPRBlocks: 0
; NumSGPRsForWavesPerEU: 1
; NumVGPRsForWavesPerEU: 1
; Occupancy: 16
; WaveLimiterHint : 0
; COMPUTE_PGM_RSRC2:SCRATCH_EN: 0
; COMPUTE_PGM_RSRC2:USER_SGPR: 6
; COMPUTE_PGM_RSRC2:TRAP_HANDLER: 0
; COMPUTE_PGM_RSRC2:TGID_X_EN: 1
; COMPUTE_PGM_RSRC2:TGID_Y_EN: 0
; COMPUTE_PGM_RSRC2:TGID_Z_EN: 0
; COMPUTE_PGM_RSRC2:TIDIG_COMP_CNT: 0
	.section	.text._ZN7rocprim17ROCPRIM_400000_NS6detail17trampoline_kernelINS0_14default_configENS1_20scan_config_selectorIN3c107complexIdEEEEZZNS1_9scan_implILNS1_25lookback_scan_determinismE0ELb0ELb0ES3_PKS7_PS7_S7_ZZZN2at6native31launch_logcumsumexp_cuda_kernelERKNSE_10TensorBaseESI_lENKUlvE_clEvENKUlvE1_clEvEUlS7_S7_E_S7_EEDaPvRmT3_T4_T5_mT6_P12ihipStream_tbENKUlT_T0_E_clISt17integral_constantIbLb1EESZ_EEDaSU_SV_EUlSU_E0_NS1_11comp_targetILNS1_3genE3ELNS1_11target_archE908ELNS1_3gpuE7ELNS1_3repE0EEENS1_30default_config_static_selectorELNS0_4arch9wavefront6targetE0EEEvT1_,"axG",@progbits,_ZN7rocprim17ROCPRIM_400000_NS6detail17trampoline_kernelINS0_14default_configENS1_20scan_config_selectorIN3c107complexIdEEEEZZNS1_9scan_implILNS1_25lookback_scan_determinismE0ELb0ELb0ES3_PKS7_PS7_S7_ZZZN2at6native31launch_logcumsumexp_cuda_kernelERKNSE_10TensorBaseESI_lENKUlvE_clEvENKUlvE1_clEvEUlS7_S7_E_S7_EEDaPvRmT3_T4_T5_mT6_P12ihipStream_tbENKUlT_T0_E_clISt17integral_constantIbLb1EESZ_EEDaSU_SV_EUlSU_E0_NS1_11comp_targetILNS1_3genE3ELNS1_11target_archE908ELNS1_3gpuE7ELNS1_3repE0EEENS1_30default_config_static_selectorELNS0_4arch9wavefront6targetE0EEEvT1_,comdat
	.globl	_ZN7rocprim17ROCPRIM_400000_NS6detail17trampoline_kernelINS0_14default_configENS1_20scan_config_selectorIN3c107complexIdEEEEZZNS1_9scan_implILNS1_25lookback_scan_determinismE0ELb0ELb0ES3_PKS7_PS7_S7_ZZZN2at6native31launch_logcumsumexp_cuda_kernelERKNSE_10TensorBaseESI_lENKUlvE_clEvENKUlvE1_clEvEUlS7_S7_E_S7_EEDaPvRmT3_T4_T5_mT6_P12ihipStream_tbENKUlT_T0_E_clISt17integral_constantIbLb1EESZ_EEDaSU_SV_EUlSU_E0_NS1_11comp_targetILNS1_3genE3ELNS1_11target_archE908ELNS1_3gpuE7ELNS1_3repE0EEENS1_30default_config_static_selectorELNS0_4arch9wavefront6targetE0EEEvT1_ ; -- Begin function _ZN7rocprim17ROCPRIM_400000_NS6detail17trampoline_kernelINS0_14default_configENS1_20scan_config_selectorIN3c107complexIdEEEEZZNS1_9scan_implILNS1_25lookback_scan_determinismE0ELb0ELb0ES3_PKS7_PS7_S7_ZZZN2at6native31launch_logcumsumexp_cuda_kernelERKNSE_10TensorBaseESI_lENKUlvE_clEvENKUlvE1_clEvEUlS7_S7_E_S7_EEDaPvRmT3_T4_T5_mT6_P12ihipStream_tbENKUlT_T0_E_clISt17integral_constantIbLb1EESZ_EEDaSU_SV_EUlSU_E0_NS1_11comp_targetILNS1_3genE3ELNS1_11target_archE908ELNS1_3gpuE7ELNS1_3repE0EEENS1_30default_config_static_selectorELNS0_4arch9wavefront6targetE0EEEvT1_
	.p2align	8
	.type	_ZN7rocprim17ROCPRIM_400000_NS6detail17trampoline_kernelINS0_14default_configENS1_20scan_config_selectorIN3c107complexIdEEEEZZNS1_9scan_implILNS1_25lookback_scan_determinismE0ELb0ELb0ES3_PKS7_PS7_S7_ZZZN2at6native31launch_logcumsumexp_cuda_kernelERKNSE_10TensorBaseESI_lENKUlvE_clEvENKUlvE1_clEvEUlS7_S7_E_S7_EEDaPvRmT3_T4_T5_mT6_P12ihipStream_tbENKUlT_T0_E_clISt17integral_constantIbLb1EESZ_EEDaSU_SV_EUlSU_E0_NS1_11comp_targetILNS1_3genE3ELNS1_11target_archE908ELNS1_3gpuE7ELNS1_3repE0EEENS1_30default_config_static_selectorELNS0_4arch9wavefront6targetE0EEEvT1_,@function
_ZN7rocprim17ROCPRIM_400000_NS6detail17trampoline_kernelINS0_14default_configENS1_20scan_config_selectorIN3c107complexIdEEEEZZNS1_9scan_implILNS1_25lookback_scan_determinismE0ELb0ELb0ES3_PKS7_PS7_S7_ZZZN2at6native31launch_logcumsumexp_cuda_kernelERKNSE_10TensorBaseESI_lENKUlvE_clEvENKUlvE1_clEvEUlS7_S7_E_S7_EEDaPvRmT3_T4_T5_mT6_P12ihipStream_tbENKUlT_T0_E_clISt17integral_constantIbLb1EESZ_EEDaSU_SV_EUlSU_E0_NS1_11comp_targetILNS1_3genE3ELNS1_11target_archE908ELNS1_3gpuE7ELNS1_3repE0EEENS1_30default_config_static_selectorELNS0_4arch9wavefront6targetE0EEEvT1_: ; @_ZN7rocprim17ROCPRIM_400000_NS6detail17trampoline_kernelINS0_14default_configENS1_20scan_config_selectorIN3c107complexIdEEEEZZNS1_9scan_implILNS1_25lookback_scan_determinismE0ELb0ELb0ES3_PKS7_PS7_S7_ZZZN2at6native31launch_logcumsumexp_cuda_kernelERKNSE_10TensorBaseESI_lENKUlvE_clEvENKUlvE1_clEvEUlS7_S7_E_S7_EEDaPvRmT3_T4_T5_mT6_P12ihipStream_tbENKUlT_T0_E_clISt17integral_constantIbLb1EESZ_EEDaSU_SV_EUlSU_E0_NS1_11comp_targetILNS1_3genE3ELNS1_11target_archE908ELNS1_3gpuE7ELNS1_3repE0EEENS1_30default_config_static_selectorELNS0_4arch9wavefront6targetE0EEEvT1_
; %bb.0:
	.section	.rodata,"a",@progbits
	.p2align	6, 0x0
	.amdhsa_kernel _ZN7rocprim17ROCPRIM_400000_NS6detail17trampoline_kernelINS0_14default_configENS1_20scan_config_selectorIN3c107complexIdEEEEZZNS1_9scan_implILNS1_25lookback_scan_determinismE0ELb0ELb0ES3_PKS7_PS7_S7_ZZZN2at6native31launch_logcumsumexp_cuda_kernelERKNSE_10TensorBaseESI_lENKUlvE_clEvENKUlvE1_clEvEUlS7_S7_E_S7_EEDaPvRmT3_T4_T5_mT6_P12ihipStream_tbENKUlT_T0_E_clISt17integral_constantIbLb1EESZ_EEDaSU_SV_EUlSU_E0_NS1_11comp_targetILNS1_3genE3ELNS1_11target_archE908ELNS1_3gpuE7ELNS1_3repE0EEENS1_30default_config_static_selectorELNS0_4arch9wavefront6targetE0EEEvT1_
		.amdhsa_group_segment_fixed_size 0
		.amdhsa_private_segment_fixed_size 0
		.amdhsa_kernarg_size 48
		.amdhsa_user_sgpr_count 6
		.amdhsa_user_sgpr_private_segment_buffer 1
		.amdhsa_user_sgpr_dispatch_ptr 0
		.amdhsa_user_sgpr_queue_ptr 0
		.amdhsa_user_sgpr_kernarg_segment_ptr 1
		.amdhsa_user_sgpr_dispatch_id 0
		.amdhsa_user_sgpr_flat_scratch_init 0
		.amdhsa_user_sgpr_private_segment_size 0
		.amdhsa_wavefront_size32 1
		.amdhsa_uses_dynamic_stack 0
		.amdhsa_system_sgpr_private_segment_wavefront_offset 0
		.amdhsa_system_sgpr_workgroup_id_x 1
		.amdhsa_system_sgpr_workgroup_id_y 0
		.amdhsa_system_sgpr_workgroup_id_z 0
		.amdhsa_system_sgpr_workgroup_info 0
		.amdhsa_system_vgpr_workitem_id 0
		.amdhsa_next_free_vgpr 1
		.amdhsa_next_free_sgpr 1
		.amdhsa_reserve_vcc 0
		.amdhsa_reserve_flat_scratch 0
		.amdhsa_float_round_mode_32 0
		.amdhsa_float_round_mode_16_64 0
		.amdhsa_float_denorm_mode_32 3
		.amdhsa_float_denorm_mode_16_64 3
		.amdhsa_dx10_clamp 1
		.amdhsa_ieee_mode 1
		.amdhsa_fp16_overflow 0
		.amdhsa_workgroup_processor_mode 1
		.amdhsa_memory_ordered 1
		.amdhsa_forward_progress 1
		.amdhsa_shared_vgpr_count 0
		.amdhsa_exception_fp_ieee_invalid_op 0
		.amdhsa_exception_fp_denorm_src 0
		.amdhsa_exception_fp_ieee_div_zero 0
		.amdhsa_exception_fp_ieee_overflow 0
		.amdhsa_exception_fp_ieee_underflow 0
		.amdhsa_exception_fp_ieee_inexact 0
		.amdhsa_exception_int_div_zero 0
	.end_amdhsa_kernel
	.section	.text._ZN7rocprim17ROCPRIM_400000_NS6detail17trampoline_kernelINS0_14default_configENS1_20scan_config_selectorIN3c107complexIdEEEEZZNS1_9scan_implILNS1_25lookback_scan_determinismE0ELb0ELb0ES3_PKS7_PS7_S7_ZZZN2at6native31launch_logcumsumexp_cuda_kernelERKNSE_10TensorBaseESI_lENKUlvE_clEvENKUlvE1_clEvEUlS7_S7_E_S7_EEDaPvRmT3_T4_T5_mT6_P12ihipStream_tbENKUlT_T0_E_clISt17integral_constantIbLb1EESZ_EEDaSU_SV_EUlSU_E0_NS1_11comp_targetILNS1_3genE3ELNS1_11target_archE908ELNS1_3gpuE7ELNS1_3repE0EEENS1_30default_config_static_selectorELNS0_4arch9wavefront6targetE0EEEvT1_,"axG",@progbits,_ZN7rocprim17ROCPRIM_400000_NS6detail17trampoline_kernelINS0_14default_configENS1_20scan_config_selectorIN3c107complexIdEEEEZZNS1_9scan_implILNS1_25lookback_scan_determinismE0ELb0ELb0ES3_PKS7_PS7_S7_ZZZN2at6native31launch_logcumsumexp_cuda_kernelERKNSE_10TensorBaseESI_lENKUlvE_clEvENKUlvE1_clEvEUlS7_S7_E_S7_EEDaPvRmT3_T4_T5_mT6_P12ihipStream_tbENKUlT_T0_E_clISt17integral_constantIbLb1EESZ_EEDaSU_SV_EUlSU_E0_NS1_11comp_targetILNS1_3genE3ELNS1_11target_archE908ELNS1_3gpuE7ELNS1_3repE0EEENS1_30default_config_static_selectorELNS0_4arch9wavefront6targetE0EEEvT1_,comdat
.Lfunc_end215:
	.size	_ZN7rocprim17ROCPRIM_400000_NS6detail17trampoline_kernelINS0_14default_configENS1_20scan_config_selectorIN3c107complexIdEEEEZZNS1_9scan_implILNS1_25lookback_scan_determinismE0ELb0ELb0ES3_PKS7_PS7_S7_ZZZN2at6native31launch_logcumsumexp_cuda_kernelERKNSE_10TensorBaseESI_lENKUlvE_clEvENKUlvE1_clEvEUlS7_S7_E_S7_EEDaPvRmT3_T4_T5_mT6_P12ihipStream_tbENKUlT_T0_E_clISt17integral_constantIbLb1EESZ_EEDaSU_SV_EUlSU_E0_NS1_11comp_targetILNS1_3genE3ELNS1_11target_archE908ELNS1_3gpuE7ELNS1_3repE0EEENS1_30default_config_static_selectorELNS0_4arch9wavefront6targetE0EEEvT1_, .Lfunc_end215-_ZN7rocprim17ROCPRIM_400000_NS6detail17trampoline_kernelINS0_14default_configENS1_20scan_config_selectorIN3c107complexIdEEEEZZNS1_9scan_implILNS1_25lookback_scan_determinismE0ELb0ELb0ES3_PKS7_PS7_S7_ZZZN2at6native31launch_logcumsumexp_cuda_kernelERKNSE_10TensorBaseESI_lENKUlvE_clEvENKUlvE1_clEvEUlS7_S7_E_S7_EEDaPvRmT3_T4_T5_mT6_P12ihipStream_tbENKUlT_T0_E_clISt17integral_constantIbLb1EESZ_EEDaSU_SV_EUlSU_E0_NS1_11comp_targetILNS1_3genE3ELNS1_11target_archE908ELNS1_3gpuE7ELNS1_3repE0EEENS1_30default_config_static_selectorELNS0_4arch9wavefront6targetE0EEEvT1_
                                        ; -- End function
	.set _ZN7rocprim17ROCPRIM_400000_NS6detail17trampoline_kernelINS0_14default_configENS1_20scan_config_selectorIN3c107complexIdEEEEZZNS1_9scan_implILNS1_25lookback_scan_determinismE0ELb0ELb0ES3_PKS7_PS7_S7_ZZZN2at6native31launch_logcumsumexp_cuda_kernelERKNSE_10TensorBaseESI_lENKUlvE_clEvENKUlvE1_clEvEUlS7_S7_E_S7_EEDaPvRmT3_T4_T5_mT6_P12ihipStream_tbENKUlT_T0_E_clISt17integral_constantIbLb1EESZ_EEDaSU_SV_EUlSU_E0_NS1_11comp_targetILNS1_3genE3ELNS1_11target_archE908ELNS1_3gpuE7ELNS1_3repE0EEENS1_30default_config_static_selectorELNS0_4arch9wavefront6targetE0EEEvT1_.num_vgpr, 0
	.set _ZN7rocprim17ROCPRIM_400000_NS6detail17trampoline_kernelINS0_14default_configENS1_20scan_config_selectorIN3c107complexIdEEEEZZNS1_9scan_implILNS1_25lookback_scan_determinismE0ELb0ELb0ES3_PKS7_PS7_S7_ZZZN2at6native31launch_logcumsumexp_cuda_kernelERKNSE_10TensorBaseESI_lENKUlvE_clEvENKUlvE1_clEvEUlS7_S7_E_S7_EEDaPvRmT3_T4_T5_mT6_P12ihipStream_tbENKUlT_T0_E_clISt17integral_constantIbLb1EESZ_EEDaSU_SV_EUlSU_E0_NS1_11comp_targetILNS1_3genE3ELNS1_11target_archE908ELNS1_3gpuE7ELNS1_3repE0EEENS1_30default_config_static_selectorELNS0_4arch9wavefront6targetE0EEEvT1_.num_agpr, 0
	.set _ZN7rocprim17ROCPRIM_400000_NS6detail17trampoline_kernelINS0_14default_configENS1_20scan_config_selectorIN3c107complexIdEEEEZZNS1_9scan_implILNS1_25lookback_scan_determinismE0ELb0ELb0ES3_PKS7_PS7_S7_ZZZN2at6native31launch_logcumsumexp_cuda_kernelERKNSE_10TensorBaseESI_lENKUlvE_clEvENKUlvE1_clEvEUlS7_S7_E_S7_EEDaPvRmT3_T4_T5_mT6_P12ihipStream_tbENKUlT_T0_E_clISt17integral_constantIbLb1EESZ_EEDaSU_SV_EUlSU_E0_NS1_11comp_targetILNS1_3genE3ELNS1_11target_archE908ELNS1_3gpuE7ELNS1_3repE0EEENS1_30default_config_static_selectorELNS0_4arch9wavefront6targetE0EEEvT1_.numbered_sgpr, 0
	.set _ZN7rocprim17ROCPRIM_400000_NS6detail17trampoline_kernelINS0_14default_configENS1_20scan_config_selectorIN3c107complexIdEEEEZZNS1_9scan_implILNS1_25lookback_scan_determinismE0ELb0ELb0ES3_PKS7_PS7_S7_ZZZN2at6native31launch_logcumsumexp_cuda_kernelERKNSE_10TensorBaseESI_lENKUlvE_clEvENKUlvE1_clEvEUlS7_S7_E_S7_EEDaPvRmT3_T4_T5_mT6_P12ihipStream_tbENKUlT_T0_E_clISt17integral_constantIbLb1EESZ_EEDaSU_SV_EUlSU_E0_NS1_11comp_targetILNS1_3genE3ELNS1_11target_archE908ELNS1_3gpuE7ELNS1_3repE0EEENS1_30default_config_static_selectorELNS0_4arch9wavefront6targetE0EEEvT1_.num_named_barrier, 0
	.set _ZN7rocprim17ROCPRIM_400000_NS6detail17trampoline_kernelINS0_14default_configENS1_20scan_config_selectorIN3c107complexIdEEEEZZNS1_9scan_implILNS1_25lookback_scan_determinismE0ELb0ELb0ES3_PKS7_PS7_S7_ZZZN2at6native31launch_logcumsumexp_cuda_kernelERKNSE_10TensorBaseESI_lENKUlvE_clEvENKUlvE1_clEvEUlS7_S7_E_S7_EEDaPvRmT3_T4_T5_mT6_P12ihipStream_tbENKUlT_T0_E_clISt17integral_constantIbLb1EESZ_EEDaSU_SV_EUlSU_E0_NS1_11comp_targetILNS1_3genE3ELNS1_11target_archE908ELNS1_3gpuE7ELNS1_3repE0EEENS1_30default_config_static_selectorELNS0_4arch9wavefront6targetE0EEEvT1_.private_seg_size, 0
	.set _ZN7rocprim17ROCPRIM_400000_NS6detail17trampoline_kernelINS0_14default_configENS1_20scan_config_selectorIN3c107complexIdEEEEZZNS1_9scan_implILNS1_25lookback_scan_determinismE0ELb0ELb0ES3_PKS7_PS7_S7_ZZZN2at6native31launch_logcumsumexp_cuda_kernelERKNSE_10TensorBaseESI_lENKUlvE_clEvENKUlvE1_clEvEUlS7_S7_E_S7_EEDaPvRmT3_T4_T5_mT6_P12ihipStream_tbENKUlT_T0_E_clISt17integral_constantIbLb1EESZ_EEDaSU_SV_EUlSU_E0_NS1_11comp_targetILNS1_3genE3ELNS1_11target_archE908ELNS1_3gpuE7ELNS1_3repE0EEENS1_30default_config_static_selectorELNS0_4arch9wavefront6targetE0EEEvT1_.uses_vcc, 0
	.set _ZN7rocprim17ROCPRIM_400000_NS6detail17trampoline_kernelINS0_14default_configENS1_20scan_config_selectorIN3c107complexIdEEEEZZNS1_9scan_implILNS1_25lookback_scan_determinismE0ELb0ELb0ES3_PKS7_PS7_S7_ZZZN2at6native31launch_logcumsumexp_cuda_kernelERKNSE_10TensorBaseESI_lENKUlvE_clEvENKUlvE1_clEvEUlS7_S7_E_S7_EEDaPvRmT3_T4_T5_mT6_P12ihipStream_tbENKUlT_T0_E_clISt17integral_constantIbLb1EESZ_EEDaSU_SV_EUlSU_E0_NS1_11comp_targetILNS1_3genE3ELNS1_11target_archE908ELNS1_3gpuE7ELNS1_3repE0EEENS1_30default_config_static_selectorELNS0_4arch9wavefront6targetE0EEEvT1_.uses_flat_scratch, 0
	.set _ZN7rocprim17ROCPRIM_400000_NS6detail17trampoline_kernelINS0_14default_configENS1_20scan_config_selectorIN3c107complexIdEEEEZZNS1_9scan_implILNS1_25lookback_scan_determinismE0ELb0ELb0ES3_PKS7_PS7_S7_ZZZN2at6native31launch_logcumsumexp_cuda_kernelERKNSE_10TensorBaseESI_lENKUlvE_clEvENKUlvE1_clEvEUlS7_S7_E_S7_EEDaPvRmT3_T4_T5_mT6_P12ihipStream_tbENKUlT_T0_E_clISt17integral_constantIbLb1EESZ_EEDaSU_SV_EUlSU_E0_NS1_11comp_targetILNS1_3genE3ELNS1_11target_archE908ELNS1_3gpuE7ELNS1_3repE0EEENS1_30default_config_static_selectorELNS0_4arch9wavefront6targetE0EEEvT1_.has_dyn_sized_stack, 0
	.set _ZN7rocprim17ROCPRIM_400000_NS6detail17trampoline_kernelINS0_14default_configENS1_20scan_config_selectorIN3c107complexIdEEEEZZNS1_9scan_implILNS1_25lookback_scan_determinismE0ELb0ELb0ES3_PKS7_PS7_S7_ZZZN2at6native31launch_logcumsumexp_cuda_kernelERKNSE_10TensorBaseESI_lENKUlvE_clEvENKUlvE1_clEvEUlS7_S7_E_S7_EEDaPvRmT3_T4_T5_mT6_P12ihipStream_tbENKUlT_T0_E_clISt17integral_constantIbLb1EESZ_EEDaSU_SV_EUlSU_E0_NS1_11comp_targetILNS1_3genE3ELNS1_11target_archE908ELNS1_3gpuE7ELNS1_3repE0EEENS1_30default_config_static_selectorELNS0_4arch9wavefront6targetE0EEEvT1_.has_recursion, 0
	.set _ZN7rocprim17ROCPRIM_400000_NS6detail17trampoline_kernelINS0_14default_configENS1_20scan_config_selectorIN3c107complexIdEEEEZZNS1_9scan_implILNS1_25lookback_scan_determinismE0ELb0ELb0ES3_PKS7_PS7_S7_ZZZN2at6native31launch_logcumsumexp_cuda_kernelERKNSE_10TensorBaseESI_lENKUlvE_clEvENKUlvE1_clEvEUlS7_S7_E_S7_EEDaPvRmT3_T4_T5_mT6_P12ihipStream_tbENKUlT_T0_E_clISt17integral_constantIbLb1EESZ_EEDaSU_SV_EUlSU_E0_NS1_11comp_targetILNS1_3genE3ELNS1_11target_archE908ELNS1_3gpuE7ELNS1_3repE0EEENS1_30default_config_static_selectorELNS0_4arch9wavefront6targetE0EEEvT1_.has_indirect_call, 0
	.section	.AMDGPU.csdata,"",@progbits
; Kernel info:
; codeLenInByte = 0
; TotalNumSgprs: 0
; NumVgprs: 0
; ScratchSize: 0
; MemoryBound: 0
; FloatMode: 240
; IeeeMode: 1
; LDSByteSize: 0 bytes/workgroup (compile time only)
; SGPRBlocks: 0
; VGPRBlocks: 0
; NumSGPRsForWavesPerEU: 1
; NumVGPRsForWavesPerEU: 1
; Occupancy: 16
; WaveLimiterHint : 0
; COMPUTE_PGM_RSRC2:SCRATCH_EN: 0
; COMPUTE_PGM_RSRC2:USER_SGPR: 6
; COMPUTE_PGM_RSRC2:TRAP_HANDLER: 0
; COMPUTE_PGM_RSRC2:TGID_X_EN: 1
; COMPUTE_PGM_RSRC2:TGID_Y_EN: 0
; COMPUTE_PGM_RSRC2:TGID_Z_EN: 0
; COMPUTE_PGM_RSRC2:TIDIG_COMP_CNT: 0
	.section	.text._ZN7rocprim17ROCPRIM_400000_NS6detail17trampoline_kernelINS0_14default_configENS1_20scan_config_selectorIN3c107complexIdEEEEZZNS1_9scan_implILNS1_25lookback_scan_determinismE0ELb0ELb0ES3_PKS7_PS7_S7_ZZZN2at6native31launch_logcumsumexp_cuda_kernelERKNSE_10TensorBaseESI_lENKUlvE_clEvENKUlvE1_clEvEUlS7_S7_E_S7_EEDaPvRmT3_T4_T5_mT6_P12ihipStream_tbENKUlT_T0_E_clISt17integral_constantIbLb1EESZ_EEDaSU_SV_EUlSU_E0_NS1_11comp_targetILNS1_3genE2ELNS1_11target_archE906ELNS1_3gpuE6ELNS1_3repE0EEENS1_30default_config_static_selectorELNS0_4arch9wavefront6targetE0EEEvT1_,"axG",@progbits,_ZN7rocprim17ROCPRIM_400000_NS6detail17trampoline_kernelINS0_14default_configENS1_20scan_config_selectorIN3c107complexIdEEEEZZNS1_9scan_implILNS1_25lookback_scan_determinismE0ELb0ELb0ES3_PKS7_PS7_S7_ZZZN2at6native31launch_logcumsumexp_cuda_kernelERKNSE_10TensorBaseESI_lENKUlvE_clEvENKUlvE1_clEvEUlS7_S7_E_S7_EEDaPvRmT3_T4_T5_mT6_P12ihipStream_tbENKUlT_T0_E_clISt17integral_constantIbLb1EESZ_EEDaSU_SV_EUlSU_E0_NS1_11comp_targetILNS1_3genE2ELNS1_11target_archE906ELNS1_3gpuE6ELNS1_3repE0EEENS1_30default_config_static_selectorELNS0_4arch9wavefront6targetE0EEEvT1_,comdat
	.globl	_ZN7rocprim17ROCPRIM_400000_NS6detail17trampoline_kernelINS0_14default_configENS1_20scan_config_selectorIN3c107complexIdEEEEZZNS1_9scan_implILNS1_25lookback_scan_determinismE0ELb0ELb0ES3_PKS7_PS7_S7_ZZZN2at6native31launch_logcumsumexp_cuda_kernelERKNSE_10TensorBaseESI_lENKUlvE_clEvENKUlvE1_clEvEUlS7_S7_E_S7_EEDaPvRmT3_T4_T5_mT6_P12ihipStream_tbENKUlT_T0_E_clISt17integral_constantIbLb1EESZ_EEDaSU_SV_EUlSU_E0_NS1_11comp_targetILNS1_3genE2ELNS1_11target_archE906ELNS1_3gpuE6ELNS1_3repE0EEENS1_30default_config_static_selectorELNS0_4arch9wavefront6targetE0EEEvT1_ ; -- Begin function _ZN7rocprim17ROCPRIM_400000_NS6detail17trampoline_kernelINS0_14default_configENS1_20scan_config_selectorIN3c107complexIdEEEEZZNS1_9scan_implILNS1_25lookback_scan_determinismE0ELb0ELb0ES3_PKS7_PS7_S7_ZZZN2at6native31launch_logcumsumexp_cuda_kernelERKNSE_10TensorBaseESI_lENKUlvE_clEvENKUlvE1_clEvEUlS7_S7_E_S7_EEDaPvRmT3_T4_T5_mT6_P12ihipStream_tbENKUlT_T0_E_clISt17integral_constantIbLb1EESZ_EEDaSU_SV_EUlSU_E0_NS1_11comp_targetILNS1_3genE2ELNS1_11target_archE906ELNS1_3gpuE6ELNS1_3repE0EEENS1_30default_config_static_selectorELNS0_4arch9wavefront6targetE0EEEvT1_
	.p2align	8
	.type	_ZN7rocprim17ROCPRIM_400000_NS6detail17trampoline_kernelINS0_14default_configENS1_20scan_config_selectorIN3c107complexIdEEEEZZNS1_9scan_implILNS1_25lookback_scan_determinismE0ELb0ELb0ES3_PKS7_PS7_S7_ZZZN2at6native31launch_logcumsumexp_cuda_kernelERKNSE_10TensorBaseESI_lENKUlvE_clEvENKUlvE1_clEvEUlS7_S7_E_S7_EEDaPvRmT3_T4_T5_mT6_P12ihipStream_tbENKUlT_T0_E_clISt17integral_constantIbLb1EESZ_EEDaSU_SV_EUlSU_E0_NS1_11comp_targetILNS1_3genE2ELNS1_11target_archE906ELNS1_3gpuE6ELNS1_3repE0EEENS1_30default_config_static_selectorELNS0_4arch9wavefront6targetE0EEEvT1_,@function
_ZN7rocprim17ROCPRIM_400000_NS6detail17trampoline_kernelINS0_14default_configENS1_20scan_config_selectorIN3c107complexIdEEEEZZNS1_9scan_implILNS1_25lookback_scan_determinismE0ELb0ELb0ES3_PKS7_PS7_S7_ZZZN2at6native31launch_logcumsumexp_cuda_kernelERKNSE_10TensorBaseESI_lENKUlvE_clEvENKUlvE1_clEvEUlS7_S7_E_S7_EEDaPvRmT3_T4_T5_mT6_P12ihipStream_tbENKUlT_T0_E_clISt17integral_constantIbLb1EESZ_EEDaSU_SV_EUlSU_E0_NS1_11comp_targetILNS1_3genE2ELNS1_11target_archE906ELNS1_3gpuE6ELNS1_3repE0EEENS1_30default_config_static_selectorELNS0_4arch9wavefront6targetE0EEEvT1_: ; @_ZN7rocprim17ROCPRIM_400000_NS6detail17trampoline_kernelINS0_14default_configENS1_20scan_config_selectorIN3c107complexIdEEEEZZNS1_9scan_implILNS1_25lookback_scan_determinismE0ELb0ELb0ES3_PKS7_PS7_S7_ZZZN2at6native31launch_logcumsumexp_cuda_kernelERKNSE_10TensorBaseESI_lENKUlvE_clEvENKUlvE1_clEvEUlS7_S7_E_S7_EEDaPvRmT3_T4_T5_mT6_P12ihipStream_tbENKUlT_T0_E_clISt17integral_constantIbLb1EESZ_EEDaSU_SV_EUlSU_E0_NS1_11comp_targetILNS1_3genE2ELNS1_11target_archE906ELNS1_3gpuE6ELNS1_3repE0EEENS1_30default_config_static_selectorELNS0_4arch9wavefront6targetE0EEEvT1_
; %bb.0:
	.section	.rodata,"a",@progbits
	.p2align	6, 0x0
	.amdhsa_kernel _ZN7rocprim17ROCPRIM_400000_NS6detail17trampoline_kernelINS0_14default_configENS1_20scan_config_selectorIN3c107complexIdEEEEZZNS1_9scan_implILNS1_25lookback_scan_determinismE0ELb0ELb0ES3_PKS7_PS7_S7_ZZZN2at6native31launch_logcumsumexp_cuda_kernelERKNSE_10TensorBaseESI_lENKUlvE_clEvENKUlvE1_clEvEUlS7_S7_E_S7_EEDaPvRmT3_T4_T5_mT6_P12ihipStream_tbENKUlT_T0_E_clISt17integral_constantIbLb1EESZ_EEDaSU_SV_EUlSU_E0_NS1_11comp_targetILNS1_3genE2ELNS1_11target_archE906ELNS1_3gpuE6ELNS1_3repE0EEENS1_30default_config_static_selectorELNS0_4arch9wavefront6targetE0EEEvT1_
		.amdhsa_group_segment_fixed_size 0
		.amdhsa_private_segment_fixed_size 0
		.amdhsa_kernarg_size 48
		.amdhsa_user_sgpr_count 6
		.amdhsa_user_sgpr_private_segment_buffer 1
		.amdhsa_user_sgpr_dispatch_ptr 0
		.amdhsa_user_sgpr_queue_ptr 0
		.amdhsa_user_sgpr_kernarg_segment_ptr 1
		.amdhsa_user_sgpr_dispatch_id 0
		.amdhsa_user_sgpr_flat_scratch_init 0
		.amdhsa_user_sgpr_private_segment_size 0
		.amdhsa_wavefront_size32 1
		.amdhsa_uses_dynamic_stack 0
		.amdhsa_system_sgpr_private_segment_wavefront_offset 0
		.amdhsa_system_sgpr_workgroup_id_x 1
		.amdhsa_system_sgpr_workgroup_id_y 0
		.amdhsa_system_sgpr_workgroup_id_z 0
		.amdhsa_system_sgpr_workgroup_info 0
		.amdhsa_system_vgpr_workitem_id 0
		.amdhsa_next_free_vgpr 1
		.amdhsa_next_free_sgpr 1
		.amdhsa_reserve_vcc 0
		.amdhsa_reserve_flat_scratch 0
		.amdhsa_float_round_mode_32 0
		.amdhsa_float_round_mode_16_64 0
		.amdhsa_float_denorm_mode_32 3
		.amdhsa_float_denorm_mode_16_64 3
		.amdhsa_dx10_clamp 1
		.amdhsa_ieee_mode 1
		.amdhsa_fp16_overflow 0
		.amdhsa_workgroup_processor_mode 1
		.amdhsa_memory_ordered 1
		.amdhsa_forward_progress 1
		.amdhsa_shared_vgpr_count 0
		.amdhsa_exception_fp_ieee_invalid_op 0
		.amdhsa_exception_fp_denorm_src 0
		.amdhsa_exception_fp_ieee_div_zero 0
		.amdhsa_exception_fp_ieee_overflow 0
		.amdhsa_exception_fp_ieee_underflow 0
		.amdhsa_exception_fp_ieee_inexact 0
		.amdhsa_exception_int_div_zero 0
	.end_amdhsa_kernel
	.section	.text._ZN7rocprim17ROCPRIM_400000_NS6detail17trampoline_kernelINS0_14default_configENS1_20scan_config_selectorIN3c107complexIdEEEEZZNS1_9scan_implILNS1_25lookback_scan_determinismE0ELb0ELb0ES3_PKS7_PS7_S7_ZZZN2at6native31launch_logcumsumexp_cuda_kernelERKNSE_10TensorBaseESI_lENKUlvE_clEvENKUlvE1_clEvEUlS7_S7_E_S7_EEDaPvRmT3_T4_T5_mT6_P12ihipStream_tbENKUlT_T0_E_clISt17integral_constantIbLb1EESZ_EEDaSU_SV_EUlSU_E0_NS1_11comp_targetILNS1_3genE2ELNS1_11target_archE906ELNS1_3gpuE6ELNS1_3repE0EEENS1_30default_config_static_selectorELNS0_4arch9wavefront6targetE0EEEvT1_,"axG",@progbits,_ZN7rocprim17ROCPRIM_400000_NS6detail17trampoline_kernelINS0_14default_configENS1_20scan_config_selectorIN3c107complexIdEEEEZZNS1_9scan_implILNS1_25lookback_scan_determinismE0ELb0ELb0ES3_PKS7_PS7_S7_ZZZN2at6native31launch_logcumsumexp_cuda_kernelERKNSE_10TensorBaseESI_lENKUlvE_clEvENKUlvE1_clEvEUlS7_S7_E_S7_EEDaPvRmT3_T4_T5_mT6_P12ihipStream_tbENKUlT_T0_E_clISt17integral_constantIbLb1EESZ_EEDaSU_SV_EUlSU_E0_NS1_11comp_targetILNS1_3genE2ELNS1_11target_archE906ELNS1_3gpuE6ELNS1_3repE0EEENS1_30default_config_static_selectorELNS0_4arch9wavefront6targetE0EEEvT1_,comdat
.Lfunc_end216:
	.size	_ZN7rocprim17ROCPRIM_400000_NS6detail17trampoline_kernelINS0_14default_configENS1_20scan_config_selectorIN3c107complexIdEEEEZZNS1_9scan_implILNS1_25lookback_scan_determinismE0ELb0ELb0ES3_PKS7_PS7_S7_ZZZN2at6native31launch_logcumsumexp_cuda_kernelERKNSE_10TensorBaseESI_lENKUlvE_clEvENKUlvE1_clEvEUlS7_S7_E_S7_EEDaPvRmT3_T4_T5_mT6_P12ihipStream_tbENKUlT_T0_E_clISt17integral_constantIbLb1EESZ_EEDaSU_SV_EUlSU_E0_NS1_11comp_targetILNS1_3genE2ELNS1_11target_archE906ELNS1_3gpuE6ELNS1_3repE0EEENS1_30default_config_static_selectorELNS0_4arch9wavefront6targetE0EEEvT1_, .Lfunc_end216-_ZN7rocprim17ROCPRIM_400000_NS6detail17trampoline_kernelINS0_14default_configENS1_20scan_config_selectorIN3c107complexIdEEEEZZNS1_9scan_implILNS1_25lookback_scan_determinismE0ELb0ELb0ES3_PKS7_PS7_S7_ZZZN2at6native31launch_logcumsumexp_cuda_kernelERKNSE_10TensorBaseESI_lENKUlvE_clEvENKUlvE1_clEvEUlS7_S7_E_S7_EEDaPvRmT3_T4_T5_mT6_P12ihipStream_tbENKUlT_T0_E_clISt17integral_constantIbLb1EESZ_EEDaSU_SV_EUlSU_E0_NS1_11comp_targetILNS1_3genE2ELNS1_11target_archE906ELNS1_3gpuE6ELNS1_3repE0EEENS1_30default_config_static_selectorELNS0_4arch9wavefront6targetE0EEEvT1_
                                        ; -- End function
	.set _ZN7rocprim17ROCPRIM_400000_NS6detail17trampoline_kernelINS0_14default_configENS1_20scan_config_selectorIN3c107complexIdEEEEZZNS1_9scan_implILNS1_25lookback_scan_determinismE0ELb0ELb0ES3_PKS7_PS7_S7_ZZZN2at6native31launch_logcumsumexp_cuda_kernelERKNSE_10TensorBaseESI_lENKUlvE_clEvENKUlvE1_clEvEUlS7_S7_E_S7_EEDaPvRmT3_T4_T5_mT6_P12ihipStream_tbENKUlT_T0_E_clISt17integral_constantIbLb1EESZ_EEDaSU_SV_EUlSU_E0_NS1_11comp_targetILNS1_3genE2ELNS1_11target_archE906ELNS1_3gpuE6ELNS1_3repE0EEENS1_30default_config_static_selectorELNS0_4arch9wavefront6targetE0EEEvT1_.num_vgpr, 0
	.set _ZN7rocprim17ROCPRIM_400000_NS6detail17trampoline_kernelINS0_14default_configENS1_20scan_config_selectorIN3c107complexIdEEEEZZNS1_9scan_implILNS1_25lookback_scan_determinismE0ELb0ELb0ES3_PKS7_PS7_S7_ZZZN2at6native31launch_logcumsumexp_cuda_kernelERKNSE_10TensorBaseESI_lENKUlvE_clEvENKUlvE1_clEvEUlS7_S7_E_S7_EEDaPvRmT3_T4_T5_mT6_P12ihipStream_tbENKUlT_T0_E_clISt17integral_constantIbLb1EESZ_EEDaSU_SV_EUlSU_E0_NS1_11comp_targetILNS1_3genE2ELNS1_11target_archE906ELNS1_3gpuE6ELNS1_3repE0EEENS1_30default_config_static_selectorELNS0_4arch9wavefront6targetE0EEEvT1_.num_agpr, 0
	.set _ZN7rocprim17ROCPRIM_400000_NS6detail17trampoline_kernelINS0_14default_configENS1_20scan_config_selectorIN3c107complexIdEEEEZZNS1_9scan_implILNS1_25lookback_scan_determinismE0ELb0ELb0ES3_PKS7_PS7_S7_ZZZN2at6native31launch_logcumsumexp_cuda_kernelERKNSE_10TensorBaseESI_lENKUlvE_clEvENKUlvE1_clEvEUlS7_S7_E_S7_EEDaPvRmT3_T4_T5_mT6_P12ihipStream_tbENKUlT_T0_E_clISt17integral_constantIbLb1EESZ_EEDaSU_SV_EUlSU_E0_NS1_11comp_targetILNS1_3genE2ELNS1_11target_archE906ELNS1_3gpuE6ELNS1_3repE0EEENS1_30default_config_static_selectorELNS0_4arch9wavefront6targetE0EEEvT1_.numbered_sgpr, 0
	.set _ZN7rocprim17ROCPRIM_400000_NS6detail17trampoline_kernelINS0_14default_configENS1_20scan_config_selectorIN3c107complexIdEEEEZZNS1_9scan_implILNS1_25lookback_scan_determinismE0ELb0ELb0ES3_PKS7_PS7_S7_ZZZN2at6native31launch_logcumsumexp_cuda_kernelERKNSE_10TensorBaseESI_lENKUlvE_clEvENKUlvE1_clEvEUlS7_S7_E_S7_EEDaPvRmT3_T4_T5_mT6_P12ihipStream_tbENKUlT_T0_E_clISt17integral_constantIbLb1EESZ_EEDaSU_SV_EUlSU_E0_NS1_11comp_targetILNS1_3genE2ELNS1_11target_archE906ELNS1_3gpuE6ELNS1_3repE0EEENS1_30default_config_static_selectorELNS0_4arch9wavefront6targetE0EEEvT1_.num_named_barrier, 0
	.set _ZN7rocprim17ROCPRIM_400000_NS6detail17trampoline_kernelINS0_14default_configENS1_20scan_config_selectorIN3c107complexIdEEEEZZNS1_9scan_implILNS1_25lookback_scan_determinismE0ELb0ELb0ES3_PKS7_PS7_S7_ZZZN2at6native31launch_logcumsumexp_cuda_kernelERKNSE_10TensorBaseESI_lENKUlvE_clEvENKUlvE1_clEvEUlS7_S7_E_S7_EEDaPvRmT3_T4_T5_mT6_P12ihipStream_tbENKUlT_T0_E_clISt17integral_constantIbLb1EESZ_EEDaSU_SV_EUlSU_E0_NS1_11comp_targetILNS1_3genE2ELNS1_11target_archE906ELNS1_3gpuE6ELNS1_3repE0EEENS1_30default_config_static_selectorELNS0_4arch9wavefront6targetE0EEEvT1_.private_seg_size, 0
	.set _ZN7rocprim17ROCPRIM_400000_NS6detail17trampoline_kernelINS0_14default_configENS1_20scan_config_selectorIN3c107complexIdEEEEZZNS1_9scan_implILNS1_25lookback_scan_determinismE0ELb0ELb0ES3_PKS7_PS7_S7_ZZZN2at6native31launch_logcumsumexp_cuda_kernelERKNSE_10TensorBaseESI_lENKUlvE_clEvENKUlvE1_clEvEUlS7_S7_E_S7_EEDaPvRmT3_T4_T5_mT6_P12ihipStream_tbENKUlT_T0_E_clISt17integral_constantIbLb1EESZ_EEDaSU_SV_EUlSU_E0_NS1_11comp_targetILNS1_3genE2ELNS1_11target_archE906ELNS1_3gpuE6ELNS1_3repE0EEENS1_30default_config_static_selectorELNS0_4arch9wavefront6targetE0EEEvT1_.uses_vcc, 0
	.set _ZN7rocprim17ROCPRIM_400000_NS6detail17trampoline_kernelINS0_14default_configENS1_20scan_config_selectorIN3c107complexIdEEEEZZNS1_9scan_implILNS1_25lookback_scan_determinismE0ELb0ELb0ES3_PKS7_PS7_S7_ZZZN2at6native31launch_logcumsumexp_cuda_kernelERKNSE_10TensorBaseESI_lENKUlvE_clEvENKUlvE1_clEvEUlS7_S7_E_S7_EEDaPvRmT3_T4_T5_mT6_P12ihipStream_tbENKUlT_T0_E_clISt17integral_constantIbLb1EESZ_EEDaSU_SV_EUlSU_E0_NS1_11comp_targetILNS1_3genE2ELNS1_11target_archE906ELNS1_3gpuE6ELNS1_3repE0EEENS1_30default_config_static_selectorELNS0_4arch9wavefront6targetE0EEEvT1_.uses_flat_scratch, 0
	.set _ZN7rocprim17ROCPRIM_400000_NS6detail17trampoline_kernelINS0_14default_configENS1_20scan_config_selectorIN3c107complexIdEEEEZZNS1_9scan_implILNS1_25lookback_scan_determinismE0ELb0ELb0ES3_PKS7_PS7_S7_ZZZN2at6native31launch_logcumsumexp_cuda_kernelERKNSE_10TensorBaseESI_lENKUlvE_clEvENKUlvE1_clEvEUlS7_S7_E_S7_EEDaPvRmT3_T4_T5_mT6_P12ihipStream_tbENKUlT_T0_E_clISt17integral_constantIbLb1EESZ_EEDaSU_SV_EUlSU_E0_NS1_11comp_targetILNS1_3genE2ELNS1_11target_archE906ELNS1_3gpuE6ELNS1_3repE0EEENS1_30default_config_static_selectorELNS0_4arch9wavefront6targetE0EEEvT1_.has_dyn_sized_stack, 0
	.set _ZN7rocprim17ROCPRIM_400000_NS6detail17trampoline_kernelINS0_14default_configENS1_20scan_config_selectorIN3c107complexIdEEEEZZNS1_9scan_implILNS1_25lookback_scan_determinismE0ELb0ELb0ES3_PKS7_PS7_S7_ZZZN2at6native31launch_logcumsumexp_cuda_kernelERKNSE_10TensorBaseESI_lENKUlvE_clEvENKUlvE1_clEvEUlS7_S7_E_S7_EEDaPvRmT3_T4_T5_mT6_P12ihipStream_tbENKUlT_T0_E_clISt17integral_constantIbLb1EESZ_EEDaSU_SV_EUlSU_E0_NS1_11comp_targetILNS1_3genE2ELNS1_11target_archE906ELNS1_3gpuE6ELNS1_3repE0EEENS1_30default_config_static_selectorELNS0_4arch9wavefront6targetE0EEEvT1_.has_recursion, 0
	.set _ZN7rocprim17ROCPRIM_400000_NS6detail17trampoline_kernelINS0_14default_configENS1_20scan_config_selectorIN3c107complexIdEEEEZZNS1_9scan_implILNS1_25lookback_scan_determinismE0ELb0ELb0ES3_PKS7_PS7_S7_ZZZN2at6native31launch_logcumsumexp_cuda_kernelERKNSE_10TensorBaseESI_lENKUlvE_clEvENKUlvE1_clEvEUlS7_S7_E_S7_EEDaPvRmT3_T4_T5_mT6_P12ihipStream_tbENKUlT_T0_E_clISt17integral_constantIbLb1EESZ_EEDaSU_SV_EUlSU_E0_NS1_11comp_targetILNS1_3genE2ELNS1_11target_archE906ELNS1_3gpuE6ELNS1_3repE0EEENS1_30default_config_static_selectorELNS0_4arch9wavefront6targetE0EEEvT1_.has_indirect_call, 0
	.section	.AMDGPU.csdata,"",@progbits
; Kernel info:
; codeLenInByte = 0
; TotalNumSgprs: 0
; NumVgprs: 0
; ScratchSize: 0
; MemoryBound: 0
; FloatMode: 240
; IeeeMode: 1
; LDSByteSize: 0 bytes/workgroup (compile time only)
; SGPRBlocks: 0
; VGPRBlocks: 0
; NumSGPRsForWavesPerEU: 1
; NumVGPRsForWavesPerEU: 1
; Occupancy: 16
; WaveLimiterHint : 0
; COMPUTE_PGM_RSRC2:SCRATCH_EN: 0
; COMPUTE_PGM_RSRC2:USER_SGPR: 6
; COMPUTE_PGM_RSRC2:TRAP_HANDLER: 0
; COMPUTE_PGM_RSRC2:TGID_X_EN: 1
; COMPUTE_PGM_RSRC2:TGID_Y_EN: 0
; COMPUTE_PGM_RSRC2:TGID_Z_EN: 0
; COMPUTE_PGM_RSRC2:TIDIG_COMP_CNT: 0
	.section	.text._ZN7rocprim17ROCPRIM_400000_NS6detail17trampoline_kernelINS0_14default_configENS1_20scan_config_selectorIN3c107complexIdEEEEZZNS1_9scan_implILNS1_25lookback_scan_determinismE0ELb0ELb0ES3_PKS7_PS7_S7_ZZZN2at6native31launch_logcumsumexp_cuda_kernelERKNSE_10TensorBaseESI_lENKUlvE_clEvENKUlvE1_clEvEUlS7_S7_E_S7_EEDaPvRmT3_T4_T5_mT6_P12ihipStream_tbENKUlT_T0_E_clISt17integral_constantIbLb1EESZ_EEDaSU_SV_EUlSU_E0_NS1_11comp_targetILNS1_3genE10ELNS1_11target_archE1201ELNS1_3gpuE5ELNS1_3repE0EEENS1_30default_config_static_selectorELNS0_4arch9wavefront6targetE0EEEvT1_,"axG",@progbits,_ZN7rocprim17ROCPRIM_400000_NS6detail17trampoline_kernelINS0_14default_configENS1_20scan_config_selectorIN3c107complexIdEEEEZZNS1_9scan_implILNS1_25lookback_scan_determinismE0ELb0ELb0ES3_PKS7_PS7_S7_ZZZN2at6native31launch_logcumsumexp_cuda_kernelERKNSE_10TensorBaseESI_lENKUlvE_clEvENKUlvE1_clEvEUlS7_S7_E_S7_EEDaPvRmT3_T4_T5_mT6_P12ihipStream_tbENKUlT_T0_E_clISt17integral_constantIbLb1EESZ_EEDaSU_SV_EUlSU_E0_NS1_11comp_targetILNS1_3genE10ELNS1_11target_archE1201ELNS1_3gpuE5ELNS1_3repE0EEENS1_30default_config_static_selectorELNS0_4arch9wavefront6targetE0EEEvT1_,comdat
	.globl	_ZN7rocprim17ROCPRIM_400000_NS6detail17trampoline_kernelINS0_14default_configENS1_20scan_config_selectorIN3c107complexIdEEEEZZNS1_9scan_implILNS1_25lookback_scan_determinismE0ELb0ELb0ES3_PKS7_PS7_S7_ZZZN2at6native31launch_logcumsumexp_cuda_kernelERKNSE_10TensorBaseESI_lENKUlvE_clEvENKUlvE1_clEvEUlS7_S7_E_S7_EEDaPvRmT3_T4_T5_mT6_P12ihipStream_tbENKUlT_T0_E_clISt17integral_constantIbLb1EESZ_EEDaSU_SV_EUlSU_E0_NS1_11comp_targetILNS1_3genE10ELNS1_11target_archE1201ELNS1_3gpuE5ELNS1_3repE0EEENS1_30default_config_static_selectorELNS0_4arch9wavefront6targetE0EEEvT1_ ; -- Begin function _ZN7rocprim17ROCPRIM_400000_NS6detail17trampoline_kernelINS0_14default_configENS1_20scan_config_selectorIN3c107complexIdEEEEZZNS1_9scan_implILNS1_25lookback_scan_determinismE0ELb0ELb0ES3_PKS7_PS7_S7_ZZZN2at6native31launch_logcumsumexp_cuda_kernelERKNSE_10TensorBaseESI_lENKUlvE_clEvENKUlvE1_clEvEUlS7_S7_E_S7_EEDaPvRmT3_T4_T5_mT6_P12ihipStream_tbENKUlT_T0_E_clISt17integral_constantIbLb1EESZ_EEDaSU_SV_EUlSU_E0_NS1_11comp_targetILNS1_3genE10ELNS1_11target_archE1201ELNS1_3gpuE5ELNS1_3repE0EEENS1_30default_config_static_selectorELNS0_4arch9wavefront6targetE0EEEvT1_
	.p2align	8
	.type	_ZN7rocprim17ROCPRIM_400000_NS6detail17trampoline_kernelINS0_14default_configENS1_20scan_config_selectorIN3c107complexIdEEEEZZNS1_9scan_implILNS1_25lookback_scan_determinismE0ELb0ELb0ES3_PKS7_PS7_S7_ZZZN2at6native31launch_logcumsumexp_cuda_kernelERKNSE_10TensorBaseESI_lENKUlvE_clEvENKUlvE1_clEvEUlS7_S7_E_S7_EEDaPvRmT3_T4_T5_mT6_P12ihipStream_tbENKUlT_T0_E_clISt17integral_constantIbLb1EESZ_EEDaSU_SV_EUlSU_E0_NS1_11comp_targetILNS1_3genE10ELNS1_11target_archE1201ELNS1_3gpuE5ELNS1_3repE0EEENS1_30default_config_static_selectorELNS0_4arch9wavefront6targetE0EEEvT1_,@function
_ZN7rocprim17ROCPRIM_400000_NS6detail17trampoline_kernelINS0_14default_configENS1_20scan_config_selectorIN3c107complexIdEEEEZZNS1_9scan_implILNS1_25lookback_scan_determinismE0ELb0ELb0ES3_PKS7_PS7_S7_ZZZN2at6native31launch_logcumsumexp_cuda_kernelERKNSE_10TensorBaseESI_lENKUlvE_clEvENKUlvE1_clEvEUlS7_S7_E_S7_EEDaPvRmT3_T4_T5_mT6_P12ihipStream_tbENKUlT_T0_E_clISt17integral_constantIbLb1EESZ_EEDaSU_SV_EUlSU_E0_NS1_11comp_targetILNS1_3genE10ELNS1_11target_archE1201ELNS1_3gpuE5ELNS1_3repE0EEENS1_30default_config_static_selectorELNS0_4arch9wavefront6targetE0EEEvT1_: ; @_ZN7rocprim17ROCPRIM_400000_NS6detail17trampoline_kernelINS0_14default_configENS1_20scan_config_selectorIN3c107complexIdEEEEZZNS1_9scan_implILNS1_25lookback_scan_determinismE0ELb0ELb0ES3_PKS7_PS7_S7_ZZZN2at6native31launch_logcumsumexp_cuda_kernelERKNSE_10TensorBaseESI_lENKUlvE_clEvENKUlvE1_clEvEUlS7_S7_E_S7_EEDaPvRmT3_T4_T5_mT6_P12ihipStream_tbENKUlT_T0_E_clISt17integral_constantIbLb1EESZ_EEDaSU_SV_EUlSU_E0_NS1_11comp_targetILNS1_3genE10ELNS1_11target_archE1201ELNS1_3gpuE5ELNS1_3repE0EEENS1_30default_config_static_selectorELNS0_4arch9wavefront6targetE0EEEvT1_
; %bb.0:
	.section	.rodata,"a",@progbits
	.p2align	6, 0x0
	.amdhsa_kernel _ZN7rocprim17ROCPRIM_400000_NS6detail17trampoline_kernelINS0_14default_configENS1_20scan_config_selectorIN3c107complexIdEEEEZZNS1_9scan_implILNS1_25lookback_scan_determinismE0ELb0ELb0ES3_PKS7_PS7_S7_ZZZN2at6native31launch_logcumsumexp_cuda_kernelERKNSE_10TensorBaseESI_lENKUlvE_clEvENKUlvE1_clEvEUlS7_S7_E_S7_EEDaPvRmT3_T4_T5_mT6_P12ihipStream_tbENKUlT_T0_E_clISt17integral_constantIbLb1EESZ_EEDaSU_SV_EUlSU_E0_NS1_11comp_targetILNS1_3genE10ELNS1_11target_archE1201ELNS1_3gpuE5ELNS1_3repE0EEENS1_30default_config_static_selectorELNS0_4arch9wavefront6targetE0EEEvT1_
		.amdhsa_group_segment_fixed_size 0
		.amdhsa_private_segment_fixed_size 0
		.amdhsa_kernarg_size 48
		.amdhsa_user_sgpr_count 6
		.amdhsa_user_sgpr_private_segment_buffer 1
		.amdhsa_user_sgpr_dispatch_ptr 0
		.amdhsa_user_sgpr_queue_ptr 0
		.amdhsa_user_sgpr_kernarg_segment_ptr 1
		.amdhsa_user_sgpr_dispatch_id 0
		.amdhsa_user_sgpr_flat_scratch_init 0
		.amdhsa_user_sgpr_private_segment_size 0
		.amdhsa_wavefront_size32 1
		.amdhsa_uses_dynamic_stack 0
		.amdhsa_system_sgpr_private_segment_wavefront_offset 0
		.amdhsa_system_sgpr_workgroup_id_x 1
		.amdhsa_system_sgpr_workgroup_id_y 0
		.amdhsa_system_sgpr_workgroup_id_z 0
		.amdhsa_system_sgpr_workgroup_info 0
		.amdhsa_system_vgpr_workitem_id 0
		.amdhsa_next_free_vgpr 1
		.amdhsa_next_free_sgpr 1
		.amdhsa_reserve_vcc 0
		.amdhsa_reserve_flat_scratch 0
		.amdhsa_float_round_mode_32 0
		.amdhsa_float_round_mode_16_64 0
		.amdhsa_float_denorm_mode_32 3
		.amdhsa_float_denorm_mode_16_64 3
		.amdhsa_dx10_clamp 1
		.amdhsa_ieee_mode 1
		.amdhsa_fp16_overflow 0
		.amdhsa_workgroup_processor_mode 1
		.amdhsa_memory_ordered 1
		.amdhsa_forward_progress 1
		.amdhsa_shared_vgpr_count 0
		.amdhsa_exception_fp_ieee_invalid_op 0
		.amdhsa_exception_fp_denorm_src 0
		.amdhsa_exception_fp_ieee_div_zero 0
		.amdhsa_exception_fp_ieee_overflow 0
		.amdhsa_exception_fp_ieee_underflow 0
		.amdhsa_exception_fp_ieee_inexact 0
		.amdhsa_exception_int_div_zero 0
	.end_amdhsa_kernel
	.section	.text._ZN7rocprim17ROCPRIM_400000_NS6detail17trampoline_kernelINS0_14default_configENS1_20scan_config_selectorIN3c107complexIdEEEEZZNS1_9scan_implILNS1_25lookback_scan_determinismE0ELb0ELb0ES3_PKS7_PS7_S7_ZZZN2at6native31launch_logcumsumexp_cuda_kernelERKNSE_10TensorBaseESI_lENKUlvE_clEvENKUlvE1_clEvEUlS7_S7_E_S7_EEDaPvRmT3_T4_T5_mT6_P12ihipStream_tbENKUlT_T0_E_clISt17integral_constantIbLb1EESZ_EEDaSU_SV_EUlSU_E0_NS1_11comp_targetILNS1_3genE10ELNS1_11target_archE1201ELNS1_3gpuE5ELNS1_3repE0EEENS1_30default_config_static_selectorELNS0_4arch9wavefront6targetE0EEEvT1_,"axG",@progbits,_ZN7rocprim17ROCPRIM_400000_NS6detail17trampoline_kernelINS0_14default_configENS1_20scan_config_selectorIN3c107complexIdEEEEZZNS1_9scan_implILNS1_25lookback_scan_determinismE0ELb0ELb0ES3_PKS7_PS7_S7_ZZZN2at6native31launch_logcumsumexp_cuda_kernelERKNSE_10TensorBaseESI_lENKUlvE_clEvENKUlvE1_clEvEUlS7_S7_E_S7_EEDaPvRmT3_T4_T5_mT6_P12ihipStream_tbENKUlT_T0_E_clISt17integral_constantIbLb1EESZ_EEDaSU_SV_EUlSU_E0_NS1_11comp_targetILNS1_3genE10ELNS1_11target_archE1201ELNS1_3gpuE5ELNS1_3repE0EEENS1_30default_config_static_selectorELNS0_4arch9wavefront6targetE0EEEvT1_,comdat
.Lfunc_end217:
	.size	_ZN7rocprim17ROCPRIM_400000_NS6detail17trampoline_kernelINS0_14default_configENS1_20scan_config_selectorIN3c107complexIdEEEEZZNS1_9scan_implILNS1_25lookback_scan_determinismE0ELb0ELb0ES3_PKS7_PS7_S7_ZZZN2at6native31launch_logcumsumexp_cuda_kernelERKNSE_10TensorBaseESI_lENKUlvE_clEvENKUlvE1_clEvEUlS7_S7_E_S7_EEDaPvRmT3_T4_T5_mT6_P12ihipStream_tbENKUlT_T0_E_clISt17integral_constantIbLb1EESZ_EEDaSU_SV_EUlSU_E0_NS1_11comp_targetILNS1_3genE10ELNS1_11target_archE1201ELNS1_3gpuE5ELNS1_3repE0EEENS1_30default_config_static_selectorELNS0_4arch9wavefront6targetE0EEEvT1_, .Lfunc_end217-_ZN7rocprim17ROCPRIM_400000_NS6detail17trampoline_kernelINS0_14default_configENS1_20scan_config_selectorIN3c107complexIdEEEEZZNS1_9scan_implILNS1_25lookback_scan_determinismE0ELb0ELb0ES3_PKS7_PS7_S7_ZZZN2at6native31launch_logcumsumexp_cuda_kernelERKNSE_10TensorBaseESI_lENKUlvE_clEvENKUlvE1_clEvEUlS7_S7_E_S7_EEDaPvRmT3_T4_T5_mT6_P12ihipStream_tbENKUlT_T0_E_clISt17integral_constantIbLb1EESZ_EEDaSU_SV_EUlSU_E0_NS1_11comp_targetILNS1_3genE10ELNS1_11target_archE1201ELNS1_3gpuE5ELNS1_3repE0EEENS1_30default_config_static_selectorELNS0_4arch9wavefront6targetE0EEEvT1_
                                        ; -- End function
	.set _ZN7rocprim17ROCPRIM_400000_NS6detail17trampoline_kernelINS0_14default_configENS1_20scan_config_selectorIN3c107complexIdEEEEZZNS1_9scan_implILNS1_25lookback_scan_determinismE0ELb0ELb0ES3_PKS7_PS7_S7_ZZZN2at6native31launch_logcumsumexp_cuda_kernelERKNSE_10TensorBaseESI_lENKUlvE_clEvENKUlvE1_clEvEUlS7_S7_E_S7_EEDaPvRmT3_T4_T5_mT6_P12ihipStream_tbENKUlT_T0_E_clISt17integral_constantIbLb1EESZ_EEDaSU_SV_EUlSU_E0_NS1_11comp_targetILNS1_3genE10ELNS1_11target_archE1201ELNS1_3gpuE5ELNS1_3repE0EEENS1_30default_config_static_selectorELNS0_4arch9wavefront6targetE0EEEvT1_.num_vgpr, 0
	.set _ZN7rocprim17ROCPRIM_400000_NS6detail17trampoline_kernelINS0_14default_configENS1_20scan_config_selectorIN3c107complexIdEEEEZZNS1_9scan_implILNS1_25lookback_scan_determinismE0ELb0ELb0ES3_PKS7_PS7_S7_ZZZN2at6native31launch_logcumsumexp_cuda_kernelERKNSE_10TensorBaseESI_lENKUlvE_clEvENKUlvE1_clEvEUlS7_S7_E_S7_EEDaPvRmT3_T4_T5_mT6_P12ihipStream_tbENKUlT_T0_E_clISt17integral_constantIbLb1EESZ_EEDaSU_SV_EUlSU_E0_NS1_11comp_targetILNS1_3genE10ELNS1_11target_archE1201ELNS1_3gpuE5ELNS1_3repE0EEENS1_30default_config_static_selectorELNS0_4arch9wavefront6targetE0EEEvT1_.num_agpr, 0
	.set _ZN7rocprim17ROCPRIM_400000_NS6detail17trampoline_kernelINS0_14default_configENS1_20scan_config_selectorIN3c107complexIdEEEEZZNS1_9scan_implILNS1_25lookback_scan_determinismE0ELb0ELb0ES3_PKS7_PS7_S7_ZZZN2at6native31launch_logcumsumexp_cuda_kernelERKNSE_10TensorBaseESI_lENKUlvE_clEvENKUlvE1_clEvEUlS7_S7_E_S7_EEDaPvRmT3_T4_T5_mT6_P12ihipStream_tbENKUlT_T0_E_clISt17integral_constantIbLb1EESZ_EEDaSU_SV_EUlSU_E0_NS1_11comp_targetILNS1_3genE10ELNS1_11target_archE1201ELNS1_3gpuE5ELNS1_3repE0EEENS1_30default_config_static_selectorELNS0_4arch9wavefront6targetE0EEEvT1_.numbered_sgpr, 0
	.set _ZN7rocprim17ROCPRIM_400000_NS6detail17trampoline_kernelINS0_14default_configENS1_20scan_config_selectorIN3c107complexIdEEEEZZNS1_9scan_implILNS1_25lookback_scan_determinismE0ELb0ELb0ES3_PKS7_PS7_S7_ZZZN2at6native31launch_logcumsumexp_cuda_kernelERKNSE_10TensorBaseESI_lENKUlvE_clEvENKUlvE1_clEvEUlS7_S7_E_S7_EEDaPvRmT3_T4_T5_mT6_P12ihipStream_tbENKUlT_T0_E_clISt17integral_constantIbLb1EESZ_EEDaSU_SV_EUlSU_E0_NS1_11comp_targetILNS1_3genE10ELNS1_11target_archE1201ELNS1_3gpuE5ELNS1_3repE0EEENS1_30default_config_static_selectorELNS0_4arch9wavefront6targetE0EEEvT1_.num_named_barrier, 0
	.set _ZN7rocprim17ROCPRIM_400000_NS6detail17trampoline_kernelINS0_14default_configENS1_20scan_config_selectorIN3c107complexIdEEEEZZNS1_9scan_implILNS1_25lookback_scan_determinismE0ELb0ELb0ES3_PKS7_PS7_S7_ZZZN2at6native31launch_logcumsumexp_cuda_kernelERKNSE_10TensorBaseESI_lENKUlvE_clEvENKUlvE1_clEvEUlS7_S7_E_S7_EEDaPvRmT3_T4_T5_mT6_P12ihipStream_tbENKUlT_T0_E_clISt17integral_constantIbLb1EESZ_EEDaSU_SV_EUlSU_E0_NS1_11comp_targetILNS1_3genE10ELNS1_11target_archE1201ELNS1_3gpuE5ELNS1_3repE0EEENS1_30default_config_static_selectorELNS0_4arch9wavefront6targetE0EEEvT1_.private_seg_size, 0
	.set _ZN7rocprim17ROCPRIM_400000_NS6detail17trampoline_kernelINS0_14default_configENS1_20scan_config_selectorIN3c107complexIdEEEEZZNS1_9scan_implILNS1_25lookback_scan_determinismE0ELb0ELb0ES3_PKS7_PS7_S7_ZZZN2at6native31launch_logcumsumexp_cuda_kernelERKNSE_10TensorBaseESI_lENKUlvE_clEvENKUlvE1_clEvEUlS7_S7_E_S7_EEDaPvRmT3_T4_T5_mT6_P12ihipStream_tbENKUlT_T0_E_clISt17integral_constantIbLb1EESZ_EEDaSU_SV_EUlSU_E0_NS1_11comp_targetILNS1_3genE10ELNS1_11target_archE1201ELNS1_3gpuE5ELNS1_3repE0EEENS1_30default_config_static_selectorELNS0_4arch9wavefront6targetE0EEEvT1_.uses_vcc, 0
	.set _ZN7rocprim17ROCPRIM_400000_NS6detail17trampoline_kernelINS0_14default_configENS1_20scan_config_selectorIN3c107complexIdEEEEZZNS1_9scan_implILNS1_25lookback_scan_determinismE0ELb0ELb0ES3_PKS7_PS7_S7_ZZZN2at6native31launch_logcumsumexp_cuda_kernelERKNSE_10TensorBaseESI_lENKUlvE_clEvENKUlvE1_clEvEUlS7_S7_E_S7_EEDaPvRmT3_T4_T5_mT6_P12ihipStream_tbENKUlT_T0_E_clISt17integral_constantIbLb1EESZ_EEDaSU_SV_EUlSU_E0_NS1_11comp_targetILNS1_3genE10ELNS1_11target_archE1201ELNS1_3gpuE5ELNS1_3repE0EEENS1_30default_config_static_selectorELNS0_4arch9wavefront6targetE0EEEvT1_.uses_flat_scratch, 0
	.set _ZN7rocprim17ROCPRIM_400000_NS6detail17trampoline_kernelINS0_14default_configENS1_20scan_config_selectorIN3c107complexIdEEEEZZNS1_9scan_implILNS1_25lookback_scan_determinismE0ELb0ELb0ES3_PKS7_PS7_S7_ZZZN2at6native31launch_logcumsumexp_cuda_kernelERKNSE_10TensorBaseESI_lENKUlvE_clEvENKUlvE1_clEvEUlS7_S7_E_S7_EEDaPvRmT3_T4_T5_mT6_P12ihipStream_tbENKUlT_T0_E_clISt17integral_constantIbLb1EESZ_EEDaSU_SV_EUlSU_E0_NS1_11comp_targetILNS1_3genE10ELNS1_11target_archE1201ELNS1_3gpuE5ELNS1_3repE0EEENS1_30default_config_static_selectorELNS0_4arch9wavefront6targetE0EEEvT1_.has_dyn_sized_stack, 0
	.set _ZN7rocprim17ROCPRIM_400000_NS6detail17trampoline_kernelINS0_14default_configENS1_20scan_config_selectorIN3c107complexIdEEEEZZNS1_9scan_implILNS1_25lookback_scan_determinismE0ELb0ELb0ES3_PKS7_PS7_S7_ZZZN2at6native31launch_logcumsumexp_cuda_kernelERKNSE_10TensorBaseESI_lENKUlvE_clEvENKUlvE1_clEvEUlS7_S7_E_S7_EEDaPvRmT3_T4_T5_mT6_P12ihipStream_tbENKUlT_T0_E_clISt17integral_constantIbLb1EESZ_EEDaSU_SV_EUlSU_E0_NS1_11comp_targetILNS1_3genE10ELNS1_11target_archE1201ELNS1_3gpuE5ELNS1_3repE0EEENS1_30default_config_static_selectorELNS0_4arch9wavefront6targetE0EEEvT1_.has_recursion, 0
	.set _ZN7rocprim17ROCPRIM_400000_NS6detail17trampoline_kernelINS0_14default_configENS1_20scan_config_selectorIN3c107complexIdEEEEZZNS1_9scan_implILNS1_25lookback_scan_determinismE0ELb0ELb0ES3_PKS7_PS7_S7_ZZZN2at6native31launch_logcumsumexp_cuda_kernelERKNSE_10TensorBaseESI_lENKUlvE_clEvENKUlvE1_clEvEUlS7_S7_E_S7_EEDaPvRmT3_T4_T5_mT6_P12ihipStream_tbENKUlT_T0_E_clISt17integral_constantIbLb1EESZ_EEDaSU_SV_EUlSU_E0_NS1_11comp_targetILNS1_3genE10ELNS1_11target_archE1201ELNS1_3gpuE5ELNS1_3repE0EEENS1_30default_config_static_selectorELNS0_4arch9wavefront6targetE0EEEvT1_.has_indirect_call, 0
	.section	.AMDGPU.csdata,"",@progbits
; Kernel info:
; codeLenInByte = 0
; TotalNumSgprs: 0
; NumVgprs: 0
; ScratchSize: 0
; MemoryBound: 0
; FloatMode: 240
; IeeeMode: 1
; LDSByteSize: 0 bytes/workgroup (compile time only)
; SGPRBlocks: 0
; VGPRBlocks: 0
; NumSGPRsForWavesPerEU: 1
; NumVGPRsForWavesPerEU: 1
; Occupancy: 16
; WaveLimiterHint : 0
; COMPUTE_PGM_RSRC2:SCRATCH_EN: 0
; COMPUTE_PGM_RSRC2:USER_SGPR: 6
; COMPUTE_PGM_RSRC2:TRAP_HANDLER: 0
; COMPUTE_PGM_RSRC2:TGID_X_EN: 1
; COMPUTE_PGM_RSRC2:TGID_Y_EN: 0
; COMPUTE_PGM_RSRC2:TGID_Z_EN: 0
; COMPUTE_PGM_RSRC2:TIDIG_COMP_CNT: 0
	.section	.text._ZN7rocprim17ROCPRIM_400000_NS6detail17trampoline_kernelINS0_14default_configENS1_20scan_config_selectorIN3c107complexIdEEEEZZNS1_9scan_implILNS1_25lookback_scan_determinismE0ELb0ELb0ES3_PKS7_PS7_S7_ZZZN2at6native31launch_logcumsumexp_cuda_kernelERKNSE_10TensorBaseESI_lENKUlvE_clEvENKUlvE1_clEvEUlS7_S7_E_S7_EEDaPvRmT3_T4_T5_mT6_P12ihipStream_tbENKUlT_T0_E_clISt17integral_constantIbLb1EESZ_EEDaSU_SV_EUlSU_E0_NS1_11comp_targetILNS1_3genE10ELNS1_11target_archE1200ELNS1_3gpuE4ELNS1_3repE0EEENS1_30default_config_static_selectorELNS0_4arch9wavefront6targetE0EEEvT1_,"axG",@progbits,_ZN7rocprim17ROCPRIM_400000_NS6detail17trampoline_kernelINS0_14default_configENS1_20scan_config_selectorIN3c107complexIdEEEEZZNS1_9scan_implILNS1_25lookback_scan_determinismE0ELb0ELb0ES3_PKS7_PS7_S7_ZZZN2at6native31launch_logcumsumexp_cuda_kernelERKNSE_10TensorBaseESI_lENKUlvE_clEvENKUlvE1_clEvEUlS7_S7_E_S7_EEDaPvRmT3_T4_T5_mT6_P12ihipStream_tbENKUlT_T0_E_clISt17integral_constantIbLb1EESZ_EEDaSU_SV_EUlSU_E0_NS1_11comp_targetILNS1_3genE10ELNS1_11target_archE1200ELNS1_3gpuE4ELNS1_3repE0EEENS1_30default_config_static_selectorELNS0_4arch9wavefront6targetE0EEEvT1_,comdat
	.globl	_ZN7rocprim17ROCPRIM_400000_NS6detail17trampoline_kernelINS0_14default_configENS1_20scan_config_selectorIN3c107complexIdEEEEZZNS1_9scan_implILNS1_25lookback_scan_determinismE0ELb0ELb0ES3_PKS7_PS7_S7_ZZZN2at6native31launch_logcumsumexp_cuda_kernelERKNSE_10TensorBaseESI_lENKUlvE_clEvENKUlvE1_clEvEUlS7_S7_E_S7_EEDaPvRmT3_T4_T5_mT6_P12ihipStream_tbENKUlT_T0_E_clISt17integral_constantIbLb1EESZ_EEDaSU_SV_EUlSU_E0_NS1_11comp_targetILNS1_3genE10ELNS1_11target_archE1200ELNS1_3gpuE4ELNS1_3repE0EEENS1_30default_config_static_selectorELNS0_4arch9wavefront6targetE0EEEvT1_ ; -- Begin function _ZN7rocprim17ROCPRIM_400000_NS6detail17trampoline_kernelINS0_14default_configENS1_20scan_config_selectorIN3c107complexIdEEEEZZNS1_9scan_implILNS1_25lookback_scan_determinismE0ELb0ELb0ES3_PKS7_PS7_S7_ZZZN2at6native31launch_logcumsumexp_cuda_kernelERKNSE_10TensorBaseESI_lENKUlvE_clEvENKUlvE1_clEvEUlS7_S7_E_S7_EEDaPvRmT3_T4_T5_mT6_P12ihipStream_tbENKUlT_T0_E_clISt17integral_constantIbLb1EESZ_EEDaSU_SV_EUlSU_E0_NS1_11comp_targetILNS1_3genE10ELNS1_11target_archE1200ELNS1_3gpuE4ELNS1_3repE0EEENS1_30default_config_static_selectorELNS0_4arch9wavefront6targetE0EEEvT1_
	.p2align	8
	.type	_ZN7rocprim17ROCPRIM_400000_NS6detail17trampoline_kernelINS0_14default_configENS1_20scan_config_selectorIN3c107complexIdEEEEZZNS1_9scan_implILNS1_25lookback_scan_determinismE0ELb0ELb0ES3_PKS7_PS7_S7_ZZZN2at6native31launch_logcumsumexp_cuda_kernelERKNSE_10TensorBaseESI_lENKUlvE_clEvENKUlvE1_clEvEUlS7_S7_E_S7_EEDaPvRmT3_T4_T5_mT6_P12ihipStream_tbENKUlT_T0_E_clISt17integral_constantIbLb1EESZ_EEDaSU_SV_EUlSU_E0_NS1_11comp_targetILNS1_3genE10ELNS1_11target_archE1200ELNS1_3gpuE4ELNS1_3repE0EEENS1_30default_config_static_selectorELNS0_4arch9wavefront6targetE0EEEvT1_,@function
_ZN7rocprim17ROCPRIM_400000_NS6detail17trampoline_kernelINS0_14default_configENS1_20scan_config_selectorIN3c107complexIdEEEEZZNS1_9scan_implILNS1_25lookback_scan_determinismE0ELb0ELb0ES3_PKS7_PS7_S7_ZZZN2at6native31launch_logcumsumexp_cuda_kernelERKNSE_10TensorBaseESI_lENKUlvE_clEvENKUlvE1_clEvEUlS7_S7_E_S7_EEDaPvRmT3_T4_T5_mT6_P12ihipStream_tbENKUlT_T0_E_clISt17integral_constantIbLb1EESZ_EEDaSU_SV_EUlSU_E0_NS1_11comp_targetILNS1_3genE10ELNS1_11target_archE1200ELNS1_3gpuE4ELNS1_3repE0EEENS1_30default_config_static_selectorELNS0_4arch9wavefront6targetE0EEEvT1_: ; @_ZN7rocprim17ROCPRIM_400000_NS6detail17trampoline_kernelINS0_14default_configENS1_20scan_config_selectorIN3c107complexIdEEEEZZNS1_9scan_implILNS1_25lookback_scan_determinismE0ELb0ELb0ES3_PKS7_PS7_S7_ZZZN2at6native31launch_logcumsumexp_cuda_kernelERKNSE_10TensorBaseESI_lENKUlvE_clEvENKUlvE1_clEvEUlS7_S7_E_S7_EEDaPvRmT3_T4_T5_mT6_P12ihipStream_tbENKUlT_T0_E_clISt17integral_constantIbLb1EESZ_EEDaSU_SV_EUlSU_E0_NS1_11comp_targetILNS1_3genE10ELNS1_11target_archE1200ELNS1_3gpuE4ELNS1_3repE0EEENS1_30default_config_static_selectorELNS0_4arch9wavefront6targetE0EEEvT1_
; %bb.0:
	.section	.rodata,"a",@progbits
	.p2align	6, 0x0
	.amdhsa_kernel _ZN7rocprim17ROCPRIM_400000_NS6detail17trampoline_kernelINS0_14default_configENS1_20scan_config_selectorIN3c107complexIdEEEEZZNS1_9scan_implILNS1_25lookback_scan_determinismE0ELb0ELb0ES3_PKS7_PS7_S7_ZZZN2at6native31launch_logcumsumexp_cuda_kernelERKNSE_10TensorBaseESI_lENKUlvE_clEvENKUlvE1_clEvEUlS7_S7_E_S7_EEDaPvRmT3_T4_T5_mT6_P12ihipStream_tbENKUlT_T0_E_clISt17integral_constantIbLb1EESZ_EEDaSU_SV_EUlSU_E0_NS1_11comp_targetILNS1_3genE10ELNS1_11target_archE1200ELNS1_3gpuE4ELNS1_3repE0EEENS1_30default_config_static_selectorELNS0_4arch9wavefront6targetE0EEEvT1_
		.amdhsa_group_segment_fixed_size 0
		.amdhsa_private_segment_fixed_size 0
		.amdhsa_kernarg_size 48
		.amdhsa_user_sgpr_count 6
		.amdhsa_user_sgpr_private_segment_buffer 1
		.amdhsa_user_sgpr_dispatch_ptr 0
		.amdhsa_user_sgpr_queue_ptr 0
		.amdhsa_user_sgpr_kernarg_segment_ptr 1
		.amdhsa_user_sgpr_dispatch_id 0
		.amdhsa_user_sgpr_flat_scratch_init 0
		.amdhsa_user_sgpr_private_segment_size 0
		.amdhsa_wavefront_size32 1
		.amdhsa_uses_dynamic_stack 0
		.amdhsa_system_sgpr_private_segment_wavefront_offset 0
		.amdhsa_system_sgpr_workgroup_id_x 1
		.amdhsa_system_sgpr_workgroup_id_y 0
		.amdhsa_system_sgpr_workgroup_id_z 0
		.amdhsa_system_sgpr_workgroup_info 0
		.amdhsa_system_vgpr_workitem_id 0
		.amdhsa_next_free_vgpr 1
		.amdhsa_next_free_sgpr 1
		.amdhsa_reserve_vcc 0
		.amdhsa_reserve_flat_scratch 0
		.amdhsa_float_round_mode_32 0
		.amdhsa_float_round_mode_16_64 0
		.amdhsa_float_denorm_mode_32 3
		.amdhsa_float_denorm_mode_16_64 3
		.amdhsa_dx10_clamp 1
		.amdhsa_ieee_mode 1
		.amdhsa_fp16_overflow 0
		.amdhsa_workgroup_processor_mode 1
		.amdhsa_memory_ordered 1
		.amdhsa_forward_progress 1
		.amdhsa_shared_vgpr_count 0
		.amdhsa_exception_fp_ieee_invalid_op 0
		.amdhsa_exception_fp_denorm_src 0
		.amdhsa_exception_fp_ieee_div_zero 0
		.amdhsa_exception_fp_ieee_overflow 0
		.amdhsa_exception_fp_ieee_underflow 0
		.amdhsa_exception_fp_ieee_inexact 0
		.amdhsa_exception_int_div_zero 0
	.end_amdhsa_kernel
	.section	.text._ZN7rocprim17ROCPRIM_400000_NS6detail17trampoline_kernelINS0_14default_configENS1_20scan_config_selectorIN3c107complexIdEEEEZZNS1_9scan_implILNS1_25lookback_scan_determinismE0ELb0ELb0ES3_PKS7_PS7_S7_ZZZN2at6native31launch_logcumsumexp_cuda_kernelERKNSE_10TensorBaseESI_lENKUlvE_clEvENKUlvE1_clEvEUlS7_S7_E_S7_EEDaPvRmT3_T4_T5_mT6_P12ihipStream_tbENKUlT_T0_E_clISt17integral_constantIbLb1EESZ_EEDaSU_SV_EUlSU_E0_NS1_11comp_targetILNS1_3genE10ELNS1_11target_archE1200ELNS1_3gpuE4ELNS1_3repE0EEENS1_30default_config_static_selectorELNS0_4arch9wavefront6targetE0EEEvT1_,"axG",@progbits,_ZN7rocprim17ROCPRIM_400000_NS6detail17trampoline_kernelINS0_14default_configENS1_20scan_config_selectorIN3c107complexIdEEEEZZNS1_9scan_implILNS1_25lookback_scan_determinismE0ELb0ELb0ES3_PKS7_PS7_S7_ZZZN2at6native31launch_logcumsumexp_cuda_kernelERKNSE_10TensorBaseESI_lENKUlvE_clEvENKUlvE1_clEvEUlS7_S7_E_S7_EEDaPvRmT3_T4_T5_mT6_P12ihipStream_tbENKUlT_T0_E_clISt17integral_constantIbLb1EESZ_EEDaSU_SV_EUlSU_E0_NS1_11comp_targetILNS1_3genE10ELNS1_11target_archE1200ELNS1_3gpuE4ELNS1_3repE0EEENS1_30default_config_static_selectorELNS0_4arch9wavefront6targetE0EEEvT1_,comdat
.Lfunc_end218:
	.size	_ZN7rocprim17ROCPRIM_400000_NS6detail17trampoline_kernelINS0_14default_configENS1_20scan_config_selectorIN3c107complexIdEEEEZZNS1_9scan_implILNS1_25lookback_scan_determinismE0ELb0ELb0ES3_PKS7_PS7_S7_ZZZN2at6native31launch_logcumsumexp_cuda_kernelERKNSE_10TensorBaseESI_lENKUlvE_clEvENKUlvE1_clEvEUlS7_S7_E_S7_EEDaPvRmT3_T4_T5_mT6_P12ihipStream_tbENKUlT_T0_E_clISt17integral_constantIbLb1EESZ_EEDaSU_SV_EUlSU_E0_NS1_11comp_targetILNS1_3genE10ELNS1_11target_archE1200ELNS1_3gpuE4ELNS1_3repE0EEENS1_30default_config_static_selectorELNS0_4arch9wavefront6targetE0EEEvT1_, .Lfunc_end218-_ZN7rocprim17ROCPRIM_400000_NS6detail17trampoline_kernelINS0_14default_configENS1_20scan_config_selectorIN3c107complexIdEEEEZZNS1_9scan_implILNS1_25lookback_scan_determinismE0ELb0ELb0ES3_PKS7_PS7_S7_ZZZN2at6native31launch_logcumsumexp_cuda_kernelERKNSE_10TensorBaseESI_lENKUlvE_clEvENKUlvE1_clEvEUlS7_S7_E_S7_EEDaPvRmT3_T4_T5_mT6_P12ihipStream_tbENKUlT_T0_E_clISt17integral_constantIbLb1EESZ_EEDaSU_SV_EUlSU_E0_NS1_11comp_targetILNS1_3genE10ELNS1_11target_archE1200ELNS1_3gpuE4ELNS1_3repE0EEENS1_30default_config_static_selectorELNS0_4arch9wavefront6targetE0EEEvT1_
                                        ; -- End function
	.set _ZN7rocprim17ROCPRIM_400000_NS6detail17trampoline_kernelINS0_14default_configENS1_20scan_config_selectorIN3c107complexIdEEEEZZNS1_9scan_implILNS1_25lookback_scan_determinismE0ELb0ELb0ES3_PKS7_PS7_S7_ZZZN2at6native31launch_logcumsumexp_cuda_kernelERKNSE_10TensorBaseESI_lENKUlvE_clEvENKUlvE1_clEvEUlS7_S7_E_S7_EEDaPvRmT3_T4_T5_mT6_P12ihipStream_tbENKUlT_T0_E_clISt17integral_constantIbLb1EESZ_EEDaSU_SV_EUlSU_E0_NS1_11comp_targetILNS1_3genE10ELNS1_11target_archE1200ELNS1_3gpuE4ELNS1_3repE0EEENS1_30default_config_static_selectorELNS0_4arch9wavefront6targetE0EEEvT1_.num_vgpr, 0
	.set _ZN7rocprim17ROCPRIM_400000_NS6detail17trampoline_kernelINS0_14default_configENS1_20scan_config_selectorIN3c107complexIdEEEEZZNS1_9scan_implILNS1_25lookback_scan_determinismE0ELb0ELb0ES3_PKS7_PS7_S7_ZZZN2at6native31launch_logcumsumexp_cuda_kernelERKNSE_10TensorBaseESI_lENKUlvE_clEvENKUlvE1_clEvEUlS7_S7_E_S7_EEDaPvRmT3_T4_T5_mT6_P12ihipStream_tbENKUlT_T0_E_clISt17integral_constantIbLb1EESZ_EEDaSU_SV_EUlSU_E0_NS1_11comp_targetILNS1_3genE10ELNS1_11target_archE1200ELNS1_3gpuE4ELNS1_3repE0EEENS1_30default_config_static_selectorELNS0_4arch9wavefront6targetE0EEEvT1_.num_agpr, 0
	.set _ZN7rocprim17ROCPRIM_400000_NS6detail17trampoline_kernelINS0_14default_configENS1_20scan_config_selectorIN3c107complexIdEEEEZZNS1_9scan_implILNS1_25lookback_scan_determinismE0ELb0ELb0ES3_PKS7_PS7_S7_ZZZN2at6native31launch_logcumsumexp_cuda_kernelERKNSE_10TensorBaseESI_lENKUlvE_clEvENKUlvE1_clEvEUlS7_S7_E_S7_EEDaPvRmT3_T4_T5_mT6_P12ihipStream_tbENKUlT_T0_E_clISt17integral_constantIbLb1EESZ_EEDaSU_SV_EUlSU_E0_NS1_11comp_targetILNS1_3genE10ELNS1_11target_archE1200ELNS1_3gpuE4ELNS1_3repE0EEENS1_30default_config_static_selectorELNS0_4arch9wavefront6targetE0EEEvT1_.numbered_sgpr, 0
	.set _ZN7rocprim17ROCPRIM_400000_NS6detail17trampoline_kernelINS0_14default_configENS1_20scan_config_selectorIN3c107complexIdEEEEZZNS1_9scan_implILNS1_25lookback_scan_determinismE0ELb0ELb0ES3_PKS7_PS7_S7_ZZZN2at6native31launch_logcumsumexp_cuda_kernelERKNSE_10TensorBaseESI_lENKUlvE_clEvENKUlvE1_clEvEUlS7_S7_E_S7_EEDaPvRmT3_T4_T5_mT6_P12ihipStream_tbENKUlT_T0_E_clISt17integral_constantIbLb1EESZ_EEDaSU_SV_EUlSU_E0_NS1_11comp_targetILNS1_3genE10ELNS1_11target_archE1200ELNS1_3gpuE4ELNS1_3repE0EEENS1_30default_config_static_selectorELNS0_4arch9wavefront6targetE0EEEvT1_.num_named_barrier, 0
	.set _ZN7rocprim17ROCPRIM_400000_NS6detail17trampoline_kernelINS0_14default_configENS1_20scan_config_selectorIN3c107complexIdEEEEZZNS1_9scan_implILNS1_25lookback_scan_determinismE0ELb0ELb0ES3_PKS7_PS7_S7_ZZZN2at6native31launch_logcumsumexp_cuda_kernelERKNSE_10TensorBaseESI_lENKUlvE_clEvENKUlvE1_clEvEUlS7_S7_E_S7_EEDaPvRmT3_T4_T5_mT6_P12ihipStream_tbENKUlT_T0_E_clISt17integral_constantIbLb1EESZ_EEDaSU_SV_EUlSU_E0_NS1_11comp_targetILNS1_3genE10ELNS1_11target_archE1200ELNS1_3gpuE4ELNS1_3repE0EEENS1_30default_config_static_selectorELNS0_4arch9wavefront6targetE0EEEvT1_.private_seg_size, 0
	.set _ZN7rocprim17ROCPRIM_400000_NS6detail17trampoline_kernelINS0_14default_configENS1_20scan_config_selectorIN3c107complexIdEEEEZZNS1_9scan_implILNS1_25lookback_scan_determinismE0ELb0ELb0ES3_PKS7_PS7_S7_ZZZN2at6native31launch_logcumsumexp_cuda_kernelERKNSE_10TensorBaseESI_lENKUlvE_clEvENKUlvE1_clEvEUlS7_S7_E_S7_EEDaPvRmT3_T4_T5_mT6_P12ihipStream_tbENKUlT_T0_E_clISt17integral_constantIbLb1EESZ_EEDaSU_SV_EUlSU_E0_NS1_11comp_targetILNS1_3genE10ELNS1_11target_archE1200ELNS1_3gpuE4ELNS1_3repE0EEENS1_30default_config_static_selectorELNS0_4arch9wavefront6targetE0EEEvT1_.uses_vcc, 0
	.set _ZN7rocprim17ROCPRIM_400000_NS6detail17trampoline_kernelINS0_14default_configENS1_20scan_config_selectorIN3c107complexIdEEEEZZNS1_9scan_implILNS1_25lookback_scan_determinismE0ELb0ELb0ES3_PKS7_PS7_S7_ZZZN2at6native31launch_logcumsumexp_cuda_kernelERKNSE_10TensorBaseESI_lENKUlvE_clEvENKUlvE1_clEvEUlS7_S7_E_S7_EEDaPvRmT3_T4_T5_mT6_P12ihipStream_tbENKUlT_T0_E_clISt17integral_constantIbLb1EESZ_EEDaSU_SV_EUlSU_E0_NS1_11comp_targetILNS1_3genE10ELNS1_11target_archE1200ELNS1_3gpuE4ELNS1_3repE0EEENS1_30default_config_static_selectorELNS0_4arch9wavefront6targetE0EEEvT1_.uses_flat_scratch, 0
	.set _ZN7rocprim17ROCPRIM_400000_NS6detail17trampoline_kernelINS0_14default_configENS1_20scan_config_selectorIN3c107complexIdEEEEZZNS1_9scan_implILNS1_25lookback_scan_determinismE0ELb0ELb0ES3_PKS7_PS7_S7_ZZZN2at6native31launch_logcumsumexp_cuda_kernelERKNSE_10TensorBaseESI_lENKUlvE_clEvENKUlvE1_clEvEUlS7_S7_E_S7_EEDaPvRmT3_T4_T5_mT6_P12ihipStream_tbENKUlT_T0_E_clISt17integral_constantIbLb1EESZ_EEDaSU_SV_EUlSU_E0_NS1_11comp_targetILNS1_3genE10ELNS1_11target_archE1200ELNS1_3gpuE4ELNS1_3repE0EEENS1_30default_config_static_selectorELNS0_4arch9wavefront6targetE0EEEvT1_.has_dyn_sized_stack, 0
	.set _ZN7rocprim17ROCPRIM_400000_NS6detail17trampoline_kernelINS0_14default_configENS1_20scan_config_selectorIN3c107complexIdEEEEZZNS1_9scan_implILNS1_25lookback_scan_determinismE0ELb0ELb0ES3_PKS7_PS7_S7_ZZZN2at6native31launch_logcumsumexp_cuda_kernelERKNSE_10TensorBaseESI_lENKUlvE_clEvENKUlvE1_clEvEUlS7_S7_E_S7_EEDaPvRmT3_T4_T5_mT6_P12ihipStream_tbENKUlT_T0_E_clISt17integral_constantIbLb1EESZ_EEDaSU_SV_EUlSU_E0_NS1_11comp_targetILNS1_3genE10ELNS1_11target_archE1200ELNS1_3gpuE4ELNS1_3repE0EEENS1_30default_config_static_selectorELNS0_4arch9wavefront6targetE0EEEvT1_.has_recursion, 0
	.set _ZN7rocprim17ROCPRIM_400000_NS6detail17trampoline_kernelINS0_14default_configENS1_20scan_config_selectorIN3c107complexIdEEEEZZNS1_9scan_implILNS1_25lookback_scan_determinismE0ELb0ELb0ES3_PKS7_PS7_S7_ZZZN2at6native31launch_logcumsumexp_cuda_kernelERKNSE_10TensorBaseESI_lENKUlvE_clEvENKUlvE1_clEvEUlS7_S7_E_S7_EEDaPvRmT3_T4_T5_mT6_P12ihipStream_tbENKUlT_T0_E_clISt17integral_constantIbLb1EESZ_EEDaSU_SV_EUlSU_E0_NS1_11comp_targetILNS1_3genE10ELNS1_11target_archE1200ELNS1_3gpuE4ELNS1_3repE0EEENS1_30default_config_static_selectorELNS0_4arch9wavefront6targetE0EEEvT1_.has_indirect_call, 0
	.section	.AMDGPU.csdata,"",@progbits
; Kernel info:
; codeLenInByte = 0
; TotalNumSgprs: 0
; NumVgprs: 0
; ScratchSize: 0
; MemoryBound: 0
; FloatMode: 240
; IeeeMode: 1
; LDSByteSize: 0 bytes/workgroup (compile time only)
; SGPRBlocks: 0
; VGPRBlocks: 0
; NumSGPRsForWavesPerEU: 1
; NumVGPRsForWavesPerEU: 1
; Occupancy: 16
; WaveLimiterHint : 0
; COMPUTE_PGM_RSRC2:SCRATCH_EN: 0
; COMPUTE_PGM_RSRC2:USER_SGPR: 6
; COMPUTE_PGM_RSRC2:TRAP_HANDLER: 0
; COMPUTE_PGM_RSRC2:TGID_X_EN: 1
; COMPUTE_PGM_RSRC2:TGID_Y_EN: 0
; COMPUTE_PGM_RSRC2:TGID_Z_EN: 0
; COMPUTE_PGM_RSRC2:TIDIG_COMP_CNT: 0
	.section	.text._ZN7rocprim17ROCPRIM_400000_NS6detail17trampoline_kernelINS0_14default_configENS1_20scan_config_selectorIN3c107complexIdEEEEZZNS1_9scan_implILNS1_25lookback_scan_determinismE0ELb0ELb0ES3_PKS7_PS7_S7_ZZZN2at6native31launch_logcumsumexp_cuda_kernelERKNSE_10TensorBaseESI_lENKUlvE_clEvENKUlvE1_clEvEUlS7_S7_E_S7_EEDaPvRmT3_T4_T5_mT6_P12ihipStream_tbENKUlT_T0_E_clISt17integral_constantIbLb1EESZ_EEDaSU_SV_EUlSU_E0_NS1_11comp_targetILNS1_3genE9ELNS1_11target_archE1100ELNS1_3gpuE3ELNS1_3repE0EEENS1_30default_config_static_selectorELNS0_4arch9wavefront6targetE0EEEvT1_,"axG",@progbits,_ZN7rocprim17ROCPRIM_400000_NS6detail17trampoline_kernelINS0_14default_configENS1_20scan_config_selectorIN3c107complexIdEEEEZZNS1_9scan_implILNS1_25lookback_scan_determinismE0ELb0ELb0ES3_PKS7_PS7_S7_ZZZN2at6native31launch_logcumsumexp_cuda_kernelERKNSE_10TensorBaseESI_lENKUlvE_clEvENKUlvE1_clEvEUlS7_S7_E_S7_EEDaPvRmT3_T4_T5_mT6_P12ihipStream_tbENKUlT_T0_E_clISt17integral_constantIbLb1EESZ_EEDaSU_SV_EUlSU_E0_NS1_11comp_targetILNS1_3genE9ELNS1_11target_archE1100ELNS1_3gpuE3ELNS1_3repE0EEENS1_30default_config_static_selectorELNS0_4arch9wavefront6targetE0EEEvT1_,comdat
	.globl	_ZN7rocprim17ROCPRIM_400000_NS6detail17trampoline_kernelINS0_14default_configENS1_20scan_config_selectorIN3c107complexIdEEEEZZNS1_9scan_implILNS1_25lookback_scan_determinismE0ELb0ELb0ES3_PKS7_PS7_S7_ZZZN2at6native31launch_logcumsumexp_cuda_kernelERKNSE_10TensorBaseESI_lENKUlvE_clEvENKUlvE1_clEvEUlS7_S7_E_S7_EEDaPvRmT3_T4_T5_mT6_P12ihipStream_tbENKUlT_T0_E_clISt17integral_constantIbLb1EESZ_EEDaSU_SV_EUlSU_E0_NS1_11comp_targetILNS1_3genE9ELNS1_11target_archE1100ELNS1_3gpuE3ELNS1_3repE0EEENS1_30default_config_static_selectorELNS0_4arch9wavefront6targetE0EEEvT1_ ; -- Begin function _ZN7rocprim17ROCPRIM_400000_NS6detail17trampoline_kernelINS0_14default_configENS1_20scan_config_selectorIN3c107complexIdEEEEZZNS1_9scan_implILNS1_25lookback_scan_determinismE0ELb0ELb0ES3_PKS7_PS7_S7_ZZZN2at6native31launch_logcumsumexp_cuda_kernelERKNSE_10TensorBaseESI_lENKUlvE_clEvENKUlvE1_clEvEUlS7_S7_E_S7_EEDaPvRmT3_T4_T5_mT6_P12ihipStream_tbENKUlT_T0_E_clISt17integral_constantIbLb1EESZ_EEDaSU_SV_EUlSU_E0_NS1_11comp_targetILNS1_3genE9ELNS1_11target_archE1100ELNS1_3gpuE3ELNS1_3repE0EEENS1_30default_config_static_selectorELNS0_4arch9wavefront6targetE0EEEvT1_
	.p2align	8
	.type	_ZN7rocprim17ROCPRIM_400000_NS6detail17trampoline_kernelINS0_14default_configENS1_20scan_config_selectorIN3c107complexIdEEEEZZNS1_9scan_implILNS1_25lookback_scan_determinismE0ELb0ELb0ES3_PKS7_PS7_S7_ZZZN2at6native31launch_logcumsumexp_cuda_kernelERKNSE_10TensorBaseESI_lENKUlvE_clEvENKUlvE1_clEvEUlS7_S7_E_S7_EEDaPvRmT3_T4_T5_mT6_P12ihipStream_tbENKUlT_T0_E_clISt17integral_constantIbLb1EESZ_EEDaSU_SV_EUlSU_E0_NS1_11comp_targetILNS1_3genE9ELNS1_11target_archE1100ELNS1_3gpuE3ELNS1_3repE0EEENS1_30default_config_static_selectorELNS0_4arch9wavefront6targetE0EEEvT1_,@function
_ZN7rocprim17ROCPRIM_400000_NS6detail17trampoline_kernelINS0_14default_configENS1_20scan_config_selectorIN3c107complexIdEEEEZZNS1_9scan_implILNS1_25lookback_scan_determinismE0ELb0ELb0ES3_PKS7_PS7_S7_ZZZN2at6native31launch_logcumsumexp_cuda_kernelERKNSE_10TensorBaseESI_lENKUlvE_clEvENKUlvE1_clEvEUlS7_S7_E_S7_EEDaPvRmT3_T4_T5_mT6_P12ihipStream_tbENKUlT_T0_E_clISt17integral_constantIbLb1EESZ_EEDaSU_SV_EUlSU_E0_NS1_11comp_targetILNS1_3genE9ELNS1_11target_archE1100ELNS1_3gpuE3ELNS1_3repE0EEENS1_30default_config_static_selectorELNS0_4arch9wavefront6targetE0EEEvT1_: ; @_ZN7rocprim17ROCPRIM_400000_NS6detail17trampoline_kernelINS0_14default_configENS1_20scan_config_selectorIN3c107complexIdEEEEZZNS1_9scan_implILNS1_25lookback_scan_determinismE0ELb0ELb0ES3_PKS7_PS7_S7_ZZZN2at6native31launch_logcumsumexp_cuda_kernelERKNSE_10TensorBaseESI_lENKUlvE_clEvENKUlvE1_clEvEUlS7_S7_E_S7_EEDaPvRmT3_T4_T5_mT6_P12ihipStream_tbENKUlT_T0_E_clISt17integral_constantIbLb1EESZ_EEDaSU_SV_EUlSU_E0_NS1_11comp_targetILNS1_3genE9ELNS1_11target_archE1100ELNS1_3gpuE3ELNS1_3repE0EEENS1_30default_config_static_selectorELNS0_4arch9wavefront6targetE0EEEvT1_
; %bb.0:
	.section	.rodata,"a",@progbits
	.p2align	6, 0x0
	.amdhsa_kernel _ZN7rocprim17ROCPRIM_400000_NS6detail17trampoline_kernelINS0_14default_configENS1_20scan_config_selectorIN3c107complexIdEEEEZZNS1_9scan_implILNS1_25lookback_scan_determinismE0ELb0ELb0ES3_PKS7_PS7_S7_ZZZN2at6native31launch_logcumsumexp_cuda_kernelERKNSE_10TensorBaseESI_lENKUlvE_clEvENKUlvE1_clEvEUlS7_S7_E_S7_EEDaPvRmT3_T4_T5_mT6_P12ihipStream_tbENKUlT_T0_E_clISt17integral_constantIbLb1EESZ_EEDaSU_SV_EUlSU_E0_NS1_11comp_targetILNS1_3genE9ELNS1_11target_archE1100ELNS1_3gpuE3ELNS1_3repE0EEENS1_30default_config_static_selectorELNS0_4arch9wavefront6targetE0EEEvT1_
		.amdhsa_group_segment_fixed_size 0
		.amdhsa_private_segment_fixed_size 0
		.amdhsa_kernarg_size 48
		.amdhsa_user_sgpr_count 6
		.amdhsa_user_sgpr_private_segment_buffer 1
		.amdhsa_user_sgpr_dispatch_ptr 0
		.amdhsa_user_sgpr_queue_ptr 0
		.amdhsa_user_sgpr_kernarg_segment_ptr 1
		.amdhsa_user_sgpr_dispatch_id 0
		.amdhsa_user_sgpr_flat_scratch_init 0
		.amdhsa_user_sgpr_private_segment_size 0
		.amdhsa_wavefront_size32 1
		.amdhsa_uses_dynamic_stack 0
		.amdhsa_system_sgpr_private_segment_wavefront_offset 0
		.amdhsa_system_sgpr_workgroup_id_x 1
		.amdhsa_system_sgpr_workgroup_id_y 0
		.amdhsa_system_sgpr_workgroup_id_z 0
		.amdhsa_system_sgpr_workgroup_info 0
		.amdhsa_system_vgpr_workitem_id 0
		.amdhsa_next_free_vgpr 1
		.amdhsa_next_free_sgpr 1
		.amdhsa_reserve_vcc 0
		.amdhsa_reserve_flat_scratch 0
		.amdhsa_float_round_mode_32 0
		.amdhsa_float_round_mode_16_64 0
		.amdhsa_float_denorm_mode_32 3
		.amdhsa_float_denorm_mode_16_64 3
		.amdhsa_dx10_clamp 1
		.amdhsa_ieee_mode 1
		.amdhsa_fp16_overflow 0
		.amdhsa_workgroup_processor_mode 1
		.amdhsa_memory_ordered 1
		.amdhsa_forward_progress 1
		.amdhsa_shared_vgpr_count 0
		.amdhsa_exception_fp_ieee_invalid_op 0
		.amdhsa_exception_fp_denorm_src 0
		.amdhsa_exception_fp_ieee_div_zero 0
		.amdhsa_exception_fp_ieee_overflow 0
		.amdhsa_exception_fp_ieee_underflow 0
		.amdhsa_exception_fp_ieee_inexact 0
		.amdhsa_exception_int_div_zero 0
	.end_amdhsa_kernel
	.section	.text._ZN7rocprim17ROCPRIM_400000_NS6detail17trampoline_kernelINS0_14default_configENS1_20scan_config_selectorIN3c107complexIdEEEEZZNS1_9scan_implILNS1_25lookback_scan_determinismE0ELb0ELb0ES3_PKS7_PS7_S7_ZZZN2at6native31launch_logcumsumexp_cuda_kernelERKNSE_10TensorBaseESI_lENKUlvE_clEvENKUlvE1_clEvEUlS7_S7_E_S7_EEDaPvRmT3_T4_T5_mT6_P12ihipStream_tbENKUlT_T0_E_clISt17integral_constantIbLb1EESZ_EEDaSU_SV_EUlSU_E0_NS1_11comp_targetILNS1_3genE9ELNS1_11target_archE1100ELNS1_3gpuE3ELNS1_3repE0EEENS1_30default_config_static_selectorELNS0_4arch9wavefront6targetE0EEEvT1_,"axG",@progbits,_ZN7rocprim17ROCPRIM_400000_NS6detail17trampoline_kernelINS0_14default_configENS1_20scan_config_selectorIN3c107complexIdEEEEZZNS1_9scan_implILNS1_25lookback_scan_determinismE0ELb0ELb0ES3_PKS7_PS7_S7_ZZZN2at6native31launch_logcumsumexp_cuda_kernelERKNSE_10TensorBaseESI_lENKUlvE_clEvENKUlvE1_clEvEUlS7_S7_E_S7_EEDaPvRmT3_T4_T5_mT6_P12ihipStream_tbENKUlT_T0_E_clISt17integral_constantIbLb1EESZ_EEDaSU_SV_EUlSU_E0_NS1_11comp_targetILNS1_3genE9ELNS1_11target_archE1100ELNS1_3gpuE3ELNS1_3repE0EEENS1_30default_config_static_selectorELNS0_4arch9wavefront6targetE0EEEvT1_,comdat
.Lfunc_end219:
	.size	_ZN7rocprim17ROCPRIM_400000_NS6detail17trampoline_kernelINS0_14default_configENS1_20scan_config_selectorIN3c107complexIdEEEEZZNS1_9scan_implILNS1_25lookback_scan_determinismE0ELb0ELb0ES3_PKS7_PS7_S7_ZZZN2at6native31launch_logcumsumexp_cuda_kernelERKNSE_10TensorBaseESI_lENKUlvE_clEvENKUlvE1_clEvEUlS7_S7_E_S7_EEDaPvRmT3_T4_T5_mT6_P12ihipStream_tbENKUlT_T0_E_clISt17integral_constantIbLb1EESZ_EEDaSU_SV_EUlSU_E0_NS1_11comp_targetILNS1_3genE9ELNS1_11target_archE1100ELNS1_3gpuE3ELNS1_3repE0EEENS1_30default_config_static_selectorELNS0_4arch9wavefront6targetE0EEEvT1_, .Lfunc_end219-_ZN7rocprim17ROCPRIM_400000_NS6detail17trampoline_kernelINS0_14default_configENS1_20scan_config_selectorIN3c107complexIdEEEEZZNS1_9scan_implILNS1_25lookback_scan_determinismE0ELb0ELb0ES3_PKS7_PS7_S7_ZZZN2at6native31launch_logcumsumexp_cuda_kernelERKNSE_10TensorBaseESI_lENKUlvE_clEvENKUlvE1_clEvEUlS7_S7_E_S7_EEDaPvRmT3_T4_T5_mT6_P12ihipStream_tbENKUlT_T0_E_clISt17integral_constantIbLb1EESZ_EEDaSU_SV_EUlSU_E0_NS1_11comp_targetILNS1_3genE9ELNS1_11target_archE1100ELNS1_3gpuE3ELNS1_3repE0EEENS1_30default_config_static_selectorELNS0_4arch9wavefront6targetE0EEEvT1_
                                        ; -- End function
	.set _ZN7rocprim17ROCPRIM_400000_NS6detail17trampoline_kernelINS0_14default_configENS1_20scan_config_selectorIN3c107complexIdEEEEZZNS1_9scan_implILNS1_25lookback_scan_determinismE0ELb0ELb0ES3_PKS7_PS7_S7_ZZZN2at6native31launch_logcumsumexp_cuda_kernelERKNSE_10TensorBaseESI_lENKUlvE_clEvENKUlvE1_clEvEUlS7_S7_E_S7_EEDaPvRmT3_T4_T5_mT6_P12ihipStream_tbENKUlT_T0_E_clISt17integral_constantIbLb1EESZ_EEDaSU_SV_EUlSU_E0_NS1_11comp_targetILNS1_3genE9ELNS1_11target_archE1100ELNS1_3gpuE3ELNS1_3repE0EEENS1_30default_config_static_selectorELNS0_4arch9wavefront6targetE0EEEvT1_.num_vgpr, 0
	.set _ZN7rocprim17ROCPRIM_400000_NS6detail17trampoline_kernelINS0_14default_configENS1_20scan_config_selectorIN3c107complexIdEEEEZZNS1_9scan_implILNS1_25lookback_scan_determinismE0ELb0ELb0ES3_PKS7_PS7_S7_ZZZN2at6native31launch_logcumsumexp_cuda_kernelERKNSE_10TensorBaseESI_lENKUlvE_clEvENKUlvE1_clEvEUlS7_S7_E_S7_EEDaPvRmT3_T4_T5_mT6_P12ihipStream_tbENKUlT_T0_E_clISt17integral_constantIbLb1EESZ_EEDaSU_SV_EUlSU_E0_NS1_11comp_targetILNS1_3genE9ELNS1_11target_archE1100ELNS1_3gpuE3ELNS1_3repE0EEENS1_30default_config_static_selectorELNS0_4arch9wavefront6targetE0EEEvT1_.num_agpr, 0
	.set _ZN7rocprim17ROCPRIM_400000_NS6detail17trampoline_kernelINS0_14default_configENS1_20scan_config_selectorIN3c107complexIdEEEEZZNS1_9scan_implILNS1_25lookback_scan_determinismE0ELb0ELb0ES3_PKS7_PS7_S7_ZZZN2at6native31launch_logcumsumexp_cuda_kernelERKNSE_10TensorBaseESI_lENKUlvE_clEvENKUlvE1_clEvEUlS7_S7_E_S7_EEDaPvRmT3_T4_T5_mT6_P12ihipStream_tbENKUlT_T0_E_clISt17integral_constantIbLb1EESZ_EEDaSU_SV_EUlSU_E0_NS1_11comp_targetILNS1_3genE9ELNS1_11target_archE1100ELNS1_3gpuE3ELNS1_3repE0EEENS1_30default_config_static_selectorELNS0_4arch9wavefront6targetE0EEEvT1_.numbered_sgpr, 0
	.set _ZN7rocprim17ROCPRIM_400000_NS6detail17trampoline_kernelINS0_14default_configENS1_20scan_config_selectorIN3c107complexIdEEEEZZNS1_9scan_implILNS1_25lookback_scan_determinismE0ELb0ELb0ES3_PKS7_PS7_S7_ZZZN2at6native31launch_logcumsumexp_cuda_kernelERKNSE_10TensorBaseESI_lENKUlvE_clEvENKUlvE1_clEvEUlS7_S7_E_S7_EEDaPvRmT3_T4_T5_mT6_P12ihipStream_tbENKUlT_T0_E_clISt17integral_constantIbLb1EESZ_EEDaSU_SV_EUlSU_E0_NS1_11comp_targetILNS1_3genE9ELNS1_11target_archE1100ELNS1_3gpuE3ELNS1_3repE0EEENS1_30default_config_static_selectorELNS0_4arch9wavefront6targetE0EEEvT1_.num_named_barrier, 0
	.set _ZN7rocprim17ROCPRIM_400000_NS6detail17trampoline_kernelINS0_14default_configENS1_20scan_config_selectorIN3c107complexIdEEEEZZNS1_9scan_implILNS1_25lookback_scan_determinismE0ELb0ELb0ES3_PKS7_PS7_S7_ZZZN2at6native31launch_logcumsumexp_cuda_kernelERKNSE_10TensorBaseESI_lENKUlvE_clEvENKUlvE1_clEvEUlS7_S7_E_S7_EEDaPvRmT3_T4_T5_mT6_P12ihipStream_tbENKUlT_T0_E_clISt17integral_constantIbLb1EESZ_EEDaSU_SV_EUlSU_E0_NS1_11comp_targetILNS1_3genE9ELNS1_11target_archE1100ELNS1_3gpuE3ELNS1_3repE0EEENS1_30default_config_static_selectorELNS0_4arch9wavefront6targetE0EEEvT1_.private_seg_size, 0
	.set _ZN7rocprim17ROCPRIM_400000_NS6detail17trampoline_kernelINS0_14default_configENS1_20scan_config_selectorIN3c107complexIdEEEEZZNS1_9scan_implILNS1_25lookback_scan_determinismE0ELb0ELb0ES3_PKS7_PS7_S7_ZZZN2at6native31launch_logcumsumexp_cuda_kernelERKNSE_10TensorBaseESI_lENKUlvE_clEvENKUlvE1_clEvEUlS7_S7_E_S7_EEDaPvRmT3_T4_T5_mT6_P12ihipStream_tbENKUlT_T0_E_clISt17integral_constantIbLb1EESZ_EEDaSU_SV_EUlSU_E0_NS1_11comp_targetILNS1_3genE9ELNS1_11target_archE1100ELNS1_3gpuE3ELNS1_3repE0EEENS1_30default_config_static_selectorELNS0_4arch9wavefront6targetE0EEEvT1_.uses_vcc, 0
	.set _ZN7rocprim17ROCPRIM_400000_NS6detail17trampoline_kernelINS0_14default_configENS1_20scan_config_selectorIN3c107complexIdEEEEZZNS1_9scan_implILNS1_25lookback_scan_determinismE0ELb0ELb0ES3_PKS7_PS7_S7_ZZZN2at6native31launch_logcumsumexp_cuda_kernelERKNSE_10TensorBaseESI_lENKUlvE_clEvENKUlvE1_clEvEUlS7_S7_E_S7_EEDaPvRmT3_T4_T5_mT6_P12ihipStream_tbENKUlT_T0_E_clISt17integral_constantIbLb1EESZ_EEDaSU_SV_EUlSU_E0_NS1_11comp_targetILNS1_3genE9ELNS1_11target_archE1100ELNS1_3gpuE3ELNS1_3repE0EEENS1_30default_config_static_selectorELNS0_4arch9wavefront6targetE0EEEvT1_.uses_flat_scratch, 0
	.set _ZN7rocprim17ROCPRIM_400000_NS6detail17trampoline_kernelINS0_14default_configENS1_20scan_config_selectorIN3c107complexIdEEEEZZNS1_9scan_implILNS1_25lookback_scan_determinismE0ELb0ELb0ES3_PKS7_PS7_S7_ZZZN2at6native31launch_logcumsumexp_cuda_kernelERKNSE_10TensorBaseESI_lENKUlvE_clEvENKUlvE1_clEvEUlS7_S7_E_S7_EEDaPvRmT3_T4_T5_mT6_P12ihipStream_tbENKUlT_T0_E_clISt17integral_constantIbLb1EESZ_EEDaSU_SV_EUlSU_E0_NS1_11comp_targetILNS1_3genE9ELNS1_11target_archE1100ELNS1_3gpuE3ELNS1_3repE0EEENS1_30default_config_static_selectorELNS0_4arch9wavefront6targetE0EEEvT1_.has_dyn_sized_stack, 0
	.set _ZN7rocprim17ROCPRIM_400000_NS6detail17trampoline_kernelINS0_14default_configENS1_20scan_config_selectorIN3c107complexIdEEEEZZNS1_9scan_implILNS1_25lookback_scan_determinismE0ELb0ELb0ES3_PKS7_PS7_S7_ZZZN2at6native31launch_logcumsumexp_cuda_kernelERKNSE_10TensorBaseESI_lENKUlvE_clEvENKUlvE1_clEvEUlS7_S7_E_S7_EEDaPvRmT3_T4_T5_mT6_P12ihipStream_tbENKUlT_T0_E_clISt17integral_constantIbLb1EESZ_EEDaSU_SV_EUlSU_E0_NS1_11comp_targetILNS1_3genE9ELNS1_11target_archE1100ELNS1_3gpuE3ELNS1_3repE0EEENS1_30default_config_static_selectorELNS0_4arch9wavefront6targetE0EEEvT1_.has_recursion, 0
	.set _ZN7rocprim17ROCPRIM_400000_NS6detail17trampoline_kernelINS0_14default_configENS1_20scan_config_selectorIN3c107complexIdEEEEZZNS1_9scan_implILNS1_25lookback_scan_determinismE0ELb0ELb0ES3_PKS7_PS7_S7_ZZZN2at6native31launch_logcumsumexp_cuda_kernelERKNSE_10TensorBaseESI_lENKUlvE_clEvENKUlvE1_clEvEUlS7_S7_E_S7_EEDaPvRmT3_T4_T5_mT6_P12ihipStream_tbENKUlT_T0_E_clISt17integral_constantIbLb1EESZ_EEDaSU_SV_EUlSU_E0_NS1_11comp_targetILNS1_3genE9ELNS1_11target_archE1100ELNS1_3gpuE3ELNS1_3repE0EEENS1_30default_config_static_selectorELNS0_4arch9wavefront6targetE0EEEvT1_.has_indirect_call, 0
	.section	.AMDGPU.csdata,"",@progbits
; Kernel info:
; codeLenInByte = 0
; TotalNumSgprs: 0
; NumVgprs: 0
; ScratchSize: 0
; MemoryBound: 0
; FloatMode: 240
; IeeeMode: 1
; LDSByteSize: 0 bytes/workgroup (compile time only)
; SGPRBlocks: 0
; VGPRBlocks: 0
; NumSGPRsForWavesPerEU: 1
; NumVGPRsForWavesPerEU: 1
; Occupancy: 16
; WaveLimiterHint : 0
; COMPUTE_PGM_RSRC2:SCRATCH_EN: 0
; COMPUTE_PGM_RSRC2:USER_SGPR: 6
; COMPUTE_PGM_RSRC2:TRAP_HANDLER: 0
; COMPUTE_PGM_RSRC2:TGID_X_EN: 1
; COMPUTE_PGM_RSRC2:TGID_Y_EN: 0
; COMPUTE_PGM_RSRC2:TGID_Z_EN: 0
; COMPUTE_PGM_RSRC2:TIDIG_COMP_CNT: 0
	.section	.text._ZN7rocprim17ROCPRIM_400000_NS6detail17trampoline_kernelINS0_14default_configENS1_20scan_config_selectorIN3c107complexIdEEEEZZNS1_9scan_implILNS1_25lookback_scan_determinismE0ELb0ELb0ES3_PKS7_PS7_S7_ZZZN2at6native31launch_logcumsumexp_cuda_kernelERKNSE_10TensorBaseESI_lENKUlvE_clEvENKUlvE1_clEvEUlS7_S7_E_S7_EEDaPvRmT3_T4_T5_mT6_P12ihipStream_tbENKUlT_T0_E_clISt17integral_constantIbLb1EESZ_EEDaSU_SV_EUlSU_E0_NS1_11comp_targetILNS1_3genE8ELNS1_11target_archE1030ELNS1_3gpuE2ELNS1_3repE0EEENS1_30default_config_static_selectorELNS0_4arch9wavefront6targetE0EEEvT1_,"axG",@progbits,_ZN7rocprim17ROCPRIM_400000_NS6detail17trampoline_kernelINS0_14default_configENS1_20scan_config_selectorIN3c107complexIdEEEEZZNS1_9scan_implILNS1_25lookback_scan_determinismE0ELb0ELb0ES3_PKS7_PS7_S7_ZZZN2at6native31launch_logcumsumexp_cuda_kernelERKNSE_10TensorBaseESI_lENKUlvE_clEvENKUlvE1_clEvEUlS7_S7_E_S7_EEDaPvRmT3_T4_T5_mT6_P12ihipStream_tbENKUlT_T0_E_clISt17integral_constantIbLb1EESZ_EEDaSU_SV_EUlSU_E0_NS1_11comp_targetILNS1_3genE8ELNS1_11target_archE1030ELNS1_3gpuE2ELNS1_3repE0EEENS1_30default_config_static_selectorELNS0_4arch9wavefront6targetE0EEEvT1_,comdat
	.globl	_ZN7rocprim17ROCPRIM_400000_NS6detail17trampoline_kernelINS0_14default_configENS1_20scan_config_selectorIN3c107complexIdEEEEZZNS1_9scan_implILNS1_25lookback_scan_determinismE0ELb0ELb0ES3_PKS7_PS7_S7_ZZZN2at6native31launch_logcumsumexp_cuda_kernelERKNSE_10TensorBaseESI_lENKUlvE_clEvENKUlvE1_clEvEUlS7_S7_E_S7_EEDaPvRmT3_T4_T5_mT6_P12ihipStream_tbENKUlT_T0_E_clISt17integral_constantIbLb1EESZ_EEDaSU_SV_EUlSU_E0_NS1_11comp_targetILNS1_3genE8ELNS1_11target_archE1030ELNS1_3gpuE2ELNS1_3repE0EEENS1_30default_config_static_selectorELNS0_4arch9wavefront6targetE0EEEvT1_ ; -- Begin function _ZN7rocprim17ROCPRIM_400000_NS6detail17trampoline_kernelINS0_14default_configENS1_20scan_config_selectorIN3c107complexIdEEEEZZNS1_9scan_implILNS1_25lookback_scan_determinismE0ELb0ELb0ES3_PKS7_PS7_S7_ZZZN2at6native31launch_logcumsumexp_cuda_kernelERKNSE_10TensorBaseESI_lENKUlvE_clEvENKUlvE1_clEvEUlS7_S7_E_S7_EEDaPvRmT3_T4_T5_mT6_P12ihipStream_tbENKUlT_T0_E_clISt17integral_constantIbLb1EESZ_EEDaSU_SV_EUlSU_E0_NS1_11comp_targetILNS1_3genE8ELNS1_11target_archE1030ELNS1_3gpuE2ELNS1_3repE0EEENS1_30default_config_static_selectorELNS0_4arch9wavefront6targetE0EEEvT1_
	.p2align	8
	.type	_ZN7rocprim17ROCPRIM_400000_NS6detail17trampoline_kernelINS0_14default_configENS1_20scan_config_selectorIN3c107complexIdEEEEZZNS1_9scan_implILNS1_25lookback_scan_determinismE0ELb0ELb0ES3_PKS7_PS7_S7_ZZZN2at6native31launch_logcumsumexp_cuda_kernelERKNSE_10TensorBaseESI_lENKUlvE_clEvENKUlvE1_clEvEUlS7_S7_E_S7_EEDaPvRmT3_T4_T5_mT6_P12ihipStream_tbENKUlT_T0_E_clISt17integral_constantIbLb1EESZ_EEDaSU_SV_EUlSU_E0_NS1_11comp_targetILNS1_3genE8ELNS1_11target_archE1030ELNS1_3gpuE2ELNS1_3repE0EEENS1_30default_config_static_selectorELNS0_4arch9wavefront6targetE0EEEvT1_,@function
_ZN7rocprim17ROCPRIM_400000_NS6detail17trampoline_kernelINS0_14default_configENS1_20scan_config_selectorIN3c107complexIdEEEEZZNS1_9scan_implILNS1_25lookback_scan_determinismE0ELb0ELb0ES3_PKS7_PS7_S7_ZZZN2at6native31launch_logcumsumexp_cuda_kernelERKNSE_10TensorBaseESI_lENKUlvE_clEvENKUlvE1_clEvEUlS7_S7_E_S7_EEDaPvRmT3_T4_T5_mT6_P12ihipStream_tbENKUlT_T0_E_clISt17integral_constantIbLb1EESZ_EEDaSU_SV_EUlSU_E0_NS1_11comp_targetILNS1_3genE8ELNS1_11target_archE1030ELNS1_3gpuE2ELNS1_3repE0EEENS1_30default_config_static_selectorELNS0_4arch9wavefront6targetE0EEEvT1_: ; @_ZN7rocprim17ROCPRIM_400000_NS6detail17trampoline_kernelINS0_14default_configENS1_20scan_config_selectorIN3c107complexIdEEEEZZNS1_9scan_implILNS1_25lookback_scan_determinismE0ELb0ELb0ES3_PKS7_PS7_S7_ZZZN2at6native31launch_logcumsumexp_cuda_kernelERKNSE_10TensorBaseESI_lENKUlvE_clEvENKUlvE1_clEvEUlS7_S7_E_S7_EEDaPvRmT3_T4_T5_mT6_P12ihipStream_tbENKUlT_T0_E_clISt17integral_constantIbLb1EESZ_EEDaSU_SV_EUlSU_E0_NS1_11comp_targetILNS1_3genE8ELNS1_11target_archE1030ELNS1_3gpuE2ELNS1_3repE0EEENS1_30default_config_static_selectorELNS0_4arch9wavefront6targetE0EEEvT1_
; %bb.0:
	s_load_dwordx4 s[8:11], s[4:5], 0x0
	v_mov_b32_e32 v72, v0
	s_add_u32 s0, s0, s7
	s_addc_u32 s1, s1, 0
	s_mov_b32 s32, 0
	v_lshlrev_b32_e32 v73, 4, v72
	s_waitcnt lgkmcnt(0)
	s_load_dwordx4 s[12:15], s[8:9], 0x0
	v_cmp_gt_u32_e64 s27, s10, v72
	s_waitcnt lgkmcnt(0)
	v_mov_b32_e32 v2, s14
	v_mov_b32_e32 v0, s12
	;; [unrolled: 1-line block ×4, first 2 shown]
	s_and_saveexec_b32 s6, s27
	s_cbranch_execz .LBB220_2
; %bb.1:
	global_load_dwordx4 v[0:3], v73, s[8:9]
.LBB220_2:
	s_or_b32 exec_lo, exec_lo, s6
	v_or_b32_e32 v8, 0x100, v72
	v_mov_b32_e32 v6, s14
	v_mov_b32_e32 v4, s12
	;; [unrolled: 1-line block ×4, first 2 shown]
	v_cmp_gt_u32_e64 s33, s10, v8
	s_and_saveexec_b32 s6, s33
	s_cbranch_execz .LBB220_4
; %bb.3:
	v_lshlrev_b32_e32 v4, 4, v8
	global_load_dwordx4 v[4:7], v4, s[8:9]
.LBB220_4:
	s_or_b32 exec_lo, exec_lo, s6
	v_lshrrev_b32_e32 v9, 1, v72
	v_lshrrev_b32_e32 v8, 1, v8
	v_and_b32_e32 v10, 0xf0, v72
	v_lshlrev_b32_e32 v11, 5, v72
	s_load_dwordx2 s[34:35], s[4:5], 0x28
	v_and_b32_e32 v9, 0x70, v9
	v_and_b32_e32 v8, 0xf0, v8
	s_getpc_b64 s[36:37]
	s_add_u32 s36, s36, _ZZZZN2at6native31launch_logcumsumexp_cuda_kernelERKNS_10TensorBaseES3_lENKUlvE_clEvENKUlvE1_clEvENKUlN3c107complexIdEES8_E_clES8_S8_@rel32@lo+4
	s_addc_u32 s37, s37, _ZZZZN2at6native31launch_logcumsumexp_cuda_kernelERKNS_10TensorBaseES3_lENKUlvE_clEvENKUlvE1_clEvENKUlN3c107complexIdEES8_E_clES8_S8_@rel32@hi+12
	v_add_nc_u32_e32 v76, v10, v11
	v_add_nc_u32_e32 v74, v9, v73
	;; [unrolled: 1-line block ×3, first 2 shown]
	s_waitcnt vmcnt(0)
	ds_write_b128 v74, v[0:3]
	ds_write_b128 v75, v[4:7] offset:4096
	s_waitcnt lgkmcnt(0)
	s_barrier
	buffer_gl0_inv
	ds_read_b128 v[40:43], v76
	ds_read_b128 v[44:47], v76 offset:16
	s_waitcnt lgkmcnt(0)
	s_barrier
	buffer_gl0_inv
	v_mov_b32_e32 v0, v40
	v_mov_b32_e32 v1, v41
	;; [unrolled: 1-line block ×8, first 2 shown]
	s_swappc_b64 s[30:31], s[36:37]
	v_mov_b32_e32 v56, v0
	v_mov_b32_e32 v57, v1
	;; [unrolled: 1-line block ×4, first 2 shown]
	s_mov_b32 s38, exec_lo
	ds_write_b128 v74, v[56:59]
	s_waitcnt lgkmcnt(0)
	s_waitcnt_vscnt null, 0x0
	s_barrier
	buffer_gl0_inv
	v_cmpx_gt_u32_e32 32, v72
	s_cbranch_execz .LBB220_16
; %bb.5:
	v_lshlrev_b32_e32 v0, 2, v72
	v_lshlrev_b32_e32 v1, 7, v72
	v_and_b32_e32 v0, 0x3f0, v0
	v_add_nc_u32_e32 v77, v0, v1
	ds_read_b128 v[60:63], v77
	ds_read_b128 v[4:7], v77 offset:16
	s_waitcnt lgkmcnt(1)
	v_mov_b32_e32 v0, v60
	v_mov_b32_e32 v1, v61
	;; [unrolled: 1-line block ×4, first 2 shown]
	s_swappc_b64 s[30:31], s[36:37]
	ds_read_b128 v[4:7], v77 offset:32
	s_swappc_b64 s[30:31], s[36:37]
	ds_read_b128 v[4:7], v77 offset:48
	;; [unrolled: 2-line block ×6, first 2 shown]
	s_swappc_b64 s[30:31], s[36:37]
	v_mov_b32_e32 v4, v0
	v_mov_b32_e32 v5, v1
	;; [unrolled: 1-line block ×4, first 2 shown]
	v_mbcnt_lo_u32_b32 v78, -1, 0
	v_mov_b32_dpp v0, v4 row_shr:1 row_mask:0xf bank_mask:0xf
	v_mov_b32_dpp v1, v5 row_shr:1 row_mask:0xf bank_mask:0xf
	;; [unrolled: 1-line block ×4, first 2 shown]
	v_and_b32_e32 v79, 15, v78
	s_mov_b32 s36, exec_lo
	v_cmpx_ne_u32_e32 0, v79
	s_cbranch_execz .LBB220_7
; %bb.6:
	s_getpc_b64 s[4:5]
	s_add_u32 s4, s4, _ZZZZN2at6native31launch_logcumsumexp_cuda_kernelERKNS_10TensorBaseES3_lENKUlvE_clEvENKUlvE1_clEvENKUlN3c107complexIdEES8_E_clES8_S8_@rel32@lo+4
	s_addc_u32 s5, s5, _ZZZZN2at6native31launch_logcumsumexp_cuda_kernelERKNS_10TensorBaseES3_lENKUlvE_clEvENKUlvE1_clEvENKUlN3c107complexIdEES8_E_clES8_S8_@rel32@hi+12
	s_swappc_b64 s[30:31], s[4:5]
	v_mov_b32_e32 v4, v0
	v_mov_b32_e32 v5, v1
	v_mov_b32_e32 v6, v2
	v_mov_b32_e32 v7, v3
.LBB220_7:
	s_or_b32 exec_lo, exec_lo, s36
	v_mov_b32_dpp v0, v4 row_shr:2 row_mask:0xf bank_mask:0xf
	v_mov_b32_dpp v1, v5 row_shr:2 row_mask:0xf bank_mask:0xf
	v_mov_b32_dpp v2, v6 row_shr:2 row_mask:0xf bank_mask:0xf
	v_mov_b32_dpp v3, v7 row_shr:2 row_mask:0xf bank_mask:0xf
	s_mov_b32 s36, exec_lo
	v_cmpx_lt_u32_e32 1, v79
	s_cbranch_execz .LBB220_9
; %bb.8:
	s_getpc_b64 s[4:5]
	s_add_u32 s4, s4, _ZZZZN2at6native31launch_logcumsumexp_cuda_kernelERKNS_10TensorBaseES3_lENKUlvE_clEvENKUlvE1_clEvENKUlN3c107complexIdEES8_E_clES8_S8_@rel32@lo+4
	s_addc_u32 s5, s5, _ZZZZN2at6native31launch_logcumsumexp_cuda_kernelERKNS_10TensorBaseES3_lENKUlvE_clEvENKUlvE1_clEvENKUlN3c107complexIdEES8_E_clES8_S8_@rel32@hi+12
	s_swappc_b64 s[30:31], s[4:5]
	v_mov_b32_e32 v4, v0
	v_mov_b32_e32 v5, v1
	v_mov_b32_e32 v6, v2
	v_mov_b32_e32 v7, v3
.LBB220_9:
	s_or_b32 exec_lo, exec_lo, s36
	v_mov_b32_dpp v0, v4 row_shr:4 row_mask:0xf bank_mask:0xf
	v_mov_b32_dpp v1, v5 row_shr:4 row_mask:0xf bank_mask:0xf
	v_mov_b32_dpp v2, v6 row_shr:4 row_mask:0xf bank_mask:0xf
	v_mov_b32_dpp v3, v7 row_shr:4 row_mask:0xf bank_mask:0xf
	s_mov_b32 s36, exec_lo
	v_cmpx_lt_u32_e32 3, v79
	;; [unrolled: 18-line block ×3, first 2 shown]
	s_cbranch_execz .LBB220_13
; %bb.12:
	s_getpc_b64 s[4:5]
	s_add_u32 s4, s4, _ZZZZN2at6native31launch_logcumsumexp_cuda_kernelERKNS_10TensorBaseES3_lENKUlvE_clEvENKUlvE1_clEvENKUlN3c107complexIdEES8_E_clES8_S8_@rel32@lo+4
	s_addc_u32 s5, s5, _ZZZZN2at6native31launch_logcumsumexp_cuda_kernelERKNS_10TensorBaseES3_lENKUlvE_clEvENKUlvE1_clEvENKUlN3c107complexIdEES8_E_clES8_S8_@rel32@hi+12
	s_swappc_b64 s[30:31], s[4:5]
	v_mov_b32_e32 v4, v0
	v_mov_b32_e32 v5, v1
	;; [unrolled: 1-line block ×4, first 2 shown]
.LBB220_13:
	s_or_b32 exec_lo, exec_lo, s36
	ds_swizzle_b32 v0, v4 offset:swizzle(BROADCAST,32,15)
	ds_swizzle_b32 v1, v5 offset:swizzle(BROADCAST,32,15)
	;; [unrolled: 1-line block ×4, first 2 shown]
	v_and_b32_e32 v8, 16, v78
	s_mov_b32 s36, exec_lo
	v_cmpx_ne_u32_e32 0, v8
	s_cbranch_execz .LBB220_15
; %bb.14:
	s_getpc_b64 s[4:5]
	s_add_u32 s4, s4, _ZZZZN2at6native31launch_logcumsumexp_cuda_kernelERKNS_10TensorBaseES3_lENKUlvE_clEvENKUlvE1_clEvENKUlN3c107complexIdEES8_E_clES8_S8_@rel32@lo+4
	s_addc_u32 s5, s5, _ZZZZN2at6native31launch_logcumsumexp_cuda_kernelERKNS_10TensorBaseES3_lENKUlvE_clEvENKUlvE1_clEvENKUlN3c107complexIdEES8_E_clES8_S8_@rel32@hi+12
	s_swappc_b64 s[30:31], s[4:5]
	v_mov_b32_e32 v4, v0
	v_mov_b32_e32 v5, v1
	;; [unrolled: 1-line block ×4, first 2 shown]
.LBB220_15:
	s_or_b32 exec_lo, exec_lo, s36
	s_waitcnt lgkmcnt(3)
	v_add_nc_u32_e32 v0, -1, v78
	s_getpc_b64 s[36:37]
	s_add_u32 s36, s36, _ZZZZN2at6native31launch_logcumsumexp_cuda_kernelERKNS_10TensorBaseES3_lENKUlvE_clEvENKUlvE1_clEvENKUlN3c107complexIdEES8_E_clES8_S8_@rel32@lo+4
	s_addc_u32 s37, s37, _ZZZZN2at6native31launch_logcumsumexp_cuda_kernelERKNS_10TensorBaseES3_lENKUlvE_clEvENKUlvE1_clEvENKUlN3c107complexIdEES8_E_clES8_S8_@rel32@hi+12
	v_cmp_gt_i32_e32 vcc_lo, 0, v0
	v_cndmask_b32_e32 v0, v0, v78, vcc_lo
	s_waitcnt lgkmcnt(0)
	v_lshlrev_b32_e32 v3, 2, v0
	ds_bpermute_b32 v0, v3, v4
	ds_bpermute_b32 v1, v3, v5
	ds_bpermute_b32 v2, v3, v6
	ds_bpermute_b32 v3, v3, v7
	v_mov_b32_e32 v4, v60
	v_mov_b32_e32 v5, v61
	v_mov_b32_e32 v6, v62
	v_mov_b32_e32 v7, v63
	s_swappc_b64 s[30:31], s[36:37]
	v_cmp_eq_u32_e32 vcc_lo, 0, v72
	; wave barrier
	v_cndmask_b32_e32 v3, v3, v59, vcc_lo
	v_cndmask_b32_e32 v2, v2, v58, vcc_lo
	;; [unrolled: 1-line block ×4, first 2 shown]
	ds_write_b128 v77, v[0:3]
	; wave barrier
	ds_read_b128 v[4:7], v77 offset:16
	s_swappc_b64 s[30:31], s[36:37]
	ds_read_b128 v[4:7], v77 offset:32
	ds_write_b128 v77, v[0:3] offset:16
	s_swappc_b64 s[30:31], s[36:37]
	ds_read_b128 v[4:7], v77 offset:48
	ds_write_b128 v77, v[0:3] offset:32
	;; [unrolled: 3-line block ×6, first 2 shown]
	s_swappc_b64 s[30:31], s[36:37]
	ds_write_b128 v77, v[0:3] offset:112
.LBB220_16:
	s_or_b32 exec_lo, exec_lo, s38
	s_mov_b32 s36, exec_lo
	s_waitcnt lgkmcnt(0)
	s_waitcnt_vscnt null, 0x0
	s_barrier
	buffer_gl0_inv
	v_cmpx_ne_u32_e32 0, v72
	s_cbranch_execz .LBB220_18
; %bb.17:
	v_add_nc_u32_e32 v0, -1, v72
	v_mov_b32_e32 v4, v40
	v_mov_b32_e32 v5, v41
	;; [unrolled: 1-line block ×4, first 2 shown]
	v_lshrrev_b32_e32 v1, 1, v0
	s_getpc_b64 s[38:39]
	s_add_u32 s38, s38, _ZZZZN2at6native31launch_logcumsumexp_cuda_kernelERKNS_10TensorBaseES3_lENKUlvE_clEvENKUlvE1_clEvENKUlN3c107complexIdEES8_E_clES8_S8_@rel32@lo+4
	s_addc_u32 s39, s39, _ZZZZN2at6native31launch_logcumsumexp_cuda_kernelERKNS_10TensorBaseES3_lENKUlvE_clEvENKUlvE1_clEvENKUlN3c107complexIdEES8_E_clES8_S8_@rel32@hi+12
	v_and_b32_e32 v1, 0x7ffffff0, v1
	v_lshl_add_u32 v0, v0, 4, v1
	ds_read_b128 v[0:3], v0
	s_swappc_b64 s[30:31], s[38:39]
	v_mov_b32_e32 v4, v44
	v_mov_b32_e32 v5, v45
	;; [unrolled: 1-line block ×8, first 2 shown]
	;;#ASMSTART
	;;#ASMEND
	s_swappc_b64 s[30:31], s[38:39]
	v_mov_b32_e32 v56, v0
	v_mov_b32_e32 v57, v1
	;; [unrolled: 1-line block ×4, first 2 shown]
.LBB220_18:
	s_or_b32 exec_lo, exec_lo, s36
	s_waitcnt_vscnt null, 0x0
	s_barrier
	buffer_gl0_inv
	ds_write_b128 v76, v[40:43]
	ds_write_b128 v76, v[56:59] offset:16
	s_waitcnt lgkmcnt(0)
	s_barrier
	buffer_gl0_inv
	ds_read_b128 v[0:3], v75 offset:4096
	v_add_co_u32 v4, s4, s34, v73
	v_add_co_ci_u32_e64 v5, null, s35, 0, s4
	s_and_saveexec_b32 s4, s27
	s_cbranch_execnz .LBB220_21
; %bb.19:
	s_or_b32 exec_lo, exec_lo, s4
	s_and_saveexec_b32 s4, s33
	s_cbranch_execnz .LBB220_22
.LBB220_20:
	s_endpgm
.LBB220_21:
	ds_read_b128 v[6:9], v74
	s_waitcnt lgkmcnt(0)
	global_store_dwordx4 v[4:5], v[6:9], off
	s_or_b32 exec_lo, exec_lo, s4
	s_and_saveexec_b32 s4, s33
	s_cbranch_execz .LBB220_20
.LBB220_22:
	v_add_co_u32 v4, vcc_lo, 0x1000, v4
	v_add_co_ci_u32_e64 v5, null, 0, v5, vcc_lo
	s_waitcnt lgkmcnt(0)
	global_store_dwordx4 v[4:5], v[0:3], off
	s_endpgm
	.section	.rodata,"a",@progbits
	.p2align	6, 0x0
	.amdhsa_kernel _ZN7rocprim17ROCPRIM_400000_NS6detail17trampoline_kernelINS0_14default_configENS1_20scan_config_selectorIN3c107complexIdEEEEZZNS1_9scan_implILNS1_25lookback_scan_determinismE0ELb0ELb0ES3_PKS7_PS7_S7_ZZZN2at6native31launch_logcumsumexp_cuda_kernelERKNSE_10TensorBaseESI_lENKUlvE_clEvENKUlvE1_clEvEUlS7_S7_E_S7_EEDaPvRmT3_T4_T5_mT6_P12ihipStream_tbENKUlT_T0_E_clISt17integral_constantIbLb1EESZ_EEDaSU_SV_EUlSU_E0_NS1_11comp_targetILNS1_3genE8ELNS1_11target_archE1030ELNS1_3gpuE2ELNS1_3repE0EEENS1_30default_config_static_selectorELNS0_4arch9wavefront6targetE0EEEvT1_
		.amdhsa_group_segment_fixed_size 8448
		.amdhsa_private_segment_fixed_size 0
		.amdhsa_kernarg_size 48
		.amdhsa_user_sgpr_count 6
		.amdhsa_user_sgpr_private_segment_buffer 1
		.amdhsa_user_sgpr_dispatch_ptr 0
		.amdhsa_user_sgpr_queue_ptr 0
		.amdhsa_user_sgpr_kernarg_segment_ptr 1
		.amdhsa_user_sgpr_dispatch_id 0
		.amdhsa_user_sgpr_flat_scratch_init 0
		.amdhsa_user_sgpr_private_segment_size 0
		.amdhsa_wavefront_size32 1
		.amdhsa_uses_dynamic_stack 0
		.amdhsa_system_sgpr_private_segment_wavefront_offset 0
		.amdhsa_system_sgpr_workgroup_id_x 1
		.amdhsa_system_sgpr_workgroup_id_y 0
		.amdhsa_system_sgpr_workgroup_id_z 0
		.amdhsa_system_sgpr_workgroup_info 0
		.amdhsa_system_vgpr_workitem_id 0
		.amdhsa_next_free_vgpr 86
		.amdhsa_next_free_sgpr 42
		.amdhsa_reserve_vcc 1
		.amdhsa_reserve_flat_scratch 0
		.amdhsa_float_round_mode_32 0
		.amdhsa_float_round_mode_16_64 0
		.amdhsa_float_denorm_mode_32 3
		.amdhsa_float_denorm_mode_16_64 3
		.amdhsa_dx10_clamp 1
		.amdhsa_ieee_mode 1
		.amdhsa_fp16_overflow 0
		.amdhsa_workgroup_processor_mode 1
		.amdhsa_memory_ordered 1
		.amdhsa_forward_progress 1
		.amdhsa_shared_vgpr_count 0
		.amdhsa_exception_fp_ieee_invalid_op 0
		.amdhsa_exception_fp_denorm_src 0
		.amdhsa_exception_fp_ieee_div_zero 0
		.amdhsa_exception_fp_ieee_overflow 0
		.amdhsa_exception_fp_ieee_underflow 0
		.amdhsa_exception_fp_ieee_inexact 0
		.amdhsa_exception_int_div_zero 0
	.end_amdhsa_kernel
	.section	.text._ZN7rocprim17ROCPRIM_400000_NS6detail17trampoline_kernelINS0_14default_configENS1_20scan_config_selectorIN3c107complexIdEEEEZZNS1_9scan_implILNS1_25lookback_scan_determinismE0ELb0ELb0ES3_PKS7_PS7_S7_ZZZN2at6native31launch_logcumsumexp_cuda_kernelERKNSE_10TensorBaseESI_lENKUlvE_clEvENKUlvE1_clEvEUlS7_S7_E_S7_EEDaPvRmT3_T4_T5_mT6_P12ihipStream_tbENKUlT_T0_E_clISt17integral_constantIbLb1EESZ_EEDaSU_SV_EUlSU_E0_NS1_11comp_targetILNS1_3genE8ELNS1_11target_archE1030ELNS1_3gpuE2ELNS1_3repE0EEENS1_30default_config_static_selectorELNS0_4arch9wavefront6targetE0EEEvT1_,"axG",@progbits,_ZN7rocprim17ROCPRIM_400000_NS6detail17trampoline_kernelINS0_14default_configENS1_20scan_config_selectorIN3c107complexIdEEEEZZNS1_9scan_implILNS1_25lookback_scan_determinismE0ELb0ELb0ES3_PKS7_PS7_S7_ZZZN2at6native31launch_logcumsumexp_cuda_kernelERKNSE_10TensorBaseESI_lENKUlvE_clEvENKUlvE1_clEvEUlS7_S7_E_S7_EEDaPvRmT3_T4_T5_mT6_P12ihipStream_tbENKUlT_T0_E_clISt17integral_constantIbLb1EESZ_EEDaSU_SV_EUlSU_E0_NS1_11comp_targetILNS1_3genE8ELNS1_11target_archE1030ELNS1_3gpuE2ELNS1_3repE0EEENS1_30default_config_static_selectorELNS0_4arch9wavefront6targetE0EEEvT1_,comdat
.Lfunc_end220:
	.size	_ZN7rocprim17ROCPRIM_400000_NS6detail17trampoline_kernelINS0_14default_configENS1_20scan_config_selectorIN3c107complexIdEEEEZZNS1_9scan_implILNS1_25lookback_scan_determinismE0ELb0ELb0ES3_PKS7_PS7_S7_ZZZN2at6native31launch_logcumsumexp_cuda_kernelERKNSE_10TensorBaseESI_lENKUlvE_clEvENKUlvE1_clEvEUlS7_S7_E_S7_EEDaPvRmT3_T4_T5_mT6_P12ihipStream_tbENKUlT_T0_E_clISt17integral_constantIbLb1EESZ_EEDaSU_SV_EUlSU_E0_NS1_11comp_targetILNS1_3genE8ELNS1_11target_archE1030ELNS1_3gpuE2ELNS1_3repE0EEENS1_30default_config_static_selectorELNS0_4arch9wavefront6targetE0EEEvT1_, .Lfunc_end220-_ZN7rocprim17ROCPRIM_400000_NS6detail17trampoline_kernelINS0_14default_configENS1_20scan_config_selectorIN3c107complexIdEEEEZZNS1_9scan_implILNS1_25lookback_scan_determinismE0ELb0ELb0ES3_PKS7_PS7_S7_ZZZN2at6native31launch_logcumsumexp_cuda_kernelERKNSE_10TensorBaseESI_lENKUlvE_clEvENKUlvE1_clEvEUlS7_S7_E_S7_EEDaPvRmT3_T4_T5_mT6_P12ihipStream_tbENKUlT_T0_E_clISt17integral_constantIbLb1EESZ_EEDaSU_SV_EUlSU_E0_NS1_11comp_targetILNS1_3genE8ELNS1_11target_archE1030ELNS1_3gpuE2ELNS1_3repE0EEENS1_30default_config_static_selectorELNS0_4arch9wavefront6targetE0EEEvT1_
                                        ; -- End function
	.set _ZN7rocprim17ROCPRIM_400000_NS6detail17trampoline_kernelINS0_14default_configENS1_20scan_config_selectorIN3c107complexIdEEEEZZNS1_9scan_implILNS1_25lookback_scan_determinismE0ELb0ELb0ES3_PKS7_PS7_S7_ZZZN2at6native31launch_logcumsumexp_cuda_kernelERKNSE_10TensorBaseESI_lENKUlvE_clEvENKUlvE1_clEvEUlS7_S7_E_S7_EEDaPvRmT3_T4_T5_mT6_P12ihipStream_tbENKUlT_T0_E_clISt17integral_constantIbLb1EESZ_EEDaSU_SV_EUlSU_E0_NS1_11comp_targetILNS1_3genE8ELNS1_11target_archE1030ELNS1_3gpuE2ELNS1_3repE0EEENS1_30default_config_static_selectorELNS0_4arch9wavefront6targetE0EEEvT1_.num_vgpr, max(80, .L_ZZZZN2at6native31launch_logcumsumexp_cuda_kernelERKNS_10TensorBaseES3_lENKUlvE_clEvENKUlvE1_clEvENKUlN3c107complexIdEES8_E_clES8_S8_.num_vgpr)
	.set _ZN7rocprim17ROCPRIM_400000_NS6detail17trampoline_kernelINS0_14default_configENS1_20scan_config_selectorIN3c107complexIdEEEEZZNS1_9scan_implILNS1_25lookback_scan_determinismE0ELb0ELb0ES3_PKS7_PS7_S7_ZZZN2at6native31launch_logcumsumexp_cuda_kernelERKNSE_10TensorBaseESI_lENKUlvE_clEvENKUlvE1_clEvEUlS7_S7_E_S7_EEDaPvRmT3_T4_T5_mT6_P12ihipStream_tbENKUlT_T0_E_clISt17integral_constantIbLb1EESZ_EEDaSU_SV_EUlSU_E0_NS1_11comp_targetILNS1_3genE8ELNS1_11target_archE1030ELNS1_3gpuE2ELNS1_3repE0EEENS1_30default_config_static_selectorELNS0_4arch9wavefront6targetE0EEEvT1_.num_agpr, max(0, .L_ZZZZN2at6native31launch_logcumsumexp_cuda_kernelERKNS_10TensorBaseES3_lENKUlvE_clEvENKUlvE1_clEvENKUlN3c107complexIdEES8_E_clES8_S8_.num_agpr)
	.set _ZN7rocprim17ROCPRIM_400000_NS6detail17trampoline_kernelINS0_14default_configENS1_20scan_config_selectorIN3c107complexIdEEEEZZNS1_9scan_implILNS1_25lookback_scan_determinismE0ELb0ELb0ES3_PKS7_PS7_S7_ZZZN2at6native31launch_logcumsumexp_cuda_kernelERKNSE_10TensorBaseESI_lENKUlvE_clEvENKUlvE1_clEvEUlS7_S7_E_S7_EEDaPvRmT3_T4_T5_mT6_P12ihipStream_tbENKUlT_T0_E_clISt17integral_constantIbLb1EESZ_EEDaSU_SV_EUlSU_E0_NS1_11comp_targetILNS1_3genE8ELNS1_11target_archE1030ELNS1_3gpuE2ELNS1_3repE0EEENS1_30default_config_static_selectorELNS0_4arch9wavefront6targetE0EEEvT1_.numbered_sgpr, max(40, .L_ZZZZN2at6native31launch_logcumsumexp_cuda_kernelERKNS_10TensorBaseES3_lENKUlvE_clEvENKUlvE1_clEvENKUlN3c107complexIdEES8_E_clES8_S8_.numbered_sgpr)
	.set _ZN7rocprim17ROCPRIM_400000_NS6detail17trampoline_kernelINS0_14default_configENS1_20scan_config_selectorIN3c107complexIdEEEEZZNS1_9scan_implILNS1_25lookback_scan_determinismE0ELb0ELb0ES3_PKS7_PS7_S7_ZZZN2at6native31launch_logcumsumexp_cuda_kernelERKNSE_10TensorBaseESI_lENKUlvE_clEvENKUlvE1_clEvEUlS7_S7_E_S7_EEDaPvRmT3_T4_T5_mT6_P12ihipStream_tbENKUlT_T0_E_clISt17integral_constantIbLb1EESZ_EEDaSU_SV_EUlSU_E0_NS1_11comp_targetILNS1_3genE8ELNS1_11target_archE1030ELNS1_3gpuE2ELNS1_3repE0EEENS1_30default_config_static_selectorELNS0_4arch9wavefront6targetE0EEEvT1_.num_named_barrier, max(0, .L_ZZZZN2at6native31launch_logcumsumexp_cuda_kernelERKNS_10TensorBaseES3_lENKUlvE_clEvENKUlvE1_clEvENKUlN3c107complexIdEES8_E_clES8_S8_.num_named_barrier)
	.set _ZN7rocprim17ROCPRIM_400000_NS6detail17trampoline_kernelINS0_14default_configENS1_20scan_config_selectorIN3c107complexIdEEEEZZNS1_9scan_implILNS1_25lookback_scan_determinismE0ELb0ELb0ES3_PKS7_PS7_S7_ZZZN2at6native31launch_logcumsumexp_cuda_kernelERKNSE_10TensorBaseESI_lENKUlvE_clEvENKUlvE1_clEvEUlS7_S7_E_S7_EEDaPvRmT3_T4_T5_mT6_P12ihipStream_tbENKUlT_T0_E_clISt17integral_constantIbLb1EESZ_EEDaSU_SV_EUlSU_E0_NS1_11comp_targetILNS1_3genE8ELNS1_11target_archE1030ELNS1_3gpuE2ELNS1_3repE0EEENS1_30default_config_static_selectorELNS0_4arch9wavefront6targetE0EEEvT1_.private_seg_size, 0+max(.L_ZZZZN2at6native31launch_logcumsumexp_cuda_kernelERKNS_10TensorBaseES3_lENKUlvE_clEvENKUlvE1_clEvENKUlN3c107complexIdEES8_E_clES8_S8_.private_seg_size)
	.set _ZN7rocprim17ROCPRIM_400000_NS6detail17trampoline_kernelINS0_14default_configENS1_20scan_config_selectorIN3c107complexIdEEEEZZNS1_9scan_implILNS1_25lookback_scan_determinismE0ELb0ELb0ES3_PKS7_PS7_S7_ZZZN2at6native31launch_logcumsumexp_cuda_kernelERKNSE_10TensorBaseESI_lENKUlvE_clEvENKUlvE1_clEvEUlS7_S7_E_S7_EEDaPvRmT3_T4_T5_mT6_P12ihipStream_tbENKUlT_T0_E_clISt17integral_constantIbLb1EESZ_EEDaSU_SV_EUlSU_E0_NS1_11comp_targetILNS1_3genE8ELNS1_11target_archE1030ELNS1_3gpuE2ELNS1_3repE0EEENS1_30default_config_static_selectorELNS0_4arch9wavefront6targetE0EEEvT1_.uses_vcc, or(1, .L_ZZZZN2at6native31launch_logcumsumexp_cuda_kernelERKNS_10TensorBaseES3_lENKUlvE_clEvENKUlvE1_clEvENKUlN3c107complexIdEES8_E_clES8_S8_.uses_vcc)
	.set _ZN7rocprim17ROCPRIM_400000_NS6detail17trampoline_kernelINS0_14default_configENS1_20scan_config_selectorIN3c107complexIdEEEEZZNS1_9scan_implILNS1_25lookback_scan_determinismE0ELb0ELb0ES3_PKS7_PS7_S7_ZZZN2at6native31launch_logcumsumexp_cuda_kernelERKNSE_10TensorBaseESI_lENKUlvE_clEvENKUlvE1_clEvEUlS7_S7_E_S7_EEDaPvRmT3_T4_T5_mT6_P12ihipStream_tbENKUlT_T0_E_clISt17integral_constantIbLb1EESZ_EEDaSU_SV_EUlSU_E0_NS1_11comp_targetILNS1_3genE8ELNS1_11target_archE1030ELNS1_3gpuE2ELNS1_3repE0EEENS1_30default_config_static_selectorELNS0_4arch9wavefront6targetE0EEEvT1_.uses_flat_scratch, or(0, .L_ZZZZN2at6native31launch_logcumsumexp_cuda_kernelERKNS_10TensorBaseES3_lENKUlvE_clEvENKUlvE1_clEvENKUlN3c107complexIdEES8_E_clES8_S8_.uses_flat_scratch)
	.set _ZN7rocprim17ROCPRIM_400000_NS6detail17trampoline_kernelINS0_14default_configENS1_20scan_config_selectorIN3c107complexIdEEEEZZNS1_9scan_implILNS1_25lookback_scan_determinismE0ELb0ELb0ES3_PKS7_PS7_S7_ZZZN2at6native31launch_logcumsumexp_cuda_kernelERKNSE_10TensorBaseESI_lENKUlvE_clEvENKUlvE1_clEvEUlS7_S7_E_S7_EEDaPvRmT3_T4_T5_mT6_P12ihipStream_tbENKUlT_T0_E_clISt17integral_constantIbLb1EESZ_EEDaSU_SV_EUlSU_E0_NS1_11comp_targetILNS1_3genE8ELNS1_11target_archE1030ELNS1_3gpuE2ELNS1_3repE0EEENS1_30default_config_static_selectorELNS0_4arch9wavefront6targetE0EEEvT1_.has_dyn_sized_stack, or(0, .L_ZZZZN2at6native31launch_logcumsumexp_cuda_kernelERKNS_10TensorBaseES3_lENKUlvE_clEvENKUlvE1_clEvENKUlN3c107complexIdEES8_E_clES8_S8_.has_dyn_sized_stack)
	.set _ZN7rocprim17ROCPRIM_400000_NS6detail17trampoline_kernelINS0_14default_configENS1_20scan_config_selectorIN3c107complexIdEEEEZZNS1_9scan_implILNS1_25lookback_scan_determinismE0ELb0ELb0ES3_PKS7_PS7_S7_ZZZN2at6native31launch_logcumsumexp_cuda_kernelERKNSE_10TensorBaseESI_lENKUlvE_clEvENKUlvE1_clEvEUlS7_S7_E_S7_EEDaPvRmT3_T4_T5_mT6_P12ihipStream_tbENKUlT_T0_E_clISt17integral_constantIbLb1EESZ_EEDaSU_SV_EUlSU_E0_NS1_11comp_targetILNS1_3genE8ELNS1_11target_archE1030ELNS1_3gpuE2ELNS1_3repE0EEENS1_30default_config_static_selectorELNS0_4arch9wavefront6targetE0EEEvT1_.has_recursion, or(0, .L_ZZZZN2at6native31launch_logcumsumexp_cuda_kernelERKNS_10TensorBaseES3_lENKUlvE_clEvENKUlvE1_clEvENKUlN3c107complexIdEES8_E_clES8_S8_.has_recursion)
	.set _ZN7rocprim17ROCPRIM_400000_NS6detail17trampoline_kernelINS0_14default_configENS1_20scan_config_selectorIN3c107complexIdEEEEZZNS1_9scan_implILNS1_25lookback_scan_determinismE0ELb0ELb0ES3_PKS7_PS7_S7_ZZZN2at6native31launch_logcumsumexp_cuda_kernelERKNSE_10TensorBaseESI_lENKUlvE_clEvENKUlvE1_clEvEUlS7_S7_E_S7_EEDaPvRmT3_T4_T5_mT6_P12ihipStream_tbENKUlT_T0_E_clISt17integral_constantIbLb1EESZ_EEDaSU_SV_EUlSU_E0_NS1_11comp_targetILNS1_3genE8ELNS1_11target_archE1030ELNS1_3gpuE2ELNS1_3repE0EEENS1_30default_config_static_selectorELNS0_4arch9wavefront6targetE0EEEvT1_.has_indirect_call, or(0, .L_ZZZZN2at6native31launch_logcumsumexp_cuda_kernelERKNS_10TensorBaseES3_lENKUlvE_clEvENKUlvE1_clEvENKUlN3c107complexIdEES8_E_clES8_S8_.has_indirect_call)
	.section	.AMDGPU.csdata,"",@progbits
; Kernel info:
; codeLenInByte = 1576
; TotalNumSgprs: 44
; NumVgprs: 86
; ScratchSize: 0
; MemoryBound: 1
; FloatMode: 240
; IeeeMode: 1
; LDSByteSize: 8448 bytes/workgroup (compile time only)
; SGPRBlocks: 0
; VGPRBlocks: 10
; NumSGPRsForWavesPerEU: 44
; NumVGPRsForWavesPerEU: 86
; Occupancy: 10
; WaveLimiterHint : 0
; COMPUTE_PGM_RSRC2:SCRATCH_EN: 0
; COMPUTE_PGM_RSRC2:USER_SGPR: 6
; COMPUTE_PGM_RSRC2:TRAP_HANDLER: 0
; COMPUTE_PGM_RSRC2:TGID_X_EN: 1
; COMPUTE_PGM_RSRC2:TGID_Y_EN: 0
; COMPUTE_PGM_RSRC2:TGID_Z_EN: 0
; COMPUTE_PGM_RSRC2:TIDIG_COMP_CNT: 0
	.section	.text._ZN7rocprim17ROCPRIM_400000_NS6detail31init_lookback_scan_state_kernelINS1_19lookback_scan_stateIN3c107complexIdEELb1ELb0EEENS1_16block_id_wrapperIjLb0EEEEEvT_jT0_jPNSA_10value_typeE,"axG",@progbits,_ZN7rocprim17ROCPRIM_400000_NS6detail31init_lookback_scan_state_kernelINS1_19lookback_scan_stateIN3c107complexIdEELb1ELb0EEENS1_16block_id_wrapperIjLb0EEEEEvT_jT0_jPNSA_10value_typeE,comdat
	.protected	_ZN7rocprim17ROCPRIM_400000_NS6detail31init_lookback_scan_state_kernelINS1_19lookback_scan_stateIN3c107complexIdEELb1ELb0EEENS1_16block_id_wrapperIjLb0EEEEEvT_jT0_jPNSA_10value_typeE ; -- Begin function _ZN7rocprim17ROCPRIM_400000_NS6detail31init_lookback_scan_state_kernelINS1_19lookback_scan_stateIN3c107complexIdEELb1ELb0EEENS1_16block_id_wrapperIjLb0EEEEEvT_jT0_jPNSA_10value_typeE
	.globl	_ZN7rocprim17ROCPRIM_400000_NS6detail31init_lookback_scan_state_kernelINS1_19lookback_scan_stateIN3c107complexIdEELb1ELb0EEENS1_16block_id_wrapperIjLb0EEEEEvT_jT0_jPNSA_10value_typeE
	.p2align	8
	.type	_ZN7rocprim17ROCPRIM_400000_NS6detail31init_lookback_scan_state_kernelINS1_19lookback_scan_stateIN3c107complexIdEELb1ELb0EEENS1_16block_id_wrapperIjLb0EEEEEvT_jT0_jPNSA_10value_typeE,@function
_ZN7rocprim17ROCPRIM_400000_NS6detail31init_lookback_scan_state_kernelINS1_19lookback_scan_stateIN3c107complexIdEELb1ELb0EEENS1_16block_id_wrapperIjLb0EEEEEvT_jT0_jPNSA_10value_typeE: ; @_ZN7rocprim17ROCPRIM_400000_NS6detail31init_lookback_scan_state_kernelINS1_19lookback_scan_stateIN3c107complexIdEELb1ELb0EEENS1_16block_id_wrapperIjLb0EEEEEvT_jT0_jPNSA_10value_typeE
; %bb.0:
	s_clause 0x3
	s_load_dword s0, s[4:5], 0x3c
	s_load_dwordx2 s[10:11], s[4:5], 0x28
	s_load_dwordx2 s[8:9], s[4:5], 0x10
	s_load_dword s12, s[4:5], 0x18
	s_waitcnt lgkmcnt(0)
	s_and_b32 s0, s0, 0xffff
	s_cmp_eq_u64 s[10:11], 0
	v_mad_u64_u32 v[0:1], null, s6, s0, v[0:1]
	s_cbranch_scc1 .LBB221_9
; %bb.1:
	s_load_dword s0, s[4:5], 0x20
	s_mov_b32 s7, 0
	s_mov_b32 s13, exec_lo
	s_waitcnt lgkmcnt(0)
	s_cmp_lt_u32 s0, s12
	s_cselect_b32 s1, s0, 0
	v_cmpx_eq_u32_e64 s1, v0
	s_cbranch_execz .LBB221_8
; %bb.2:
	s_add_i32 s6, s0, 32
	s_load_dwordx4 s[0:3], s[4:5], 0x0
	v_mov_b32_e32 v1, s6
	s_add_u32 s4, s8, s6
	s_addc_u32 s5, s9, 0
	global_load_ubyte v2, v1, s[8:9] glc dlc
	v_mov_b32_e32 v1, 0
	s_waitcnt vmcnt(0)
	v_cmp_ne_u32_sdwa s14, v2, v1 src0_sel:WORD_0 src1_sel:DWORD
	v_readfirstlane_b32 s15, v2
	s_and_b32 vcc_lo, exec_lo, s14
	s_cbranch_vccnz .LBB221_7
; %bb.3:
	s_mov_b32 s14, 1
.LBB221_4:                              ; =>This Loop Header: Depth=1
                                        ;     Child Loop BB221_5 Depth 2
	s_mov_b32 s15, s14
.LBB221_5:                              ;   Parent Loop BB221_4 Depth=1
                                        ; =>  This Inner Loop Header: Depth=2
	s_add_i32 s15, s15, -1
	s_sleep 1
	s_cmp_eq_u32 s15, 0
	s_cbranch_scc0 .LBB221_5
; %bb.6:                                ;   in Loop: Header=BB221_4 Depth=1
	global_load_ubyte v2, v1, s[4:5] glc dlc
	s_cmp_lt_u32 s14, 32
	s_cselect_b32 s15, -1, 0
	s_cmp_lg_u32 s15, 0
	s_addc_u32 s14, s14, 0
	s_waitcnt vmcnt(0)
	v_cmp_ne_u32_sdwa s16, v2, v1 src0_sel:WORD_0 src1_sel:DWORD
	v_readfirstlane_b32 s15, v2
	s_and_b32 vcc_lo, exec_lo, s16
	s_cbranch_vccz .LBB221_4
.LBB221_7:
	s_and_b32 s4, 0xffff, s15
	v_mov_b32_e32 v5, 0
	s_cmp_eq_u32 s4, 1
	s_waitcnt lgkmcnt(0)
	buffer_gl1_inv
	buffer_gl0_inv
	s_cselect_b32 s3, s1, s3
	s_cselect_b32 s2, s0, s2
	s_lshl_b64 s[0:1], s[6:7], 4
	s_add_u32 s0, s2, s0
	s_addc_u32 s1, s3, s1
	global_load_dwordx4 v[1:4], v5, s[0:1]
	s_waitcnt vmcnt(0)
	global_store_dwordx4 v5, v[1:4], s[10:11]
.LBB221_8:
	s_or_b32 exec_lo, exec_lo, s13
.LBB221_9:
	s_mov_b32 s0, exec_lo
	v_cmpx_gt_u32_e64 s12, v0
	s_cbranch_execz .LBB221_11
; %bb.10:
	v_add_nc_u32_e32 v1, 32, v0
	v_mov_b32_e32 v2, 0
	global_store_byte v1, v2, s[8:9]
.LBB221_11:
	s_or_b32 exec_lo, exec_lo, s0
	s_mov_b32 s0, exec_lo
	v_cmpx_gt_u32_e32 32, v0
	s_cbranch_execz .LBB221_13
; %bb.12:
	v_mov_b32_e32 v1, 0xff
	global_store_byte v0, v1, s[8:9]
.LBB221_13:
	s_endpgm
	.section	.rodata,"a",@progbits
	.p2align	6, 0x0
	.amdhsa_kernel _ZN7rocprim17ROCPRIM_400000_NS6detail31init_lookback_scan_state_kernelINS1_19lookback_scan_stateIN3c107complexIdEELb1ELb0EEENS1_16block_id_wrapperIjLb0EEEEEvT_jT0_jPNSA_10value_typeE
		.amdhsa_group_segment_fixed_size 0
		.amdhsa_private_segment_fixed_size 0
		.amdhsa_kernarg_size 304
		.amdhsa_user_sgpr_count 6
		.amdhsa_user_sgpr_private_segment_buffer 1
		.amdhsa_user_sgpr_dispatch_ptr 0
		.amdhsa_user_sgpr_queue_ptr 0
		.amdhsa_user_sgpr_kernarg_segment_ptr 1
		.amdhsa_user_sgpr_dispatch_id 0
		.amdhsa_user_sgpr_flat_scratch_init 0
		.amdhsa_user_sgpr_private_segment_size 0
		.amdhsa_wavefront_size32 1
		.amdhsa_uses_dynamic_stack 0
		.amdhsa_system_sgpr_private_segment_wavefront_offset 0
		.amdhsa_system_sgpr_workgroup_id_x 1
		.amdhsa_system_sgpr_workgroup_id_y 0
		.amdhsa_system_sgpr_workgroup_id_z 0
		.amdhsa_system_sgpr_workgroup_info 0
		.amdhsa_system_vgpr_workitem_id 0
		.amdhsa_next_free_vgpr 6
		.amdhsa_next_free_sgpr 17
		.amdhsa_reserve_vcc 1
		.amdhsa_reserve_flat_scratch 0
		.amdhsa_float_round_mode_32 0
		.amdhsa_float_round_mode_16_64 0
		.amdhsa_float_denorm_mode_32 3
		.amdhsa_float_denorm_mode_16_64 3
		.amdhsa_dx10_clamp 1
		.amdhsa_ieee_mode 1
		.amdhsa_fp16_overflow 0
		.amdhsa_workgroup_processor_mode 1
		.amdhsa_memory_ordered 1
		.amdhsa_forward_progress 1
		.amdhsa_shared_vgpr_count 0
		.amdhsa_exception_fp_ieee_invalid_op 0
		.amdhsa_exception_fp_denorm_src 0
		.amdhsa_exception_fp_ieee_div_zero 0
		.amdhsa_exception_fp_ieee_overflow 0
		.amdhsa_exception_fp_ieee_underflow 0
		.amdhsa_exception_fp_ieee_inexact 0
		.amdhsa_exception_int_div_zero 0
	.end_amdhsa_kernel
	.section	.text._ZN7rocprim17ROCPRIM_400000_NS6detail31init_lookback_scan_state_kernelINS1_19lookback_scan_stateIN3c107complexIdEELb1ELb0EEENS1_16block_id_wrapperIjLb0EEEEEvT_jT0_jPNSA_10value_typeE,"axG",@progbits,_ZN7rocprim17ROCPRIM_400000_NS6detail31init_lookback_scan_state_kernelINS1_19lookback_scan_stateIN3c107complexIdEELb1ELb0EEENS1_16block_id_wrapperIjLb0EEEEEvT_jT0_jPNSA_10value_typeE,comdat
.Lfunc_end221:
	.size	_ZN7rocprim17ROCPRIM_400000_NS6detail31init_lookback_scan_state_kernelINS1_19lookback_scan_stateIN3c107complexIdEELb1ELb0EEENS1_16block_id_wrapperIjLb0EEEEEvT_jT0_jPNSA_10value_typeE, .Lfunc_end221-_ZN7rocprim17ROCPRIM_400000_NS6detail31init_lookback_scan_state_kernelINS1_19lookback_scan_stateIN3c107complexIdEELb1ELb0EEENS1_16block_id_wrapperIjLb0EEEEEvT_jT0_jPNSA_10value_typeE
                                        ; -- End function
	.set _ZN7rocprim17ROCPRIM_400000_NS6detail31init_lookback_scan_state_kernelINS1_19lookback_scan_stateIN3c107complexIdEELb1ELb0EEENS1_16block_id_wrapperIjLb0EEEEEvT_jT0_jPNSA_10value_typeE.num_vgpr, 6
	.set _ZN7rocprim17ROCPRIM_400000_NS6detail31init_lookback_scan_state_kernelINS1_19lookback_scan_stateIN3c107complexIdEELb1ELb0EEENS1_16block_id_wrapperIjLb0EEEEEvT_jT0_jPNSA_10value_typeE.num_agpr, 0
	.set _ZN7rocprim17ROCPRIM_400000_NS6detail31init_lookback_scan_state_kernelINS1_19lookback_scan_stateIN3c107complexIdEELb1ELb0EEENS1_16block_id_wrapperIjLb0EEEEEvT_jT0_jPNSA_10value_typeE.numbered_sgpr, 17
	.set _ZN7rocprim17ROCPRIM_400000_NS6detail31init_lookback_scan_state_kernelINS1_19lookback_scan_stateIN3c107complexIdEELb1ELb0EEENS1_16block_id_wrapperIjLb0EEEEEvT_jT0_jPNSA_10value_typeE.num_named_barrier, 0
	.set _ZN7rocprim17ROCPRIM_400000_NS6detail31init_lookback_scan_state_kernelINS1_19lookback_scan_stateIN3c107complexIdEELb1ELb0EEENS1_16block_id_wrapperIjLb0EEEEEvT_jT0_jPNSA_10value_typeE.private_seg_size, 0
	.set _ZN7rocprim17ROCPRIM_400000_NS6detail31init_lookback_scan_state_kernelINS1_19lookback_scan_stateIN3c107complexIdEELb1ELb0EEENS1_16block_id_wrapperIjLb0EEEEEvT_jT0_jPNSA_10value_typeE.uses_vcc, 1
	.set _ZN7rocprim17ROCPRIM_400000_NS6detail31init_lookback_scan_state_kernelINS1_19lookback_scan_stateIN3c107complexIdEELb1ELb0EEENS1_16block_id_wrapperIjLb0EEEEEvT_jT0_jPNSA_10value_typeE.uses_flat_scratch, 0
	.set _ZN7rocprim17ROCPRIM_400000_NS6detail31init_lookback_scan_state_kernelINS1_19lookback_scan_stateIN3c107complexIdEELb1ELb0EEENS1_16block_id_wrapperIjLb0EEEEEvT_jT0_jPNSA_10value_typeE.has_dyn_sized_stack, 0
	.set _ZN7rocprim17ROCPRIM_400000_NS6detail31init_lookback_scan_state_kernelINS1_19lookback_scan_stateIN3c107complexIdEELb1ELb0EEENS1_16block_id_wrapperIjLb0EEEEEvT_jT0_jPNSA_10value_typeE.has_recursion, 0
	.set _ZN7rocprim17ROCPRIM_400000_NS6detail31init_lookback_scan_state_kernelINS1_19lookback_scan_stateIN3c107complexIdEELb1ELb0EEENS1_16block_id_wrapperIjLb0EEEEEvT_jT0_jPNSA_10value_typeE.has_indirect_call, 0
	.section	.AMDGPU.csdata,"",@progbits
; Kernel info:
; codeLenInByte = 384
; TotalNumSgprs: 19
; NumVgprs: 6
; ScratchSize: 0
; MemoryBound: 0
; FloatMode: 240
; IeeeMode: 1
; LDSByteSize: 0 bytes/workgroup (compile time only)
; SGPRBlocks: 0
; VGPRBlocks: 0
; NumSGPRsForWavesPerEU: 19
; NumVGPRsForWavesPerEU: 6
; Occupancy: 16
; WaveLimiterHint : 0
; COMPUTE_PGM_RSRC2:SCRATCH_EN: 0
; COMPUTE_PGM_RSRC2:USER_SGPR: 6
; COMPUTE_PGM_RSRC2:TRAP_HANDLER: 0
; COMPUTE_PGM_RSRC2:TGID_X_EN: 1
; COMPUTE_PGM_RSRC2:TGID_Y_EN: 0
; COMPUTE_PGM_RSRC2:TGID_Z_EN: 0
; COMPUTE_PGM_RSRC2:TIDIG_COMP_CNT: 0
	.section	.text._ZN7rocprim17ROCPRIM_400000_NS6detail17trampoline_kernelINS0_14default_configENS1_20scan_config_selectorIN3c107complexIdEEEEZZNS1_9scan_implILNS1_25lookback_scan_determinismE0ELb0ELb0ES3_PKS7_PS7_S7_ZZZN2at6native31launch_logcumsumexp_cuda_kernelERKNSE_10TensorBaseESI_lENKUlvE_clEvENKUlvE1_clEvEUlS7_S7_E_S7_EEDaPvRmT3_T4_T5_mT6_P12ihipStream_tbENKUlT_T0_E_clISt17integral_constantIbLb1EESY_IbLb0EEEEDaSU_SV_EUlSU_E_NS1_11comp_targetILNS1_3genE0ELNS1_11target_archE4294967295ELNS1_3gpuE0ELNS1_3repE0EEENS1_30default_config_static_selectorELNS0_4arch9wavefront6targetE0EEEvT1_,"axG",@progbits,_ZN7rocprim17ROCPRIM_400000_NS6detail17trampoline_kernelINS0_14default_configENS1_20scan_config_selectorIN3c107complexIdEEEEZZNS1_9scan_implILNS1_25lookback_scan_determinismE0ELb0ELb0ES3_PKS7_PS7_S7_ZZZN2at6native31launch_logcumsumexp_cuda_kernelERKNSE_10TensorBaseESI_lENKUlvE_clEvENKUlvE1_clEvEUlS7_S7_E_S7_EEDaPvRmT3_T4_T5_mT6_P12ihipStream_tbENKUlT_T0_E_clISt17integral_constantIbLb1EESY_IbLb0EEEEDaSU_SV_EUlSU_E_NS1_11comp_targetILNS1_3genE0ELNS1_11target_archE4294967295ELNS1_3gpuE0ELNS1_3repE0EEENS1_30default_config_static_selectorELNS0_4arch9wavefront6targetE0EEEvT1_,comdat
	.globl	_ZN7rocprim17ROCPRIM_400000_NS6detail17trampoline_kernelINS0_14default_configENS1_20scan_config_selectorIN3c107complexIdEEEEZZNS1_9scan_implILNS1_25lookback_scan_determinismE0ELb0ELb0ES3_PKS7_PS7_S7_ZZZN2at6native31launch_logcumsumexp_cuda_kernelERKNSE_10TensorBaseESI_lENKUlvE_clEvENKUlvE1_clEvEUlS7_S7_E_S7_EEDaPvRmT3_T4_T5_mT6_P12ihipStream_tbENKUlT_T0_E_clISt17integral_constantIbLb1EESY_IbLb0EEEEDaSU_SV_EUlSU_E_NS1_11comp_targetILNS1_3genE0ELNS1_11target_archE4294967295ELNS1_3gpuE0ELNS1_3repE0EEENS1_30default_config_static_selectorELNS0_4arch9wavefront6targetE0EEEvT1_ ; -- Begin function _ZN7rocprim17ROCPRIM_400000_NS6detail17trampoline_kernelINS0_14default_configENS1_20scan_config_selectorIN3c107complexIdEEEEZZNS1_9scan_implILNS1_25lookback_scan_determinismE0ELb0ELb0ES3_PKS7_PS7_S7_ZZZN2at6native31launch_logcumsumexp_cuda_kernelERKNSE_10TensorBaseESI_lENKUlvE_clEvENKUlvE1_clEvEUlS7_S7_E_S7_EEDaPvRmT3_T4_T5_mT6_P12ihipStream_tbENKUlT_T0_E_clISt17integral_constantIbLb1EESY_IbLb0EEEEDaSU_SV_EUlSU_E_NS1_11comp_targetILNS1_3genE0ELNS1_11target_archE4294967295ELNS1_3gpuE0ELNS1_3repE0EEENS1_30default_config_static_selectorELNS0_4arch9wavefront6targetE0EEEvT1_
	.p2align	8
	.type	_ZN7rocprim17ROCPRIM_400000_NS6detail17trampoline_kernelINS0_14default_configENS1_20scan_config_selectorIN3c107complexIdEEEEZZNS1_9scan_implILNS1_25lookback_scan_determinismE0ELb0ELb0ES3_PKS7_PS7_S7_ZZZN2at6native31launch_logcumsumexp_cuda_kernelERKNSE_10TensorBaseESI_lENKUlvE_clEvENKUlvE1_clEvEUlS7_S7_E_S7_EEDaPvRmT3_T4_T5_mT6_P12ihipStream_tbENKUlT_T0_E_clISt17integral_constantIbLb1EESY_IbLb0EEEEDaSU_SV_EUlSU_E_NS1_11comp_targetILNS1_3genE0ELNS1_11target_archE4294967295ELNS1_3gpuE0ELNS1_3repE0EEENS1_30default_config_static_selectorELNS0_4arch9wavefront6targetE0EEEvT1_,@function
_ZN7rocprim17ROCPRIM_400000_NS6detail17trampoline_kernelINS0_14default_configENS1_20scan_config_selectorIN3c107complexIdEEEEZZNS1_9scan_implILNS1_25lookback_scan_determinismE0ELb0ELb0ES3_PKS7_PS7_S7_ZZZN2at6native31launch_logcumsumexp_cuda_kernelERKNSE_10TensorBaseESI_lENKUlvE_clEvENKUlvE1_clEvEUlS7_S7_E_S7_EEDaPvRmT3_T4_T5_mT6_P12ihipStream_tbENKUlT_T0_E_clISt17integral_constantIbLb1EESY_IbLb0EEEEDaSU_SV_EUlSU_E_NS1_11comp_targetILNS1_3genE0ELNS1_11target_archE4294967295ELNS1_3gpuE0ELNS1_3repE0EEENS1_30default_config_static_selectorELNS0_4arch9wavefront6targetE0EEEvT1_: ; @_ZN7rocprim17ROCPRIM_400000_NS6detail17trampoline_kernelINS0_14default_configENS1_20scan_config_selectorIN3c107complexIdEEEEZZNS1_9scan_implILNS1_25lookback_scan_determinismE0ELb0ELb0ES3_PKS7_PS7_S7_ZZZN2at6native31launch_logcumsumexp_cuda_kernelERKNSE_10TensorBaseESI_lENKUlvE_clEvENKUlvE1_clEvEUlS7_S7_E_S7_EEDaPvRmT3_T4_T5_mT6_P12ihipStream_tbENKUlT_T0_E_clISt17integral_constantIbLb1EESY_IbLb0EEEEDaSU_SV_EUlSU_E_NS1_11comp_targetILNS1_3genE0ELNS1_11target_archE4294967295ELNS1_3gpuE0ELNS1_3repE0EEENS1_30default_config_static_selectorELNS0_4arch9wavefront6targetE0EEEvT1_
; %bb.0:
	.section	.rodata,"a",@progbits
	.p2align	6, 0x0
	.amdhsa_kernel _ZN7rocprim17ROCPRIM_400000_NS6detail17trampoline_kernelINS0_14default_configENS1_20scan_config_selectorIN3c107complexIdEEEEZZNS1_9scan_implILNS1_25lookback_scan_determinismE0ELb0ELb0ES3_PKS7_PS7_S7_ZZZN2at6native31launch_logcumsumexp_cuda_kernelERKNSE_10TensorBaseESI_lENKUlvE_clEvENKUlvE1_clEvEUlS7_S7_E_S7_EEDaPvRmT3_T4_T5_mT6_P12ihipStream_tbENKUlT_T0_E_clISt17integral_constantIbLb1EESY_IbLb0EEEEDaSU_SV_EUlSU_E_NS1_11comp_targetILNS1_3genE0ELNS1_11target_archE4294967295ELNS1_3gpuE0ELNS1_3repE0EEENS1_30default_config_static_selectorELNS0_4arch9wavefront6targetE0EEEvT1_
		.amdhsa_group_segment_fixed_size 0
		.amdhsa_private_segment_fixed_size 0
		.amdhsa_kernarg_size 128
		.amdhsa_user_sgpr_count 6
		.amdhsa_user_sgpr_private_segment_buffer 1
		.amdhsa_user_sgpr_dispatch_ptr 0
		.amdhsa_user_sgpr_queue_ptr 0
		.amdhsa_user_sgpr_kernarg_segment_ptr 1
		.amdhsa_user_sgpr_dispatch_id 0
		.amdhsa_user_sgpr_flat_scratch_init 0
		.amdhsa_user_sgpr_private_segment_size 0
		.amdhsa_wavefront_size32 1
		.amdhsa_uses_dynamic_stack 0
		.amdhsa_system_sgpr_private_segment_wavefront_offset 0
		.amdhsa_system_sgpr_workgroup_id_x 1
		.amdhsa_system_sgpr_workgroup_id_y 0
		.amdhsa_system_sgpr_workgroup_id_z 0
		.amdhsa_system_sgpr_workgroup_info 0
		.amdhsa_system_vgpr_workitem_id 0
		.amdhsa_next_free_vgpr 1
		.amdhsa_next_free_sgpr 1
		.amdhsa_reserve_vcc 0
		.amdhsa_reserve_flat_scratch 0
		.amdhsa_float_round_mode_32 0
		.amdhsa_float_round_mode_16_64 0
		.amdhsa_float_denorm_mode_32 3
		.amdhsa_float_denorm_mode_16_64 3
		.amdhsa_dx10_clamp 1
		.amdhsa_ieee_mode 1
		.amdhsa_fp16_overflow 0
		.amdhsa_workgroup_processor_mode 1
		.amdhsa_memory_ordered 1
		.amdhsa_forward_progress 1
		.amdhsa_shared_vgpr_count 0
		.amdhsa_exception_fp_ieee_invalid_op 0
		.amdhsa_exception_fp_denorm_src 0
		.amdhsa_exception_fp_ieee_div_zero 0
		.amdhsa_exception_fp_ieee_overflow 0
		.amdhsa_exception_fp_ieee_underflow 0
		.amdhsa_exception_fp_ieee_inexact 0
		.amdhsa_exception_int_div_zero 0
	.end_amdhsa_kernel
	.section	.text._ZN7rocprim17ROCPRIM_400000_NS6detail17trampoline_kernelINS0_14default_configENS1_20scan_config_selectorIN3c107complexIdEEEEZZNS1_9scan_implILNS1_25lookback_scan_determinismE0ELb0ELb0ES3_PKS7_PS7_S7_ZZZN2at6native31launch_logcumsumexp_cuda_kernelERKNSE_10TensorBaseESI_lENKUlvE_clEvENKUlvE1_clEvEUlS7_S7_E_S7_EEDaPvRmT3_T4_T5_mT6_P12ihipStream_tbENKUlT_T0_E_clISt17integral_constantIbLb1EESY_IbLb0EEEEDaSU_SV_EUlSU_E_NS1_11comp_targetILNS1_3genE0ELNS1_11target_archE4294967295ELNS1_3gpuE0ELNS1_3repE0EEENS1_30default_config_static_selectorELNS0_4arch9wavefront6targetE0EEEvT1_,"axG",@progbits,_ZN7rocprim17ROCPRIM_400000_NS6detail17trampoline_kernelINS0_14default_configENS1_20scan_config_selectorIN3c107complexIdEEEEZZNS1_9scan_implILNS1_25lookback_scan_determinismE0ELb0ELb0ES3_PKS7_PS7_S7_ZZZN2at6native31launch_logcumsumexp_cuda_kernelERKNSE_10TensorBaseESI_lENKUlvE_clEvENKUlvE1_clEvEUlS7_S7_E_S7_EEDaPvRmT3_T4_T5_mT6_P12ihipStream_tbENKUlT_T0_E_clISt17integral_constantIbLb1EESY_IbLb0EEEEDaSU_SV_EUlSU_E_NS1_11comp_targetILNS1_3genE0ELNS1_11target_archE4294967295ELNS1_3gpuE0ELNS1_3repE0EEENS1_30default_config_static_selectorELNS0_4arch9wavefront6targetE0EEEvT1_,comdat
.Lfunc_end222:
	.size	_ZN7rocprim17ROCPRIM_400000_NS6detail17trampoline_kernelINS0_14default_configENS1_20scan_config_selectorIN3c107complexIdEEEEZZNS1_9scan_implILNS1_25lookback_scan_determinismE0ELb0ELb0ES3_PKS7_PS7_S7_ZZZN2at6native31launch_logcumsumexp_cuda_kernelERKNSE_10TensorBaseESI_lENKUlvE_clEvENKUlvE1_clEvEUlS7_S7_E_S7_EEDaPvRmT3_T4_T5_mT6_P12ihipStream_tbENKUlT_T0_E_clISt17integral_constantIbLb1EESY_IbLb0EEEEDaSU_SV_EUlSU_E_NS1_11comp_targetILNS1_3genE0ELNS1_11target_archE4294967295ELNS1_3gpuE0ELNS1_3repE0EEENS1_30default_config_static_selectorELNS0_4arch9wavefront6targetE0EEEvT1_, .Lfunc_end222-_ZN7rocprim17ROCPRIM_400000_NS6detail17trampoline_kernelINS0_14default_configENS1_20scan_config_selectorIN3c107complexIdEEEEZZNS1_9scan_implILNS1_25lookback_scan_determinismE0ELb0ELb0ES3_PKS7_PS7_S7_ZZZN2at6native31launch_logcumsumexp_cuda_kernelERKNSE_10TensorBaseESI_lENKUlvE_clEvENKUlvE1_clEvEUlS7_S7_E_S7_EEDaPvRmT3_T4_T5_mT6_P12ihipStream_tbENKUlT_T0_E_clISt17integral_constantIbLb1EESY_IbLb0EEEEDaSU_SV_EUlSU_E_NS1_11comp_targetILNS1_3genE0ELNS1_11target_archE4294967295ELNS1_3gpuE0ELNS1_3repE0EEENS1_30default_config_static_selectorELNS0_4arch9wavefront6targetE0EEEvT1_
                                        ; -- End function
	.set _ZN7rocprim17ROCPRIM_400000_NS6detail17trampoline_kernelINS0_14default_configENS1_20scan_config_selectorIN3c107complexIdEEEEZZNS1_9scan_implILNS1_25lookback_scan_determinismE0ELb0ELb0ES3_PKS7_PS7_S7_ZZZN2at6native31launch_logcumsumexp_cuda_kernelERKNSE_10TensorBaseESI_lENKUlvE_clEvENKUlvE1_clEvEUlS7_S7_E_S7_EEDaPvRmT3_T4_T5_mT6_P12ihipStream_tbENKUlT_T0_E_clISt17integral_constantIbLb1EESY_IbLb0EEEEDaSU_SV_EUlSU_E_NS1_11comp_targetILNS1_3genE0ELNS1_11target_archE4294967295ELNS1_3gpuE0ELNS1_3repE0EEENS1_30default_config_static_selectorELNS0_4arch9wavefront6targetE0EEEvT1_.num_vgpr, 0
	.set _ZN7rocprim17ROCPRIM_400000_NS6detail17trampoline_kernelINS0_14default_configENS1_20scan_config_selectorIN3c107complexIdEEEEZZNS1_9scan_implILNS1_25lookback_scan_determinismE0ELb0ELb0ES3_PKS7_PS7_S7_ZZZN2at6native31launch_logcumsumexp_cuda_kernelERKNSE_10TensorBaseESI_lENKUlvE_clEvENKUlvE1_clEvEUlS7_S7_E_S7_EEDaPvRmT3_T4_T5_mT6_P12ihipStream_tbENKUlT_T0_E_clISt17integral_constantIbLb1EESY_IbLb0EEEEDaSU_SV_EUlSU_E_NS1_11comp_targetILNS1_3genE0ELNS1_11target_archE4294967295ELNS1_3gpuE0ELNS1_3repE0EEENS1_30default_config_static_selectorELNS0_4arch9wavefront6targetE0EEEvT1_.num_agpr, 0
	.set _ZN7rocprim17ROCPRIM_400000_NS6detail17trampoline_kernelINS0_14default_configENS1_20scan_config_selectorIN3c107complexIdEEEEZZNS1_9scan_implILNS1_25lookback_scan_determinismE0ELb0ELb0ES3_PKS7_PS7_S7_ZZZN2at6native31launch_logcumsumexp_cuda_kernelERKNSE_10TensorBaseESI_lENKUlvE_clEvENKUlvE1_clEvEUlS7_S7_E_S7_EEDaPvRmT3_T4_T5_mT6_P12ihipStream_tbENKUlT_T0_E_clISt17integral_constantIbLb1EESY_IbLb0EEEEDaSU_SV_EUlSU_E_NS1_11comp_targetILNS1_3genE0ELNS1_11target_archE4294967295ELNS1_3gpuE0ELNS1_3repE0EEENS1_30default_config_static_selectorELNS0_4arch9wavefront6targetE0EEEvT1_.numbered_sgpr, 0
	.set _ZN7rocprim17ROCPRIM_400000_NS6detail17trampoline_kernelINS0_14default_configENS1_20scan_config_selectorIN3c107complexIdEEEEZZNS1_9scan_implILNS1_25lookback_scan_determinismE0ELb0ELb0ES3_PKS7_PS7_S7_ZZZN2at6native31launch_logcumsumexp_cuda_kernelERKNSE_10TensorBaseESI_lENKUlvE_clEvENKUlvE1_clEvEUlS7_S7_E_S7_EEDaPvRmT3_T4_T5_mT6_P12ihipStream_tbENKUlT_T0_E_clISt17integral_constantIbLb1EESY_IbLb0EEEEDaSU_SV_EUlSU_E_NS1_11comp_targetILNS1_3genE0ELNS1_11target_archE4294967295ELNS1_3gpuE0ELNS1_3repE0EEENS1_30default_config_static_selectorELNS0_4arch9wavefront6targetE0EEEvT1_.num_named_barrier, 0
	.set _ZN7rocprim17ROCPRIM_400000_NS6detail17trampoline_kernelINS0_14default_configENS1_20scan_config_selectorIN3c107complexIdEEEEZZNS1_9scan_implILNS1_25lookback_scan_determinismE0ELb0ELb0ES3_PKS7_PS7_S7_ZZZN2at6native31launch_logcumsumexp_cuda_kernelERKNSE_10TensorBaseESI_lENKUlvE_clEvENKUlvE1_clEvEUlS7_S7_E_S7_EEDaPvRmT3_T4_T5_mT6_P12ihipStream_tbENKUlT_T0_E_clISt17integral_constantIbLb1EESY_IbLb0EEEEDaSU_SV_EUlSU_E_NS1_11comp_targetILNS1_3genE0ELNS1_11target_archE4294967295ELNS1_3gpuE0ELNS1_3repE0EEENS1_30default_config_static_selectorELNS0_4arch9wavefront6targetE0EEEvT1_.private_seg_size, 0
	.set _ZN7rocprim17ROCPRIM_400000_NS6detail17trampoline_kernelINS0_14default_configENS1_20scan_config_selectorIN3c107complexIdEEEEZZNS1_9scan_implILNS1_25lookback_scan_determinismE0ELb0ELb0ES3_PKS7_PS7_S7_ZZZN2at6native31launch_logcumsumexp_cuda_kernelERKNSE_10TensorBaseESI_lENKUlvE_clEvENKUlvE1_clEvEUlS7_S7_E_S7_EEDaPvRmT3_T4_T5_mT6_P12ihipStream_tbENKUlT_T0_E_clISt17integral_constantIbLb1EESY_IbLb0EEEEDaSU_SV_EUlSU_E_NS1_11comp_targetILNS1_3genE0ELNS1_11target_archE4294967295ELNS1_3gpuE0ELNS1_3repE0EEENS1_30default_config_static_selectorELNS0_4arch9wavefront6targetE0EEEvT1_.uses_vcc, 0
	.set _ZN7rocprim17ROCPRIM_400000_NS6detail17trampoline_kernelINS0_14default_configENS1_20scan_config_selectorIN3c107complexIdEEEEZZNS1_9scan_implILNS1_25lookback_scan_determinismE0ELb0ELb0ES3_PKS7_PS7_S7_ZZZN2at6native31launch_logcumsumexp_cuda_kernelERKNSE_10TensorBaseESI_lENKUlvE_clEvENKUlvE1_clEvEUlS7_S7_E_S7_EEDaPvRmT3_T4_T5_mT6_P12ihipStream_tbENKUlT_T0_E_clISt17integral_constantIbLb1EESY_IbLb0EEEEDaSU_SV_EUlSU_E_NS1_11comp_targetILNS1_3genE0ELNS1_11target_archE4294967295ELNS1_3gpuE0ELNS1_3repE0EEENS1_30default_config_static_selectorELNS0_4arch9wavefront6targetE0EEEvT1_.uses_flat_scratch, 0
	.set _ZN7rocprim17ROCPRIM_400000_NS6detail17trampoline_kernelINS0_14default_configENS1_20scan_config_selectorIN3c107complexIdEEEEZZNS1_9scan_implILNS1_25lookback_scan_determinismE0ELb0ELb0ES3_PKS7_PS7_S7_ZZZN2at6native31launch_logcumsumexp_cuda_kernelERKNSE_10TensorBaseESI_lENKUlvE_clEvENKUlvE1_clEvEUlS7_S7_E_S7_EEDaPvRmT3_T4_T5_mT6_P12ihipStream_tbENKUlT_T0_E_clISt17integral_constantIbLb1EESY_IbLb0EEEEDaSU_SV_EUlSU_E_NS1_11comp_targetILNS1_3genE0ELNS1_11target_archE4294967295ELNS1_3gpuE0ELNS1_3repE0EEENS1_30default_config_static_selectorELNS0_4arch9wavefront6targetE0EEEvT1_.has_dyn_sized_stack, 0
	.set _ZN7rocprim17ROCPRIM_400000_NS6detail17trampoline_kernelINS0_14default_configENS1_20scan_config_selectorIN3c107complexIdEEEEZZNS1_9scan_implILNS1_25lookback_scan_determinismE0ELb0ELb0ES3_PKS7_PS7_S7_ZZZN2at6native31launch_logcumsumexp_cuda_kernelERKNSE_10TensorBaseESI_lENKUlvE_clEvENKUlvE1_clEvEUlS7_S7_E_S7_EEDaPvRmT3_T4_T5_mT6_P12ihipStream_tbENKUlT_T0_E_clISt17integral_constantIbLb1EESY_IbLb0EEEEDaSU_SV_EUlSU_E_NS1_11comp_targetILNS1_3genE0ELNS1_11target_archE4294967295ELNS1_3gpuE0ELNS1_3repE0EEENS1_30default_config_static_selectorELNS0_4arch9wavefront6targetE0EEEvT1_.has_recursion, 0
	.set _ZN7rocprim17ROCPRIM_400000_NS6detail17trampoline_kernelINS0_14default_configENS1_20scan_config_selectorIN3c107complexIdEEEEZZNS1_9scan_implILNS1_25lookback_scan_determinismE0ELb0ELb0ES3_PKS7_PS7_S7_ZZZN2at6native31launch_logcumsumexp_cuda_kernelERKNSE_10TensorBaseESI_lENKUlvE_clEvENKUlvE1_clEvEUlS7_S7_E_S7_EEDaPvRmT3_T4_T5_mT6_P12ihipStream_tbENKUlT_T0_E_clISt17integral_constantIbLb1EESY_IbLb0EEEEDaSU_SV_EUlSU_E_NS1_11comp_targetILNS1_3genE0ELNS1_11target_archE4294967295ELNS1_3gpuE0ELNS1_3repE0EEENS1_30default_config_static_selectorELNS0_4arch9wavefront6targetE0EEEvT1_.has_indirect_call, 0
	.section	.AMDGPU.csdata,"",@progbits
; Kernel info:
; codeLenInByte = 0
; TotalNumSgprs: 0
; NumVgprs: 0
; ScratchSize: 0
; MemoryBound: 0
; FloatMode: 240
; IeeeMode: 1
; LDSByteSize: 0 bytes/workgroup (compile time only)
; SGPRBlocks: 0
; VGPRBlocks: 0
; NumSGPRsForWavesPerEU: 1
; NumVGPRsForWavesPerEU: 1
; Occupancy: 16
; WaveLimiterHint : 0
; COMPUTE_PGM_RSRC2:SCRATCH_EN: 0
; COMPUTE_PGM_RSRC2:USER_SGPR: 6
; COMPUTE_PGM_RSRC2:TRAP_HANDLER: 0
; COMPUTE_PGM_RSRC2:TGID_X_EN: 1
; COMPUTE_PGM_RSRC2:TGID_Y_EN: 0
; COMPUTE_PGM_RSRC2:TGID_Z_EN: 0
; COMPUTE_PGM_RSRC2:TIDIG_COMP_CNT: 0
	.section	.text._ZN7rocprim17ROCPRIM_400000_NS6detail17trampoline_kernelINS0_14default_configENS1_20scan_config_selectorIN3c107complexIdEEEEZZNS1_9scan_implILNS1_25lookback_scan_determinismE0ELb0ELb0ES3_PKS7_PS7_S7_ZZZN2at6native31launch_logcumsumexp_cuda_kernelERKNSE_10TensorBaseESI_lENKUlvE_clEvENKUlvE1_clEvEUlS7_S7_E_S7_EEDaPvRmT3_T4_T5_mT6_P12ihipStream_tbENKUlT_T0_E_clISt17integral_constantIbLb1EESY_IbLb0EEEEDaSU_SV_EUlSU_E_NS1_11comp_targetILNS1_3genE5ELNS1_11target_archE942ELNS1_3gpuE9ELNS1_3repE0EEENS1_30default_config_static_selectorELNS0_4arch9wavefront6targetE0EEEvT1_,"axG",@progbits,_ZN7rocprim17ROCPRIM_400000_NS6detail17trampoline_kernelINS0_14default_configENS1_20scan_config_selectorIN3c107complexIdEEEEZZNS1_9scan_implILNS1_25lookback_scan_determinismE0ELb0ELb0ES3_PKS7_PS7_S7_ZZZN2at6native31launch_logcumsumexp_cuda_kernelERKNSE_10TensorBaseESI_lENKUlvE_clEvENKUlvE1_clEvEUlS7_S7_E_S7_EEDaPvRmT3_T4_T5_mT6_P12ihipStream_tbENKUlT_T0_E_clISt17integral_constantIbLb1EESY_IbLb0EEEEDaSU_SV_EUlSU_E_NS1_11comp_targetILNS1_3genE5ELNS1_11target_archE942ELNS1_3gpuE9ELNS1_3repE0EEENS1_30default_config_static_selectorELNS0_4arch9wavefront6targetE0EEEvT1_,comdat
	.globl	_ZN7rocprim17ROCPRIM_400000_NS6detail17trampoline_kernelINS0_14default_configENS1_20scan_config_selectorIN3c107complexIdEEEEZZNS1_9scan_implILNS1_25lookback_scan_determinismE0ELb0ELb0ES3_PKS7_PS7_S7_ZZZN2at6native31launch_logcumsumexp_cuda_kernelERKNSE_10TensorBaseESI_lENKUlvE_clEvENKUlvE1_clEvEUlS7_S7_E_S7_EEDaPvRmT3_T4_T5_mT6_P12ihipStream_tbENKUlT_T0_E_clISt17integral_constantIbLb1EESY_IbLb0EEEEDaSU_SV_EUlSU_E_NS1_11comp_targetILNS1_3genE5ELNS1_11target_archE942ELNS1_3gpuE9ELNS1_3repE0EEENS1_30default_config_static_selectorELNS0_4arch9wavefront6targetE0EEEvT1_ ; -- Begin function _ZN7rocprim17ROCPRIM_400000_NS6detail17trampoline_kernelINS0_14default_configENS1_20scan_config_selectorIN3c107complexIdEEEEZZNS1_9scan_implILNS1_25lookback_scan_determinismE0ELb0ELb0ES3_PKS7_PS7_S7_ZZZN2at6native31launch_logcumsumexp_cuda_kernelERKNSE_10TensorBaseESI_lENKUlvE_clEvENKUlvE1_clEvEUlS7_S7_E_S7_EEDaPvRmT3_T4_T5_mT6_P12ihipStream_tbENKUlT_T0_E_clISt17integral_constantIbLb1EESY_IbLb0EEEEDaSU_SV_EUlSU_E_NS1_11comp_targetILNS1_3genE5ELNS1_11target_archE942ELNS1_3gpuE9ELNS1_3repE0EEENS1_30default_config_static_selectorELNS0_4arch9wavefront6targetE0EEEvT1_
	.p2align	8
	.type	_ZN7rocprim17ROCPRIM_400000_NS6detail17trampoline_kernelINS0_14default_configENS1_20scan_config_selectorIN3c107complexIdEEEEZZNS1_9scan_implILNS1_25lookback_scan_determinismE0ELb0ELb0ES3_PKS7_PS7_S7_ZZZN2at6native31launch_logcumsumexp_cuda_kernelERKNSE_10TensorBaseESI_lENKUlvE_clEvENKUlvE1_clEvEUlS7_S7_E_S7_EEDaPvRmT3_T4_T5_mT6_P12ihipStream_tbENKUlT_T0_E_clISt17integral_constantIbLb1EESY_IbLb0EEEEDaSU_SV_EUlSU_E_NS1_11comp_targetILNS1_3genE5ELNS1_11target_archE942ELNS1_3gpuE9ELNS1_3repE0EEENS1_30default_config_static_selectorELNS0_4arch9wavefront6targetE0EEEvT1_,@function
_ZN7rocprim17ROCPRIM_400000_NS6detail17trampoline_kernelINS0_14default_configENS1_20scan_config_selectorIN3c107complexIdEEEEZZNS1_9scan_implILNS1_25lookback_scan_determinismE0ELb0ELb0ES3_PKS7_PS7_S7_ZZZN2at6native31launch_logcumsumexp_cuda_kernelERKNSE_10TensorBaseESI_lENKUlvE_clEvENKUlvE1_clEvEUlS7_S7_E_S7_EEDaPvRmT3_T4_T5_mT6_P12ihipStream_tbENKUlT_T0_E_clISt17integral_constantIbLb1EESY_IbLb0EEEEDaSU_SV_EUlSU_E_NS1_11comp_targetILNS1_3genE5ELNS1_11target_archE942ELNS1_3gpuE9ELNS1_3repE0EEENS1_30default_config_static_selectorELNS0_4arch9wavefront6targetE0EEEvT1_: ; @_ZN7rocprim17ROCPRIM_400000_NS6detail17trampoline_kernelINS0_14default_configENS1_20scan_config_selectorIN3c107complexIdEEEEZZNS1_9scan_implILNS1_25lookback_scan_determinismE0ELb0ELb0ES3_PKS7_PS7_S7_ZZZN2at6native31launch_logcumsumexp_cuda_kernelERKNSE_10TensorBaseESI_lENKUlvE_clEvENKUlvE1_clEvEUlS7_S7_E_S7_EEDaPvRmT3_T4_T5_mT6_P12ihipStream_tbENKUlT_T0_E_clISt17integral_constantIbLb1EESY_IbLb0EEEEDaSU_SV_EUlSU_E_NS1_11comp_targetILNS1_3genE5ELNS1_11target_archE942ELNS1_3gpuE9ELNS1_3repE0EEENS1_30default_config_static_selectorELNS0_4arch9wavefront6targetE0EEEvT1_
; %bb.0:
	.section	.rodata,"a",@progbits
	.p2align	6, 0x0
	.amdhsa_kernel _ZN7rocprim17ROCPRIM_400000_NS6detail17trampoline_kernelINS0_14default_configENS1_20scan_config_selectorIN3c107complexIdEEEEZZNS1_9scan_implILNS1_25lookback_scan_determinismE0ELb0ELb0ES3_PKS7_PS7_S7_ZZZN2at6native31launch_logcumsumexp_cuda_kernelERKNSE_10TensorBaseESI_lENKUlvE_clEvENKUlvE1_clEvEUlS7_S7_E_S7_EEDaPvRmT3_T4_T5_mT6_P12ihipStream_tbENKUlT_T0_E_clISt17integral_constantIbLb1EESY_IbLb0EEEEDaSU_SV_EUlSU_E_NS1_11comp_targetILNS1_3genE5ELNS1_11target_archE942ELNS1_3gpuE9ELNS1_3repE0EEENS1_30default_config_static_selectorELNS0_4arch9wavefront6targetE0EEEvT1_
		.amdhsa_group_segment_fixed_size 0
		.amdhsa_private_segment_fixed_size 0
		.amdhsa_kernarg_size 128
		.amdhsa_user_sgpr_count 6
		.amdhsa_user_sgpr_private_segment_buffer 1
		.amdhsa_user_sgpr_dispatch_ptr 0
		.amdhsa_user_sgpr_queue_ptr 0
		.amdhsa_user_sgpr_kernarg_segment_ptr 1
		.amdhsa_user_sgpr_dispatch_id 0
		.amdhsa_user_sgpr_flat_scratch_init 0
		.amdhsa_user_sgpr_private_segment_size 0
		.amdhsa_wavefront_size32 1
		.amdhsa_uses_dynamic_stack 0
		.amdhsa_system_sgpr_private_segment_wavefront_offset 0
		.amdhsa_system_sgpr_workgroup_id_x 1
		.amdhsa_system_sgpr_workgroup_id_y 0
		.amdhsa_system_sgpr_workgroup_id_z 0
		.amdhsa_system_sgpr_workgroup_info 0
		.amdhsa_system_vgpr_workitem_id 0
		.amdhsa_next_free_vgpr 1
		.amdhsa_next_free_sgpr 1
		.amdhsa_reserve_vcc 0
		.amdhsa_reserve_flat_scratch 0
		.amdhsa_float_round_mode_32 0
		.amdhsa_float_round_mode_16_64 0
		.amdhsa_float_denorm_mode_32 3
		.amdhsa_float_denorm_mode_16_64 3
		.amdhsa_dx10_clamp 1
		.amdhsa_ieee_mode 1
		.amdhsa_fp16_overflow 0
		.amdhsa_workgroup_processor_mode 1
		.amdhsa_memory_ordered 1
		.amdhsa_forward_progress 1
		.amdhsa_shared_vgpr_count 0
		.amdhsa_exception_fp_ieee_invalid_op 0
		.amdhsa_exception_fp_denorm_src 0
		.amdhsa_exception_fp_ieee_div_zero 0
		.amdhsa_exception_fp_ieee_overflow 0
		.amdhsa_exception_fp_ieee_underflow 0
		.amdhsa_exception_fp_ieee_inexact 0
		.amdhsa_exception_int_div_zero 0
	.end_amdhsa_kernel
	.section	.text._ZN7rocprim17ROCPRIM_400000_NS6detail17trampoline_kernelINS0_14default_configENS1_20scan_config_selectorIN3c107complexIdEEEEZZNS1_9scan_implILNS1_25lookback_scan_determinismE0ELb0ELb0ES3_PKS7_PS7_S7_ZZZN2at6native31launch_logcumsumexp_cuda_kernelERKNSE_10TensorBaseESI_lENKUlvE_clEvENKUlvE1_clEvEUlS7_S7_E_S7_EEDaPvRmT3_T4_T5_mT6_P12ihipStream_tbENKUlT_T0_E_clISt17integral_constantIbLb1EESY_IbLb0EEEEDaSU_SV_EUlSU_E_NS1_11comp_targetILNS1_3genE5ELNS1_11target_archE942ELNS1_3gpuE9ELNS1_3repE0EEENS1_30default_config_static_selectorELNS0_4arch9wavefront6targetE0EEEvT1_,"axG",@progbits,_ZN7rocprim17ROCPRIM_400000_NS6detail17trampoline_kernelINS0_14default_configENS1_20scan_config_selectorIN3c107complexIdEEEEZZNS1_9scan_implILNS1_25lookback_scan_determinismE0ELb0ELb0ES3_PKS7_PS7_S7_ZZZN2at6native31launch_logcumsumexp_cuda_kernelERKNSE_10TensorBaseESI_lENKUlvE_clEvENKUlvE1_clEvEUlS7_S7_E_S7_EEDaPvRmT3_T4_T5_mT6_P12ihipStream_tbENKUlT_T0_E_clISt17integral_constantIbLb1EESY_IbLb0EEEEDaSU_SV_EUlSU_E_NS1_11comp_targetILNS1_3genE5ELNS1_11target_archE942ELNS1_3gpuE9ELNS1_3repE0EEENS1_30default_config_static_selectorELNS0_4arch9wavefront6targetE0EEEvT1_,comdat
.Lfunc_end223:
	.size	_ZN7rocprim17ROCPRIM_400000_NS6detail17trampoline_kernelINS0_14default_configENS1_20scan_config_selectorIN3c107complexIdEEEEZZNS1_9scan_implILNS1_25lookback_scan_determinismE0ELb0ELb0ES3_PKS7_PS7_S7_ZZZN2at6native31launch_logcumsumexp_cuda_kernelERKNSE_10TensorBaseESI_lENKUlvE_clEvENKUlvE1_clEvEUlS7_S7_E_S7_EEDaPvRmT3_T4_T5_mT6_P12ihipStream_tbENKUlT_T0_E_clISt17integral_constantIbLb1EESY_IbLb0EEEEDaSU_SV_EUlSU_E_NS1_11comp_targetILNS1_3genE5ELNS1_11target_archE942ELNS1_3gpuE9ELNS1_3repE0EEENS1_30default_config_static_selectorELNS0_4arch9wavefront6targetE0EEEvT1_, .Lfunc_end223-_ZN7rocprim17ROCPRIM_400000_NS6detail17trampoline_kernelINS0_14default_configENS1_20scan_config_selectorIN3c107complexIdEEEEZZNS1_9scan_implILNS1_25lookback_scan_determinismE0ELb0ELb0ES3_PKS7_PS7_S7_ZZZN2at6native31launch_logcumsumexp_cuda_kernelERKNSE_10TensorBaseESI_lENKUlvE_clEvENKUlvE1_clEvEUlS7_S7_E_S7_EEDaPvRmT3_T4_T5_mT6_P12ihipStream_tbENKUlT_T0_E_clISt17integral_constantIbLb1EESY_IbLb0EEEEDaSU_SV_EUlSU_E_NS1_11comp_targetILNS1_3genE5ELNS1_11target_archE942ELNS1_3gpuE9ELNS1_3repE0EEENS1_30default_config_static_selectorELNS0_4arch9wavefront6targetE0EEEvT1_
                                        ; -- End function
	.set _ZN7rocprim17ROCPRIM_400000_NS6detail17trampoline_kernelINS0_14default_configENS1_20scan_config_selectorIN3c107complexIdEEEEZZNS1_9scan_implILNS1_25lookback_scan_determinismE0ELb0ELb0ES3_PKS7_PS7_S7_ZZZN2at6native31launch_logcumsumexp_cuda_kernelERKNSE_10TensorBaseESI_lENKUlvE_clEvENKUlvE1_clEvEUlS7_S7_E_S7_EEDaPvRmT3_T4_T5_mT6_P12ihipStream_tbENKUlT_T0_E_clISt17integral_constantIbLb1EESY_IbLb0EEEEDaSU_SV_EUlSU_E_NS1_11comp_targetILNS1_3genE5ELNS1_11target_archE942ELNS1_3gpuE9ELNS1_3repE0EEENS1_30default_config_static_selectorELNS0_4arch9wavefront6targetE0EEEvT1_.num_vgpr, 0
	.set _ZN7rocprim17ROCPRIM_400000_NS6detail17trampoline_kernelINS0_14default_configENS1_20scan_config_selectorIN3c107complexIdEEEEZZNS1_9scan_implILNS1_25lookback_scan_determinismE0ELb0ELb0ES3_PKS7_PS7_S7_ZZZN2at6native31launch_logcumsumexp_cuda_kernelERKNSE_10TensorBaseESI_lENKUlvE_clEvENKUlvE1_clEvEUlS7_S7_E_S7_EEDaPvRmT3_T4_T5_mT6_P12ihipStream_tbENKUlT_T0_E_clISt17integral_constantIbLb1EESY_IbLb0EEEEDaSU_SV_EUlSU_E_NS1_11comp_targetILNS1_3genE5ELNS1_11target_archE942ELNS1_3gpuE9ELNS1_3repE0EEENS1_30default_config_static_selectorELNS0_4arch9wavefront6targetE0EEEvT1_.num_agpr, 0
	.set _ZN7rocprim17ROCPRIM_400000_NS6detail17trampoline_kernelINS0_14default_configENS1_20scan_config_selectorIN3c107complexIdEEEEZZNS1_9scan_implILNS1_25lookback_scan_determinismE0ELb0ELb0ES3_PKS7_PS7_S7_ZZZN2at6native31launch_logcumsumexp_cuda_kernelERKNSE_10TensorBaseESI_lENKUlvE_clEvENKUlvE1_clEvEUlS7_S7_E_S7_EEDaPvRmT3_T4_T5_mT6_P12ihipStream_tbENKUlT_T0_E_clISt17integral_constantIbLb1EESY_IbLb0EEEEDaSU_SV_EUlSU_E_NS1_11comp_targetILNS1_3genE5ELNS1_11target_archE942ELNS1_3gpuE9ELNS1_3repE0EEENS1_30default_config_static_selectorELNS0_4arch9wavefront6targetE0EEEvT1_.numbered_sgpr, 0
	.set _ZN7rocprim17ROCPRIM_400000_NS6detail17trampoline_kernelINS0_14default_configENS1_20scan_config_selectorIN3c107complexIdEEEEZZNS1_9scan_implILNS1_25lookback_scan_determinismE0ELb0ELb0ES3_PKS7_PS7_S7_ZZZN2at6native31launch_logcumsumexp_cuda_kernelERKNSE_10TensorBaseESI_lENKUlvE_clEvENKUlvE1_clEvEUlS7_S7_E_S7_EEDaPvRmT3_T4_T5_mT6_P12ihipStream_tbENKUlT_T0_E_clISt17integral_constantIbLb1EESY_IbLb0EEEEDaSU_SV_EUlSU_E_NS1_11comp_targetILNS1_3genE5ELNS1_11target_archE942ELNS1_3gpuE9ELNS1_3repE0EEENS1_30default_config_static_selectorELNS0_4arch9wavefront6targetE0EEEvT1_.num_named_barrier, 0
	.set _ZN7rocprim17ROCPRIM_400000_NS6detail17trampoline_kernelINS0_14default_configENS1_20scan_config_selectorIN3c107complexIdEEEEZZNS1_9scan_implILNS1_25lookback_scan_determinismE0ELb0ELb0ES3_PKS7_PS7_S7_ZZZN2at6native31launch_logcumsumexp_cuda_kernelERKNSE_10TensorBaseESI_lENKUlvE_clEvENKUlvE1_clEvEUlS7_S7_E_S7_EEDaPvRmT3_T4_T5_mT6_P12ihipStream_tbENKUlT_T0_E_clISt17integral_constantIbLb1EESY_IbLb0EEEEDaSU_SV_EUlSU_E_NS1_11comp_targetILNS1_3genE5ELNS1_11target_archE942ELNS1_3gpuE9ELNS1_3repE0EEENS1_30default_config_static_selectorELNS0_4arch9wavefront6targetE0EEEvT1_.private_seg_size, 0
	.set _ZN7rocprim17ROCPRIM_400000_NS6detail17trampoline_kernelINS0_14default_configENS1_20scan_config_selectorIN3c107complexIdEEEEZZNS1_9scan_implILNS1_25lookback_scan_determinismE0ELb0ELb0ES3_PKS7_PS7_S7_ZZZN2at6native31launch_logcumsumexp_cuda_kernelERKNSE_10TensorBaseESI_lENKUlvE_clEvENKUlvE1_clEvEUlS7_S7_E_S7_EEDaPvRmT3_T4_T5_mT6_P12ihipStream_tbENKUlT_T0_E_clISt17integral_constantIbLb1EESY_IbLb0EEEEDaSU_SV_EUlSU_E_NS1_11comp_targetILNS1_3genE5ELNS1_11target_archE942ELNS1_3gpuE9ELNS1_3repE0EEENS1_30default_config_static_selectorELNS0_4arch9wavefront6targetE0EEEvT1_.uses_vcc, 0
	.set _ZN7rocprim17ROCPRIM_400000_NS6detail17trampoline_kernelINS0_14default_configENS1_20scan_config_selectorIN3c107complexIdEEEEZZNS1_9scan_implILNS1_25lookback_scan_determinismE0ELb0ELb0ES3_PKS7_PS7_S7_ZZZN2at6native31launch_logcumsumexp_cuda_kernelERKNSE_10TensorBaseESI_lENKUlvE_clEvENKUlvE1_clEvEUlS7_S7_E_S7_EEDaPvRmT3_T4_T5_mT6_P12ihipStream_tbENKUlT_T0_E_clISt17integral_constantIbLb1EESY_IbLb0EEEEDaSU_SV_EUlSU_E_NS1_11comp_targetILNS1_3genE5ELNS1_11target_archE942ELNS1_3gpuE9ELNS1_3repE0EEENS1_30default_config_static_selectorELNS0_4arch9wavefront6targetE0EEEvT1_.uses_flat_scratch, 0
	.set _ZN7rocprim17ROCPRIM_400000_NS6detail17trampoline_kernelINS0_14default_configENS1_20scan_config_selectorIN3c107complexIdEEEEZZNS1_9scan_implILNS1_25lookback_scan_determinismE0ELb0ELb0ES3_PKS7_PS7_S7_ZZZN2at6native31launch_logcumsumexp_cuda_kernelERKNSE_10TensorBaseESI_lENKUlvE_clEvENKUlvE1_clEvEUlS7_S7_E_S7_EEDaPvRmT3_T4_T5_mT6_P12ihipStream_tbENKUlT_T0_E_clISt17integral_constantIbLb1EESY_IbLb0EEEEDaSU_SV_EUlSU_E_NS1_11comp_targetILNS1_3genE5ELNS1_11target_archE942ELNS1_3gpuE9ELNS1_3repE0EEENS1_30default_config_static_selectorELNS0_4arch9wavefront6targetE0EEEvT1_.has_dyn_sized_stack, 0
	.set _ZN7rocprim17ROCPRIM_400000_NS6detail17trampoline_kernelINS0_14default_configENS1_20scan_config_selectorIN3c107complexIdEEEEZZNS1_9scan_implILNS1_25lookback_scan_determinismE0ELb0ELb0ES3_PKS7_PS7_S7_ZZZN2at6native31launch_logcumsumexp_cuda_kernelERKNSE_10TensorBaseESI_lENKUlvE_clEvENKUlvE1_clEvEUlS7_S7_E_S7_EEDaPvRmT3_T4_T5_mT6_P12ihipStream_tbENKUlT_T0_E_clISt17integral_constantIbLb1EESY_IbLb0EEEEDaSU_SV_EUlSU_E_NS1_11comp_targetILNS1_3genE5ELNS1_11target_archE942ELNS1_3gpuE9ELNS1_3repE0EEENS1_30default_config_static_selectorELNS0_4arch9wavefront6targetE0EEEvT1_.has_recursion, 0
	.set _ZN7rocprim17ROCPRIM_400000_NS6detail17trampoline_kernelINS0_14default_configENS1_20scan_config_selectorIN3c107complexIdEEEEZZNS1_9scan_implILNS1_25lookback_scan_determinismE0ELb0ELb0ES3_PKS7_PS7_S7_ZZZN2at6native31launch_logcumsumexp_cuda_kernelERKNSE_10TensorBaseESI_lENKUlvE_clEvENKUlvE1_clEvEUlS7_S7_E_S7_EEDaPvRmT3_T4_T5_mT6_P12ihipStream_tbENKUlT_T0_E_clISt17integral_constantIbLb1EESY_IbLb0EEEEDaSU_SV_EUlSU_E_NS1_11comp_targetILNS1_3genE5ELNS1_11target_archE942ELNS1_3gpuE9ELNS1_3repE0EEENS1_30default_config_static_selectorELNS0_4arch9wavefront6targetE0EEEvT1_.has_indirect_call, 0
	.section	.AMDGPU.csdata,"",@progbits
; Kernel info:
; codeLenInByte = 0
; TotalNumSgprs: 0
; NumVgprs: 0
; ScratchSize: 0
; MemoryBound: 0
; FloatMode: 240
; IeeeMode: 1
; LDSByteSize: 0 bytes/workgroup (compile time only)
; SGPRBlocks: 0
; VGPRBlocks: 0
; NumSGPRsForWavesPerEU: 1
; NumVGPRsForWavesPerEU: 1
; Occupancy: 16
; WaveLimiterHint : 0
; COMPUTE_PGM_RSRC2:SCRATCH_EN: 0
; COMPUTE_PGM_RSRC2:USER_SGPR: 6
; COMPUTE_PGM_RSRC2:TRAP_HANDLER: 0
; COMPUTE_PGM_RSRC2:TGID_X_EN: 1
; COMPUTE_PGM_RSRC2:TGID_Y_EN: 0
; COMPUTE_PGM_RSRC2:TGID_Z_EN: 0
; COMPUTE_PGM_RSRC2:TIDIG_COMP_CNT: 0
	.section	.text._ZN7rocprim17ROCPRIM_400000_NS6detail17trampoline_kernelINS0_14default_configENS1_20scan_config_selectorIN3c107complexIdEEEEZZNS1_9scan_implILNS1_25lookback_scan_determinismE0ELb0ELb0ES3_PKS7_PS7_S7_ZZZN2at6native31launch_logcumsumexp_cuda_kernelERKNSE_10TensorBaseESI_lENKUlvE_clEvENKUlvE1_clEvEUlS7_S7_E_S7_EEDaPvRmT3_T4_T5_mT6_P12ihipStream_tbENKUlT_T0_E_clISt17integral_constantIbLb1EESY_IbLb0EEEEDaSU_SV_EUlSU_E_NS1_11comp_targetILNS1_3genE4ELNS1_11target_archE910ELNS1_3gpuE8ELNS1_3repE0EEENS1_30default_config_static_selectorELNS0_4arch9wavefront6targetE0EEEvT1_,"axG",@progbits,_ZN7rocprim17ROCPRIM_400000_NS6detail17trampoline_kernelINS0_14default_configENS1_20scan_config_selectorIN3c107complexIdEEEEZZNS1_9scan_implILNS1_25lookback_scan_determinismE0ELb0ELb0ES3_PKS7_PS7_S7_ZZZN2at6native31launch_logcumsumexp_cuda_kernelERKNSE_10TensorBaseESI_lENKUlvE_clEvENKUlvE1_clEvEUlS7_S7_E_S7_EEDaPvRmT3_T4_T5_mT6_P12ihipStream_tbENKUlT_T0_E_clISt17integral_constantIbLb1EESY_IbLb0EEEEDaSU_SV_EUlSU_E_NS1_11comp_targetILNS1_3genE4ELNS1_11target_archE910ELNS1_3gpuE8ELNS1_3repE0EEENS1_30default_config_static_selectorELNS0_4arch9wavefront6targetE0EEEvT1_,comdat
	.globl	_ZN7rocprim17ROCPRIM_400000_NS6detail17trampoline_kernelINS0_14default_configENS1_20scan_config_selectorIN3c107complexIdEEEEZZNS1_9scan_implILNS1_25lookback_scan_determinismE0ELb0ELb0ES3_PKS7_PS7_S7_ZZZN2at6native31launch_logcumsumexp_cuda_kernelERKNSE_10TensorBaseESI_lENKUlvE_clEvENKUlvE1_clEvEUlS7_S7_E_S7_EEDaPvRmT3_T4_T5_mT6_P12ihipStream_tbENKUlT_T0_E_clISt17integral_constantIbLb1EESY_IbLb0EEEEDaSU_SV_EUlSU_E_NS1_11comp_targetILNS1_3genE4ELNS1_11target_archE910ELNS1_3gpuE8ELNS1_3repE0EEENS1_30default_config_static_selectorELNS0_4arch9wavefront6targetE0EEEvT1_ ; -- Begin function _ZN7rocprim17ROCPRIM_400000_NS6detail17trampoline_kernelINS0_14default_configENS1_20scan_config_selectorIN3c107complexIdEEEEZZNS1_9scan_implILNS1_25lookback_scan_determinismE0ELb0ELb0ES3_PKS7_PS7_S7_ZZZN2at6native31launch_logcumsumexp_cuda_kernelERKNSE_10TensorBaseESI_lENKUlvE_clEvENKUlvE1_clEvEUlS7_S7_E_S7_EEDaPvRmT3_T4_T5_mT6_P12ihipStream_tbENKUlT_T0_E_clISt17integral_constantIbLb1EESY_IbLb0EEEEDaSU_SV_EUlSU_E_NS1_11comp_targetILNS1_3genE4ELNS1_11target_archE910ELNS1_3gpuE8ELNS1_3repE0EEENS1_30default_config_static_selectorELNS0_4arch9wavefront6targetE0EEEvT1_
	.p2align	8
	.type	_ZN7rocprim17ROCPRIM_400000_NS6detail17trampoline_kernelINS0_14default_configENS1_20scan_config_selectorIN3c107complexIdEEEEZZNS1_9scan_implILNS1_25lookback_scan_determinismE0ELb0ELb0ES3_PKS7_PS7_S7_ZZZN2at6native31launch_logcumsumexp_cuda_kernelERKNSE_10TensorBaseESI_lENKUlvE_clEvENKUlvE1_clEvEUlS7_S7_E_S7_EEDaPvRmT3_T4_T5_mT6_P12ihipStream_tbENKUlT_T0_E_clISt17integral_constantIbLb1EESY_IbLb0EEEEDaSU_SV_EUlSU_E_NS1_11comp_targetILNS1_3genE4ELNS1_11target_archE910ELNS1_3gpuE8ELNS1_3repE0EEENS1_30default_config_static_selectorELNS0_4arch9wavefront6targetE0EEEvT1_,@function
_ZN7rocprim17ROCPRIM_400000_NS6detail17trampoline_kernelINS0_14default_configENS1_20scan_config_selectorIN3c107complexIdEEEEZZNS1_9scan_implILNS1_25lookback_scan_determinismE0ELb0ELb0ES3_PKS7_PS7_S7_ZZZN2at6native31launch_logcumsumexp_cuda_kernelERKNSE_10TensorBaseESI_lENKUlvE_clEvENKUlvE1_clEvEUlS7_S7_E_S7_EEDaPvRmT3_T4_T5_mT6_P12ihipStream_tbENKUlT_T0_E_clISt17integral_constantIbLb1EESY_IbLb0EEEEDaSU_SV_EUlSU_E_NS1_11comp_targetILNS1_3genE4ELNS1_11target_archE910ELNS1_3gpuE8ELNS1_3repE0EEENS1_30default_config_static_selectorELNS0_4arch9wavefront6targetE0EEEvT1_: ; @_ZN7rocprim17ROCPRIM_400000_NS6detail17trampoline_kernelINS0_14default_configENS1_20scan_config_selectorIN3c107complexIdEEEEZZNS1_9scan_implILNS1_25lookback_scan_determinismE0ELb0ELb0ES3_PKS7_PS7_S7_ZZZN2at6native31launch_logcumsumexp_cuda_kernelERKNSE_10TensorBaseESI_lENKUlvE_clEvENKUlvE1_clEvEUlS7_S7_E_S7_EEDaPvRmT3_T4_T5_mT6_P12ihipStream_tbENKUlT_T0_E_clISt17integral_constantIbLb1EESY_IbLb0EEEEDaSU_SV_EUlSU_E_NS1_11comp_targetILNS1_3genE4ELNS1_11target_archE910ELNS1_3gpuE8ELNS1_3repE0EEENS1_30default_config_static_selectorELNS0_4arch9wavefront6targetE0EEEvT1_
; %bb.0:
	.section	.rodata,"a",@progbits
	.p2align	6, 0x0
	.amdhsa_kernel _ZN7rocprim17ROCPRIM_400000_NS6detail17trampoline_kernelINS0_14default_configENS1_20scan_config_selectorIN3c107complexIdEEEEZZNS1_9scan_implILNS1_25lookback_scan_determinismE0ELb0ELb0ES3_PKS7_PS7_S7_ZZZN2at6native31launch_logcumsumexp_cuda_kernelERKNSE_10TensorBaseESI_lENKUlvE_clEvENKUlvE1_clEvEUlS7_S7_E_S7_EEDaPvRmT3_T4_T5_mT6_P12ihipStream_tbENKUlT_T0_E_clISt17integral_constantIbLb1EESY_IbLb0EEEEDaSU_SV_EUlSU_E_NS1_11comp_targetILNS1_3genE4ELNS1_11target_archE910ELNS1_3gpuE8ELNS1_3repE0EEENS1_30default_config_static_selectorELNS0_4arch9wavefront6targetE0EEEvT1_
		.amdhsa_group_segment_fixed_size 0
		.amdhsa_private_segment_fixed_size 0
		.amdhsa_kernarg_size 128
		.amdhsa_user_sgpr_count 6
		.amdhsa_user_sgpr_private_segment_buffer 1
		.amdhsa_user_sgpr_dispatch_ptr 0
		.amdhsa_user_sgpr_queue_ptr 0
		.amdhsa_user_sgpr_kernarg_segment_ptr 1
		.amdhsa_user_sgpr_dispatch_id 0
		.amdhsa_user_sgpr_flat_scratch_init 0
		.amdhsa_user_sgpr_private_segment_size 0
		.amdhsa_wavefront_size32 1
		.amdhsa_uses_dynamic_stack 0
		.amdhsa_system_sgpr_private_segment_wavefront_offset 0
		.amdhsa_system_sgpr_workgroup_id_x 1
		.amdhsa_system_sgpr_workgroup_id_y 0
		.amdhsa_system_sgpr_workgroup_id_z 0
		.amdhsa_system_sgpr_workgroup_info 0
		.amdhsa_system_vgpr_workitem_id 0
		.amdhsa_next_free_vgpr 1
		.amdhsa_next_free_sgpr 1
		.amdhsa_reserve_vcc 0
		.amdhsa_reserve_flat_scratch 0
		.amdhsa_float_round_mode_32 0
		.amdhsa_float_round_mode_16_64 0
		.amdhsa_float_denorm_mode_32 3
		.amdhsa_float_denorm_mode_16_64 3
		.amdhsa_dx10_clamp 1
		.amdhsa_ieee_mode 1
		.amdhsa_fp16_overflow 0
		.amdhsa_workgroup_processor_mode 1
		.amdhsa_memory_ordered 1
		.amdhsa_forward_progress 1
		.amdhsa_shared_vgpr_count 0
		.amdhsa_exception_fp_ieee_invalid_op 0
		.amdhsa_exception_fp_denorm_src 0
		.amdhsa_exception_fp_ieee_div_zero 0
		.amdhsa_exception_fp_ieee_overflow 0
		.amdhsa_exception_fp_ieee_underflow 0
		.amdhsa_exception_fp_ieee_inexact 0
		.amdhsa_exception_int_div_zero 0
	.end_amdhsa_kernel
	.section	.text._ZN7rocprim17ROCPRIM_400000_NS6detail17trampoline_kernelINS0_14default_configENS1_20scan_config_selectorIN3c107complexIdEEEEZZNS1_9scan_implILNS1_25lookback_scan_determinismE0ELb0ELb0ES3_PKS7_PS7_S7_ZZZN2at6native31launch_logcumsumexp_cuda_kernelERKNSE_10TensorBaseESI_lENKUlvE_clEvENKUlvE1_clEvEUlS7_S7_E_S7_EEDaPvRmT3_T4_T5_mT6_P12ihipStream_tbENKUlT_T0_E_clISt17integral_constantIbLb1EESY_IbLb0EEEEDaSU_SV_EUlSU_E_NS1_11comp_targetILNS1_3genE4ELNS1_11target_archE910ELNS1_3gpuE8ELNS1_3repE0EEENS1_30default_config_static_selectorELNS0_4arch9wavefront6targetE0EEEvT1_,"axG",@progbits,_ZN7rocprim17ROCPRIM_400000_NS6detail17trampoline_kernelINS0_14default_configENS1_20scan_config_selectorIN3c107complexIdEEEEZZNS1_9scan_implILNS1_25lookback_scan_determinismE0ELb0ELb0ES3_PKS7_PS7_S7_ZZZN2at6native31launch_logcumsumexp_cuda_kernelERKNSE_10TensorBaseESI_lENKUlvE_clEvENKUlvE1_clEvEUlS7_S7_E_S7_EEDaPvRmT3_T4_T5_mT6_P12ihipStream_tbENKUlT_T0_E_clISt17integral_constantIbLb1EESY_IbLb0EEEEDaSU_SV_EUlSU_E_NS1_11comp_targetILNS1_3genE4ELNS1_11target_archE910ELNS1_3gpuE8ELNS1_3repE0EEENS1_30default_config_static_selectorELNS0_4arch9wavefront6targetE0EEEvT1_,comdat
.Lfunc_end224:
	.size	_ZN7rocprim17ROCPRIM_400000_NS6detail17trampoline_kernelINS0_14default_configENS1_20scan_config_selectorIN3c107complexIdEEEEZZNS1_9scan_implILNS1_25lookback_scan_determinismE0ELb0ELb0ES3_PKS7_PS7_S7_ZZZN2at6native31launch_logcumsumexp_cuda_kernelERKNSE_10TensorBaseESI_lENKUlvE_clEvENKUlvE1_clEvEUlS7_S7_E_S7_EEDaPvRmT3_T4_T5_mT6_P12ihipStream_tbENKUlT_T0_E_clISt17integral_constantIbLb1EESY_IbLb0EEEEDaSU_SV_EUlSU_E_NS1_11comp_targetILNS1_3genE4ELNS1_11target_archE910ELNS1_3gpuE8ELNS1_3repE0EEENS1_30default_config_static_selectorELNS0_4arch9wavefront6targetE0EEEvT1_, .Lfunc_end224-_ZN7rocprim17ROCPRIM_400000_NS6detail17trampoline_kernelINS0_14default_configENS1_20scan_config_selectorIN3c107complexIdEEEEZZNS1_9scan_implILNS1_25lookback_scan_determinismE0ELb0ELb0ES3_PKS7_PS7_S7_ZZZN2at6native31launch_logcumsumexp_cuda_kernelERKNSE_10TensorBaseESI_lENKUlvE_clEvENKUlvE1_clEvEUlS7_S7_E_S7_EEDaPvRmT3_T4_T5_mT6_P12ihipStream_tbENKUlT_T0_E_clISt17integral_constantIbLb1EESY_IbLb0EEEEDaSU_SV_EUlSU_E_NS1_11comp_targetILNS1_3genE4ELNS1_11target_archE910ELNS1_3gpuE8ELNS1_3repE0EEENS1_30default_config_static_selectorELNS0_4arch9wavefront6targetE0EEEvT1_
                                        ; -- End function
	.set _ZN7rocprim17ROCPRIM_400000_NS6detail17trampoline_kernelINS0_14default_configENS1_20scan_config_selectorIN3c107complexIdEEEEZZNS1_9scan_implILNS1_25lookback_scan_determinismE0ELb0ELb0ES3_PKS7_PS7_S7_ZZZN2at6native31launch_logcumsumexp_cuda_kernelERKNSE_10TensorBaseESI_lENKUlvE_clEvENKUlvE1_clEvEUlS7_S7_E_S7_EEDaPvRmT3_T4_T5_mT6_P12ihipStream_tbENKUlT_T0_E_clISt17integral_constantIbLb1EESY_IbLb0EEEEDaSU_SV_EUlSU_E_NS1_11comp_targetILNS1_3genE4ELNS1_11target_archE910ELNS1_3gpuE8ELNS1_3repE0EEENS1_30default_config_static_selectorELNS0_4arch9wavefront6targetE0EEEvT1_.num_vgpr, 0
	.set _ZN7rocprim17ROCPRIM_400000_NS6detail17trampoline_kernelINS0_14default_configENS1_20scan_config_selectorIN3c107complexIdEEEEZZNS1_9scan_implILNS1_25lookback_scan_determinismE0ELb0ELb0ES3_PKS7_PS7_S7_ZZZN2at6native31launch_logcumsumexp_cuda_kernelERKNSE_10TensorBaseESI_lENKUlvE_clEvENKUlvE1_clEvEUlS7_S7_E_S7_EEDaPvRmT3_T4_T5_mT6_P12ihipStream_tbENKUlT_T0_E_clISt17integral_constantIbLb1EESY_IbLb0EEEEDaSU_SV_EUlSU_E_NS1_11comp_targetILNS1_3genE4ELNS1_11target_archE910ELNS1_3gpuE8ELNS1_3repE0EEENS1_30default_config_static_selectorELNS0_4arch9wavefront6targetE0EEEvT1_.num_agpr, 0
	.set _ZN7rocprim17ROCPRIM_400000_NS6detail17trampoline_kernelINS0_14default_configENS1_20scan_config_selectorIN3c107complexIdEEEEZZNS1_9scan_implILNS1_25lookback_scan_determinismE0ELb0ELb0ES3_PKS7_PS7_S7_ZZZN2at6native31launch_logcumsumexp_cuda_kernelERKNSE_10TensorBaseESI_lENKUlvE_clEvENKUlvE1_clEvEUlS7_S7_E_S7_EEDaPvRmT3_T4_T5_mT6_P12ihipStream_tbENKUlT_T0_E_clISt17integral_constantIbLb1EESY_IbLb0EEEEDaSU_SV_EUlSU_E_NS1_11comp_targetILNS1_3genE4ELNS1_11target_archE910ELNS1_3gpuE8ELNS1_3repE0EEENS1_30default_config_static_selectorELNS0_4arch9wavefront6targetE0EEEvT1_.numbered_sgpr, 0
	.set _ZN7rocprim17ROCPRIM_400000_NS6detail17trampoline_kernelINS0_14default_configENS1_20scan_config_selectorIN3c107complexIdEEEEZZNS1_9scan_implILNS1_25lookback_scan_determinismE0ELb0ELb0ES3_PKS7_PS7_S7_ZZZN2at6native31launch_logcumsumexp_cuda_kernelERKNSE_10TensorBaseESI_lENKUlvE_clEvENKUlvE1_clEvEUlS7_S7_E_S7_EEDaPvRmT3_T4_T5_mT6_P12ihipStream_tbENKUlT_T0_E_clISt17integral_constantIbLb1EESY_IbLb0EEEEDaSU_SV_EUlSU_E_NS1_11comp_targetILNS1_3genE4ELNS1_11target_archE910ELNS1_3gpuE8ELNS1_3repE0EEENS1_30default_config_static_selectorELNS0_4arch9wavefront6targetE0EEEvT1_.num_named_barrier, 0
	.set _ZN7rocprim17ROCPRIM_400000_NS6detail17trampoline_kernelINS0_14default_configENS1_20scan_config_selectorIN3c107complexIdEEEEZZNS1_9scan_implILNS1_25lookback_scan_determinismE0ELb0ELb0ES3_PKS7_PS7_S7_ZZZN2at6native31launch_logcumsumexp_cuda_kernelERKNSE_10TensorBaseESI_lENKUlvE_clEvENKUlvE1_clEvEUlS7_S7_E_S7_EEDaPvRmT3_T4_T5_mT6_P12ihipStream_tbENKUlT_T0_E_clISt17integral_constantIbLb1EESY_IbLb0EEEEDaSU_SV_EUlSU_E_NS1_11comp_targetILNS1_3genE4ELNS1_11target_archE910ELNS1_3gpuE8ELNS1_3repE0EEENS1_30default_config_static_selectorELNS0_4arch9wavefront6targetE0EEEvT1_.private_seg_size, 0
	.set _ZN7rocprim17ROCPRIM_400000_NS6detail17trampoline_kernelINS0_14default_configENS1_20scan_config_selectorIN3c107complexIdEEEEZZNS1_9scan_implILNS1_25lookback_scan_determinismE0ELb0ELb0ES3_PKS7_PS7_S7_ZZZN2at6native31launch_logcumsumexp_cuda_kernelERKNSE_10TensorBaseESI_lENKUlvE_clEvENKUlvE1_clEvEUlS7_S7_E_S7_EEDaPvRmT3_T4_T5_mT6_P12ihipStream_tbENKUlT_T0_E_clISt17integral_constantIbLb1EESY_IbLb0EEEEDaSU_SV_EUlSU_E_NS1_11comp_targetILNS1_3genE4ELNS1_11target_archE910ELNS1_3gpuE8ELNS1_3repE0EEENS1_30default_config_static_selectorELNS0_4arch9wavefront6targetE0EEEvT1_.uses_vcc, 0
	.set _ZN7rocprim17ROCPRIM_400000_NS6detail17trampoline_kernelINS0_14default_configENS1_20scan_config_selectorIN3c107complexIdEEEEZZNS1_9scan_implILNS1_25lookback_scan_determinismE0ELb0ELb0ES3_PKS7_PS7_S7_ZZZN2at6native31launch_logcumsumexp_cuda_kernelERKNSE_10TensorBaseESI_lENKUlvE_clEvENKUlvE1_clEvEUlS7_S7_E_S7_EEDaPvRmT3_T4_T5_mT6_P12ihipStream_tbENKUlT_T0_E_clISt17integral_constantIbLb1EESY_IbLb0EEEEDaSU_SV_EUlSU_E_NS1_11comp_targetILNS1_3genE4ELNS1_11target_archE910ELNS1_3gpuE8ELNS1_3repE0EEENS1_30default_config_static_selectorELNS0_4arch9wavefront6targetE0EEEvT1_.uses_flat_scratch, 0
	.set _ZN7rocprim17ROCPRIM_400000_NS6detail17trampoline_kernelINS0_14default_configENS1_20scan_config_selectorIN3c107complexIdEEEEZZNS1_9scan_implILNS1_25lookback_scan_determinismE0ELb0ELb0ES3_PKS7_PS7_S7_ZZZN2at6native31launch_logcumsumexp_cuda_kernelERKNSE_10TensorBaseESI_lENKUlvE_clEvENKUlvE1_clEvEUlS7_S7_E_S7_EEDaPvRmT3_T4_T5_mT6_P12ihipStream_tbENKUlT_T0_E_clISt17integral_constantIbLb1EESY_IbLb0EEEEDaSU_SV_EUlSU_E_NS1_11comp_targetILNS1_3genE4ELNS1_11target_archE910ELNS1_3gpuE8ELNS1_3repE0EEENS1_30default_config_static_selectorELNS0_4arch9wavefront6targetE0EEEvT1_.has_dyn_sized_stack, 0
	.set _ZN7rocprim17ROCPRIM_400000_NS6detail17trampoline_kernelINS0_14default_configENS1_20scan_config_selectorIN3c107complexIdEEEEZZNS1_9scan_implILNS1_25lookback_scan_determinismE0ELb0ELb0ES3_PKS7_PS7_S7_ZZZN2at6native31launch_logcumsumexp_cuda_kernelERKNSE_10TensorBaseESI_lENKUlvE_clEvENKUlvE1_clEvEUlS7_S7_E_S7_EEDaPvRmT3_T4_T5_mT6_P12ihipStream_tbENKUlT_T0_E_clISt17integral_constantIbLb1EESY_IbLb0EEEEDaSU_SV_EUlSU_E_NS1_11comp_targetILNS1_3genE4ELNS1_11target_archE910ELNS1_3gpuE8ELNS1_3repE0EEENS1_30default_config_static_selectorELNS0_4arch9wavefront6targetE0EEEvT1_.has_recursion, 0
	.set _ZN7rocprim17ROCPRIM_400000_NS6detail17trampoline_kernelINS0_14default_configENS1_20scan_config_selectorIN3c107complexIdEEEEZZNS1_9scan_implILNS1_25lookback_scan_determinismE0ELb0ELb0ES3_PKS7_PS7_S7_ZZZN2at6native31launch_logcumsumexp_cuda_kernelERKNSE_10TensorBaseESI_lENKUlvE_clEvENKUlvE1_clEvEUlS7_S7_E_S7_EEDaPvRmT3_T4_T5_mT6_P12ihipStream_tbENKUlT_T0_E_clISt17integral_constantIbLb1EESY_IbLb0EEEEDaSU_SV_EUlSU_E_NS1_11comp_targetILNS1_3genE4ELNS1_11target_archE910ELNS1_3gpuE8ELNS1_3repE0EEENS1_30default_config_static_selectorELNS0_4arch9wavefront6targetE0EEEvT1_.has_indirect_call, 0
	.section	.AMDGPU.csdata,"",@progbits
; Kernel info:
; codeLenInByte = 0
; TotalNumSgprs: 0
; NumVgprs: 0
; ScratchSize: 0
; MemoryBound: 0
; FloatMode: 240
; IeeeMode: 1
; LDSByteSize: 0 bytes/workgroup (compile time only)
; SGPRBlocks: 0
; VGPRBlocks: 0
; NumSGPRsForWavesPerEU: 1
; NumVGPRsForWavesPerEU: 1
; Occupancy: 16
; WaveLimiterHint : 0
; COMPUTE_PGM_RSRC2:SCRATCH_EN: 0
; COMPUTE_PGM_RSRC2:USER_SGPR: 6
; COMPUTE_PGM_RSRC2:TRAP_HANDLER: 0
; COMPUTE_PGM_RSRC2:TGID_X_EN: 1
; COMPUTE_PGM_RSRC2:TGID_Y_EN: 0
; COMPUTE_PGM_RSRC2:TGID_Z_EN: 0
; COMPUTE_PGM_RSRC2:TIDIG_COMP_CNT: 0
	.section	.text._ZN7rocprim17ROCPRIM_400000_NS6detail17trampoline_kernelINS0_14default_configENS1_20scan_config_selectorIN3c107complexIdEEEEZZNS1_9scan_implILNS1_25lookback_scan_determinismE0ELb0ELb0ES3_PKS7_PS7_S7_ZZZN2at6native31launch_logcumsumexp_cuda_kernelERKNSE_10TensorBaseESI_lENKUlvE_clEvENKUlvE1_clEvEUlS7_S7_E_S7_EEDaPvRmT3_T4_T5_mT6_P12ihipStream_tbENKUlT_T0_E_clISt17integral_constantIbLb1EESY_IbLb0EEEEDaSU_SV_EUlSU_E_NS1_11comp_targetILNS1_3genE3ELNS1_11target_archE908ELNS1_3gpuE7ELNS1_3repE0EEENS1_30default_config_static_selectorELNS0_4arch9wavefront6targetE0EEEvT1_,"axG",@progbits,_ZN7rocprim17ROCPRIM_400000_NS6detail17trampoline_kernelINS0_14default_configENS1_20scan_config_selectorIN3c107complexIdEEEEZZNS1_9scan_implILNS1_25lookback_scan_determinismE0ELb0ELb0ES3_PKS7_PS7_S7_ZZZN2at6native31launch_logcumsumexp_cuda_kernelERKNSE_10TensorBaseESI_lENKUlvE_clEvENKUlvE1_clEvEUlS7_S7_E_S7_EEDaPvRmT3_T4_T5_mT6_P12ihipStream_tbENKUlT_T0_E_clISt17integral_constantIbLb1EESY_IbLb0EEEEDaSU_SV_EUlSU_E_NS1_11comp_targetILNS1_3genE3ELNS1_11target_archE908ELNS1_3gpuE7ELNS1_3repE0EEENS1_30default_config_static_selectorELNS0_4arch9wavefront6targetE0EEEvT1_,comdat
	.globl	_ZN7rocprim17ROCPRIM_400000_NS6detail17trampoline_kernelINS0_14default_configENS1_20scan_config_selectorIN3c107complexIdEEEEZZNS1_9scan_implILNS1_25lookback_scan_determinismE0ELb0ELb0ES3_PKS7_PS7_S7_ZZZN2at6native31launch_logcumsumexp_cuda_kernelERKNSE_10TensorBaseESI_lENKUlvE_clEvENKUlvE1_clEvEUlS7_S7_E_S7_EEDaPvRmT3_T4_T5_mT6_P12ihipStream_tbENKUlT_T0_E_clISt17integral_constantIbLb1EESY_IbLb0EEEEDaSU_SV_EUlSU_E_NS1_11comp_targetILNS1_3genE3ELNS1_11target_archE908ELNS1_3gpuE7ELNS1_3repE0EEENS1_30default_config_static_selectorELNS0_4arch9wavefront6targetE0EEEvT1_ ; -- Begin function _ZN7rocprim17ROCPRIM_400000_NS6detail17trampoline_kernelINS0_14default_configENS1_20scan_config_selectorIN3c107complexIdEEEEZZNS1_9scan_implILNS1_25lookback_scan_determinismE0ELb0ELb0ES3_PKS7_PS7_S7_ZZZN2at6native31launch_logcumsumexp_cuda_kernelERKNSE_10TensorBaseESI_lENKUlvE_clEvENKUlvE1_clEvEUlS7_S7_E_S7_EEDaPvRmT3_T4_T5_mT6_P12ihipStream_tbENKUlT_T0_E_clISt17integral_constantIbLb1EESY_IbLb0EEEEDaSU_SV_EUlSU_E_NS1_11comp_targetILNS1_3genE3ELNS1_11target_archE908ELNS1_3gpuE7ELNS1_3repE0EEENS1_30default_config_static_selectorELNS0_4arch9wavefront6targetE0EEEvT1_
	.p2align	8
	.type	_ZN7rocprim17ROCPRIM_400000_NS6detail17trampoline_kernelINS0_14default_configENS1_20scan_config_selectorIN3c107complexIdEEEEZZNS1_9scan_implILNS1_25lookback_scan_determinismE0ELb0ELb0ES3_PKS7_PS7_S7_ZZZN2at6native31launch_logcumsumexp_cuda_kernelERKNSE_10TensorBaseESI_lENKUlvE_clEvENKUlvE1_clEvEUlS7_S7_E_S7_EEDaPvRmT3_T4_T5_mT6_P12ihipStream_tbENKUlT_T0_E_clISt17integral_constantIbLb1EESY_IbLb0EEEEDaSU_SV_EUlSU_E_NS1_11comp_targetILNS1_3genE3ELNS1_11target_archE908ELNS1_3gpuE7ELNS1_3repE0EEENS1_30default_config_static_selectorELNS0_4arch9wavefront6targetE0EEEvT1_,@function
_ZN7rocprim17ROCPRIM_400000_NS6detail17trampoline_kernelINS0_14default_configENS1_20scan_config_selectorIN3c107complexIdEEEEZZNS1_9scan_implILNS1_25lookback_scan_determinismE0ELb0ELb0ES3_PKS7_PS7_S7_ZZZN2at6native31launch_logcumsumexp_cuda_kernelERKNSE_10TensorBaseESI_lENKUlvE_clEvENKUlvE1_clEvEUlS7_S7_E_S7_EEDaPvRmT3_T4_T5_mT6_P12ihipStream_tbENKUlT_T0_E_clISt17integral_constantIbLb1EESY_IbLb0EEEEDaSU_SV_EUlSU_E_NS1_11comp_targetILNS1_3genE3ELNS1_11target_archE908ELNS1_3gpuE7ELNS1_3repE0EEENS1_30default_config_static_selectorELNS0_4arch9wavefront6targetE0EEEvT1_: ; @_ZN7rocprim17ROCPRIM_400000_NS6detail17trampoline_kernelINS0_14default_configENS1_20scan_config_selectorIN3c107complexIdEEEEZZNS1_9scan_implILNS1_25lookback_scan_determinismE0ELb0ELb0ES3_PKS7_PS7_S7_ZZZN2at6native31launch_logcumsumexp_cuda_kernelERKNSE_10TensorBaseESI_lENKUlvE_clEvENKUlvE1_clEvEUlS7_S7_E_S7_EEDaPvRmT3_T4_T5_mT6_P12ihipStream_tbENKUlT_T0_E_clISt17integral_constantIbLb1EESY_IbLb0EEEEDaSU_SV_EUlSU_E_NS1_11comp_targetILNS1_3genE3ELNS1_11target_archE908ELNS1_3gpuE7ELNS1_3repE0EEENS1_30default_config_static_selectorELNS0_4arch9wavefront6targetE0EEEvT1_
; %bb.0:
	.section	.rodata,"a",@progbits
	.p2align	6, 0x0
	.amdhsa_kernel _ZN7rocprim17ROCPRIM_400000_NS6detail17trampoline_kernelINS0_14default_configENS1_20scan_config_selectorIN3c107complexIdEEEEZZNS1_9scan_implILNS1_25lookback_scan_determinismE0ELb0ELb0ES3_PKS7_PS7_S7_ZZZN2at6native31launch_logcumsumexp_cuda_kernelERKNSE_10TensorBaseESI_lENKUlvE_clEvENKUlvE1_clEvEUlS7_S7_E_S7_EEDaPvRmT3_T4_T5_mT6_P12ihipStream_tbENKUlT_T0_E_clISt17integral_constantIbLb1EESY_IbLb0EEEEDaSU_SV_EUlSU_E_NS1_11comp_targetILNS1_3genE3ELNS1_11target_archE908ELNS1_3gpuE7ELNS1_3repE0EEENS1_30default_config_static_selectorELNS0_4arch9wavefront6targetE0EEEvT1_
		.amdhsa_group_segment_fixed_size 0
		.amdhsa_private_segment_fixed_size 0
		.amdhsa_kernarg_size 128
		.amdhsa_user_sgpr_count 6
		.amdhsa_user_sgpr_private_segment_buffer 1
		.amdhsa_user_sgpr_dispatch_ptr 0
		.amdhsa_user_sgpr_queue_ptr 0
		.amdhsa_user_sgpr_kernarg_segment_ptr 1
		.amdhsa_user_sgpr_dispatch_id 0
		.amdhsa_user_sgpr_flat_scratch_init 0
		.amdhsa_user_sgpr_private_segment_size 0
		.amdhsa_wavefront_size32 1
		.amdhsa_uses_dynamic_stack 0
		.amdhsa_system_sgpr_private_segment_wavefront_offset 0
		.amdhsa_system_sgpr_workgroup_id_x 1
		.amdhsa_system_sgpr_workgroup_id_y 0
		.amdhsa_system_sgpr_workgroup_id_z 0
		.amdhsa_system_sgpr_workgroup_info 0
		.amdhsa_system_vgpr_workitem_id 0
		.amdhsa_next_free_vgpr 1
		.amdhsa_next_free_sgpr 1
		.amdhsa_reserve_vcc 0
		.amdhsa_reserve_flat_scratch 0
		.amdhsa_float_round_mode_32 0
		.amdhsa_float_round_mode_16_64 0
		.amdhsa_float_denorm_mode_32 3
		.amdhsa_float_denorm_mode_16_64 3
		.amdhsa_dx10_clamp 1
		.amdhsa_ieee_mode 1
		.amdhsa_fp16_overflow 0
		.amdhsa_workgroup_processor_mode 1
		.amdhsa_memory_ordered 1
		.amdhsa_forward_progress 1
		.amdhsa_shared_vgpr_count 0
		.amdhsa_exception_fp_ieee_invalid_op 0
		.amdhsa_exception_fp_denorm_src 0
		.amdhsa_exception_fp_ieee_div_zero 0
		.amdhsa_exception_fp_ieee_overflow 0
		.amdhsa_exception_fp_ieee_underflow 0
		.amdhsa_exception_fp_ieee_inexact 0
		.amdhsa_exception_int_div_zero 0
	.end_amdhsa_kernel
	.section	.text._ZN7rocprim17ROCPRIM_400000_NS6detail17trampoline_kernelINS0_14default_configENS1_20scan_config_selectorIN3c107complexIdEEEEZZNS1_9scan_implILNS1_25lookback_scan_determinismE0ELb0ELb0ES3_PKS7_PS7_S7_ZZZN2at6native31launch_logcumsumexp_cuda_kernelERKNSE_10TensorBaseESI_lENKUlvE_clEvENKUlvE1_clEvEUlS7_S7_E_S7_EEDaPvRmT3_T4_T5_mT6_P12ihipStream_tbENKUlT_T0_E_clISt17integral_constantIbLb1EESY_IbLb0EEEEDaSU_SV_EUlSU_E_NS1_11comp_targetILNS1_3genE3ELNS1_11target_archE908ELNS1_3gpuE7ELNS1_3repE0EEENS1_30default_config_static_selectorELNS0_4arch9wavefront6targetE0EEEvT1_,"axG",@progbits,_ZN7rocprim17ROCPRIM_400000_NS6detail17trampoline_kernelINS0_14default_configENS1_20scan_config_selectorIN3c107complexIdEEEEZZNS1_9scan_implILNS1_25lookback_scan_determinismE0ELb0ELb0ES3_PKS7_PS7_S7_ZZZN2at6native31launch_logcumsumexp_cuda_kernelERKNSE_10TensorBaseESI_lENKUlvE_clEvENKUlvE1_clEvEUlS7_S7_E_S7_EEDaPvRmT3_T4_T5_mT6_P12ihipStream_tbENKUlT_T0_E_clISt17integral_constantIbLb1EESY_IbLb0EEEEDaSU_SV_EUlSU_E_NS1_11comp_targetILNS1_3genE3ELNS1_11target_archE908ELNS1_3gpuE7ELNS1_3repE0EEENS1_30default_config_static_selectorELNS0_4arch9wavefront6targetE0EEEvT1_,comdat
.Lfunc_end225:
	.size	_ZN7rocprim17ROCPRIM_400000_NS6detail17trampoline_kernelINS0_14default_configENS1_20scan_config_selectorIN3c107complexIdEEEEZZNS1_9scan_implILNS1_25lookback_scan_determinismE0ELb0ELb0ES3_PKS7_PS7_S7_ZZZN2at6native31launch_logcumsumexp_cuda_kernelERKNSE_10TensorBaseESI_lENKUlvE_clEvENKUlvE1_clEvEUlS7_S7_E_S7_EEDaPvRmT3_T4_T5_mT6_P12ihipStream_tbENKUlT_T0_E_clISt17integral_constantIbLb1EESY_IbLb0EEEEDaSU_SV_EUlSU_E_NS1_11comp_targetILNS1_3genE3ELNS1_11target_archE908ELNS1_3gpuE7ELNS1_3repE0EEENS1_30default_config_static_selectorELNS0_4arch9wavefront6targetE0EEEvT1_, .Lfunc_end225-_ZN7rocprim17ROCPRIM_400000_NS6detail17trampoline_kernelINS0_14default_configENS1_20scan_config_selectorIN3c107complexIdEEEEZZNS1_9scan_implILNS1_25lookback_scan_determinismE0ELb0ELb0ES3_PKS7_PS7_S7_ZZZN2at6native31launch_logcumsumexp_cuda_kernelERKNSE_10TensorBaseESI_lENKUlvE_clEvENKUlvE1_clEvEUlS7_S7_E_S7_EEDaPvRmT3_T4_T5_mT6_P12ihipStream_tbENKUlT_T0_E_clISt17integral_constantIbLb1EESY_IbLb0EEEEDaSU_SV_EUlSU_E_NS1_11comp_targetILNS1_3genE3ELNS1_11target_archE908ELNS1_3gpuE7ELNS1_3repE0EEENS1_30default_config_static_selectorELNS0_4arch9wavefront6targetE0EEEvT1_
                                        ; -- End function
	.set _ZN7rocprim17ROCPRIM_400000_NS6detail17trampoline_kernelINS0_14default_configENS1_20scan_config_selectorIN3c107complexIdEEEEZZNS1_9scan_implILNS1_25lookback_scan_determinismE0ELb0ELb0ES3_PKS7_PS7_S7_ZZZN2at6native31launch_logcumsumexp_cuda_kernelERKNSE_10TensorBaseESI_lENKUlvE_clEvENKUlvE1_clEvEUlS7_S7_E_S7_EEDaPvRmT3_T4_T5_mT6_P12ihipStream_tbENKUlT_T0_E_clISt17integral_constantIbLb1EESY_IbLb0EEEEDaSU_SV_EUlSU_E_NS1_11comp_targetILNS1_3genE3ELNS1_11target_archE908ELNS1_3gpuE7ELNS1_3repE0EEENS1_30default_config_static_selectorELNS0_4arch9wavefront6targetE0EEEvT1_.num_vgpr, 0
	.set _ZN7rocprim17ROCPRIM_400000_NS6detail17trampoline_kernelINS0_14default_configENS1_20scan_config_selectorIN3c107complexIdEEEEZZNS1_9scan_implILNS1_25lookback_scan_determinismE0ELb0ELb0ES3_PKS7_PS7_S7_ZZZN2at6native31launch_logcumsumexp_cuda_kernelERKNSE_10TensorBaseESI_lENKUlvE_clEvENKUlvE1_clEvEUlS7_S7_E_S7_EEDaPvRmT3_T4_T5_mT6_P12ihipStream_tbENKUlT_T0_E_clISt17integral_constantIbLb1EESY_IbLb0EEEEDaSU_SV_EUlSU_E_NS1_11comp_targetILNS1_3genE3ELNS1_11target_archE908ELNS1_3gpuE7ELNS1_3repE0EEENS1_30default_config_static_selectorELNS0_4arch9wavefront6targetE0EEEvT1_.num_agpr, 0
	.set _ZN7rocprim17ROCPRIM_400000_NS6detail17trampoline_kernelINS0_14default_configENS1_20scan_config_selectorIN3c107complexIdEEEEZZNS1_9scan_implILNS1_25lookback_scan_determinismE0ELb0ELb0ES3_PKS7_PS7_S7_ZZZN2at6native31launch_logcumsumexp_cuda_kernelERKNSE_10TensorBaseESI_lENKUlvE_clEvENKUlvE1_clEvEUlS7_S7_E_S7_EEDaPvRmT3_T4_T5_mT6_P12ihipStream_tbENKUlT_T0_E_clISt17integral_constantIbLb1EESY_IbLb0EEEEDaSU_SV_EUlSU_E_NS1_11comp_targetILNS1_3genE3ELNS1_11target_archE908ELNS1_3gpuE7ELNS1_3repE0EEENS1_30default_config_static_selectorELNS0_4arch9wavefront6targetE0EEEvT1_.numbered_sgpr, 0
	.set _ZN7rocprim17ROCPRIM_400000_NS6detail17trampoline_kernelINS0_14default_configENS1_20scan_config_selectorIN3c107complexIdEEEEZZNS1_9scan_implILNS1_25lookback_scan_determinismE0ELb0ELb0ES3_PKS7_PS7_S7_ZZZN2at6native31launch_logcumsumexp_cuda_kernelERKNSE_10TensorBaseESI_lENKUlvE_clEvENKUlvE1_clEvEUlS7_S7_E_S7_EEDaPvRmT3_T4_T5_mT6_P12ihipStream_tbENKUlT_T0_E_clISt17integral_constantIbLb1EESY_IbLb0EEEEDaSU_SV_EUlSU_E_NS1_11comp_targetILNS1_3genE3ELNS1_11target_archE908ELNS1_3gpuE7ELNS1_3repE0EEENS1_30default_config_static_selectorELNS0_4arch9wavefront6targetE0EEEvT1_.num_named_barrier, 0
	.set _ZN7rocprim17ROCPRIM_400000_NS6detail17trampoline_kernelINS0_14default_configENS1_20scan_config_selectorIN3c107complexIdEEEEZZNS1_9scan_implILNS1_25lookback_scan_determinismE0ELb0ELb0ES3_PKS7_PS7_S7_ZZZN2at6native31launch_logcumsumexp_cuda_kernelERKNSE_10TensorBaseESI_lENKUlvE_clEvENKUlvE1_clEvEUlS7_S7_E_S7_EEDaPvRmT3_T4_T5_mT6_P12ihipStream_tbENKUlT_T0_E_clISt17integral_constantIbLb1EESY_IbLb0EEEEDaSU_SV_EUlSU_E_NS1_11comp_targetILNS1_3genE3ELNS1_11target_archE908ELNS1_3gpuE7ELNS1_3repE0EEENS1_30default_config_static_selectorELNS0_4arch9wavefront6targetE0EEEvT1_.private_seg_size, 0
	.set _ZN7rocprim17ROCPRIM_400000_NS6detail17trampoline_kernelINS0_14default_configENS1_20scan_config_selectorIN3c107complexIdEEEEZZNS1_9scan_implILNS1_25lookback_scan_determinismE0ELb0ELb0ES3_PKS7_PS7_S7_ZZZN2at6native31launch_logcumsumexp_cuda_kernelERKNSE_10TensorBaseESI_lENKUlvE_clEvENKUlvE1_clEvEUlS7_S7_E_S7_EEDaPvRmT3_T4_T5_mT6_P12ihipStream_tbENKUlT_T0_E_clISt17integral_constantIbLb1EESY_IbLb0EEEEDaSU_SV_EUlSU_E_NS1_11comp_targetILNS1_3genE3ELNS1_11target_archE908ELNS1_3gpuE7ELNS1_3repE0EEENS1_30default_config_static_selectorELNS0_4arch9wavefront6targetE0EEEvT1_.uses_vcc, 0
	.set _ZN7rocprim17ROCPRIM_400000_NS6detail17trampoline_kernelINS0_14default_configENS1_20scan_config_selectorIN3c107complexIdEEEEZZNS1_9scan_implILNS1_25lookback_scan_determinismE0ELb0ELb0ES3_PKS7_PS7_S7_ZZZN2at6native31launch_logcumsumexp_cuda_kernelERKNSE_10TensorBaseESI_lENKUlvE_clEvENKUlvE1_clEvEUlS7_S7_E_S7_EEDaPvRmT3_T4_T5_mT6_P12ihipStream_tbENKUlT_T0_E_clISt17integral_constantIbLb1EESY_IbLb0EEEEDaSU_SV_EUlSU_E_NS1_11comp_targetILNS1_3genE3ELNS1_11target_archE908ELNS1_3gpuE7ELNS1_3repE0EEENS1_30default_config_static_selectorELNS0_4arch9wavefront6targetE0EEEvT1_.uses_flat_scratch, 0
	.set _ZN7rocprim17ROCPRIM_400000_NS6detail17trampoline_kernelINS0_14default_configENS1_20scan_config_selectorIN3c107complexIdEEEEZZNS1_9scan_implILNS1_25lookback_scan_determinismE0ELb0ELb0ES3_PKS7_PS7_S7_ZZZN2at6native31launch_logcumsumexp_cuda_kernelERKNSE_10TensorBaseESI_lENKUlvE_clEvENKUlvE1_clEvEUlS7_S7_E_S7_EEDaPvRmT3_T4_T5_mT6_P12ihipStream_tbENKUlT_T0_E_clISt17integral_constantIbLb1EESY_IbLb0EEEEDaSU_SV_EUlSU_E_NS1_11comp_targetILNS1_3genE3ELNS1_11target_archE908ELNS1_3gpuE7ELNS1_3repE0EEENS1_30default_config_static_selectorELNS0_4arch9wavefront6targetE0EEEvT1_.has_dyn_sized_stack, 0
	.set _ZN7rocprim17ROCPRIM_400000_NS6detail17trampoline_kernelINS0_14default_configENS1_20scan_config_selectorIN3c107complexIdEEEEZZNS1_9scan_implILNS1_25lookback_scan_determinismE0ELb0ELb0ES3_PKS7_PS7_S7_ZZZN2at6native31launch_logcumsumexp_cuda_kernelERKNSE_10TensorBaseESI_lENKUlvE_clEvENKUlvE1_clEvEUlS7_S7_E_S7_EEDaPvRmT3_T4_T5_mT6_P12ihipStream_tbENKUlT_T0_E_clISt17integral_constantIbLb1EESY_IbLb0EEEEDaSU_SV_EUlSU_E_NS1_11comp_targetILNS1_3genE3ELNS1_11target_archE908ELNS1_3gpuE7ELNS1_3repE0EEENS1_30default_config_static_selectorELNS0_4arch9wavefront6targetE0EEEvT1_.has_recursion, 0
	.set _ZN7rocprim17ROCPRIM_400000_NS6detail17trampoline_kernelINS0_14default_configENS1_20scan_config_selectorIN3c107complexIdEEEEZZNS1_9scan_implILNS1_25lookback_scan_determinismE0ELb0ELb0ES3_PKS7_PS7_S7_ZZZN2at6native31launch_logcumsumexp_cuda_kernelERKNSE_10TensorBaseESI_lENKUlvE_clEvENKUlvE1_clEvEUlS7_S7_E_S7_EEDaPvRmT3_T4_T5_mT6_P12ihipStream_tbENKUlT_T0_E_clISt17integral_constantIbLb1EESY_IbLb0EEEEDaSU_SV_EUlSU_E_NS1_11comp_targetILNS1_3genE3ELNS1_11target_archE908ELNS1_3gpuE7ELNS1_3repE0EEENS1_30default_config_static_selectorELNS0_4arch9wavefront6targetE0EEEvT1_.has_indirect_call, 0
	.section	.AMDGPU.csdata,"",@progbits
; Kernel info:
; codeLenInByte = 0
; TotalNumSgprs: 0
; NumVgprs: 0
; ScratchSize: 0
; MemoryBound: 0
; FloatMode: 240
; IeeeMode: 1
; LDSByteSize: 0 bytes/workgroup (compile time only)
; SGPRBlocks: 0
; VGPRBlocks: 0
; NumSGPRsForWavesPerEU: 1
; NumVGPRsForWavesPerEU: 1
; Occupancy: 16
; WaveLimiterHint : 0
; COMPUTE_PGM_RSRC2:SCRATCH_EN: 0
; COMPUTE_PGM_RSRC2:USER_SGPR: 6
; COMPUTE_PGM_RSRC2:TRAP_HANDLER: 0
; COMPUTE_PGM_RSRC2:TGID_X_EN: 1
; COMPUTE_PGM_RSRC2:TGID_Y_EN: 0
; COMPUTE_PGM_RSRC2:TGID_Z_EN: 0
; COMPUTE_PGM_RSRC2:TIDIG_COMP_CNT: 0
	.section	.text._ZN7rocprim17ROCPRIM_400000_NS6detail17trampoline_kernelINS0_14default_configENS1_20scan_config_selectorIN3c107complexIdEEEEZZNS1_9scan_implILNS1_25lookback_scan_determinismE0ELb0ELb0ES3_PKS7_PS7_S7_ZZZN2at6native31launch_logcumsumexp_cuda_kernelERKNSE_10TensorBaseESI_lENKUlvE_clEvENKUlvE1_clEvEUlS7_S7_E_S7_EEDaPvRmT3_T4_T5_mT6_P12ihipStream_tbENKUlT_T0_E_clISt17integral_constantIbLb1EESY_IbLb0EEEEDaSU_SV_EUlSU_E_NS1_11comp_targetILNS1_3genE2ELNS1_11target_archE906ELNS1_3gpuE6ELNS1_3repE0EEENS1_30default_config_static_selectorELNS0_4arch9wavefront6targetE0EEEvT1_,"axG",@progbits,_ZN7rocprim17ROCPRIM_400000_NS6detail17trampoline_kernelINS0_14default_configENS1_20scan_config_selectorIN3c107complexIdEEEEZZNS1_9scan_implILNS1_25lookback_scan_determinismE0ELb0ELb0ES3_PKS7_PS7_S7_ZZZN2at6native31launch_logcumsumexp_cuda_kernelERKNSE_10TensorBaseESI_lENKUlvE_clEvENKUlvE1_clEvEUlS7_S7_E_S7_EEDaPvRmT3_T4_T5_mT6_P12ihipStream_tbENKUlT_T0_E_clISt17integral_constantIbLb1EESY_IbLb0EEEEDaSU_SV_EUlSU_E_NS1_11comp_targetILNS1_3genE2ELNS1_11target_archE906ELNS1_3gpuE6ELNS1_3repE0EEENS1_30default_config_static_selectorELNS0_4arch9wavefront6targetE0EEEvT1_,comdat
	.globl	_ZN7rocprim17ROCPRIM_400000_NS6detail17trampoline_kernelINS0_14default_configENS1_20scan_config_selectorIN3c107complexIdEEEEZZNS1_9scan_implILNS1_25lookback_scan_determinismE0ELb0ELb0ES3_PKS7_PS7_S7_ZZZN2at6native31launch_logcumsumexp_cuda_kernelERKNSE_10TensorBaseESI_lENKUlvE_clEvENKUlvE1_clEvEUlS7_S7_E_S7_EEDaPvRmT3_T4_T5_mT6_P12ihipStream_tbENKUlT_T0_E_clISt17integral_constantIbLb1EESY_IbLb0EEEEDaSU_SV_EUlSU_E_NS1_11comp_targetILNS1_3genE2ELNS1_11target_archE906ELNS1_3gpuE6ELNS1_3repE0EEENS1_30default_config_static_selectorELNS0_4arch9wavefront6targetE0EEEvT1_ ; -- Begin function _ZN7rocprim17ROCPRIM_400000_NS6detail17trampoline_kernelINS0_14default_configENS1_20scan_config_selectorIN3c107complexIdEEEEZZNS1_9scan_implILNS1_25lookback_scan_determinismE0ELb0ELb0ES3_PKS7_PS7_S7_ZZZN2at6native31launch_logcumsumexp_cuda_kernelERKNSE_10TensorBaseESI_lENKUlvE_clEvENKUlvE1_clEvEUlS7_S7_E_S7_EEDaPvRmT3_T4_T5_mT6_P12ihipStream_tbENKUlT_T0_E_clISt17integral_constantIbLb1EESY_IbLb0EEEEDaSU_SV_EUlSU_E_NS1_11comp_targetILNS1_3genE2ELNS1_11target_archE906ELNS1_3gpuE6ELNS1_3repE0EEENS1_30default_config_static_selectorELNS0_4arch9wavefront6targetE0EEEvT1_
	.p2align	8
	.type	_ZN7rocprim17ROCPRIM_400000_NS6detail17trampoline_kernelINS0_14default_configENS1_20scan_config_selectorIN3c107complexIdEEEEZZNS1_9scan_implILNS1_25lookback_scan_determinismE0ELb0ELb0ES3_PKS7_PS7_S7_ZZZN2at6native31launch_logcumsumexp_cuda_kernelERKNSE_10TensorBaseESI_lENKUlvE_clEvENKUlvE1_clEvEUlS7_S7_E_S7_EEDaPvRmT3_T4_T5_mT6_P12ihipStream_tbENKUlT_T0_E_clISt17integral_constantIbLb1EESY_IbLb0EEEEDaSU_SV_EUlSU_E_NS1_11comp_targetILNS1_3genE2ELNS1_11target_archE906ELNS1_3gpuE6ELNS1_3repE0EEENS1_30default_config_static_selectorELNS0_4arch9wavefront6targetE0EEEvT1_,@function
_ZN7rocprim17ROCPRIM_400000_NS6detail17trampoline_kernelINS0_14default_configENS1_20scan_config_selectorIN3c107complexIdEEEEZZNS1_9scan_implILNS1_25lookback_scan_determinismE0ELb0ELb0ES3_PKS7_PS7_S7_ZZZN2at6native31launch_logcumsumexp_cuda_kernelERKNSE_10TensorBaseESI_lENKUlvE_clEvENKUlvE1_clEvEUlS7_S7_E_S7_EEDaPvRmT3_T4_T5_mT6_P12ihipStream_tbENKUlT_T0_E_clISt17integral_constantIbLb1EESY_IbLb0EEEEDaSU_SV_EUlSU_E_NS1_11comp_targetILNS1_3genE2ELNS1_11target_archE906ELNS1_3gpuE6ELNS1_3repE0EEENS1_30default_config_static_selectorELNS0_4arch9wavefront6targetE0EEEvT1_: ; @_ZN7rocprim17ROCPRIM_400000_NS6detail17trampoline_kernelINS0_14default_configENS1_20scan_config_selectorIN3c107complexIdEEEEZZNS1_9scan_implILNS1_25lookback_scan_determinismE0ELb0ELb0ES3_PKS7_PS7_S7_ZZZN2at6native31launch_logcumsumexp_cuda_kernelERKNSE_10TensorBaseESI_lENKUlvE_clEvENKUlvE1_clEvEUlS7_S7_E_S7_EEDaPvRmT3_T4_T5_mT6_P12ihipStream_tbENKUlT_T0_E_clISt17integral_constantIbLb1EESY_IbLb0EEEEDaSU_SV_EUlSU_E_NS1_11comp_targetILNS1_3genE2ELNS1_11target_archE906ELNS1_3gpuE6ELNS1_3repE0EEENS1_30default_config_static_selectorELNS0_4arch9wavefront6targetE0EEEvT1_
; %bb.0:
	.section	.rodata,"a",@progbits
	.p2align	6, 0x0
	.amdhsa_kernel _ZN7rocprim17ROCPRIM_400000_NS6detail17trampoline_kernelINS0_14default_configENS1_20scan_config_selectorIN3c107complexIdEEEEZZNS1_9scan_implILNS1_25lookback_scan_determinismE0ELb0ELb0ES3_PKS7_PS7_S7_ZZZN2at6native31launch_logcumsumexp_cuda_kernelERKNSE_10TensorBaseESI_lENKUlvE_clEvENKUlvE1_clEvEUlS7_S7_E_S7_EEDaPvRmT3_T4_T5_mT6_P12ihipStream_tbENKUlT_T0_E_clISt17integral_constantIbLb1EESY_IbLb0EEEEDaSU_SV_EUlSU_E_NS1_11comp_targetILNS1_3genE2ELNS1_11target_archE906ELNS1_3gpuE6ELNS1_3repE0EEENS1_30default_config_static_selectorELNS0_4arch9wavefront6targetE0EEEvT1_
		.amdhsa_group_segment_fixed_size 0
		.amdhsa_private_segment_fixed_size 0
		.amdhsa_kernarg_size 128
		.amdhsa_user_sgpr_count 6
		.amdhsa_user_sgpr_private_segment_buffer 1
		.amdhsa_user_sgpr_dispatch_ptr 0
		.amdhsa_user_sgpr_queue_ptr 0
		.amdhsa_user_sgpr_kernarg_segment_ptr 1
		.amdhsa_user_sgpr_dispatch_id 0
		.amdhsa_user_sgpr_flat_scratch_init 0
		.amdhsa_user_sgpr_private_segment_size 0
		.amdhsa_wavefront_size32 1
		.amdhsa_uses_dynamic_stack 0
		.amdhsa_system_sgpr_private_segment_wavefront_offset 0
		.amdhsa_system_sgpr_workgroup_id_x 1
		.amdhsa_system_sgpr_workgroup_id_y 0
		.amdhsa_system_sgpr_workgroup_id_z 0
		.amdhsa_system_sgpr_workgroup_info 0
		.amdhsa_system_vgpr_workitem_id 0
		.amdhsa_next_free_vgpr 1
		.amdhsa_next_free_sgpr 1
		.amdhsa_reserve_vcc 0
		.amdhsa_reserve_flat_scratch 0
		.amdhsa_float_round_mode_32 0
		.amdhsa_float_round_mode_16_64 0
		.amdhsa_float_denorm_mode_32 3
		.amdhsa_float_denorm_mode_16_64 3
		.amdhsa_dx10_clamp 1
		.amdhsa_ieee_mode 1
		.amdhsa_fp16_overflow 0
		.amdhsa_workgroup_processor_mode 1
		.amdhsa_memory_ordered 1
		.amdhsa_forward_progress 1
		.amdhsa_shared_vgpr_count 0
		.amdhsa_exception_fp_ieee_invalid_op 0
		.amdhsa_exception_fp_denorm_src 0
		.amdhsa_exception_fp_ieee_div_zero 0
		.amdhsa_exception_fp_ieee_overflow 0
		.amdhsa_exception_fp_ieee_underflow 0
		.amdhsa_exception_fp_ieee_inexact 0
		.amdhsa_exception_int_div_zero 0
	.end_amdhsa_kernel
	.section	.text._ZN7rocprim17ROCPRIM_400000_NS6detail17trampoline_kernelINS0_14default_configENS1_20scan_config_selectorIN3c107complexIdEEEEZZNS1_9scan_implILNS1_25lookback_scan_determinismE0ELb0ELb0ES3_PKS7_PS7_S7_ZZZN2at6native31launch_logcumsumexp_cuda_kernelERKNSE_10TensorBaseESI_lENKUlvE_clEvENKUlvE1_clEvEUlS7_S7_E_S7_EEDaPvRmT3_T4_T5_mT6_P12ihipStream_tbENKUlT_T0_E_clISt17integral_constantIbLb1EESY_IbLb0EEEEDaSU_SV_EUlSU_E_NS1_11comp_targetILNS1_3genE2ELNS1_11target_archE906ELNS1_3gpuE6ELNS1_3repE0EEENS1_30default_config_static_selectorELNS0_4arch9wavefront6targetE0EEEvT1_,"axG",@progbits,_ZN7rocprim17ROCPRIM_400000_NS6detail17trampoline_kernelINS0_14default_configENS1_20scan_config_selectorIN3c107complexIdEEEEZZNS1_9scan_implILNS1_25lookback_scan_determinismE0ELb0ELb0ES3_PKS7_PS7_S7_ZZZN2at6native31launch_logcumsumexp_cuda_kernelERKNSE_10TensorBaseESI_lENKUlvE_clEvENKUlvE1_clEvEUlS7_S7_E_S7_EEDaPvRmT3_T4_T5_mT6_P12ihipStream_tbENKUlT_T0_E_clISt17integral_constantIbLb1EESY_IbLb0EEEEDaSU_SV_EUlSU_E_NS1_11comp_targetILNS1_3genE2ELNS1_11target_archE906ELNS1_3gpuE6ELNS1_3repE0EEENS1_30default_config_static_selectorELNS0_4arch9wavefront6targetE0EEEvT1_,comdat
.Lfunc_end226:
	.size	_ZN7rocprim17ROCPRIM_400000_NS6detail17trampoline_kernelINS0_14default_configENS1_20scan_config_selectorIN3c107complexIdEEEEZZNS1_9scan_implILNS1_25lookback_scan_determinismE0ELb0ELb0ES3_PKS7_PS7_S7_ZZZN2at6native31launch_logcumsumexp_cuda_kernelERKNSE_10TensorBaseESI_lENKUlvE_clEvENKUlvE1_clEvEUlS7_S7_E_S7_EEDaPvRmT3_T4_T5_mT6_P12ihipStream_tbENKUlT_T0_E_clISt17integral_constantIbLb1EESY_IbLb0EEEEDaSU_SV_EUlSU_E_NS1_11comp_targetILNS1_3genE2ELNS1_11target_archE906ELNS1_3gpuE6ELNS1_3repE0EEENS1_30default_config_static_selectorELNS0_4arch9wavefront6targetE0EEEvT1_, .Lfunc_end226-_ZN7rocprim17ROCPRIM_400000_NS6detail17trampoline_kernelINS0_14default_configENS1_20scan_config_selectorIN3c107complexIdEEEEZZNS1_9scan_implILNS1_25lookback_scan_determinismE0ELb0ELb0ES3_PKS7_PS7_S7_ZZZN2at6native31launch_logcumsumexp_cuda_kernelERKNSE_10TensorBaseESI_lENKUlvE_clEvENKUlvE1_clEvEUlS7_S7_E_S7_EEDaPvRmT3_T4_T5_mT6_P12ihipStream_tbENKUlT_T0_E_clISt17integral_constantIbLb1EESY_IbLb0EEEEDaSU_SV_EUlSU_E_NS1_11comp_targetILNS1_3genE2ELNS1_11target_archE906ELNS1_3gpuE6ELNS1_3repE0EEENS1_30default_config_static_selectorELNS0_4arch9wavefront6targetE0EEEvT1_
                                        ; -- End function
	.set _ZN7rocprim17ROCPRIM_400000_NS6detail17trampoline_kernelINS0_14default_configENS1_20scan_config_selectorIN3c107complexIdEEEEZZNS1_9scan_implILNS1_25lookback_scan_determinismE0ELb0ELb0ES3_PKS7_PS7_S7_ZZZN2at6native31launch_logcumsumexp_cuda_kernelERKNSE_10TensorBaseESI_lENKUlvE_clEvENKUlvE1_clEvEUlS7_S7_E_S7_EEDaPvRmT3_T4_T5_mT6_P12ihipStream_tbENKUlT_T0_E_clISt17integral_constantIbLb1EESY_IbLb0EEEEDaSU_SV_EUlSU_E_NS1_11comp_targetILNS1_3genE2ELNS1_11target_archE906ELNS1_3gpuE6ELNS1_3repE0EEENS1_30default_config_static_selectorELNS0_4arch9wavefront6targetE0EEEvT1_.num_vgpr, 0
	.set _ZN7rocprim17ROCPRIM_400000_NS6detail17trampoline_kernelINS0_14default_configENS1_20scan_config_selectorIN3c107complexIdEEEEZZNS1_9scan_implILNS1_25lookback_scan_determinismE0ELb0ELb0ES3_PKS7_PS7_S7_ZZZN2at6native31launch_logcumsumexp_cuda_kernelERKNSE_10TensorBaseESI_lENKUlvE_clEvENKUlvE1_clEvEUlS7_S7_E_S7_EEDaPvRmT3_T4_T5_mT6_P12ihipStream_tbENKUlT_T0_E_clISt17integral_constantIbLb1EESY_IbLb0EEEEDaSU_SV_EUlSU_E_NS1_11comp_targetILNS1_3genE2ELNS1_11target_archE906ELNS1_3gpuE6ELNS1_3repE0EEENS1_30default_config_static_selectorELNS0_4arch9wavefront6targetE0EEEvT1_.num_agpr, 0
	.set _ZN7rocprim17ROCPRIM_400000_NS6detail17trampoline_kernelINS0_14default_configENS1_20scan_config_selectorIN3c107complexIdEEEEZZNS1_9scan_implILNS1_25lookback_scan_determinismE0ELb0ELb0ES3_PKS7_PS7_S7_ZZZN2at6native31launch_logcumsumexp_cuda_kernelERKNSE_10TensorBaseESI_lENKUlvE_clEvENKUlvE1_clEvEUlS7_S7_E_S7_EEDaPvRmT3_T4_T5_mT6_P12ihipStream_tbENKUlT_T0_E_clISt17integral_constantIbLb1EESY_IbLb0EEEEDaSU_SV_EUlSU_E_NS1_11comp_targetILNS1_3genE2ELNS1_11target_archE906ELNS1_3gpuE6ELNS1_3repE0EEENS1_30default_config_static_selectorELNS0_4arch9wavefront6targetE0EEEvT1_.numbered_sgpr, 0
	.set _ZN7rocprim17ROCPRIM_400000_NS6detail17trampoline_kernelINS0_14default_configENS1_20scan_config_selectorIN3c107complexIdEEEEZZNS1_9scan_implILNS1_25lookback_scan_determinismE0ELb0ELb0ES3_PKS7_PS7_S7_ZZZN2at6native31launch_logcumsumexp_cuda_kernelERKNSE_10TensorBaseESI_lENKUlvE_clEvENKUlvE1_clEvEUlS7_S7_E_S7_EEDaPvRmT3_T4_T5_mT6_P12ihipStream_tbENKUlT_T0_E_clISt17integral_constantIbLb1EESY_IbLb0EEEEDaSU_SV_EUlSU_E_NS1_11comp_targetILNS1_3genE2ELNS1_11target_archE906ELNS1_3gpuE6ELNS1_3repE0EEENS1_30default_config_static_selectorELNS0_4arch9wavefront6targetE0EEEvT1_.num_named_barrier, 0
	.set _ZN7rocprim17ROCPRIM_400000_NS6detail17trampoline_kernelINS0_14default_configENS1_20scan_config_selectorIN3c107complexIdEEEEZZNS1_9scan_implILNS1_25lookback_scan_determinismE0ELb0ELb0ES3_PKS7_PS7_S7_ZZZN2at6native31launch_logcumsumexp_cuda_kernelERKNSE_10TensorBaseESI_lENKUlvE_clEvENKUlvE1_clEvEUlS7_S7_E_S7_EEDaPvRmT3_T4_T5_mT6_P12ihipStream_tbENKUlT_T0_E_clISt17integral_constantIbLb1EESY_IbLb0EEEEDaSU_SV_EUlSU_E_NS1_11comp_targetILNS1_3genE2ELNS1_11target_archE906ELNS1_3gpuE6ELNS1_3repE0EEENS1_30default_config_static_selectorELNS0_4arch9wavefront6targetE0EEEvT1_.private_seg_size, 0
	.set _ZN7rocprim17ROCPRIM_400000_NS6detail17trampoline_kernelINS0_14default_configENS1_20scan_config_selectorIN3c107complexIdEEEEZZNS1_9scan_implILNS1_25lookback_scan_determinismE0ELb0ELb0ES3_PKS7_PS7_S7_ZZZN2at6native31launch_logcumsumexp_cuda_kernelERKNSE_10TensorBaseESI_lENKUlvE_clEvENKUlvE1_clEvEUlS7_S7_E_S7_EEDaPvRmT3_T4_T5_mT6_P12ihipStream_tbENKUlT_T0_E_clISt17integral_constantIbLb1EESY_IbLb0EEEEDaSU_SV_EUlSU_E_NS1_11comp_targetILNS1_3genE2ELNS1_11target_archE906ELNS1_3gpuE6ELNS1_3repE0EEENS1_30default_config_static_selectorELNS0_4arch9wavefront6targetE0EEEvT1_.uses_vcc, 0
	.set _ZN7rocprim17ROCPRIM_400000_NS6detail17trampoline_kernelINS0_14default_configENS1_20scan_config_selectorIN3c107complexIdEEEEZZNS1_9scan_implILNS1_25lookback_scan_determinismE0ELb0ELb0ES3_PKS7_PS7_S7_ZZZN2at6native31launch_logcumsumexp_cuda_kernelERKNSE_10TensorBaseESI_lENKUlvE_clEvENKUlvE1_clEvEUlS7_S7_E_S7_EEDaPvRmT3_T4_T5_mT6_P12ihipStream_tbENKUlT_T0_E_clISt17integral_constantIbLb1EESY_IbLb0EEEEDaSU_SV_EUlSU_E_NS1_11comp_targetILNS1_3genE2ELNS1_11target_archE906ELNS1_3gpuE6ELNS1_3repE0EEENS1_30default_config_static_selectorELNS0_4arch9wavefront6targetE0EEEvT1_.uses_flat_scratch, 0
	.set _ZN7rocprim17ROCPRIM_400000_NS6detail17trampoline_kernelINS0_14default_configENS1_20scan_config_selectorIN3c107complexIdEEEEZZNS1_9scan_implILNS1_25lookback_scan_determinismE0ELb0ELb0ES3_PKS7_PS7_S7_ZZZN2at6native31launch_logcumsumexp_cuda_kernelERKNSE_10TensorBaseESI_lENKUlvE_clEvENKUlvE1_clEvEUlS7_S7_E_S7_EEDaPvRmT3_T4_T5_mT6_P12ihipStream_tbENKUlT_T0_E_clISt17integral_constantIbLb1EESY_IbLb0EEEEDaSU_SV_EUlSU_E_NS1_11comp_targetILNS1_3genE2ELNS1_11target_archE906ELNS1_3gpuE6ELNS1_3repE0EEENS1_30default_config_static_selectorELNS0_4arch9wavefront6targetE0EEEvT1_.has_dyn_sized_stack, 0
	.set _ZN7rocprim17ROCPRIM_400000_NS6detail17trampoline_kernelINS0_14default_configENS1_20scan_config_selectorIN3c107complexIdEEEEZZNS1_9scan_implILNS1_25lookback_scan_determinismE0ELb0ELb0ES3_PKS7_PS7_S7_ZZZN2at6native31launch_logcumsumexp_cuda_kernelERKNSE_10TensorBaseESI_lENKUlvE_clEvENKUlvE1_clEvEUlS7_S7_E_S7_EEDaPvRmT3_T4_T5_mT6_P12ihipStream_tbENKUlT_T0_E_clISt17integral_constantIbLb1EESY_IbLb0EEEEDaSU_SV_EUlSU_E_NS1_11comp_targetILNS1_3genE2ELNS1_11target_archE906ELNS1_3gpuE6ELNS1_3repE0EEENS1_30default_config_static_selectorELNS0_4arch9wavefront6targetE0EEEvT1_.has_recursion, 0
	.set _ZN7rocprim17ROCPRIM_400000_NS6detail17trampoline_kernelINS0_14default_configENS1_20scan_config_selectorIN3c107complexIdEEEEZZNS1_9scan_implILNS1_25lookback_scan_determinismE0ELb0ELb0ES3_PKS7_PS7_S7_ZZZN2at6native31launch_logcumsumexp_cuda_kernelERKNSE_10TensorBaseESI_lENKUlvE_clEvENKUlvE1_clEvEUlS7_S7_E_S7_EEDaPvRmT3_T4_T5_mT6_P12ihipStream_tbENKUlT_T0_E_clISt17integral_constantIbLb1EESY_IbLb0EEEEDaSU_SV_EUlSU_E_NS1_11comp_targetILNS1_3genE2ELNS1_11target_archE906ELNS1_3gpuE6ELNS1_3repE0EEENS1_30default_config_static_selectorELNS0_4arch9wavefront6targetE0EEEvT1_.has_indirect_call, 0
	.section	.AMDGPU.csdata,"",@progbits
; Kernel info:
; codeLenInByte = 0
; TotalNumSgprs: 0
; NumVgprs: 0
; ScratchSize: 0
; MemoryBound: 0
; FloatMode: 240
; IeeeMode: 1
; LDSByteSize: 0 bytes/workgroup (compile time only)
; SGPRBlocks: 0
; VGPRBlocks: 0
; NumSGPRsForWavesPerEU: 1
; NumVGPRsForWavesPerEU: 1
; Occupancy: 16
; WaveLimiterHint : 0
; COMPUTE_PGM_RSRC2:SCRATCH_EN: 0
; COMPUTE_PGM_RSRC2:USER_SGPR: 6
; COMPUTE_PGM_RSRC2:TRAP_HANDLER: 0
; COMPUTE_PGM_RSRC2:TGID_X_EN: 1
; COMPUTE_PGM_RSRC2:TGID_Y_EN: 0
; COMPUTE_PGM_RSRC2:TGID_Z_EN: 0
; COMPUTE_PGM_RSRC2:TIDIG_COMP_CNT: 0
	.section	.text._ZN7rocprim17ROCPRIM_400000_NS6detail17trampoline_kernelINS0_14default_configENS1_20scan_config_selectorIN3c107complexIdEEEEZZNS1_9scan_implILNS1_25lookback_scan_determinismE0ELb0ELb0ES3_PKS7_PS7_S7_ZZZN2at6native31launch_logcumsumexp_cuda_kernelERKNSE_10TensorBaseESI_lENKUlvE_clEvENKUlvE1_clEvEUlS7_S7_E_S7_EEDaPvRmT3_T4_T5_mT6_P12ihipStream_tbENKUlT_T0_E_clISt17integral_constantIbLb1EESY_IbLb0EEEEDaSU_SV_EUlSU_E_NS1_11comp_targetILNS1_3genE10ELNS1_11target_archE1201ELNS1_3gpuE5ELNS1_3repE0EEENS1_30default_config_static_selectorELNS0_4arch9wavefront6targetE0EEEvT1_,"axG",@progbits,_ZN7rocprim17ROCPRIM_400000_NS6detail17trampoline_kernelINS0_14default_configENS1_20scan_config_selectorIN3c107complexIdEEEEZZNS1_9scan_implILNS1_25lookback_scan_determinismE0ELb0ELb0ES3_PKS7_PS7_S7_ZZZN2at6native31launch_logcumsumexp_cuda_kernelERKNSE_10TensorBaseESI_lENKUlvE_clEvENKUlvE1_clEvEUlS7_S7_E_S7_EEDaPvRmT3_T4_T5_mT6_P12ihipStream_tbENKUlT_T0_E_clISt17integral_constantIbLb1EESY_IbLb0EEEEDaSU_SV_EUlSU_E_NS1_11comp_targetILNS1_3genE10ELNS1_11target_archE1201ELNS1_3gpuE5ELNS1_3repE0EEENS1_30default_config_static_selectorELNS0_4arch9wavefront6targetE0EEEvT1_,comdat
	.globl	_ZN7rocprim17ROCPRIM_400000_NS6detail17trampoline_kernelINS0_14default_configENS1_20scan_config_selectorIN3c107complexIdEEEEZZNS1_9scan_implILNS1_25lookback_scan_determinismE0ELb0ELb0ES3_PKS7_PS7_S7_ZZZN2at6native31launch_logcumsumexp_cuda_kernelERKNSE_10TensorBaseESI_lENKUlvE_clEvENKUlvE1_clEvEUlS7_S7_E_S7_EEDaPvRmT3_T4_T5_mT6_P12ihipStream_tbENKUlT_T0_E_clISt17integral_constantIbLb1EESY_IbLb0EEEEDaSU_SV_EUlSU_E_NS1_11comp_targetILNS1_3genE10ELNS1_11target_archE1201ELNS1_3gpuE5ELNS1_3repE0EEENS1_30default_config_static_selectorELNS0_4arch9wavefront6targetE0EEEvT1_ ; -- Begin function _ZN7rocprim17ROCPRIM_400000_NS6detail17trampoline_kernelINS0_14default_configENS1_20scan_config_selectorIN3c107complexIdEEEEZZNS1_9scan_implILNS1_25lookback_scan_determinismE0ELb0ELb0ES3_PKS7_PS7_S7_ZZZN2at6native31launch_logcumsumexp_cuda_kernelERKNSE_10TensorBaseESI_lENKUlvE_clEvENKUlvE1_clEvEUlS7_S7_E_S7_EEDaPvRmT3_T4_T5_mT6_P12ihipStream_tbENKUlT_T0_E_clISt17integral_constantIbLb1EESY_IbLb0EEEEDaSU_SV_EUlSU_E_NS1_11comp_targetILNS1_3genE10ELNS1_11target_archE1201ELNS1_3gpuE5ELNS1_3repE0EEENS1_30default_config_static_selectorELNS0_4arch9wavefront6targetE0EEEvT1_
	.p2align	8
	.type	_ZN7rocprim17ROCPRIM_400000_NS6detail17trampoline_kernelINS0_14default_configENS1_20scan_config_selectorIN3c107complexIdEEEEZZNS1_9scan_implILNS1_25lookback_scan_determinismE0ELb0ELb0ES3_PKS7_PS7_S7_ZZZN2at6native31launch_logcumsumexp_cuda_kernelERKNSE_10TensorBaseESI_lENKUlvE_clEvENKUlvE1_clEvEUlS7_S7_E_S7_EEDaPvRmT3_T4_T5_mT6_P12ihipStream_tbENKUlT_T0_E_clISt17integral_constantIbLb1EESY_IbLb0EEEEDaSU_SV_EUlSU_E_NS1_11comp_targetILNS1_3genE10ELNS1_11target_archE1201ELNS1_3gpuE5ELNS1_3repE0EEENS1_30default_config_static_selectorELNS0_4arch9wavefront6targetE0EEEvT1_,@function
_ZN7rocprim17ROCPRIM_400000_NS6detail17trampoline_kernelINS0_14default_configENS1_20scan_config_selectorIN3c107complexIdEEEEZZNS1_9scan_implILNS1_25lookback_scan_determinismE0ELb0ELb0ES3_PKS7_PS7_S7_ZZZN2at6native31launch_logcumsumexp_cuda_kernelERKNSE_10TensorBaseESI_lENKUlvE_clEvENKUlvE1_clEvEUlS7_S7_E_S7_EEDaPvRmT3_T4_T5_mT6_P12ihipStream_tbENKUlT_T0_E_clISt17integral_constantIbLb1EESY_IbLb0EEEEDaSU_SV_EUlSU_E_NS1_11comp_targetILNS1_3genE10ELNS1_11target_archE1201ELNS1_3gpuE5ELNS1_3repE0EEENS1_30default_config_static_selectorELNS0_4arch9wavefront6targetE0EEEvT1_: ; @_ZN7rocprim17ROCPRIM_400000_NS6detail17trampoline_kernelINS0_14default_configENS1_20scan_config_selectorIN3c107complexIdEEEEZZNS1_9scan_implILNS1_25lookback_scan_determinismE0ELb0ELb0ES3_PKS7_PS7_S7_ZZZN2at6native31launch_logcumsumexp_cuda_kernelERKNSE_10TensorBaseESI_lENKUlvE_clEvENKUlvE1_clEvEUlS7_S7_E_S7_EEDaPvRmT3_T4_T5_mT6_P12ihipStream_tbENKUlT_T0_E_clISt17integral_constantIbLb1EESY_IbLb0EEEEDaSU_SV_EUlSU_E_NS1_11comp_targetILNS1_3genE10ELNS1_11target_archE1201ELNS1_3gpuE5ELNS1_3repE0EEENS1_30default_config_static_selectorELNS0_4arch9wavefront6targetE0EEEvT1_
; %bb.0:
	.section	.rodata,"a",@progbits
	.p2align	6, 0x0
	.amdhsa_kernel _ZN7rocprim17ROCPRIM_400000_NS6detail17trampoline_kernelINS0_14default_configENS1_20scan_config_selectorIN3c107complexIdEEEEZZNS1_9scan_implILNS1_25lookback_scan_determinismE0ELb0ELb0ES3_PKS7_PS7_S7_ZZZN2at6native31launch_logcumsumexp_cuda_kernelERKNSE_10TensorBaseESI_lENKUlvE_clEvENKUlvE1_clEvEUlS7_S7_E_S7_EEDaPvRmT3_T4_T5_mT6_P12ihipStream_tbENKUlT_T0_E_clISt17integral_constantIbLb1EESY_IbLb0EEEEDaSU_SV_EUlSU_E_NS1_11comp_targetILNS1_3genE10ELNS1_11target_archE1201ELNS1_3gpuE5ELNS1_3repE0EEENS1_30default_config_static_selectorELNS0_4arch9wavefront6targetE0EEEvT1_
		.amdhsa_group_segment_fixed_size 0
		.amdhsa_private_segment_fixed_size 0
		.amdhsa_kernarg_size 128
		.amdhsa_user_sgpr_count 6
		.amdhsa_user_sgpr_private_segment_buffer 1
		.amdhsa_user_sgpr_dispatch_ptr 0
		.amdhsa_user_sgpr_queue_ptr 0
		.amdhsa_user_sgpr_kernarg_segment_ptr 1
		.amdhsa_user_sgpr_dispatch_id 0
		.amdhsa_user_sgpr_flat_scratch_init 0
		.amdhsa_user_sgpr_private_segment_size 0
		.amdhsa_wavefront_size32 1
		.amdhsa_uses_dynamic_stack 0
		.amdhsa_system_sgpr_private_segment_wavefront_offset 0
		.amdhsa_system_sgpr_workgroup_id_x 1
		.amdhsa_system_sgpr_workgroup_id_y 0
		.amdhsa_system_sgpr_workgroup_id_z 0
		.amdhsa_system_sgpr_workgroup_info 0
		.amdhsa_system_vgpr_workitem_id 0
		.amdhsa_next_free_vgpr 1
		.amdhsa_next_free_sgpr 1
		.amdhsa_reserve_vcc 0
		.amdhsa_reserve_flat_scratch 0
		.amdhsa_float_round_mode_32 0
		.amdhsa_float_round_mode_16_64 0
		.amdhsa_float_denorm_mode_32 3
		.amdhsa_float_denorm_mode_16_64 3
		.amdhsa_dx10_clamp 1
		.amdhsa_ieee_mode 1
		.amdhsa_fp16_overflow 0
		.amdhsa_workgroup_processor_mode 1
		.amdhsa_memory_ordered 1
		.amdhsa_forward_progress 1
		.amdhsa_shared_vgpr_count 0
		.amdhsa_exception_fp_ieee_invalid_op 0
		.amdhsa_exception_fp_denorm_src 0
		.amdhsa_exception_fp_ieee_div_zero 0
		.amdhsa_exception_fp_ieee_overflow 0
		.amdhsa_exception_fp_ieee_underflow 0
		.amdhsa_exception_fp_ieee_inexact 0
		.amdhsa_exception_int_div_zero 0
	.end_amdhsa_kernel
	.section	.text._ZN7rocprim17ROCPRIM_400000_NS6detail17trampoline_kernelINS0_14default_configENS1_20scan_config_selectorIN3c107complexIdEEEEZZNS1_9scan_implILNS1_25lookback_scan_determinismE0ELb0ELb0ES3_PKS7_PS7_S7_ZZZN2at6native31launch_logcumsumexp_cuda_kernelERKNSE_10TensorBaseESI_lENKUlvE_clEvENKUlvE1_clEvEUlS7_S7_E_S7_EEDaPvRmT3_T4_T5_mT6_P12ihipStream_tbENKUlT_T0_E_clISt17integral_constantIbLb1EESY_IbLb0EEEEDaSU_SV_EUlSU_E_NS1_11comp_targetILNS1_3genE10ELNS1_11target_archE1201ELNS1_3gpuE5ELNS1_3repE0EEENS1_30default_config_static_selectorELNS0_4arch9wavefront6targetE0EEEvT1_,"axG",@progbits,_ZN7rocprim17ROCPRIM_400000_NS6detail17trampoline_kernelINS0_14default_configENS1_20scan_config_selectorIN3c107complexIdEEEEZZNS1_9scan_implILNS1_25lookback_scan_determinismE0ELb0ELb0ES3_PKS7_PS7_S7_ZZZN2at6native31launch_logcumsumexp_cuda_kernelERKNSE_10TensorBaseESI_lENKUlvE_clEvENKUlvE1_clEvEUlS7_S7_E_S7_EEDaPvRmT3_T4_T5_mT6_P12ihipStream_tbENKUlT_T0_E_clISt17integral_constantIbLb1EESY_IbLb0EEEEDaSU_SV_EUlSU_E_NS1_11comp_targetILNS1_3genE10ELNS1_11target_archE1201ELNS1_3gpuE5ELNS1_3repE0EEENS1_30default_config_static_selectorELNS0_4arch9wavefront6targetE0EEEvT1_,comdat
.Lfunc_end227:
	.size	_ZN7rocprim17ROCPRIM_400000_NS6detail17trampoline_kernelINS0_14default_configENS1_20scan_config_selectorIN3c107complexIdEEEEZZNS1_9scan_implILNS1_25lookback_scan_determinismE0ELb0ELb0ES3_PKS7_PS7_S7_ZZZN2at6native31launch_logcumsumexp_cuda_kernelERKNSE_10TensorBaseESI_lENKUlvE_clEvENKUlvE1_clEvEUlS7_S7_E_S7_EEDaPvRmT3_T4_T5_mT6_P12ihipStream_tbENKUlT_T0_E_clISt17integral_constantIbLb1EESY_IbLb0EEEEDaSU_SV_EUlSU_E_NS1_11comp_targetILNS1_3genE10ELNS1_11target_archE1201ELNS1_3gpuE5ELNS1_3repE0EEENS1_30default_config_static_selectorELNS0_4arch9wavefront6targetE0EEEvT1_, .Lfunc_end227-_ZN7rocprim17ROCPRIM_400000_NS6detail17trampoline_kernelINS0_14default_configENS1_20scan_config_selectorIN3c107complexIdEEEEZZNS1_9scan_implILNS1_25lookback_scan_determinismE0ELb0ELb0ES3_PKS7_PS7_S7_ZZZN2at6native31launch_logcumsumexp_cuda_kernelERKNSE_10TensorBaseESI_lENKUlvE_clEvENKUlvE1_clEvEUlS7_S7_E_S7_EEDaPvRmT3_T4_T5_mT6_P12ihipStream_tbENKUlT_T0_E_clISt17integral_constantIbLb1EESY_IbLb0EEEEDaSU_SV_EUlSU_E_NS1_11comp_targetILNS1_3genE10ELNS1_11target_archE1201ELNS1_3gpuE5ELNS1_3repE0EEENS1_30default_config_static_selectorELNS0_4arch9wavefront6targetE0EEEvT1_
                                        ; -- End function
	.set _ZN7rocprim17ROCPRIM_400000_NS6detail17trampoline_kernelINS0_14default_configENS1_20scan_config_selectorIN3c107complexIdEEEEZZNS1_9scan_implILNS1_25lookback_scan_determinismE0ELb0ELb0ES3_PKS7_PS7_S7_ZZZN2at6native31launch_logcumsumexp_cuda_kernelERKNSE_10TensorBaseESI_lENKUlvE_clEvENKUlvE1_clEvEUlS7_S7_E_S7_EEDaPvRmT3_T4_T5_mT6_P12ihipStream_tbENKUlT_T0_E_clISt17integral_constantIbLb1EESY_IbLb0EEEEDaSU_SV_EUlSU_E_NS1_11comp_targetILNS1_3genE10ELNS1_11target_archE1201ELNS1_3gpuE5ELNS1_3repE0EEENS1_30default_config_static_selectorELNS0_4arch9wavefront6targetE0EEEvT1_.num_vgpr, 0
	.set _ZN7rocprim17ROCPRIM_400000_NS6detail17trampoline_kernelINS0_14default_configENS1_20scan_config_selectorIN3c107complexIdEEEEZZNS1_9scan_implILNS1_25lookback_scan_determinismE0ELb0ELb0ES3_PKS7_PS7_S7_ZZZN2at6native31launch_logcumsumexp_cuda_kernelERKNSE_10TensorBaseESI_lENKUlvE_clEvENKUlvE1_clEvEUlS7_S7_E_S7_EEDaPvRmT3_T4_T5_mT6_P12ihipStream_tbENKUlT_T0_E_clISt17integral_constantIbLb1EESY_IbLb0EEEEDaSU_SV_EUlSU_E_NS1_11comp_targetILNS1_3genE10ELNS1_11target_archE1201ELNS1_3gpuE5ELNS1_3repE0EEENS1_30default_config_static_selectorELNS0_4arch9wavefront6targetE0EEEvT1_.num_agpr, 0
	.set _ZN7rocprim17ROCPRIM_400000_NS6detail17trampoline_kernelINS0_14default_configENS1_20scan_config_selectorIN3c107complexIdEEEEZZNS1_9scan_implILNS1_25lookback_scan_determinismE0ELb0ELb0ES3_PKS7_PS7_S7_ZZZN2at6native31launch_logcumsumexp_cuda_kernelERKNSE_10TensorBaseESI_lENKUlvE_clEvENKUlvE1_clEvEUlS7_S7_E_S7_EEDaPvRmT3_T4_T5_mT6_P12ihipStream_tbENKUlT_T0_E_clISt17integral_constantIbLb1EESY_IbLb0EEEEDaSU_SV_EUlSU_E_NS1_11comp_targetILNS1_3genE10ELNS1_11target_archE1201ELNS1_3gpuE5ELNS1_3repE0EEENS1_30default_config_static_selectorELNS0_4arch9wavefront6targetE0EEEvT1_.numbered_sgpr, 0
	.set _ZN7rocprim17ROCPRIM_400000_NS6detail17trampoline_kernelINS0_14default_configENS1_20scan_config_selectorIN3c107complexIdEEEEZZNS1_9scan_implILNS1_25lookback_scan_determinismE0ELb0ELb0ES3_PKS7_PS7_S7_ZZZN2at6native31launch_logcumsumexp_cuda_kernelERKNSE_10TensorBaseESI_lENKUlvE_clEvENKUlvE1_clEvEUlS7_S7_E_S7_EEDaPvRmT3_T4_T5_mT6_P12ihipStream_tbENKUlT_T0_E_clISt17integral_constantIbLb1EESY_IbLb0EEEEDaSU_SV_EUlSU_E_NS1_11comp_targetILNS1_3genE10ELNS1_11target_archE1201ELNS1_3gpuE5ELNS1_3repE0EEENS1_30default_config_static_selectorELNS0_4arch9wavefront6targetE0EEEvT1_.num_named_barrier, 0
	.set _ZN7rocprim17ROCPRIM_400000_NS6detail17trampoline_kernelINS0_14default_configENS1_20scan_config_selectorIN3c107complexIdEEEEZZNS1_9scan_implILNS1_25lookback_scan_determinismE0ELb0ELb0ES3_PKS7_PS7_S7_ZZZN2at6native31launch_logcumsumexp_cuda_kernelERKNSE_10TensorBaseESI_lENKUlvE_clEvENKUlvE1_clEvEUlS7_S7_E_S7_EEDaPvRmT3_T4_T5_mT6_P12ihipStream_tbENKUlT_T0_E_clISt17integral_constantIbLb1EESY_IbLb0EEEEDaSU_SV_EUlSU_E_NS1_11comp_targetILNS1_3genE10ELNS1_11target_archE1201ELNS1_3gpuE5ELNS1_3repE0EEENS1_30default_config_static_selectorELNS0_4arch9wavefront6targetE0EEEvT1_.private_seg_size, 0
	.set _ZN7rocprim17ROCPRIM_400000_NS6detail17trampoline_kernelINS0_14default_configENS1_20scan_config_selectorIN3c107complexIdEEEEZZNS1_9scan_implILNS1_25lookback_scan_determinismE0ELb0ELb0ES3_PKS7_PS7_S7_ZZZN2at6native31launch_logcumsumexp_cuda_kernelERKNSE_10TensorBaseESI_lENKUlvE_clEvENKUlvE1_clEvEUlS7_S7_E_S7_EEDaPvRmT3_T4_T5_mT6_P12ihipStream_tbENKUlT_T0_E_clISt17integral_constantIbLb1EESY_IbLb0EEEEDaSU_SV_EUlSU_E_NS1_11comp_targetILNS1_3genE10ELNS1_11target_archE1201ELNS1_3gpuE5ELNS1_3repE0EEENS1_30default_config_static_selectorELNS0_4arch9wavefront6targetE0EEEvT1_.uses_vcc, 0
	.set _ZN7rocprim17ROCPRIM_400000_NS6detail17trampoline_kernelINS0_14default_configENS1_20scan_config_selectorIN3c107complexIdEEEEZZNS1_9scan_implILNS1_25lookback_scan_determinismE0ELb0ELb0ES3_PKS7_PS7_S7_ZZZN2at6native31launch_logcumsumexp_cuda_kernelERKNSE_10TensorBaseESI_lENKUlvE_clEvENKUlvE1_clEvEUlS7_S7_E_S7_EEDaPvRmT3_T4_T5_mT6_P12ihipStream_tbENKUlT_T0_E_clISt17integral_constantIbLb1EESY_IbLb0EEEEDaSU_SV_EUlSU_E_NS1_11comp_targetILNS1_3genE10ELNS1_11target_archE1201ELNS1_3gpuE5ELNS1_3repE0EEENS1_30default_config_static_selectorELNS0_4arch9wavefront6targetE0EEEvT1_.uses_flat_scratch, 0
	.set _ZN7rocprim17ROCPRIM_400000_NS6detail17trampoline_kernelINS0_14default_configENS1_20scan_config_selectorIN3c107complexIdEEEEZZNS1_9scan_implILNS1_25lookback_scan_determinismE0ELb0ELb0ES3_PKS7_PS7_S7_ZZZN2at6native31launch_logcumsumexp_cuda_kernelERKNSE_10TensorBaseESI_lENKUlvE_clEvENKUlvE1_clEvEUlS7_S7_E_S7_EEDaPvRmT3_T4_T5_mT6_P12ihipStream_tbENKUlT_T0_E_clISt17integral_constantIbLb1EESY_IbLb0EEEEDaSU_SV_EUlSU_E_NS1_11comp_targetILNS1_3genE10ELNS1_11target_archE1201ELNS1_3gpuE5ELNS1_3repE0EEENS1_30default_config_static_selectorELNS0_4arch9wavefront6targetE0EEEvT1_.has_dyn_sized_stack, 0
	.set _ZN7rocprim17ROCPRIM_400000_NS6detail17trampoline_kernelINS0_14default_configENS1_20scan_config_selectorIN3c107complexIdEEEEZZNS1_9scan_implILNS1_25lookback_scan_determinismE0ELb0ELb0ES3_PKS7_PS7_S7_ZZZN2at6native31launch_logcumsumexp_cuda_kernelERKNSE_10TensorBaseESI_lENKUlvE_clEvENKUlvE1_clEvEUlS7_S7_E_S7_EEDaPvRmT3_T4_T5_mT6_P12ihipStream_tbENKUlT_T0_E_clISt17integral_constantIbLb1EESY_IbLb0EEEEDaSU_SV_EUlSU_E_NS1_11comp_targetILNS1_3genE10ELNS1_11target_archE1201ELNS1_3gpuE5ELNS1_3repE0EEENS1_30default_config_static_selectorELNS0_4arch9wavefront6targetE0EEEvT1_.has_recursion, 0
	.set _ZN7rocprim17ROCPRIM_400000_NS6detail17trampoline_kernelINS0_14default_configENS1_20scan_config_selectorIN3c107complexIdEEEEZZNS1_9scan_implILNS1_25lookback_scan_determinismE0ELb0ELb0ES3_PKS7_PS7_S7_ZZZN2at6native31launch_logcumsumexp_cuda_kernelERKNSE_10TensorBaseESI_lENKUlvE_clEvENKUlvE1_clEvEUlS7_S7_E_S7_EEDaPvRmT3_T4_T5_mT6_P12ihipStream_tbENKUlT_T0_E_clISt17integral_constantIbLb1EESY_IbLb0EEEEDaSU_SV_EUlSU_E_NS1_11comp_targetILNS1_3genE10ELNS1_11target_archE1201ELNS1_3gpuE5ELNS1_3repE0EEENS1_30default_config_static_selectorELNS0_4arch9wavefront6targetE0EEEvT1_.has_indirect_call, 0
	.section	.AMDGPU.csdata,"",@progbits
; Kernel info:
; codeLenInByte = 0
; TotalNumSgprs: 0
; NumVgprs: 0
; ScratchSize: 0
; MemoryBound: 0
; FloatMode: 240
; IeeeMode: 1
; LDSByteSize: 0 bytes/workgroup (compile time only)
; SGPRBlocks: 0
; VGPRBlocks: 0
; NumSGPRsForWavesPerEU: 1
; NumVGPRsForWavesPerEU: 1
; Occupancy: 16
; WaveLimiterHint : 0
; COMPUTE_PGM_RSRC2:SCRATCH_EN: 0
; COMPUTE_PGM_RSRC2:USER_SGPR: 6
; COMPUTE_PGM_RSRC2:TRAP_HANDLER: 0
; COMPUTE_PGM_RSRC2:TGID_X_EN: 1
; COMPUTE_PGM_RSRC2:TGID_Y_EN: 0
; COMPUTE_PGM_RSRC2:TGID_Z_EN: 0
; COMPUTE_PGM_RSRC2:TIDIG_COMP_CNT: 0
	.section	.text._ZN7rocprim17ROCPRIM_400000_NS6detail17trampoline_kernelINS0_14default_configENS1_20scan_config_selectorIN3c107complexIdEEEEZZNS1_9scan_implILNS1_25lookback_scan_determinismE0ELb0ELb0ES3_PKS7_PS7_S7_ZZZN2at6native31launch_logcumsumexp_cuda_kernelERKNSE_10TensorBaseESI_lENKUlvE_clEvENKUlvE1_clEvEUlS7_S7_E_S7_EEDaPvRmT3_T4_T5_mT6_P12ihipStream_tbENKUlT_T0_E_clISt17integral_constantIbLb1EESY_IbLb0EEEEDaSU_SV_EUlSU_E_NS1_11comp_targetILNS1_3genE10ELNS1_11target_archE1200ELNS1_3gpuE4ELNS1_3repE0EEENS1_30default_config_static_selectorELNS0_4arch9wavefront6targetE0EEEvT1_,"axG",@progbits,_ZN7rocprim17ROCPRIM_400000_NS6detail17trampoline_kernelINS0_14default_configENS1_20scan_config_selectorIN3c107complexIdEEEEZZNS1_9scan_implILNS1_25lookback_scan_determinismE0ELb0ELb0ES3_PKS7_PS7_S7_ZZZN2at6native31launch_logcumsumexp_cuda_kernelERKNSE_10TensorBaseESI_lENKUlvE_clEvENKUlvE1_clEvEUlS7_S7_E_S7_EEDaPvRmT3_T4_T5_mT6_P12ihipStream_tbENKUlT_T0_E_clISt17integral_constantIbLb1EESY_IbLb0EEEEDaSU_SV_EUlSU_E_NS1_11comp_targetILNS1_3genE10ELNS1_11target_archE1200ELNS1_3gpuE4ELNS1_3repE0EEENS1_30default_config_static_selectorELNS0_4arch9wavefront6targetE0EEEvT1_,comdat
	.globl	_ZN7rocprim17ROCPRIM_400000_NS6detail17trampoline_kernelINS0_14default_configENS1_20scan_config_selectorIN3c107complexIdEEEEZZNS1_9scan_implILNS1_25lookback_scan_determinismE0ELb0ELb0ES3_PKS7_PS7_S7_ZZZN2at6native31launch_logcumsumexp_cuda_kernelERKNSE_10TensorBaseESI_lENKUlvE_clEvENKUlvE1_clEvEUlS7_S7_E_S7_EEDaPvRmT3_T4_T5_mT6_P12ihipStream_tbENKUlT_T0_E_clISt17integral_constantIbLb1EESY_IbLb0EEEEDaSU_SV_EUlSU_E_NS1_11comp_targetILNS1_3genE10ELNS1_11target_archE1200ELNS1_3gpuE4ELNS1_3repE0EEENS1_30default_config_static_selectorELNS0_4arch9wavefront6targetE0EEEvT1_ ; -- Begin function _ZN7rocprim17ROCPRIM_400000_NS6detail17trampoline_kernelINS0_14default_configENS1_20scan_config_selectorIN3c107complexIdEEEEZZNS1_9scan_implILNS1_25lookback_scan_determinismE0ELb0ELb0ES3_PKS7_PS7_S7_ZZZN2at6native31launch_logcumsumexp_cuda_kernelERKNSE_10TensorBaseESI_lENKUlvE_clEvENKUlvE1_clEvEUlS7_S7_E_S7_EEDaPvRmT3_T4_T5_mT6_P12ihipStream_tbENKUlT_T0_E_clISt17integral_constantIbLb1EESY_IbLb0EEEEDaSU_SV_EUlSU_E_NS1_11comp_targetILNS1_3genE10ELNS1_11target_archE1200ELNS1_3gpuE4ELNS1_3repE0EEENS1_30default_config_static_selectorELNS0_4arch9wavefront6targetE0EEEvT1_
	.p2align	8
	.type	_ZN7rocprim17ROCPRIM_400000_NS6detail17trampoline_kernelINS0_14default_configENS1_20scan_config_selectorIN3c107complexIdEEEEZZNS1_9scan_implILNS1_25lookback_scan_determinismE0ELb0ELb0ES3_PKS7_PS7_S7_ZZZN2at6native31launch_logcumsumexp_cuda_kernelERKNSE_10TensorBaseESI_lENKUlvE_clEvENKUlvE1_clEvEUlS7_S7_E_S7_EEDaPvRmT3_T4_T5_mT6_P12ihipStream_tbENKUlT_T0_E_clISt17integral_constantIbLb1EESY_IbLb0EEEEDaSU_SV_EUlSU_E_NS1_11comp_targetILNS1_3genE10ELNS1_11target_archE1200ELNS1_3gpuE4ELNS1_3repE0EEENS1_30default_config_static_selectorELNS0_4arch9wavefront6targetE0EEEvT1_,@function
_ZN7rocprim17ROCPRIM_400000_NS6detail17trampoline_kernelINS0_14default_configENS1_20scan_config_selectorIN3c107complexIdEEEEZZNS1_9scan_implILNS1_25lookback_scan_determinismE0ELb0ELb0ES3_PKS7_PS7_S7_ZZZN2at6native31launch_logcumsumexp_cuda_kernelERKNSE_10TensorBaseESI_lENKUlvE_clEvENKUlvE1_clEvEUlS7_S7_E_S7_EEDaPvRmT3_T4_T5_mT6_P12ihipStream_tbENKUlT_T0_E_clISt17integral_constantIbLb1EESY_IbLb0EEEEDaSU_SV_EUlSU_E_NS1_11comp_targetILNS1_3genE10ELNS1_11target_archE1200ELNS1_3gpuE4ELNS1_3repE0EEENS1_30default_config_static_selectorELNS0_4arch9wavefront6targetE0EEEvT1_: ; @_ZN7rocprim17ROCPRIM_400000_NS6detail17trampoline_kernelINS0_14default_configENS1_20scan_config_selectorIN3c107complexIdEEEEZZNS1_9scan_implILNS1_25lookback_scan_determinismE0ELb0ELb0ES3_PKS7_PS7_S7_ZZZN2at6native31launch_logcumsumexp_cuda_kernelERKNSE_10TensorBaseESI_lENKUlvE_clEvENKUlvE1_clEvEUlS7_S7_E_S7_EEDaPvRmT3_T4_T5_mT6_P12ihipStream_tbENKUlT_T0_E_clISt17integral_constantIbLb1EESY_IbLb0EEEEDaSU_SV_EUlSU_E_NS1_11comp_targetILNS1_3genE10ELNS1_11target_archE1200ELNS1_3gpuE4ELNS1_3repE0EEENS1_30default_config_static_selectorELNS0_4arch9wavefront6targetE0EEEvT1_
; %bb.0:
	.section	.rodata,"a",@progbits
	.p2align	6, 0x0
	.amdhsa_kernel _ZN7rocprim17ROCPRIM_400000_NS6detail17trampoline_kernelINS0_14default_configENS1_20scan_config_selectorIN3c107complexIdEEEEZZNS1_9scan_implILNS1_25lookback_scan_determinismE0ELb0ELb0ES3_PKS7_PS7_S7_ZZZN2at6native31launch_logcumsumexp_cuda_kernelERKNSE_10TensorBaseESI_lENKUlvE_clEvENKUlvE1_clEvEUlS7_S7_E_S7_EEDaPvRmT3_T4_T5_mT6_P12ihipStream_tbENKUlT_T0_E_clISt17integral_constantIbLb1EESY_IbLb0EEEEDaSU_SV_EUlSU_E_NS1_11comp_targetILNS1_3genE10ELNS1_11target_archE1200ELNS1_3gpuE4ELNS1_3repE0EEENS1_30default_config_static_selectorELNS0_4arch9wavefront6targetE0EEEvT1_
		.amdhsa_group_segment_fixed_size 0
		.amdhsa_private_segment_fixed_size 0
		.amdhsa_kernarg_size 128
		.amdhsa_user_sgpr_count 6
		.amdhsa_user_sgpr_private_segment_buffer 1
		.amdhsa_user_sgpr_dispatch_ptr 0
		.amdhsa_user_sgpr_queue_ptr 0
		.amdhsa_user_sgpr_kernarg_segment_ptr 1
		.amdhsa_user_sgpr_dispatch_id 0
		.amdhsa_user_sgpr_flat_scratch_init 0
		.amdhsa_user_sgpr_private_segment_size 0
		.amdhsa_wavefront_size32 1
		.amdhsa_uses_dynamic_stack 0
		.amdhsa_system_sgpr_private_segment_wavefront_offset 0
		.amdhsa_system_sgpr_workgroup_id_x 1
		.amdhsa_system_sgpr_workgroup_id_y 0
		.amdhsa_system_sgpr_workgroup_id_z 0
		.amdhsa_system_sgpr_workgroup_info 0
		.amdhsa_system_vgpr_workitem_id 0
		.amdhsa_next_free_vgpr 1
		.amdhsa_next_free_sgpr 1
		.amdhsa_reserve_vcc 0
		.amdhsa_reserve_flat_scratch 0
		.amdhsa_float_round_mode_32 0
		.amdhsa_float_round_mode_16_64 0
		.amdhsa_float_denorm_mode_32 3
		.amdhsa_float_denorm_mode_16_64 3
		.amdhsa_dx10_clamp 1
		.amdhsa_ieee_mode 1
		.amdhsa_fp16_overflow 0
		.amdhsa_workgroup_processor_mode 1
		.amdhsa_memory_ordered 1
		.amdhsa_forward_progress 1
		.amdhsa_shared_vgpr_count 0
		.amdhsa_exception_fp_ieee_invalid_op 0
		.amdhsa_exception_fp_denorm_src 0
		.amdhsa_exception_fp_ieee_div_zero 0
		.amdhsa_exception_fp_ieee_overflow 0
		.amdhsa_exception_fp_ieee_underflow 0
		.amdhsa_exception_fp_ieee_inexact 0
		.amdhsa_exception_int_div_zero 0
	.end_amdhsa_kernel
	.section	.text._ZN7rocprim17ROCPRIM_400000_NS6detail17trampoline_kernelINS0_14default_configENS1_20scan_config_selectorIN3c107complexIdEEEEZZNS1_9scan_implILNS1_25lookback_scan_determinismE0ELb0ELb0ES3_PKS7_PS7_S7_ZZZN2at6native31launch_logcumsumexp_cuda_kernelERKNSE_10TensorBaseESI_lENKUlvE_clEvENKUlvE1_clEvEUlS7_S7_E_S7_EEDaPvRmT3_T4_T5_mT6_P12ihipStream_tbENKUlT_T0_E_clISt17integral_constantIbLb1EESY_IbLb0EEEEDaSU_SV_EUlSU_E_NS1_11comp_targetILNS1_3genE10ELNS1_11target_archE1200ELNS1_3gpuE4ELNS1_3repE0EEENS1_30default_config_static_selectorELNS0_4arch9wavefront6targetE0EEEvT1_,"axG",@progbits,_ZN7rocprim17ROCPRIM_400000_NS6detail17trampoline_kernelINS0_14default_configENS1_20scan_config_selectorIN3c107complexIdEEEEZZNS1_9scan_implILNS1_25lookback_scan_determinismE0ELb0ELb0ES3_PKS7_PS7_S7_ZZZN2at6native31launch_logcumsumexp_cuda_kernelERKNSE_10TensorBaseESI_lENKUlvE_clEvENKUlvE1_clEvEUlS7_S7_E_S7_EEDaPvRmT3_T4_T5_mT6_P12ihipStream_tbENKUlT_T0_E_clISt17integral_constantIbLb1EESY_IbLb0EEEEDaSU_SV_EUlSU_E_NS1_11comp_targetILNS1_3genE10ELNS1_11target_archE1200ELNS1_3gpuE4ELNS1_3repE0EEENS1_30default_config_static_selectorELNS0_4arch9wavefront6targetE0EEEvT1_,comdat
.Lfunc_end228:
	.size	_ZN7rocprim17ROCPRIM_400000_NS6detail17trampoline_kernelINS0_14default_configENS1_20scan_config_selectorIN3c107complexIdEEEEZZNS1_9scan_implILNS1_25lookback_scan_determinismE0ELb0ELb0ES3_PKS7_PS7_S7_ZZZN2at6native31launch_logcumsumexp_cuda_kernelERKNSE_10TensorBaseESI_lENKUlvE_clEvENKUlvE1_clEvEUlS7_S7_E_S7_EEDaPvRmT3_T4_T5_mT6_P12ihipStream_tbENKUlT_T0_E_clISt17integral_constantIbLb1EESY_IbLb0EEEEDaSU_SV_EUlSU_E_NS1_11comp_targetILNS1_3genE10ELNS1_11target_archE1200ELNS1_3gpuE4ELNS1_3repE0EEENS1_30default_config_static_selectorELNS0_4arch9wavefront6targetE0EEEvT1_, .Lfunc_end228-_ZN7rocprim17ROCPRIM_400000_NS6detail17trampoline_kernelINS0_14default_configENS1_20scan_config_selectorIN3c107complexIdEEEEZZNS1_9scan_implILNS1_25lookback_scan_determinismE0ELb0ELb0ES3_PKS7_PS7_S7_ZZZN2at6native31launch_logcumsumexp_cuda_kernelERKNSE_10TensorBaseESI_lENKUlvE_clEvENKUlvE1_clEvEUlS7_S7_E_S7_EEDaPvRmT3_T4_T5_mT6_P12ihipStream_tbENKUlT_T0_E_clISt17integral_constantIbLb1EESY_IbLb0EEEEDaSU_SV_EUlSU_E_NS1_11comp_targetILNS1_3genE10ELNS1_11target_archE1200ELNS1_3gpuE4ELNS1_3repE0EEENS1_30default_config_static_selectorELNS0_4arch9wavefront6targetE0EEEvT1_
                                        ; -- End function
	.set _ZN7rocprim17ROCPRIM_400000_NS6detail17trampoline_kernelINS0_14default_configENS1_20scan_config_selectorIN3c107complexIdEEEEZZNS1_9scan_implILNS1_25lookback_scan_determinismE0ELb0ELb0ES3_PKS7_PS7_S7_ZZZN2at6native31launch_logcumsumexp_cuda_kernelERKNSE_10TensorBaseESI_lENKUlvE_clEvENKUlvE1_clEvEUlS7_S7_E_S7_EEDaPvRmT3_T4_T5_mT6_P12ihipStream_tbENKUlT_T0_E_clISt17integral_constantIbLb1EESY_IbLb0EEEEDaSU_SV_EUlSU_E_NS1_11comp_targetILNS1_3genE10ELNS1_11target_archE1200ELNS1_3gpuE4ELNS1_3repE0EEENS1_30default_config_static_selectorELNS0_4arch9wavefront6targetE0EEEvT1_.num_vgpr, 0
	.set _ZN7rocprim17ROCPRIM_400000_NS6detail17trampoline_kernelINS0_14default_configENS1_20scan_config_selectorIN3c107complexIdEEEEZZNS1_9scan_implILNS1_25lookback_scan_determinismE0ELb0ELb0ES3_PKS7_PS7_S7_ZZZN2at6native31launch_logcumsumexp_cuda_kernelERKNSE_10TensorBaseESI_lENKUlvE_clEvENKUlvE1_clEvEUlS7_S7_E_S7_EEDaPvRmT3_T4_T5_mT6_P12ihipStream_tbENKUlT_T0_E_clISt17integral_constantIbLb1EESY_IbLb0EEEEDaSU_SV_EUlSU_E_NS1_11comp_targetILNS1_3genE10ELNS1_11target_archE1200ELNS1_3gpuE4ELNS1_3repE0EEENS1_30default_config_static_selectorELNS0_4arch9wavefront6targetE0EEEvT1_.num_agpr, 0
	.set _ZN7rocprim17ROCPRIM_400000_NS6detail17trampoline_kernelINS0_14default_configENS1_20scan_config_selectorIN3c107complexIdEEEEZZNS1_9scan_implILNS1_25lookback_scan_determinismE0ELb0ELb0ES3_PKS7_PS7_S7_ZZZN2at6native31launch_logcumsumexp_cuda_kernelERKNSE_10TensorBaseESI_lENKUlvE_clEvENKUlvE1_clEvEUlS7_S7_E_S7_EEDaPvRmT3_T4_T5_mT6_P12ihipStream_tbENKUlT_T0_E_clISt17integral_constantIbLb1EESY_IbLb0EEEEDaSU_SV_EUlSU_E_NS1_11comp_targetILNS1_3genE10ELNS1_11target_archE1200ELNS1_3gpuE4ELNS1_3repE0EEENS1_30default_config_static_selectorELNS0_4arch9wavefront6targetE0EEEvT1_.numbered_sgpr, 0
	.set _ZN7rocprim17ROCPRIM_400000_NS6detail17trampoline_kernelINS0_14default_configENS1_20scan_config_selectorIN3c107complexIdEEEEZZNS1_9scan_implILNS1_25lookback_scan_determinismE0ELb0ELb0ES3_PKS7_PS7_S7_ZZZN2at6native31launch_logcumsumexp_cuda_kernelERKNSE_10TensorBaseESI_lENKUlvE_clEvENKUlvE1_clEvEUlS7_S7_E_S7_EEDaPvRmT3_T4_T5_mT6_P12ihipStream_tbENKUlT_T0_E_clISt17integral_constantIbLb1EESY_IbLb0EEEEDaSU_SV_EUlSU_E_NS1_11comp_targetILNS1_3genE10ELNS1_11target_archE1200ELNS1_3gpuE4ELNS1_3repE0EEENS1_30default_config_static_selectorELNS0_4arch9wavefront6targetE0EEEvT1_.num_named_barrier, 0
	.set _ZN7rocprim17ROCPRIM_400000_NS6detail17trampoline_kernelINS0_14default_configENS1_20scan_config_selectorIN3c107complexIdEEEEZZNS1_9scan_implILNS1_25lookback_scan_determinismE0ELb0ELb0ES3_PKS7_PS7_S7_ZZZN2at6native31launch_logcumsumexp_cuda_kernelERKNSE_10TensorBaseESI_lENKUlvE_clEvENKUlvE1_clEvEUlS7_S7_E_S7_EEDaPvRmT3_T4_T5_mT6_P12ihipStream_tbENKUlT_T0_E_clISt17integral_constantIbLb1EESY_IbLb0EEEEDaSU_SV_EUlSU_E_NS1_11comp_targetILNS1_3genE10ELNS1_11target_archE1200ELNS1_3gpuE4ELNS1_3repE0EEENS1_30default_config_static_selectorELNS0_4arch9wavefront6targetE0EEEvT1_.private_seg_size, 0
	.set _ZN7rocprim17ROCPRIM_400000_NS6detail17trampoline_kernelINS0_14default_configENS1_20scan_config_selectorIN3c107complexIdEEEEZZNS1_9scan_implILNS1_25lookback_scan_determinismE0ELb0ELb0ES3_PKS7_PS7_S7_ZZZN2at6native31launch_logcumsumexp_cuda_kernelERKNSE_10TensorBaseESI_lENKUlvE_clEvENKUlvE1_clEvEUlS7_S7_E_S7_EEDaPvRmT3_T4_T5_mT6_P12ihipStream_tbENKUlT_T0_E_clISt17integral_constantIbLb1EESY_IbLb0EEEEDaSU_SV_EUlSU_E_NS1_11comp_targetILNS1_3genE10ELNS1_11target_archE1200ELNS1_3gpuE4ELNS1_3repE0EEENS1_30default_config_static_selectorELNS0_4arch9wavefront6targetE0EEEvT1_.uses_vcc, 0
	.set _ZN7rocprim17ROCPRIM_400000_NS6detail17trampoline_kernelINS0_14default_configENS1_20scan_config_selectorIN3c107complexIdEEEEZZNS1_9scan_implILNS1_25lookback_scan_determinismE0ELb0ELb0ES3_PKS7_PS7_S7_ZZZN2at6native31launch_logcumsumexp_cuda_kernelERKNSE_10TensorBaseESI_lENKUlvE_clEvENKUlvE1_clEvEUlS7_S7_E_S7_EEDaPvRmT3_T4_T5_mT6_P12ihipStream_tbENKUlT_T0_E_clISt17integral_constantIbLb1EESY_IbLb0EEEEDaSU_SV_EUlSU_E_NS1_11comp_targetILNS1_3genE10ELNS1_11target_archE1200ELNS1_3gpuE4ELNS1_3repE0EEENS1_30default_config_static_selectorELNS0_4arch9wavefront6targetE0EEEvT1_.uses_flat_scratch, 0
	.set _ZN7rocprim17ROCPRIM_400000_NS6detail17trampoline_kernelINS0_14default_configENS1_20scan_config_selectorIN3c107complexIdEEEEZZNS1_9scan_implILNS1_25lookback_scan_determinismE0ELb0ELb0ES3_PKS7_PS7_S7_ZZZN2at6native31launch_logcumsumexp_cuda_kernelERKNSE_10TensorBaseESI_lENKUlvE_clEvENKUlvE1_clEvEUlS7_S7_E_S7_EEDaPvRmT3_T4_T5_mT6_P12ihipStream_tbENKUlT_T0_E_clISt17integral_constantIbLb1EESY_IbLb0EEEEDaSU_SV_EUlSU_E_NS1_11comp_targetILNS1_3genE10ELNS1_11target_archE1200ELNS1_3gpuE4ELNS1_3repE0EEENS1_30default_config_static_selectorELNS0_4arch9wavefront6targetE0EEEvT1_.has_dyn_sized_stack, 0
	.set _ZN7rocprim17ROCPRIM_400000_NS6detail17trampoline_kernelINS0_14default_configENS1_20scan_config_selectorIN3c107complexIdEEEEZZNS1_9scan_implILNS1_25lookback_scan_determinismE0ELb0ELb0ES3_PKS7_PS7_S7_ZZZN2at6native31launch_logcumsumexp_cuda_kernelERKNSE_10TensorBaseESI_lENKUlvE_clEvENKUlvE1_clEvEUlS7_S7_E_S7_EEDaPvRmT3_T4_T5_mT6_P12ihipStream_tbENKUlT_T0_E_clISt17integral_constantIbLb1EESY_IbLb0EEEEDaSU_SV_EUlSU_E_NS1_11comp_targetILNS1_3genE10ELNS1_11target_archE1200ELNS1_3gpuE4ELNS1_3repE0EEENS1_30default_config_static_selectorELNS0_4arch9wavefront6targetE0EEEvT1_.has_recursion, 0
	.set _ZN7rocprim17ROCPRIM_400000_NS6detail17trampoline_kernelINS0_14default_configENS1_20scan_config_selectorIN3c107complexIdEEEEZZNS1_9scan_implILNS1_25lookback_scan_determinismE0ELb0ELb0ES3_PKS7_PS7_S7_ZZZN2at6native31launch_logcumsumexp_cuda_kernelERKNSE_10TensorBaseESI_lENKUlvE_clEvENKUlvE1_clEvEUlS7_S7_E_S7_EEDaPvRmT3_T4_T5_mT6_P12ihipStream_tbENKUlT_T0_E_clISt17integral_constantIbLb1EESY_IbLb0EEEEDaSU_SV_EUlSU_E_NS1_11comp_targetILNS1_3genE10ELNS1_11target_archE1200ELNS1_3gpuE4ELNS1_3repE0EEENS1_30default_config_static_selectorELNS0_4arch9wavefront6targetE0EEEvT1_.has_indirect_call, 0
	.section	.AMDGPU.csdata,"",@progbits
; Kernel info:
; codeLenInByte = 0
; TotalNumSgprs: 0
; NumVgprs: 0
; ScratchSize: 0
; MemoryBound: 0
; FloatMode: 240
; IeeeMode: 1
; LDSByteSize: 0 bytes/workgroup (compile time only)
; SGPRBlocks: 0
; VGPRBlocks: 0
; NumSGPRsForWavesPerEU: 1
; NumVGPRsForWavesPerEU: 1
; Occupancy: 16
; WaveLimiterHint : 0
; COMPUTE_PGM_RSRC2:SCRATCH_EN: 0
; COMPUTE_PGM_RSRC2:USER_SGPR: 6
; COMPUTE_PGM_RSRC2:TRAP_HANDLER: 0
; COMPUTE_PGM_RSRC2:TGID_X_EN: 1
; COMPUTE_PGM_RSRC2:TGID_Y_EN: 0
; COMPUTE_PGM_RSRC2:TGID_Z_EN: 0
; COMPUTE_PGM_RSRC2:TIDIG_COMP_CNT: 0
	.section	.text._ZN7rocprim17ROCPRIM_400000_NS6detail17trampoline_kernelINS0_14default_configENS1_20scan_config_selectorIN3c107complexIdEEEEZZNS1_9scan_implILNS1_25lookback_scan_determinismE0ELb0ELb0ES3_PKS7_PS7_S7_ZZZN2at6native31launch_logcumsumexp_cuda_kernelERKNSE_10TensorBaseESI_lENKUlvE_clEvENKUlvE1_clEvEUlS7_S7_E_S7_EEDaPvRmT3_T4_T5_mT6_P12ihipStream_tbENKUlT_T0_E_clISt17integral_constantIbLb1EESY_IbLb0EEEEDaSU_SV_EUlSU_E_NS1_11comp_targetILNS1_3genE9ELNS1_11target_archE1100ELNS1_3gpuE3ELNS1_3repE0EEENS1_30default_config_static_selectorELNS0_4arch9wavefront6targetE0EEEvT1_,"axG",@progbits,_ZN7rocprim17ROCPRIM_400000_NS6detail17trampoline_kernelINS0_14default_configENS1_20scan_config_selectorIN3c107complexIdEEEEZZNS1_9scan_implILNS1_25lookback_scan_determinismE0ELb0ELb0ES3_PKS7_PS7_S7_ZZZN2at6native31launch_logcumsumexp_cuda_kernelERKNSE_10TensorBaseESI_lENKUlvE_clEvENKUlvE1_clEvEUlS7_S7_E_S7_EEDaPvRmT3_T4_T5_mT6_P12ihipStream_tbENKUlT_T0_E_clISt17integral_constantIbLb1EESY_IbLb0EEEEDaSU_SV_EUlSU_E_NS1_11comp_targetILNS1_3genE9ELNS1_11target_archE1100ELNS1_3gpuE3ELNS1_3repE0EEENS1_30default_config_static_selectorELNS0_4arch9wavefront6targetE0EEEvT1_,comdat
	.globl	_ZN7rocprim17ROCPRIM_400000_NS6detail17trampoline_kernelINS0_14default_configENS1_20scan_config_selectorIN3c107complexIdEEEEZZNS1_9scan_implILNS1_25lookback_scan_determinismE0ELb0ELb0ES3_PKS7_PS7_S7_ZZZN2at6native31launch_logcumsumexp_cuda_kernelERKNSE_10TensorBaseESI_lENKUlvE_clEvENKUlvE1_clEvEUlS7_S7_E_S7_EEDaPvRmT3_T4_T5_mT6_P12ihipStream_tbENKUlT_T0_E_clISt17integral_constantIbLb1EESY_IbLb0EEEEDaSU_SV_EUlSU_E_NS1_11comp_targetILNS1_3genE9ELNS1_11target_archE1100ELNS1_3gpuE3ELNS1_3repE0EEENS1_30default_config_static_selectorELNS0_4arch9wavefront6targetE0EEEvT1_ ; -- Begin function _ZN7rocprim17ROCPRIM_400000_NS6detail17trampoline_kernelINS0_14default_configENS1_20scan_config_selectorIN3c107complexIdEEEEZZNS1_9scan_implILNS1_25lookback_scan_determinismE0ELb0ELb0ES3_PKS7_PS7_S7_ZZZN2at6native31launch_logcumsumexp_cuda_kernelERKNSE_10TensorBaseESI_lENKUlvE_clEvENKUlvE1_clEvEUlS7_S7_E_S7_EEDaPvRmT3_T4_T5_mT6_P12ihipStream_tbENKUlT_T0_E_clISt17integral_constantIbLb1EESY_IbLb0EEEEDaSU_SV_EUlSU_E_NS1_11comp_targetILNS1_3genE9ELNS1_11target_archE1100ELNS1_3gpuE3ELNS1_3repE0EEENS1_30default_config_static_selectorELNS0_4arch9wavefront6targetE0EEEvT1_
	.p2align	8
	.type	_ZN7rocprim17ROCPRIM_400000_NS6detail17trampoline_kernelINS0_14default_configENS1_20scan_config_selectorIN3c107complexIdEEEEZZNS1_9scan_implILNS1_25lookback_scan_determinismE0ELb0ELb0ES3_PKS7_PS7_S7_ZZZN2at6native31launch_logcumsumexp_cuda_kernelERKNSE_10TensorBaseESI_lENKUlvE_clEvENKUlvE1_clEvEUlS7_S7_E_S7_EEDaPvRmT3_T4_T5_mT6_P12ihipStream_tbENKUlT_T0_E_clISt17integral_constantIbLb1EESY_IbLb0EEEEDaSU_SV_EUlSU_E_NS1_11comp_targetILNS1_3genE9ELNS1_11target_archE1100ELNS1_3gpuE3ELNS1_3repE0EEENS1_30default_config_static_selectorELNS0_4arch9wavefront6targetE0EEEvT1_,@function
_ZN7rocprim17ROCPRIM_400000_NS6detail17trampoline_kernelINS0_14default_configENS1_20scan_config_selectorIN3c107complexIdEEEEZZNS1_9scan_implILNS1_25lookback_scan_determinismE0ELb0ELb0ES3_PKS7_PS7_S7_ZZZN2at6native31launch_logcumsumexp_cuda_kernelERKNSE_10TensorBaseESI_lENKUlvE_clEvENKUlvE1_clEvEUlS7_S7_E_S7_EEDaPvRmT3_T4_T5_mT6_P12ihipStream_tbENKUlT_T0_E_clISt17integral_constantIbLb1EESY_IbLb0EEEEDaSU_SV_EUlSU_E_NS1_11comp_targetILNS1_3genE9ELNS1_11target_archE1100ELNS1_3gpuE3ELNS1_3repE0EEENS1_30default_config_static_selectorELNS0_4arch9wavefront6targetE0EEEvT1_: ; @_ZN7rocprim17ROCPRIM_400000_NS6detail17trampoline_kernelINS0_14default_configENS1_20scan_config_selectorIN3c107complexIdEEEEZZNS1_9scan_implILNS1_25lookback_scan_determinismE0ELb0ELb0ES3_PKS7_PS7_S7_ZZZN2at6native31launch_logcumsumexp_cuda_kernelERKNSE_10TensorBaseESI_lENKUlvE_clEvENKUlvE1_clEvEUlS7_S7_E_S7_EEDaPvRmT3_T4_T5_mT6_P12ihipStream_tbENKUlT_T0_E_clISt17integral_constantIbLb1EESY_IbLb0EEEEDaSU_SV_EUlSU_E_NS1_11comp_targetILNS1_3genE9ELNS1_11target_archE1100ELNS1_3gpuE3ELNS1_3repE0EEENS1_30default_config_static_selectorELNS0_4arch9wavefront6targetE0EEEvT1_
; %bb.0:
	.section	.rodata,"a",@progbits
	.p2align	6, 0x0
	.amdhsa_kernel _ZN7rocprim17ROCPRIM_400000_NS6detail17trampoline_kernelINS0_14default_configENS1_20scan_config_selectorIN3c107complexIdEEEEZZNS1_9scan_implILNS1_25lookback_scan_determinismE0ELb0ELb0ES3_PKS7_PS7_S7_ZZZN2at6native31launch_logcumsumexp_cuda_kernelERKNSE_10TensorBaseESI_lENKUlvE_clEvENKUlvE1_clEvEUlS7_S7_E_S7_EEDaPvRmT3_T4_T5_mT6_P12ihipStream_tbENKUlT_T0_E_clISt17integral_constantIbLb1EESY_IbLb0EEEEDaSU_SV_EUlSU_E_NS1_11comp_targetILNS1_3genE9ELNS1_11target_archE1100ELNS1_3gpuE3ELNS1_3repE0EEENS1_30default_config_static_selectorELNS0_4arch9wavefront6targetE0EEEvT1_
		.amdhsa_group_segment_fixed_size 0
		.amdhsa_private_segment_fixed_size 0
		.amdhsa_kernarg_size 128
		.amdhsa_user_sgpr_count 6
		.amdhsa_user_sgpr_private_segment_buffer 1
		.amdhsa_user_sgpr_dispatch_ptr 0
		.amdhsa_user_sgpr_queue_ptr 0
		.amdhsa_user_sgpr_kernarg_segment_ptr 1
		.amdhsa_user_sgpr_dispatch_id 0
		.amdhsa_user_sgpr_flat_scratch_init 0
		.amdhsa_user_sgpr_private_segment_size 0
		.amdhsa_wavefront_size32 1
		.amdhsa_uses_dynamic_stack 0
		.amdhsa_system_sgpr_private_segment_wavefront_offset 0
		.amdhsa_system_sgpr_workgroup_id_x 1
		.amdhsa_system_sgpr_workgroup_id_y 0
		.amdhsa_system_sgpr_workgroup_id_z 0
		.amdhsa_system_sgpr_workgroup_info 0
		.amdhsa_system_vgpr_workitem_id 0
		.amdhsa_next_free_vgpr 1
		.amdhsa_next_free_sgpr 1
		.amdhsa_reserve_vcc 0
		.amdhsa_reserve_flat_scratch 0
		.amdhsa_float_round_mode_32 0
		.amdhsa_float_round_mode_16_64 0
		.amdhsa_float_denorm_mode_32 3
		.amdhsa_float_denorm_mode_16_64 3
		.amdhsa_dx10_clamp 1
		.amdhsa_ieee_mode 1
		.amdhsa_fp16_overflow 0
		.amdhsa_workgroup_processor_mode 1
		.amdhsa_memory_ordered 1
		.amdhsa_forward_progress 1
		.amdhsa_shared_vgpr_count 0
		.amdhsa_exception_fp_ieee_invalid_op 0
		.amdhsa_exception_fp_denorm_src 0
		.amdhsa_exception_fp_ieee_div_zero 0
		.amdhsa_exception_fp_ieee_overflow 0
		.amdhsa_exception_fp_ieee_underflow 0
		.amdhsa_exception_fp_ieee_inexact 0
		.amdhsa_exception_int_div_zero 0
	.end_amdhsa_kernel
	.section	.text._ZN7rocprim17ROCPRIM_400000_NS6detail17trampoline_kernelINS0_14default_configENS1_20scan_config_selectorIN3c107complexIdEEEEZZNS1_9scan_implILNS1_25lookback_scan_determinismE0ELb0ELb0ES3_PKS7_PS7_S7_ZZZN2at6native31launch_logcumsumexp_cuda_kernelERKNSE_10TensorBaseESI_lENKUlvE_clEvENKUlvE1_clEvEUlS7_S7_E_S7_EEDaPvRmT3_T4_T5_mT6_P12ihipStream_tbENKUlT_T0_E_clISt17integral_constantIbLb1EESY_IbLb0EEEEDaSU_SV_EUlSU_E_NS1_11comp_targetILNS1_3genE9ELNS1_11target_archE1100ELNS1_3gpuE3ELNS1_3repE0EEENS1_30default_config_static_selectorELNS0_4arch9wavefront6targetE0EEEvT1_,"axG",@progbits,_ZN7rocprim17ROCPRIM_400000_NS6detail17trampoline_kernelINS0_14default_configENS1_20scan_config_selectorIN3c107complexIdEEEEZZNS1_9scan_implILNS1_25lookback_scan_determinismE0ELb0ELb0ES3_PKS7_PS7_S7_ZZZN2at6native31launch_logcumsumexp_cuda_kernelERKNSE_10TensorBaseESI_lENKUlvE_clEvENKUlvE1_clEvEUlS7_S7_E_S7_EEDaPvRmT3_T4_T5_mT6_P12ihipStream_tbENKUlT_T0_E_clISt17integral_constantIbLb1EESY_IbLb0EEEEDaSU_SV_EUlSU_E_NS1_11comp_targetILNS1_3genE9ELNS1_11target_archE1100ELNS1_3gpuE3ELNS1_3repE0EEENS1_30default_config_static_selectorELNS0_4arch9wavefront6targetE0EEEvT1_,comdat
.Lfunc_end229:
	.size	_ZN7rocprim17ROCPRIM_400000_NS6detail17trampoline_kernelINS0_14default_configENS1_20scan_config_selectorIN3c107complexIdEEEEZZNS1_9scan_implILNS1_25lookback_scan_determinismE0ELb0ELb0ES3_PKS7_PS7_S7_ZZZN2at6native31launch_logcumsumexp_cuda_kernelERKNSE_10TensorBaseESI_lENKUlvE_clEvENKUlvE1_clEvEUlS7_S7_E_S7_EEDaPvRmT3_T4_T5_mT6_P12ihipStream_tbENKUlT_T0_E_clISt17integral_constantIbLb1EESY_IbLb0EEEEDaSU_SV_EUlSU_E_NS1_11comp_targetILNS1_3genE9ELNS1_11target_archE1100ELNS1_3gpuE3ELNS1_3repE0EEENS1_30default_config_static_selectorELNS0_4arch9wavefront6targetE0EEEvT1_, .Lfunc_end229-_ZN7rocprim17ROCPRIM_400000_NS6detail17trampoline_kernelINS0_14default_configENS1_20scan_config_selectorIN3c107complexIdEEEEZZNS1_9scan_implILNS1_25lookback_scan_determinismE0ELb0ELb0ES3_PKS7_PS7_S7_ZZZN2at6native31launch_logcumsumexp_cuda_kernelERKNSE_10TensorBaseESI_lENKUlvE_clEvENKUlvE1_clEvEUlS7_S7_E_S7_EEDaPvRmT3_T4_T5_mT6_P12ihipStream_tbENKUlT_T0_E_clISt17integral_constantIbLb1EESY_IbLb0EEEEDaSU_SV_EUlSU_E_NS1_11comp_targetILNS1_3genE9ELNS1_11target_archE1100ELNS1_3gpuE3ELNS1_3repE0EEENS1_30default_config_static_selectorELNS0_4arch9wavefront6targetE0EEEvT1_
                                        ; -- End function
	.set _ZN7rocprim17ROCPRIM_400000_NS6detail17trampoline_kernelINS0_14default_configENS1_20scan_config_selectorIN3c107complexIdEEEEZZNS1_9scan_implILNS1_25lookback_scan_determinismE0ELb0ELb0ES3_PKS7_PS7_S7_ZZZN2at6native31launch_logcumsumexp_cuda_kernelERKNSE_10TensorBaseESI_lENKUlvE_clEvENKUlvE1_clEvEUlS7_S7_E_S7_EEDaPvRmT3_T4_T5_mT6_P12ihipStream_tbENKUlT_T0_E_clISt17integral_constantIbLb1EESY_IbLb0EEEEDaSU_SV_EUlSU_E_NS1_11comp_targetILNS1_3genE9ELNS1_11target_archE1100ELNS1_3gpuE3ELNS1_3repE0EEENS1_30default_config_static_selectorELNS0_4arch9wavefront6targetE0EEEvT1_.num_vgpr, 0
	.set _ZN7rocprim17ROCPRIM_400000_NS6detail17trampoline_kernelINS0_14default_configENS1_20scan_config_selectorIN3c107complexIdEEEEZZNS1_9scan_implILNS1_25lookback_scan_determinismE0ELb0ELb0ES3_PKS7_PS7_S7_ZZZN2at6native31launch_logcumsumexp_cuda_kernelERKNSE_10TensorBaseESI_lENKUlvE_clEvENKUlvE1_clEvEUlS7_S7_E_S7_EEDaPvRmT3_T4_T5_mT6_P12ihipStream_tbENKUlT_T0_E_clISt17integral_constantIbLb1EESY_IbLb0EEEEDaSU_SV_EUlSU_E_NS1_11comp_targetILNS1_3genE9ELNS1_11target_archE1100ELNS1_3gpuE3ELNS1_3repE0EEENS1_30default_config_static_selectorELNS0_4arch9wavefront6targetE0EEEvT1_.num_agpr, 0
	.set _ZN7rocprim17ROCPRIM_400000_NS6detail17trampoline_kernelINS0_14default_configENS1_20scan_config_selectorIN3c107complexIdEEEEZZNS1_9scan_implILNS1_25lookback_scan_determinismE0ELb0ELb0ES3_PKS7_PS7_S7_ZZZN2at6native31launch_logcumsumexp_cuda_kernelERKNSE_10TensorBaseESI_lENKUlvE_clEvENKUlvE1_clEvEUlS7_S7_E_S7_EEDaPvRmT3_T4_T5_mT6_P12ihipStream_tbENKUlT_T0_E_clISt17integral_constantIbLb1EESY_IbLb0EEEEDaSU_SV_EUlSU_E_NS1_11comp_targetILNS1_3genE9ELNS1_11target_archE1100ELNS1_3gpuE3ELNS1_3repE0EEENS1_30default_config_static_selectorELNS0_4arch9wavefront6targetE0EEEvT1_.numbered_sgpr, 0
	.set _ZN7rocprim17ROCPRIM_400000_NS6detail17trampoline_kernelINS0_14default_configENS1_20scan_config_selectorIN3c107complexIdEEEEZZNS1_9scan_implILNS1_25lookback_scan_determinismE0ELb0ELb0ES3_PKS7_PS7_S7_ZZZN2at6native31launch_logcumsumexp_cuda_kernelERKNSE_10TensorBaseESI_lENKUlvE_clEvENKUlvE1_clEvEUlS7_S7_E_S7_EEDaPvRmT3_T4_T5_mT6_P12ihipStream_tbENKUlT_T0_E_clISt17integral_constantIbLb1EESY_IbLb0EEEEDaSU_SV_EUlSU_E_NS1_11comp_targetILNS1_3genE9ELNS1_11target_archE1100ELNS1_3gpuE3ELNS1_3repE0EEENS1_30default_config_static_selectorELNS0_4arch9wavefront6targetE0EEEvT1_.num_named_barrier, 0
	.set _ZN7rocprim17ROCPRIM_400000_NS6detail17trampoline_kernelINS0_14default_configENS1_20scan_config_selectorIN3c107complexIdEEEEZZNS1_9scan_implILNS1_25lookback_scan_determinismE0ELb0ELb0ES3_PKS7_PS7_S7_ZZZN2at6native31launch_logcumsumexp_cuda_kernelERKNSE_10TensorBaseESI_lENKUlvE_clEvENKUlvE1_clEvEUlS7_S7_E_S7_EEDaPvRmT3_T4_T5_mT6_P12ihipStream_tbENKUlT_T0_E_clISt17integral_constantIbLb1EESY_IbLb0EEEEDaSU_SV_EUlSU_E_NS1_11comp_targetILNS1_3genE9ELNS1_11target_archE1100ELNS1_3gpuE3ELNS1_3repE0EEENS1_30default_config_static_selectorELNS0_4arch9wavefront6targetE0EEEvT1_.private_seg_size, 0
	.set _ZN7rocprim17ROCPRIM_400000_NS6detail17trampoline_kernelINS0_14default_configENS1_20scan_config_selectorIN3c107complexIdEEEEZZNS1_9scan_implILNS1_25lookback_scan_determinismE0ELb0ELb0ES3_PKS7_PS7_S7_ZZZN2at6native31launch_logcumsumexp_cuda_kernelERKNSE_10TensorBaseESI_lENKUlvE_clEvENKUlvE1_clEvEUlS7_S7_E_S7_EEDaPvRmT3_T4_T5_mT6_P12ihipStream_tbENKUlT_T0_E_clISt17integral_constantIbLb1EESY_IbLb0EEEEDaSU_SV_EUlSU_E_NS1_11comp_targetILNS1_3genE9ELNS1_11target_archE1100ELNS1_3gpuE3ELNS1_3repE0EEENS1_30default_config_static_selectorELNS0_4arch9wavefront6targetE0EEEvT1_.uses_vcc, 0
	.set _ZN7rocprim17ROCPRIM_400000_NS6detail17trampoline_kernelINS0_14default_configENS1_20scan_config_selectorIN3c107complexIdEEEEZZNS1_9scan_implILNS1_25lookback_scan_determinismE0ELb0ELb0ES3_PKS7_PS7_S7_ZZZN2at6native31launch_logcumsumexp_cuda_kernelERKNSE_10TensorBaseESI_lENKUlvE_clEvENKUlvE1_clEvEUlS7_S7_E_S7_EEDaPvRmT3_T4_T5_mT6_P12ihipStream_tbENKUlT_T0_E_clISt17integral_constantIbLb1EESY_IbLb0EEEEDaSU_SV_EUlSU_E_NS1_11comp_targetILNS1_3genE9ELNS1_11target_archE1100ELNS1_3gpuE3ELNS1_3repE0EEENS1_30default_config_static_selectorELNS0_4arch9wavefront6targetE0EEEvT1_.uses_flat_scratch, 0
	.set _ZN7rocprim17ROCPRIM_400000_NS6detail17trampoline_kernelINS0_14default_configENS1_20scan_config_selectorIN3c107complexIdEEEEZZNS1_9scan_implILNS1_25lookback_scan_determinismE0ELb0ELb0ES3_PKS7_PS7_S7_ZZZN2at6native31launch_logcumsumexp_cuda_kernelERKNSE_10TensorBaseESI_lENKUlvE_clEvENKUlvE1_clEvEUlS7_S7_E_S7_EEDaPvRmT3_T4_T5_mT6_P12ihipStream_tbENKUlT_T0_E_clISt17integral_constantIbLb1EESY_IbLb0EEEEDaSU_SV_EUlSU_E_NS1_11comp_targetILNS1_3genE9ELNS1_11target_archE1100ELNS1_3gpuE3ELNS1_3repE0EEENS1_30default_config_static_selectorELNS0_4arch9wavefront6targetE0EEEvT1_.has_dyn_sized_stack, 0
	.set _ZN7rocprim17ROCPRIM_400000_NS6detail17trampoline_kernelINS0_14default_configENS1_20scan_config_selectorIN3c107complexIdEEEEZZNS1_9scan_implILNS1_25lookback_scan_determinismE0ELb0ELb0ES3_PKS7_PS7_S7_ZZZN2at6native31launch_logcumsumexp_cuda_kernelERKNSE_10TensorBaseESI_lENKUlvE_clEvENKUlvE1_clEvEUlS7_S7_E_S7_EEDaPvRmT3_T4_T5_mT6_P12ihipStream_tbENKUlT_T0_E_clISt17integral_constantIbLb1EESY_IbLb0EEEEDaSU_SV_EUlSU_E_NS1_11comp_targetILNS1_3genE9ELNS1_11target_archE1100ELNS1_3gpuE3ELNS1_3repE0EEENS1_30default_config_static_selectorELNS0_4arch9wavefront6targetE0EEEvT1_.has_recursion, 0
	.set _ZN7rocprim17ROCPRIM_400000_NS6detail17trampoline_kernelINS0_14default_configENS1_20scan_config_selectorIN3c107complexIdEEEEZZNS1_9scan_implILNS1_25lookback_scan_determinismE0ELb0ELb0ES3_PKS7_PS7_S7_ZZZN2at6native31launch_logcumsumexp_cuda_kernelERKNSE_10TensorBaseESI_lENKUlvE_clEvENKUlvE1_clEvEUlS7_S7_E_S7_EEDaPvRmT3_T4_T5_mT6_P12ihipStream_tbENKUlT_T0_E_clISt17integral_constantIbLb1EESY_IbLb0EEEEDaSU_SV_EUlSU_E_NS1_11comp_targetILNS1_3genE9ELNS1_11target_archE1100ELNS1_3gpuE3ELNS1_3repE0EEENS1_30default_config_static_selectorELNS0_4arch9wavefront6targetE0EEEvT1_.has_indirect_call, 0
	.section	.AMDGPU.csdata,"",@progbits
; Kernel info:
; codeLenInByte = 0
; TotalNumSgprs: 0
; NumVgprs: 0
; ScratchSize: 0
; MemoryBound: 0
; FloatMode: 240
; IeeeMode: 1
; LDSByteSize: 0 bytes/workgroup (compile time only)
; SGPRBlocks: 0
; VGPRBlocks: 0
; NumSGPRsForWavesPerEU: 1
; NumVGPRsForWavesPerEU: 1
; Occupancy: 16
; WaveLimiterHint : 0
; COMPUTE_PGM_RSRC2:SCRATCH_EN: 0
; COMPUTE_PGM_RSRC2:USER_SGPR: 6
; COMPUTE_PGM_RSRC2:TRAP_HANDLER: 0
; COMPUTE_PGM_RSRC2:TGID_X_EN: 1
; COMPUTE_PGM_RSRC2:TGID_Y_EN: 0
; COMPUTE_PGM_RSRC2:TGID_Z_EN: 0
; COMPUTE_PGM_RSRC2:TIDIG_COMP_CNT: 0
	.section	.text._ZN7rocprim17ROCPRIM_400000_NS6detail17trampoline_kernelINS0_14default_configENS1_20scan_config_selectorIN3c107complexIdEEEEZZNS1_9scan_implILNS1_25lookback_scan_determinismE0ELb0ELb0ES3_PKS7_PS7_S7_ZZZN2at6native31launch_logcumsumexp_cuda_kernelERKNSE_10TensorBaseESI_lENKUlvE_clEvENKUlvE1_clEvEUlS7_S7_E_S7_EEDaPvRmT3_T4_T5_mT6_P12ihipStream_tbENKUlT_T0_E_clISt17integral_constantIbLb1EESY_IbLb0EEEEDaSU_SV_EUlSU_E_NS1_11comp_targetILNS1_3genE8ELNS1_11target_archE1030ELNS1_3gpuE2ELNS1_3repE0EEENS1_30default_config_static_selectorELNS0_4arch9wavefront6targetE0EEEvT1_,"axG",@progbits,_ZN7rocprim17ROCPRIM_400000_NS6detail17trampoline_kernelINS0_14default_configENS1_20scan_config_selectorIN3c107complexIdEEEEZZNS1_9scan_implILNS1_25lookback_scan_determinismE0ELb0ELb0ES3_PKS7_PS7_S7_ZZZN2at6native31launch_logcumsumexp_cuda_kernelERKNSE_10TensorBaseESI_lENKUlvE_clEvENKUlvE1_clEvEUlS7_S7_E_S7_EEDaPvRmT3_T4_T5_mT6_P12ihipStream_tbENKUlT_T0_E_clISt17integral_constantIbLb1EESY_IbLb0EEEEDaSU_SV_EUlSU_E_NS1_11comp_targetILNS1_3genE8ELNS1_11target_archE1030ELNS1_3gpuE2ELNS1_3repE0EEENS1_30default_config_static_selectorELNS0_4arch9wavefront6targetE0EEEvT1_,comdat
	.globl	_ZN7rocprim17ROCPRIM_400000_NS6detail17trampoline_kernelINS0_14default_configENS1_20scan_config_selectorIN3c107complexIdEEEEZZNS1_9scan_implILNS1_25lookback_scan_determinismE0ELb0ELb0ES3_PKS7_PS7_S7_ZZZN2at6native31launch_logcumsumexp_cuda_kernelERKNSE_10TensorBaseESI_lENKUlvE_clEvENKUlvE1_clEvEUlS7_S7_E_S7_EEDaPvRmT3_T4_T5_mT6_P12ihipStream_tbENKUlT_T0_E_clISt17integral_constantIbLb1EESY_IbLb0EEEEDaSU_SV_EUlSU_E_NS1_11comp_targetILNS1_3genE8ELNS1_11target_archE1030ELNS1_3gpuE2ELNS1_3repE0EEENS1_30default_config_static_selectorELNS0_4arch9wavefront6targetE0EEEvT1_ ; -- Begin function _ZN7rocprim17ROCPRIM_400000_NS6detail17trampoline_kernelINS0_14default_configENS1_20scan_config_selectorIN3c107complexIdEEEEZZNS1_9scan_implILNS1_25lookback_scan_determinismE0ELb0ELb0ES3_PKS7_PS7_S7_ZZZN2at6native31launch_logcumsumexp_cuda_kernelERKNSE_10TensorBaseESI_lENKUlvE_clEvENKUlvE1_clEvEUlS7_S7_E_S7_EEDaPvRmT3_T4_T5_mT6_P12ihipStream_tbENKUlT_T0_E_clISt17integral_constantIbLb1EESY_IbLb0EEEEDaSU_SV_EUlSU_E_NS1_11comp_targetILNS1_3genE8ELNS1_11target_archE1030ELNS1_3gpuE2ELNS1_3repE0EEENS1_30default_config_static_selectorELNS0_4arch9wavefront6targetE0EEEvT1_
	.p2align	8
	.type	_ZN7rocprim17ROCPRIM_400000_NS6detail17trampoline_kernelINS0_14default_configENS1_20scan_config_selectorIN3c107complexIdEEEEZZNS1_9scan_implILNS1_25lookback_scan_determinismE0ELb0ELb0ES3_PKS7_PS7_S7_ZZZN2at6native31launch_logcumsumexp_cuda_kernelERKNSE_10TensorBaseESI_lENKUlvE_clEvENKUlvE1_clEvEUlS7_S7_E_S7_EEDaPvRmT3_T4_T5_mT6_P12ihipStream_tbENKUlT_T0_E_clISt17integral_constantIbLb1EESY_IbLb0EEEEDaSU_SV_EUlSU_E_NS1_11comp_targetILNS1_3genE8ELNS1_11target_archE1030ELNS1_3gpuE2ELNS1_3repE0EEENS1_30default_config_static_selectorELNS0_4arch9wavefront6targetE0EEEvT1_,@function
_ZN7rocprim17ROCPRIM_400000_NS6detail17trampoline_kernelINS0_14default_configENS1_20scan_config_selectorIN3c107complexIdEEEEZZNS1_9scan_implILNS1_25lookback_scan_determinismE0ELb0ELb0ES3_PKS7_PS7_S7_ZZZN2at6native31launch_logcumsumexp_cuda_kernelERKNSE_10TensorBaseESI_lENKUlvE_clEvENKUlvE1_clEvEUlS7_S7_E_S7_EEDaPvRmT3_T4_T5_mT6_P12ihipStream_tbENKUlT_T0_E_clISt17integral_constantIbLb1EESY_IbLb0EEEEDaSU_SV_EUlSU_E_NS1_11comp_targetILNS1_3genE8ELNS1_11target_archE1030ELNS1_3gpuE2ELNS1_3repE0EEENS1_30default_config_static_selectorELNS0_4arch9wavefront6targetE0EEEvT1_: ; @_ZN7rocprim17ROCPRIM_400000_NS6detail17trampoline_kernelINS0_14default_configENS1_20scan_config_selectorIN3c107complexIdEEEEZZNS1_9scan_implILNS1_25lookback_scan_determinismE0ELb0ELb0ES3_PKS7_PS7_S7_ZZZN2at6native31launch_logcumsumexp_cuda_kernelERKNSE_10TensorBaseESI_lENKUlvE_clEvENKUlvE1_clEvEUlS7_S7_E_S7_EEDaPvRmT3_T4_T5_mT6_P12ihipStream_tbENKUlT_T0_E_clISt17integral_constantIbLb1EESY_IbLb0EEEEDaSU_SV_EUlSU_E_NS1_11comp_targetILNS1_3genE8ELNS1_11target_archE1030ELNS1_3gpuE2ELNS1_3repE0EEENS1_30default_config_static_selectorELNS0_4arch9wavefront6targetE0EEEvT1_
; %bb.0:
	s_endpgm
	.section	.rodata,"a",@progbits
	.p2align	6, 0x0
	.amdhsa_kernel _ZN7rocprim17ROCPRIM_400000_NS6detail17trampoline_kernelINS0_14default_configENS1_20scan_config_selectorIN3c107complexIdEEEEZZNS1_9scan_implILNS1_25lookback_scan_determinismE0ELb0ELb0ES3_PKS7_PS7_S7_ZZZN2at6native31launch_logcumsumexp_cuda_kernelERKNSE_10TensorBaseESI_lENKUlvE_clEvENKUlvE1_clEvEUlS7_S7_E_S7_EEDaPvRmT3_T4_T5_mT6_P12ihipStream_tbENKUlT_T0_E_clISt17integral_constantIbLb1EESY_IbLb0EEEEDaSU_SV_EUlSU_E_NS1_11comp_targetILNS1_3genE8ELNS1_11target_archE1030ELNS1_3gpuE2ELNS1_3repE0EEENS1_30default_config_static_selectorELNS0_4arch9wavefront6targetE0EEEvT1_
		.amdhsa_group_segment_fixed_size 0
		.amdhsa_private_segment_fixed_size 0
		.amdhsa_kernarg_size 128
		.amdhsa_user_sgpr_count 6
		.amdhsa_user_sgpr_private_segment_buffer 1
		.amdhsa_user_sgpr_dispatch_ptr 0
		.amdhsa_user_sgpr_queue_ptr 0
		.amdhsa_user_sgpr_kernarg_segment_ptr 1
		.amdhsa_user_sgpr_dispatch_id 0
		.amdhsa_user_sgpr_flat_scratch_init 0
		.amdhsa_user_sgpr_private_segment_size 0
		.amdhsa_wavefront_size32 1
		.amdhsa_uses_dynamic_stack 0
		.amdhsa_system_sgpr_private_segment_wavefront_offset 0
		.amdhsa_system_sgpr_workgroup_id_x 1
		.amdhsa_system_sgpr_workgroup_id_y 0
		.amdhsa_system_sgpr_workgroup_id_z 0
		.amdhsa_system_sgpr_workgroup_info 0
		.amdhsa_system_vgpr_workitem_id 0
		.amdhsa_next_free_vgpr 1
		.amdhsa_next_free_sgpr 1
		.amdhsa_reserve_vcc 0
		.amdhsa_reserve_flat_scratch 0
		.amdhsa_float_round_mode_32 0
		.amdhsa_float_round_mode_16_64 0
		.amdhsa_float_denorm_mode_32 3
		.amdhsa_float_denorm_mode_16_64 3
		.amdhsa_dx10_clamp 1
		.amdhsa_ieee_mode 1
		.amdhsa_fp16_overflow 0
		.amdhsa_workgroup_processor_mode 1
		.amdhsa_memory_ordered 1
		.amdhsa_forward_progress 1
		.amdhsa_shared_vgpr_count 0
		.amdhsa_exception_fp_ieee_invalid_op 0
		.amdhsa_exception_fp_denorm_src 0
		.amdhsa_exception_fp_ieee_div_zero 0
		.amdhsa_exception_fp_ieee_overflow 0
		.amdhsa_exception_fp_ieee_underflow 0
		.amdhsa_exception_fp_ieee_inexact 0
		.amdhsa_exception_int_div_zero 0
	.end_amdhsa_kernel
	.section	.text._ZN7rocprim17ROCPRIM_400000_NS6detail17trampoline_kernelINS0_14default_configENS1_20scan_config_selectorIN3c107complexIdEEEEZZNS1_9scan_implILNS1_25lookback_scan_determinismE0ELb0ELb0ES3_PKS7_PS7_S7_ZZZN2at6native31launch_logcumsumexp_cuda_kernelERKNSE_10TensorBaseESI_lENKUlvE_clEvENKUlvE1_clEvEUlS7_S7_E_S7_EEDaPvRmT3_T4_T5_mT6_P12ihipStream_tbENKUlT_T0_E_clISt17integral_constantIbLb1EESY_IbLb0EEEEDaSU_SV_EUlSU_E_NS1_11comp_targetILNS1_3genE8ELNS1_11target_archE1030ELNS1_3gpuE2ELNS1_3repE0EEENS1_30default_config_static_selectorELNS0_4arch9wavefront6targetE0EEEvT1_,"axG",@progbits,_ZN7rocprim17ROCPRIM_400000_NS6detail17trampoline_kernelINS0_14default_configENS1_20scan_config_selectorIN3c107complexIdEEEEZZNS1_9scan_implILNS1_25lookback_scan_determinismE0ELb0ELb0ES3_PKS7_PS7_S7_ZZZN2at6native31launch_logcumsumexp_cuda_kernelERKNSE_10TensorBaseESI_lENKUlvE_clEvENKUlvE1_clEvEUlS7_S7_E_S7_EEDaPvRmT3_T4_T5_mT6_P12ihipStream_tbENKUlT_T0_E_clISt17integral_constantIbLb1EESY_IbLb0EEEEDaSU_SV_EUlSU_E_NS1_11comp_targetILNS1_3genE8ELNS1_11target_archE1030ELNS1_3gpuE2ELNS1_3repE0EEENS1_30default_config_static_selectorELNS0_4arch9wavefront6targetE0EEEvT1_,comdat
.Lfunc_end230:
	.size	_ZN7rocprim17ROCPRIM_400000_NS6detail17trampoline_kernelINS0_14default_configENS1_20scan_config_selectorIN3c107complexIdEEEEZZNS1_9scan_implILNS1_25lookback_scan_determinismE0ELb0ELb0ES3_PKS7_PS7_S7_ZZZN2at6native31launch_logcumsumexp_cuda_kernelERKNSE_10TensorBaseESI_lENKUlvE_clEvENKUlvE1_clEvEUlS7_S7_E_S7_EEDaPvRmT3_T4_T5_mT6_P12ihipStream_tbENKUlT_T0_E_clISt17integral_constantIbLb1EESY_IbLb0EEEEDaSU_SV_EUlSU_E_NS1_11comp_targetILNS1_3genE8ELNS1_11target_archE1030ELNS1_3gpuE2ELNS1_3repE0EEENS1_30default_config_static_selectorELNS0_4arch9wavefront6targetE0EEEvT1_, .Lfunc_end230-_ZN7rocprim17ROCPRIM_400000_NS6detail17trampoline_kernelINS0_14default_configENS1_20scan_config_selectorIN3c107complexIdEEEEZZNS1_9scan_implILNS1_25lookback_scan_determinismE0ELb0ELb0ES3_PKS7_PS7_S7_ZZZN2at6native31launch_logcumsumexp_cuda_kernelERKNSE_10TensorBaseESI_lENKUlvE_clEvENKUlvE1_clEvEUlS7_S7_E_S7_EEDaPvRmT3_T4_T5_mT6_P12ihipStream_tbENKUlT_T0_E_clISt17integral_constantIbLb1EESY_IbLb0EEEEDaSU_SV_EUlSU_E_NS1_11comp_targetILNS1_3genE8ELNS1_11target_archE1030ELNS1_3gpuE2ELNS1_3repE0EEENS1_30default_config_static_selectorELNS0_4arch9wavefront6targetE0EEEvT1_
                                        ; -- End function
	.set _ZN7rocprim17ROCPRIM_400000_NS6detail17trampoline_kernelINS0_14default_configENS1_20scan_config_selectorIN3c107complexIdEEEEZZNS1_9scan_implILNS1_25lookback_scan_determinismE0ELb0ELb0ES3_PKS7_PS7_S7_ZZZN2at6native31launch_logcumsumexp_cuda_kernelERKNSE_10TensorBaseESI_lENKUlvE_clEvENKUlvE1_clEvEUlS7_S7_E_S7_EEDaPvRmT3_T4_T5_mT6_P12ihipStream_tbENKUlT_T0_E_clISt17integral_constantIbLb1EESY_IbLb0EEEEDaSU_SV_EUlSU_E_NS1_11comp_targetILNS1_3genE8ELNS1_11target_archE1030ELNS1_3gpuE2ELNS1_3repE0EEENS1_30default_config_static_selectorELNS0_4arch9wavefront6targetE0EEEvT1_.num_vgpr, 0
	.set _ZN7rocprim17ROCPRIM_400000_NS6detail17trampoline_kernelINS0_14default_configENS1_20scan_config_selectorIN3c107complexIdEEEEZZNS1_9scan_implILNS1_25lookback_scan_determinismE0ELb0ELb0ES3_PKS7_PS7_S7_ZZZN2at6native31launch_logcumsumexp_cuda_kernelERKNSE_10TensorBaseESI_lENKUlvE_clEvENKUlvE1_clEvEUlS7_S7_E_S7_EEDaPvRmT3_T4_T5_mT6_P12ihipStream_tbENKUlT_T0_E_clISt17integral_constantIbLb1EESY_IbLb0EEEEDaSU_SV_EUlSU_E_NS1_11comp_targetILNS1_3genE8ELNS1_11target_archE1030ELNS1_3gpuE2ELNS1_3repE0EEENS1_30default_config_static_selectorELNS0_4arch9wavefront6targetE0EEEvT1_.num_agpr, 0
	.set _ZN7rocprim17ROCPRIM_400000_NS6detail17trampoline_kernelINS0_14default_configENS1_20scan_config_selectorIN3c107complexIdEEEEZZNS1_9scan_implILNS1_25lookback_scan_determinismE0ELb0ELb0ES3_PKS7_PS7_S7_ZZZN2at6native31launch_logcumsumexp_cuda_kernelERKNSE_10TensorBaseESI_lENKUlvE_clEvENKUlvE1_clEvEUlS7_S7_E_S7_EEDaPvRmT3_T4_T5_mT6_P12ihipStream_tbENKUlT_T0_E_clISt17integral_constantIbLb1EESY_IbLb0EEEEDaSU_SV_EUlSU_E_NS1_11comp_targetILNS1_3genE8ELNS1_11target_archE1030ELNS1_3gpuE2ELNS1_3repE0EEENS1_30default_config_static_selectorELNS0_4arch9wavefront6targetE0EEEvT1_.numbered_sgpr, 0
	.set _ZN7rocprim17ROCPRIM_400000_NS6detail17trampoline_kernelINS0_14default_configENS1_20scan_config_selectorIN3c107complexIdEEEEZZNS1_9scan_implILNS1_25lookback_scan_determinismE0ELb0ELb0ES3_PKS7_PS7_S7_ZZZN2at6native31launch_logcumsumexp_cuda_kernelERKNSE_10TensorBaseESI_lENKUlvE_clEvENKUlvE1_clEvEUlS7_S7_E_S7_EEDaPvRmT3_T4_T5_mT6_P12ihipStream_tbENKUlT_T0_E_clISt17integral_constantIbLb1EESY_IbLb0EEEEDaSU_SV_EUlSU_E_NS1_11comp_targetILNS1_3genE8ELNS1_11target_archE1030ELNS1_3gpuE2ELNS1_3repE0EEENS1_30default_config_static_selectorELNS0_4arch9wavefront6targetE0EEEvT1_.num_named_barrier, 0
	.set _ZN7rocprim17ROCPRIM_400000_NS6detail17trampoline_kernelINS0_14default_configENS1_20scan_config_selectorIN3c107complexIdEEEEZZNS1_9scan_implILNS1_25lookback_scan_determinismE0ELb0ELb0ES3_PKS7_PS7_S7_ZZZN2at6native31launch_logcumsumexp_cuda_kernelERKNSE_10TensorBaseESI_lENKUlvE_clEvENKUlvE1_clEvEUlS7_S7_E_S7_EEDaPvRmT3_T4_T5_mT6_P12ihipStream_tbENKUlT_T0_E_clISt17integral_constantIbLb1EESY_IbLb0EEEEDaSU_SV_EUlSU_E_NS1_11comp_targetILNS1_3genE8ELNS1_11target_archE1030ELNS1_3gpuE2ELNS1_3repE0EEENS1_30default_config_static_selectorELNS0_4arch9wavefront6targetE0EEEvT1_.private_seg_size, 0
	.set _ZN7rocprim17ROCPRIM_400000_NS6detail17trampoline_kernelINS0_14default_configENS1_20scan_config_selectorIN3c107complexIdEEEEZZNS1_9scan_implILNS1_25lookback_scan_determinismE0ELb0ELb0ES3_PKS7_PS7_S7_ZZZN2at6native31launch_logcumsumexp_cuda_kernelERKNSE_10TensorBaseESI_lENKUlvE_clEvENKUlvE1_clEvEUlS7_S7_E_S7_EEDaPvRmT3_T4_T5_mT6_P12ihipStream_tbENKUlT_T0_E_clISt17integral_constantIbLb1EESY_IbLb0EEEEDaSU_SV_EUlSU_E_NS1_11comp_targetILNS1_3genE8ELNS1_11target_archE1030ELNS1_3gpuE2ELNS1_3repE0EEENS1_30default_config_static_selectorELNS0_4arch9wavefront6targetE0EEEvT1_.uses_vcc, 0
	.set _ZN7rocprim17ROCPRIM_400000_NS6detail17trampoline_kernelINS0_14default_configENS1_20scan_config_selectorIN3c107complexIdEEEEZZNS1_9scan_implILNS1_25lookback_scan_determinismE0ELb0ELb0ES3_PKS7_PS7_S7_ZZZN2at6native31launch_logcumsumexp_cuda_kernelERKNSE_10TensorBaseESI_lENKUlvE_clEvENKUlvE1_clEvEUlS7_S7_E_S7_EEDaPvRmT3_T4_T5_mT6_P12ihipStream_tbENKUlT_T0_E_clISt17integral_constantIbLb1EESY_IbLb0EEEEDaSU_SV_EUlSU_E_NS1_11comp_targetILNS1_3genE8ELNS1_11target_archE1030ELNS1_3gpuE2ELNS1_3repE0EEENS1_30default_config_static_selectorELNS0_4arch9wavefront6targetE0EEEvT1_.uses_flat_scratch, 0
	.set _ZN7rocprim17ROCPRIM_400000_NS6detail17trampoline_kernelINS0_14default_configENS1_20scan_config_selectorIN3c107complexIdEEEEZZNS1_9scan_implILNS1_25lookback_scan_determinismE0ELb0ELb0ES3_PKS7_PS7_S7_ZZZN2at6native31launch_logcumsumexp_cuda_kernelERKNSE_10TensorBaseESI_lENKUlvE_clEvENKUlvE1_clEvEUlS7_S7_E_S7_EEDaPvRmT3_T4_T5_mT6_P12ihipStream_tbENKUlT_T0_E_clISt17integral_constantIbLb1EESY_IbLb0EEEEDaSU_SV_EUlSU_E_NS1_11comp_targetILNS1_3genE8ELNS1_11target_archE1030ELNS1_3gpuE2ELNS1_3repE0EEENS1_30default_config_static_selectorELNS0_4arch9wavefront6targetE0EEEvT1_.has_dyn_sized_stack, 0
	.set _ZN7rocprim17ROCPRIM_400000_NS6detail17trampoline_kernelINS0_14default_configENS1_20scan_config_selectorIN3c107complexIdEEEEZZNS1_9scan_implILNS1_25lookback_scan_determinismE0ELb0ELb0ES3_PKS7_PS7_S7_ZZZN2at6native31launch_logcumsumexp_cuda_kernelERKNSE_10TensorBaseESI_lENKUlvE_clEvENKUlvE1_clEvEUlS7_S7_E_S7_EEDaPvRmT3_T4_T5_mT6_P12ihipStream_tbENKUlT_T0_E_clISt17integral_constantIbLb1EESY_IbLb0EEEEDaSU_SV_EUlSU_E_NS1_11comp_targetILNS1_3genE8ELNS1_11target_archE1030ELNS1_3gpuE2ELNS1_3repE0EEENS1_30default_config_static_selectorELNS0_4arch9wavefront6targetE0EEEvT1_.has_recursion, 0
	.set _ZN7rocprim17ROCPRIM_400000_NS6detail17trampoline_kernelINS0_14default_configENS1_20scan_config_selectorIN3c107complexIdEEEEZZNS1_9scan_implILNS1_25lookback_scan_determinismE0ELb0ELb0ES3_PKS7_PS7_S7_ZZZN2at6native31launch_logcumsumexp_cuda_kernelERKNSE_10TensorBaseESI_lENKUlvE_clEvENKUlvE1_clEvEUlS7_S7_E_S7_EEDaPvRmT3_T4_T5_mT6_P12ihipStream_tbENKUlT_T0_E_clISt17integral_constantIbLb1EESY_IbLb0EEEEDaSU_SV_EUlSU_E_NS1_11comp_targetILNS1_3genE8ELNS1_11target_archE1030ELNS1_3gpuE2ELNS1_3repE0EEENS1_30default_config_static_selectorELNS0_4arch9wavefront6targetE0EEEvT1_.has_indirect_call, 0
	.section	.AMDGPU.csdata,"",@progbits
; Kernel info:
; codeLenInByte = 4
; TotalNumSgprs: 0
; NumVgprs: 0
; ScratchSize: 0
; MemoryBound: 0
; FloatMode: 240
; IeeeMode: 1
; LDSByteSize: 0 bytes/workgroup (compile time only)
; SGPRBlocks: 0
; VGPRBlocks: 0
; NumSGPRsForWavesPerEU: 1
; NumVGPRsForWavesPerEU: 1
; Occupancy: 16
; WaveLimiterHint : 0
; COMPUTE_PGM_RSRC2:SCRATCH_EN: 0
; COMPUTE_PGM_RSRC2:USER_SGPR: 6
; COMPUTE_PGM_RSRC2:TRAP_HANDLER: 0
; COMPUTE_PGM_RSRC2:TGID_X_EN: 1
; COMPUTE_PGM_RSRC2:TGID_Y_EN: 0
; COMPUTE_PGM_RSRC2:TGID_Z_EN: 0
; COMPUTE_PGM_RSRC2:TIDIG_COMP_CNT: 0
	.section	.text._ZN7rocprim17ROCPRIM_400000_NS6detail17trampoline_kernelINS0_14default_configENS1_20scan_config_selectorIN3c107complexIdEEEEZZNS1_9scan_implILNS1_25lookback_scan_determinismE0ELb0ELb0ES3_PKS7_PS7_S7_ZZZN2at6native31launch_logcumsumexp_cuda_kernelERKNSE_10TensorBaseESI_lENKUlvE_clEvENKUlvE1_clEvEUlS7_S7_E_S7_EEDaPvRmT3_T4_T5_mT6_P12ihipStream_tbENKUlT_T0_E_clISt17integral_constantIbLb1EESY_IbLb0EEEEDaSU_SV_EUlSU_E0_NS1_11comp_targetILNS1_3genE0ELNS1_11target_archE4294967295ELNS1_3gpuE0ELNS1_3repE0EEENS1_30default_config_static_selectorELNS0_4arch9wavefront6targetE0EEEvT1_,"axG",@progbits,_ZN7rocprim17ROCPRIM_400000_NS6detail17trampoline_kernelINS0_14default_configENS1_20scan_config_selectorIN3c107complexIdEEEEZZNS1_9scan_implILNS1_25lookback_scan_determinismE0ELb0ELb0ES3_PKS7_PS7_S7_ZZZN2at6native31launch_logcumsumexp_cuda_kernelERKNSE_10TensorBaseESI_lENKUlvE_clEvENKUlvE1_clEvEUlS7_S7_E_S7_EEDaPvRmT3_T4_T5_mT6_P12ihipStream_tbENKUlT_T0_E_clISt17integral_constantIbLb1EESY_IbLb0EEEEDaSU_SV_EUlSU_E0_NS1_11comp_targetILNS1_3genE0ELNS1_11target_archE4294967295ELNS1_3gpuE0ELNS1_3repE0EEENS1_30default_config_static_selectorELNS0_4arch9wavefront6targetE0EEEvT1_,comdat
	.globl	_ZN7rocprim17ROCPRIM_400000_NS6detail17trampoline_kernelINS0_14default_configENS1_20scan_config_selectorIN3c107complexIdEEEEZZNS1_9scan_implILNS1_25lookback_scan_determinismE0ELb0ELb0ES3_PKS7_PS7_S7_ZZZN2at6native31launch_logcumsumexp_cuda_kernelERKNSE_10TensorBaseESI_lENKUlvE_clEvENKUlvE1_clEvEUlS7_S7_E_S7_EEDaPvRmT3_T4_T5_mT6_P12ihipStream_tbENKUlT_T0_E_clISt17integral_constantIbLb1EESY_IbLb0EEEEDaSU_SV_EUlSU_E0_NS1_11comp_targetILNS1_3genE0ELNS1_11target_archE4294967295ELNS1_3gpuE0ELNS1_3repE0EEENS1_30default_config_static_selectorELNS0_4arch9wavefront6targetE0EEEvT1_ ; -- Begin function _ZN7rocprim17ROCPRIM_400000_NS6detail17trampoline_kernelINS0_14default_configENS1_20scan_config_selectorIN3c107complexIdEEEEZZNS1_9scan_implILNS1_25lookback_scan_determinismE0ELb0ELb0ES3_PKS7_PS7_S7_ZZZN2at6native31launch_logcumsumexp_cuda_kernelERKNSE_10TensorBaseESI_lENKUlvE_clEvENKUlvE1_clEvEUlS7_S7_E_S7_EEDaPvRmT3_T4_T5_mT6_P12ihipStream_tbENKUlT_T0_E_clISt17integral_constantIbLb1EESY_IbLb0EEEEDaSU_SV_EUlSU_E0_NS1_11comp_targetILNS1_3genE0ELNS1_11target_archE4294967295ELNS1_3gpuE0ELNS1_3repE0EEENS1_30default_config_static_selectorELNS0_4arch9wavefront6targetE0EEEvT1_
	.p2align	8
	.type	_ZN7rocprim17ROCPRIM_400000_NS6detail17trampoline_kernelINS0_14default_configENS1_20scan_config_selectorIN3c107complexIdEEEEZZNS1_9scan_implILNS1_25lookback_scan_determinismE0ELb0ELb0ES3_PKS7_PS7_S7_ZZZN2at6native31launch_logcumsumexp_cuda_kernelERKNSE_10TensorBaseESI_lENKUlvE_clEvENKUlvE1_clEvEUlS7_S7_E_S7_EEDaPvRmT3_T4_T5_mT6_P12ihipStream_tbENKUlT_T0_E_clISt17integral_constantIbLb1EESY_IbLb0EEEEDaSU_SV_EUlSU_E0_NS1_11comp_targetILNS1_3genE0ELNS1_11target_archE4294967295ELNS1_3gpuE0ELNS1_3repE0EEENS1_30default_config_static_selectorELNS0_4arch9wavefront6targetE0EEEvT1_,@function
_ZN7rocprim17ROCPRIM_400000_NS6detail17trampoline_kernelINS0_14default_configENS1_20scan_config_selectorIN3c107complexIdEEEEZZNS1_9scan_implILNS1_25lookback_scan_determinismE0ELb0ELb0ES3_PKS7_PS7_S7_ZZZN2at6native31launch_logcumsumexp_cuda_kernelERKNSE_10TensorBaseESI_lENKUlvE_clEvENKUlvE1_clEvEUlS7_S7_E_S7_EEDaPvRmT3_T4_T5_mT6_P12ihipStream_tbENKUlT_T0_E_clISt17integral_constantIbLb1EESY_IbLb0EEEEDaSU_SV_EUlSU_E0_NS1_11comp_targetILNS1_3genE0ELNS1_11target_archE4294967295ELNS1_3gpuE0ELNS1_3repE0EEENS1_30default_config_static_selectorELNS0_4arch9wavefront6targetE0EEEvT1_: ; @_ZN7rocprim17ROCPRIM_400000_NS6detail17trampoline_kernelINS0_14default_configENS1_20scan_config_selectorIN3c107complexIdEEEEZZNS1_9scan_implILNS1_25lookback_scan_determinismE0ELb0ELb0ES3_PKS7_PS7_S7_ZZZN2at6native31launch_logcumsumexp_cuda_kernelERKNSE_10TensorBaseESI_lENKUlvE_clEvENKUlvE1_clEvEUlS7_S7_E_S7_EEDaPvRmT3_T4_T5_mT6_P12ihipStream_tbENKUlT_T0_E_clISt17integral_constantIbLb1EESY_IbLb0EEEEDaSU_SV_EUlSU_E0_NS1_11comp_targetILNS1_3genE0ELNS1_11target_archE4294967295ELNS1_3gpuE0ELNS1_3repE0EEENS1_30default_config_static_selectorELNS0_4arch9wavefront6targetE0EEEvT1_
; %bb.0:
	.section	.rodata,"a",@progbits
	.p2align	6, 0x0
	.amdhsa_kernel _ZN7rocprim17ROCPRIM_400000_NS6detail17trampoline_kernelINS0_14default_configENS1_20scan_config_selectorIN3c107complexIdEEEEZZNS1_9scan_implILNS1_25lookback_scan_determinismE0ELb0ELb0ES3_PKS7_PS7_S7_ZZZN2at6native31launch_logcumsumexp_cuda_kernelERKNSE_10TensorBaseESI_lENKUlvE_clEvENKUlvE1_clEvEUlS7_S7_E_S7_EEDaPvRmT3_T4_T5_mT6_P12ihipStream_tbENKUlT_T0_E_clISt17integral_constantIbLb1EESY_IbLb0EEEEDaSU_SV_EUlSU_E0_NS1_11comp_targetILNS1_3genE0ELNS1_11target_archE4294967295ELNS1_3gpuE0ELNS1_3repE0EEENS1_30default_config_static_selectorELNS0_4arch9wavefront6targetE0EEEvT1_
		.amdhsa_group_segment_fixed_size 0
		.amdhsa_private_segment_fixed_size 0
		.amdhsa_kernarg_size 48
		.amdhsa_user_sgpr_count 6
		.amdhsa_user_sgpr_private_segment_buffer 1
		.amdhsa_user_sgpr_dispatch_ptr 0
		.amdhsa_user_sgpr_queue_ptr 0
		.amdhsa_user_sgpr_kernarg_segment_ptr 1
		.amdhsa_user_sgpr_dispatch_id 0
		.amdhsa_user_sgpr_flat_scratch_init 0
		.amdhsa_user_sgpr_private_segment_size 0
		.amdhsa_wavefront_size32 1
		.amdhsa_uses_dynamic_stack 0
		.amdhsa_system_sgpr_private_segment_wavefront_offset 0
		.amdhsa_system_sgpr_workgroup_id_x 1
		.amdhsa_system_sgpr_workgroup_id_y 0
		.amdhsa_system_sgpr_workgroup_id_z 0
		.amdhsa_system_sgpr_workgroup_info 0
		.amdhsa_system_vgpr_workitem_id 0
		.amdhsa_next_free_vgpr 1
		.amdhsa_next_free_sgpr 1
		.amdhsa_reserve_vcc 0
		.amdhsa_reserve_flat_scratch 0
		.amdhsa_float_round_mode_32 0
		.amdhsa_float_round_mode_16_64 0
		.amdhsa_float_denorm_mode_32 3
		.amdhsa_float_denorm_mode_16_64 3
		.amdhsa_dx10_clamp 1
		.amdhsa_ieee_mode 1
		.amdhsa_fp16_overflow 0
		.amdhsa_workgroup_processor_mode 1
		.amdhsa_memory_ordered 1
		.amdhsa_forward_progress 1
		.amdhsa_shared_vgpr_count 0
		.amdhsa_exception_fp_ieee_invalid_op 0
		.amdhsa_exception_fp_denorm_src 0
		.amdhsa_exception_fp_ieee_div_zero 0
		.amdhsa_exception_fp_ieee_overflow 0
		.amdhsa_exception_fp_ieee_underflow 0
		.amdhsa_exception_fp_ieee_inexact 0
		.amdhsa_exception_int_div_zero 0
	.end_amdhsa_kernel
	.section	.text._ZN7rocprim17ROCPRIM_400000_NS6detail17trampoline_kernelINS0_14default_configENS1_20scan_config_selectorIN3c107complexIdEEEEZZNS1_9scan_implILNS1_25lookback_scan_determinismE0ELb0ELb0ES3_PKS7_PS7_S7_ZZZN2at6native31launch_logcumsumexp_cuda_kernelERKNSE_10TensorBaseESI_lENKUlvE_clEvENKUlvE1_clEvEUlS7_S7_E_S7_EEDaPvRmT3_T4_T5_mT6_P12ihipStream_tbENKUlT_T0_E_clISt17integral_constantIbLb1EESY_IbLb0EEEEDaSU_SV_EUlSU_E0_NS1_11comp_targetILNS1_3genE0ELNS1_11target_archE4294967295ELNS1_3gpuE0ELNS1_3repE0EEENS1_30default_config_static_selectorELNS0_4arch9wavefront6targetE0EEEvT1_,"axG",@progbits,_ZN7rocprim17ROCPRIM_400000_NS6detail17trampoline_kernelINS0_14default_configENS1_20scan_config_selectorIN3c107complexIdEEEEZZNS1_9scan_implILNS1_25lookback_scan_determinismE0ELb0ELb0ES3_PKS7_PS7_S7_ZZZN2at6native31launch_logcumsumexp_cuda_kernelERKNSE_10TensorBaseESI_lENKUlvE_clEvENKUlvE1_clEvEUlS7_S7_E_S7_EEDaPvRmT3_T4_T5_mT6_P12ihipStream_tbENKUlT_T0_E_clISt17integral_constantIbLb1EESY_IbLb0EEEEDaSU_SV_EUlSU_E0_NS1_11comp_targetILNS1_3genE0ELNS1_11target_archE4294967295ELNS1_3gpuE0ELNS1_3repE0EEENS1_30default_config_static_selectorELNS0_4arch9wavefront6targetE0EEEvT1_,comdat
.Lfunc_end231:
	.size	_ZN7rocprim17ROCPRIM_400000_NS6detail17trampoline_kernelINS0_14default_configENS1_20scan_config_selectorIN3c107complexIdEEEEZZNS1_9scan_implILNS1_25lookback_scan_determinismE0ELb0ELb0ES3_PKS7_PS7_S7_ZZZN2at6native31launch_logcumsumexp_cuda_kernelERKNSE_10TensorBaseESI_lENKUlvE_clEvENKUlvE1_clEvEUlS7_S7_E_S7_EEDaPvRmT3_T4_T5_mT6_P12ihipStream_tbENKUlT_T0_E_clISt17integral_constantIbLb1EESY_IbLb0EEEEDaSU_SV_EUlSU_E0_NS1_11comp_targetILNS1_3genE0ELNS1_11target_archE4294967295ELNS1_3gpuE0ELNS1_3repE0EEENS1_30default_config_static_selectorELNS0_4arch9wavefront6targetE0EEEvT1_, .Lfunc_end231-_ZN7rocprim17ROCPRIM_400000_NS6detail17trampoline_kernelINS0_14default_configENS1_20scan_config_selectorIN3c107complexIdEEEEZZNS1_9scan_implILNS1_25lookback_scan_determinismE0ELb0ELb0ES3_PKS7_PS7_S7_ZZZN2at6native31launch_logcumsumexp_cuda_kernelERKNSE_10TensorBaseESI_lENKUlvE_clEvENKUlvE1_clEvEUlS7_S7_E_S7_EEDaPvRmT3_T4_T5_mT6_P12ihipStream_tbENKUlT_T0_E_clISt17integral_constantIbLb1EESY_IbLb0EEEEDaSU_SV_EUlSU_E0_NS1_11comp_targetILNS1_3genE0ELNS1_11target_archE4294967295ELNS1_3gpuE0ELNS1_3repE0EEENS1_30default_config_static_selectorELNS0_4arch9wavefront6targetE0EEEvT1_
                                        ; -- End function
	.set _ZN7rocprim17ROCPRIM_400000_NS6detail17trampoline_kernelINS0_14default_configENS1_20scan_config_selectorIN3c107complexIdEEEEZZNS1_9scan_implILNS1_25lookback_scan_determinismE0ELb0ELb0ES3_PKS7_PS7_S7_ZZZN2at6native31launch_logcumsumexp_cuda_kernelERKNSE_10TensorBaseESI_lENKUlvE_clEvENKUlvE1_clEvEUlS7_S7_E_S7_EEDaPvRmT3_T4_T5_mT6_P12ihipStream_tbENKUlT_T0_E_clISt17integral_constantIbLb1EESY_IbLb0EEEEDaSU_SV_EUlSU_E0_NS1_11comp_targetILNS1_3genE0ELNS1_11target_archE4294967295ELNS1_3gpuE0ELNS1_3repE0EEENS1_30default_config_static_selectorELNS0_4arch9wavefront6targetE0EEEvT1_.num_vgpr, 0
	.set _ZN7rocprim17ROCPRIM_400000_NS6detail17trampoline_kernelINS0_14default_configENS1_20scan_config_selectorIN3c107complexIdEEEEZZNS1_9scan_implILNS1_25lookback_scan_determinismE0ELb0ELb0ES3_PKS7_PS7_S7_ZZZN2at6native31launch_logcumsumexp_cuda_kernelERKNSE_10TensorBaseESI_lENKUlvE_clEvENKUlvE1_clEvEUlS7_S7_E_S7_EEDaPvRmT3_T4_T5_mT6_P12ihipStream_tbENKUlT_T0_E_clISt17integral_constantIbLb1EESY_IbLb0EEEEDaSU_SV_EUlSU_E0_NS1_11comp_targetILNS1_3genE0ELNS1_11target_archE4294967295ELNS1_3gpuE0ELNS1_3repE0EEENS1_30default_config_static_selectorELNS0_4arch9wavefront6targetE0EEEvT1_.num_agpr, 0
	.set _ZN7rocprim17ROCPRIM_400000_NS6detail17trampoline_kernelINS0_14default_configENS1_20scan_config_selectorIN3c107complexIdEEEEZZNS1_9scan_implILNS1_25lookback_scan_determinismE0ELb0ELb0ES3_PKS7_PS7_S7_ZZZN2at6native31launch_logcumsumexp_cuda_kernelERKNSE_10TensorBaseESI_lENKUlvE_clEvENKUlvE1_clEvEUlS7_S7_E_S7_EEDaPvRmT3_T4_T5_mT6_P12ihipStream_tbENKUlT_T0_E_clISt17integral_constantIbLb1EESY_IbLb0EEEEDaSU_SV_EUlSU_E0_NS1_11comp_targetILNS1_3genE0ELNS1_11target_archE4294967295ELNS1_3gpuE0ELNS1_3repE0EEENS1_30default_config_static_selectorELNS0_4arch9wavefront6targetE0EEEvT1_.numbered_sgpr, 0
	.set _ZN7rocprim17ROCPRIM_400000_NS6detail17trampoline_kernelINS0_14default_configENS1_20scan_config_selectorIN3c107complexIdEEEEZZNS1_9scan_implILNS1_25lookback_scan_determinismE0ELb0ELb0ES3_PKS7_PS7_S7_ZZZN2at6native31launch_logcumsumexp_cuda_kernelERKNSE_10TensorBaseESI_lENKUlvE_clEvENKUlvE1_clEvEUlS7_S7_E_S7_EEDaPvRmT3_T4_T5_mT6_P12ihipStream_tbENKUlT_T0_E_clISt17integral_constantIbLb1EESY_IbLb0EEEEDaSU_SV_EUlSU_E0_NS1_11comp_targetILNS1_3genE0ELNS1_11target_archE4294967295ELNS1_3gpuE0ELNS1_3repE0EEENS1_30default_config_static_selectorELNS0_4arch9wavefront6targetE0EEEvT1_.num_named_barrier, 0
	.set _ZN7rocprim17ROCPRIM_400000_NS6detail17trampoline_kernelINS0_14default_configENS1_20scan_config_selectorIN3c107complexIdEEEEZZNS1_9scan_implILNS1_25lookback_scan_determinismE0ELb0ELb0ES3_PKS7_PS7_S7_ZZZN2at6native31launch_logcumsumexp_cuda_kernelERKNSE_10TensorBaseESI_lENKUlvE_clEvENKUlvE1_clEvEUlS7_S7_E_S7_EEDaPvRmT3_T4_T5_mT6_P12ihipStream_tbENKUlT_T0_E_clISt17integral_constantIbLb1EESY_IbLb0EEEEDaSU_SV_EUlSU_E0_NS1_11comp_targetILNS1_3genE0ELNS1_11target_archE4294967295ELNS1_3gpuE0ELNS1_3repE0EEENS1_30default_config_static_selectorELNS0_4arch9wavefront6targetE0EEEvT1_.private_seg_size, 0
	.set _ZN7rocprim17ROCPRIM_400000_NS6detail17trampoline_kernelINS0_14default_configENS1_20scan_config_selectorIN3c107complexIdEEEEZZNS1_9scan_implILNS1_25lookback_scan_determinismE0ELb0ELb0ES3_PKS7_PS7_S7_ZZZN2at6native31launch_logcumsumexp_cuda_kernelERKNSE_10TensorBaseESI_lENKUlvE_clEvENKUlvE1_clEvEUlS7_S7_E_S7_EEDaPvRmT3_T4_T5_mT6_P12ihipStream_tbENKUlT_T0_E_clISt17integral_constantIbLb1EESY_IbLb0EEEEDaSU_SV_EUlSU_E0_NS1_11comp_targetILNS1_3genE0ELNS1_11target_archE4294967295ELNS1_3gpuE0ELNS1_3repE0EEENS1_30default_config_static_selectorELNS0_4arch9wavefront6targetE0EEEvT1_.uses_vcc, 0
	.set _ZN7rocprim17ROCPRIM_400000_NS6detail17trampoline_kernelINS0_14default_configENS1_20scan_config_selectorIN3c107complexIdEEEEZZNS1_9scan_implILNS1_25lookback_scan_determinismE0ELb0ELb0ES3_PKS7_PS7_S7_ZZZN2at6native31launch_logcumsumexp_cuda_kernelERKNSE_10TensorBaseESI_lENKUlvE_clEvENKUlvE1_clEvEUlS7_S7_E_S7_EEDaPvRmT3_T4_T5_mT6_P12ihipStream_tbENKUlT_T0_E_clISt17integral_constantIbLb1EESY_IbLb0EEEEDaSU_SV_EUlSU_E0_NS1_11comp_targetILNS1_3genE0ELNS1_11target_archE4294967295ELNS1_3gpuE0ELNS1_3repE0EEENS1_30default_config_static_selectorELNS0_4arch9wavefront6targetE0EEEvT1_.uses_flat_scratch, 0
	.set _ZN7rocprim17ROCPRIM_400000_NS6detail17trampoline_kernelINS0_14default_configENS1_20scan_config_selectorIN3c107complexIdEEEEZZNS1_9scan_implILNS1_25lookback_scan_determinismE0ELb0ELb0ES3_PKS7_PS7_S7_ZZZN2at6native31launch_logcumsumexp_cuda_kernelERKNSE_10TensorBaseESI_lENKUlvE_clEvENKUlvE1_clEvEUlS7_S7_E_S7_EEDaPvRmT3_T4_T5_mT6_P12ihipStream_tbENKUlT_T0_E_clISt17integral_constantIbLb1EESY_IbLb0EEEEDaSU_SV_EUlSU_E0_NS1_11comp_targetILNS1_3genE0ELNS1_11target_archE4294967295ELNS1_3gpuE0ELNS1_3repE0EEENS1_30default_config_static_selectorELNS0_4arch9wavefront6targetE0EEEvT1_.has_dyn_sized_stack, 0
	.set _ZN7rocprim17ROCPRIM_400000_NS6detail17trampoline_kernelINS0_14default_configENS1_20scan_config_selectorIN3c107complexIdEEEEZZNS1_9scan_implILNS1_25lookback_scan_determinismE0ELb0ELb0ES3_PKS7_PS7_S7_ZZZN2at6native31launch_logcumsumexp_cuda_kernelERKNSE_10TensorBaseESI_lENKUlvE_clEvENKUlvE1_clEvEUlS7_S7_E_S7_EEDaPvRmT3_T4_T5_mT6_P12ihipStream_tbENKUlT_T0_E_clISt17integral_constantIbLb1EESY_IbLb0EEEEDaSU_SV_EUlSU_E0_NS1_11comp_targetILNS1_3genE0ELNS1_11target_archE4294967295ELNS1_3gpuE0ELNS1_3repE0EEENS1_30default_config_static_selectorELNS0_4arch9wavefront6targetE0EEEvT1_.has_recursion, 0
	.set _ZN7rocprim17ROCPRIM_400000_NS6detail17trampoline_kernelINS0_14default_configENS1_20scan_config_selectorIN3c107complexIdEEEEZZNS1_9scan_implILNS1_25lookback_scan_determinismE0ELb0ELb0ES3_PKS7_PS7_S7_ZZZN2at6native31launch_logcumsumexp_cuda_kernelERKNSE_10TensorBaseESI_lENKUlvE_clEvENKUlvE1_clEvEUlS7_S7_E_S7_EEDaPvRmT3_T4_T5_mT6_P12ihipStream_tbENKUlT_T0_E_clISt17integral_constantIbLb1EESY_IbLb0EEEEDaSU_SV_EUlSU_E0_NS1_11comp_targetILNS1_3genE0ELNS1_11target_archE4294967295ELNS1_3gpuE0ELNS1_3repE0EEENS1_30default_config_static_selectorELNS0_4arch9wavefront6targetE0EEEvT1_.has_indirect_call, 0
	.section	.AMDGPU.csdata,"",@progbits
; Kernel info:
; codeLenInByte = 0
; TotalNumSgprs: 0
; NumVgprs: 0
; ScratchSize: 0
; MemoryBound: 0
; FloatMode: 240
; IeeeMode: 1
; LDSByteSize: 0 bytes/workgroup (compile time only)
; SGPRBlocks: 0
; VGPRBlocks: 0
; NumSGPRsForWavesPerEU: 1
; NumVGPRsForWavesPerEU: 1
; Occupancy: 16
; WaveLimiterHint : 0
; COMPUTE_PGM_RSRC2:SCRATCH_EN: 0
; COMPUTE_PGM_RSRC2:USER_SGPR: 6
; COMPUTE_PGM_RSRC2:TRAP_HANDLER: 0
; COMPUTE_PGM_RSRC2:TGID_X_EN: 1
; COMPUTE_PGM_RSRC2:TGID_Y_EN: 0
; COMPUTE_PGM_RSRC2:TGID_Z_EN: 0
; COMPUTE_PGM_RSRC2:TIDIG_COMP_CNT: 0
	.section	.text._ZN7rocprim17ROCPRIM_400000_NS6detail17trampoline_kernelINS0_14default_configENS1_20scan_config_selectorIN3c107complexIdEEEEZZNS1_9scan_implILNS1_25lookback_scan_determinismE0ELb0ELb0ES3_PKS7_PS7_S7_ZZZN2at6native31launch_logcumsumexp_cuda_kernelERKNSE_10TensorBaseESI_lENKUlvE_clEvENKUlvE1_clEvEUlS7_S7_E_S7_EEDaPvRmT3_T4_T5_mT6_P12ihipStream_tbENKUlT_T0_E_clISt17integral_constantIbLb1EESY_IbLb0EEEEDaSU_SV_EUlSU_E0_NS1_11comp_targetILNS1_3genE5ELNS1_11target_archE942ELNS1_3gpuE9ELNS1_3repE0EEENS1_30default_config_static_selectorELNS0_4arch9wavefront6targetE0EEEvT1_,"axG",@progbits,_ZN7rocprim17ROCPRIM_400000_NS6detail17trampoline_kernelINS0_14default_configENS1_20scan_config_selectorIN3c107complexIdEEEEZZNS1_9scan_implILNS1_25lookback_scan_determinismE0ELb0ELb0ES3_PKS7_PS7_S7_ZZZN2at6native31launch_logcumsumexp_cuda_kernelERKNSE_10TensorBaseESI_lENKUlvE_clEvENKUlvE1_clEvEUlS7_S7_E_S7_EEDaPvRmT3_T4_T5_mT6_P12ihipStream_tbENKUlT_T0_E_clISt17integral_constantIbLb1EESY_IbLb0EEEEDaSU_SV_EUlSU_E0_NS1_11comp_targetILNS1_3genE5ELNS1_11target_archE942ELNS1_3gpuE9ELNS1_3repE0EEENS1_30default_config_static_selectorELNS0_4arch9wavefront6targetE0EEEvT1_,comdat
	.globl	_ZN7rocprim17ROCPRIM_400000_NS6detail17trampoline_kernelINS0_14default_configENS1_20scan_config_selectorIN3c107complexIdEEEEZZNS1_9scan_implILNS1_25lookback_scan_determinismE0ELb0ELb0ES3_PKS7_PS7_S7_ZZZN2at6native31launch_logcumsumexp_cuda_kernelERKNSE_10TensorBaseESI_lENKUlvE_clEvENKUlvE1_clEvEUlS7_S7_E_S7_EEDaPvRmT3_T4_T5_mT6_P12ihipStream_tbENKUlT_T0_E_clISt17integral_constantIbLb1EESY_IbLb0EEEEDaSU_SV_EUlSU_E0_NS1_11comp_targetILNS1_3genE5ELNS1_11target_archE942ELNS1_3gpuE9ELNS1_3repE0EEENS1_30default_config_static_selectorELNS0_4arch9wavefront6targetE0EEEvT1_ ; -- Begin function _ZN7rocprim17ROCPRIM_400000_NS6detail17trampoline_kernelINS0_14default_configENS1_20scan_config_selectorIN3c107complexIdEEEEZZNS1_9scan_implILNS1_25lookback_scan_determinismE0ELb0ELb0ES3_PKS7_PS7_S7_ZZZN2at6native31launch_logcumsumexp_cuda_kernelERKNSE_10TensorBaseESI_lENKUlvE_clEvENKUlvE1_clEvEUlS7_S7_E_S7_EEDaPvRmT3_T4_T5_mT6_P12ihipStream_tbENKUlT_T0_E_clISt17integral_constantIbLb1EESY_IbLb0EEEEDaSU_SV_EUlSU_E0_NS1_11comp_targetILNS1_3genE5ELNS1_11target_archE942ELNS1_3gpuE9ELNS1_3repE0EEENS1_30default_config_static_selectorELNS0_4arch9wavefront6targetE0EEEvT1_
	.p2align	8
	.type	_ZN7rocprim17ROCPRIM_400000_NS6detail17trampoline_kernelINS0_14default_configENS1_20scan_config_selectorIN3c107complexIdEEEEZZNS1_9scan_implILNS1_25lookback_scan_determinismE0ELb0ELb0ES3_PKS7_PS7_S7_ZZZN2at6native31launch_logcumsumexp_cuda_kernelERKNSE_10TensorBaseESI_lENKUlvE_clEvENKUlvE1_clEvEUlS7_S7_E_S7_EEDaPvRmT3_T4_T5_mT6_P12ihipStream_tbENKUlT_T0_E_clISt17integral_constantIbLb1EESY_IbLb0EEEEDaSU_SV_EUlSU_E0_NS1_11comp_targetILNS1_3genE5ELNS1_11target_archE942ELNS1_3gpuE9ELNS1_3repE0EEENS1_30default_config_static_selectorELNS0_4arch9wavefront6targetE0EEEvT1_,@function
_ZN7rocprim17ROCPRIM_400000_NS6detail17trampoline_kernelINS0_14default_configENS1_20scan_config_selectorIN3c107complexIdEEEEZZNS1_9scan_implILNS1_25lookback_scan_determinismE0ELb0ELb0ES3_PKS7_PS7_S7_ZZZN2at6native31launch_logcumsumexp_cuda_kernelERKNSE_10TensorBaseESI_lENKUlvE_clEvENKUlvE1_clEvEUlS7_S7_E_S7_EEDaPvRmT3_T4_T5_mT6_P12ihipStream_tbENKUlT_T0_E_clISt17integral_constantIbLb1EESY_IbLb0EEEEDaSU_SV_EUlSU_E0_NS1_11comp_targetILNS1_3genE5ELNS1_11target_archE942ELNS1_3gpuE9ELNS1_3repE0EEENS1_30default_config_static_selectorELNS0_4arch9wavefront6targetE0EEEvT1_: ; @_ZN7rocprim17ROCPRIM_400000_NS6detail17trampoline_kernelINS0_14default_configENS1_20scan_config_selectorIN3c107complexIdEEEEZZNS1_9scan_implILNS1_25lookback_scan_determinismE0ELb0ELb0ES3_PKS7_PS7_S7_ZZZN2at6native31launch_logcumsumexp_cuda_kernelERKNSE_10TensorBaseESI_lENKUlvE_clEvENKUlvE1_clEvEUlS7_S7_E_S7_EEDaPvRmT3_T4_T5_mT6_P12ihipStream_tbENKUlT_T0_E_clISt17integral_constantIbLb1EESY_IbLb0EEEEDaSU_SV_EUlSU_E0_NS1_11comp_targetILNS1_3genE5ELNS1_11target_archE942ELNS1_3gpuE9ELNS1_3repE0EEENS1_30default_config_static_selectorELNS0_4arch9wavefront6targetE0EEEvT1_
; %bb.0:
	.section	.rodata,"a",@progbits
	.p2align	6, 0x0
	.amdhsa_kernel _ZN7rocprim17ROCPRIM_400000_NS6detail17trampoline_kernelINS0_14default_configENS1_20scan_config_selectorIN3c107complexIdEEEEZZNS1_9scan_implILNS1_25lookback_scan_determinismE0ELb0ELb0ES3_PKS7_PS7_S7_ZZZN2at6native31launch_logcumsumexp_cuda_kernelERKNSE_10TensorBaseESI_lENKUlvE_clEvENKUlvE1_clEvEUlS7_S7_E_S7_EEDaPvRmT3_T4_T5_mT6_P12ihipStream_tbENKUlT_T0_E_clISt17integral_constantIbLb1EESY_IbLb0EEEEDaSU_SV_EUlSU_E0_NS1_11comp_targetILNS1_3genE5ELNS1_11target_archE942ELNS1_3gpuE9ELNS1_3repE0EEENS1_30default_config_static_selectorELNS0_4arch9wavefront6targetE0EEEvT1_
		.amdhsa_group_segment_fixed_size 0
		.amdhsa_private_segment_fixed_size 0
		.amdhsa_kernarg_size 48
		.amdhsa_user_sgpr_count 6
		.amdhsa_user_sgpr_private_segment_buffer 1
		.amdhsa_user_sgpr_dispatch_ptr 0
		.amdhsa_user_sgpr_queue_ptr 0
		.amdhsa_user_sgpr_kernarg_segment_ptr 1
		.amdhsa_user_sgpr_dispatch_id 0
		.amdhsa_user_sgpr_flat_scratch_init 0
		.amdhsa_user_sgpr_private_segment_size 0
		.amdhsa_wavefront_size32 1
		.amdhsa_uses_dynamic_stack 0
		.amdhsa_system_sgpr_private_segment_wavefront_offset 0
		.amdhsa_system_sgpr_workgroup_id_x 1
		.amdhsa_system_sgpr_workgroup_id_y 0
		.amdhsa_system_sgpr_workgroup_id_z 0
		.amdhsa_system_sgpr_workgroup_info 0
		.amdhsa_system_vgpr_workitem_id 0
		.amdhsa_next_free_vgpr 1
		.amdhsa_next_free_sgpr 1
		.amdhsa_reserve_vcc 0
		.amdhsa_reserve_flat_scratch 0
		.amdhsa_float_round_mode_32 0
		.amdhsa_float_round_mode_16_64 0
		.amdhsa_float_denorm_mode_32 3
		.amdhsa_float_denorm_mode_16_64 3
		.amdhsa_dx10_clamp 1
		.amdhsa_ieee_mode 1
		.amdhsa_fp16_overflow 0
		.amdhsa_workgroup_processor_mode 1
		.amdhsa_memory_ordered 1
		.amdhsa_forward_progress 1
		.amdhsa_shared_vgpr_count 0
		.amdhsa_exception_fp_ieee_invalid_op 0
		.amdhsa_exception_fp_denorm_src 0
		.amdhsa_exception_fp_ieee_div_zero 0
		.amdhsa_exception_fp_ieee_overflow 0
		.amdhsa_exception_fp_ieee_underflow 0
		.amdhsa_exception_fp_ieee_inexact 0
		.amdhsa_exception_int_div_zero 0
	.end_amdhsa_kernel
	.section	.text._ZN7rocprim17ROCPRIM_400000_NS6detail17trampoline_kernelINS0_14default_configENS1_20scan_config_selectorIN3c107complexIdEEEEZZNS1_9scan_implILNS1_25lookback_scan_determinismE0ELb0ELb0ES3_PKS7_PS7_S7_ZZZN2at6native31launch_logcumsumexp_cuda_kernelERKNSE_10TensorBaseESI_lENKUlvE_clEvENKUlvE1_clEvEUlS7_S7_E_S7_EEDaPvRmT3_T4_T5_mT6_P12ihipStream_tbENKUlT_T0_E_clISt17integral_constantIbLb1EESY_IbLb0EEEEDaSU_SV_EUlSU_E0_NS1_11comp_targetILNS1_3genE5ELNS1_11target_archE942ELNS1_3gpuE9ELNS1_3repE0EEENS1_30default_config_static_selectorELNS0_4arch9wavefront6targetE0EEEvT1_,"axG",@progbits,_ZN7rocprim17ROCPRIM_400000_NS6detail17trampoline_kernelINS0_14default_configENS1_20scan_config_selectorIN3c107complexIdEEEEZZNS1_9scan_implILNS1_25lookback_scan_determinismE0ELb0ELb0ES3_PKS7_PS7_S7_ZZZN2at6native31launch_logcumsumexp_cuda_kernelERKNSE_10TensorBaseESI_lENKUlvE_clEvENKUlvE1_clEvEUlS7_S7_E_S7_EEDaPvRmT3_T4_T5_mT6_P12ihipStream_tbENKUlT_T0_E_clISt17integral_constantIbLb1EESY_IbLb0EEEEDaSU_SV_EUlSU_E0_NS1_11comp_targetILNS1_3genE5ELNS1_11target_archE942ELNS1_3gpuE9ELNS1_3repE0EEENS1_30default_config_static_selectorELNS0_4arch9wavefront6targetE0EEEvT1_,comdat
.Lfunc_end232:
	.size	_ZN7rocprim17ROCPRIM_400000_NS6detail17trampoline_kernelINS0_14default_configENS1_20scan_config_selectorIN3c107complexIdEEEEZZNS1_9scan_implILNS1_25lookback_scan_determinismE0ELb0ELb0ES3_PKS7_PS7_S7_ZZZN2at6native31launch_logcumsumexp_cuda_kernelERKNSE_10TensorBaseESI_lENKUlvE_clEvENKUlvE1_clEvEUlS7_S7_E_S7_EEDaPvRmT3_T4_T5_mT6_P12ihipStream_tbENKUlT_T0_E_clISt17integral_constantIbLb1EESY_IbLb0EEEEDaSU_SV_EUlSU_E0_NS1_11comp_targetILNS1_3genE5ELNS1_11target_archE942ELNS1_3gpuE9ELNS1_3repE0EEENS1_30default_config_static_selectorELNS0_4arch9wavefront6targetE0EEEvT1_, .Lfunc_end232-_ZN7rocprim17ROCPRIM_400000_NS6detail17trampoline_kernelINS0_14default_configENS1_20scan_config_selectorIN3c107complexIdEEEEZZNS1_9scan_implILNS1_25lookback_scan_determinismE0ELb0ELb0ES3_PKS7_PS7_S7_ZZZN2at6native31launch_logcumsumexp_cuda_kernelERKNSE_10TensorBaseESI_lENKUlvE_clEvENKUlvE1_clEvEUlS7_S7_E_S7_EEDaPvRmT3_T4_T5_mT6_P12ihipStream_tbENKUlT_T0_E_clISt17integral_constantIbLb1EESY_IbLb0EEEEDaSU_SV_EUlSU_E0_NS1_11comp_targetILNS1_3genE5ELNS1_11target_archE942ELNS1_3gpuE9ELNS1_3repE0EEENS1_30default_config_static_selectorELNS0_4arch9wavefront6targetE0EEEvT1_
                                        ; -- End function
	.set _ZN7rocprim17ROCPRIM_400000_NS6detail17trampoline_kernelINS0_14default_configENS1_20scan_config_selectorIN3c107complexIdEEEEZZNS1_9scan_implILNS1_25lookback_scan_determinismE0ELb0ELb0ES3_PKS7_PS7_S7_ZZZN2at6native31launch_logcumsumexp_cuda_kernelERKNSE_10TensorBaseESI_lENKUlvE_clEvENKUlvE1_clEvEUlS7_S7_E_S7_EEDaPvRmT3_T4_T5_mT6_P12ihipStream_tbENKUlT_T0_E_clISt17integral_constantIbLb1EESY_IbLb0EEEEDaSU_SV_EUlSU_E0_NS1_11comp_targetILNS1_3genE5ELNS1_11target_archE942ELNS1_3gpuE9ELNS1_3repE0EEENS1_30default_config_static_selectorELNS0_4arch9wavefront6targetE0EEEvT1_.num_vgpr, 0
	.set _ZN7rocprim17ROCPRIM_400000_NS6detail17trampoline_kernelINS0_14default_configENS1_20scan_config_selectorIN3c107complexIdEEEEZZNS1_9scan_implILNS1_25lookback_scan_determinismE0ELb0ELb0ES3_PKS7_PS7_S7_ZZZN2at6native31launch_logcumsumexp_cuda_kernelERKNSE_10TensorBaseESI_lENKUlvE_clEvENKUlvE1_clEvEUlS7_S7_E_S7_EEDaPvRmT3_T4_T5_mT6_P12ihipStream_tbENKUlT_T0_E_clISt17integral_constantIbLb1EESY_IbLb0EEEEDaSU_SV_EUlSU_E0_NS1_11comp_targetILNS1_3genE5ELNS1_11target_archE942ELNS1_3gpuE9ELNS1_3repE0EEENS1_30default_config_static_selectorELNS0_4arch9wavefront6targetE0EEEvT1_.num_agpr, 0
	.set _ZN7rocprim17ROCPRIM_400000_NS6detail17trampoline_kernelINS0_14default_configENS1_20scan_config_selectorIN3c107complexIdEEEEZZNS1_9scan_implILNS1_25lookback_scan_determinismE0ELb0ELb0ES3_PKS7_PS7_S7_ZZZN2at6native31launch_logcumsumexp_cuda_kernelERKNSE_10TensorBaseESI_lENKUlvE_clEvENKUlvE1_clEvEUlS7_S7_E_S7_EEDaPvRmT3_T4_T5_mT6_P12ihipStream_tbENKUlT_T0_E_clISt17integral_constantIbLb1EESY_IbLb0EEEEDaSU_SV_EUlSU_E0_NS1_11comp_targetILNS1_3genE5ELNS1_11target_archE942ELNS1_3gpuE9ELNS1_3repE0EEENS1_30default_config_static_selectorELNS0_4arch9wavefront6targetE0EEEvT1_.numbered_sgpr, 0
	.set _ZN7rocprim17ROCPRIM_400000_NS6detail17trampoline_kernelINS0_14default_configENS1_20scan_config_selectorIN3c107complexIdEEEEZZNS1_9scan_implILNS1_25lookback_scan_determinismE0ELb0ELb0ES3_PKS7_PS7_S7_ZZZN2at6native31launch_logcumsumexp_cuda_kernelERKNSE_10TensorBaseESI_lENKUlvE_clEvENKUlvE1_clEvEUlS7_S7_E_S7_EEDaPvRmT3_T4_T5_mT6_P12ihipStream_tbENKUlT_T0_E_clISt17integral_constantIbLb1EESY_IbLb0EEEEDaSU_SV_EUlSU_E0_NS1_11comp_targetILNS1_3genE5ELNS1_11target_archE942ELNS1_3gpuE9ELNS1_3repE0EEENS1_30default_config_static_selectorELNS0_4arch9wavefront6targetE0EEEvT1_.num_named_barrier, 0
	.set _ZN7rocprim17ROCPRIM_400000_NS6detail17trampoline_kernelINS0_14default_configENS1_20scan_config_selectorIN3c107complexIdEEEEZZNS1_9scan_implILNS1_25lookback_scan_determinismE0ELb0ELb0ES3_PKS7_PS7_S7_ZZZN2at6native31launch_logcumsumexp_cuda_kernelERKNSE_10TensorBaseESI_lENKUlvE_clEvENKUlvE1_clEvEUlS7_S7_E_S7_EEDaPvRmT3_T4_T5_mT6_P12ihipStream_tbENKUlT_T0_E_clISt17integral_constantIbLb1EESY_IbLb0EEEEDaSU_SV_EUlSU_E0_NS1_11comp_targetILNS1_3genE5ELNS1_11target_archE942ELNS1_3gpuE9ELNS1_3repE0EEENS1_30default_config_static_selectorELNS0_4arch9wavefront6targetE0EEEvT1_.private_seg_size, 0
	.set _ZN7rocprim17ROCPRIM_400000_NS6detail17trampoline_kernelINS0_14default_configENS1_20scan_config_selectorIN3c107complexIdEEEEZZNS1_9scan_implILNS1_25lookback_scan_determinismE0ELb0ELb0ES3_PKS7_PS7_S7_ZZZN2at6native31launch_logcumsumexp_cuda_kernelERKNSE_10TensorBaseESI_lENKUlvE_clEvENKUlvE1_clEvEUlS7_S7_E_S7_EEDaPvRmT3_T4_T5_mT6_P12ihipStream_tbENKUlT_T0_E_clISt17integral_constantIbLb1EESY_IbLb0EEEEDaSU_SV_EUlSU_E0_NS1_11comp_targetILNS1_3genE5ELNS1_11target_archE942ELNS1_3gpuE9ELNS1_3repE0EEENS1_30default_config_static_selectorELNS0_4arch9wavefront6targetE0EEEvT1_.uses_vcc, 0
	.set _ZN7rocprim17ROCPRIM_400000_NS6detail17trampoline_kernelINS0_14default_configENS1_20scan_config_selectorIN3c107complexIdEEEEZZNS1_9scan_implILNS1_25lookback_scan_determinismE0ELb0ELb0ES3_PKS7_PS7_S7_ZZZN2at6native31launch_logcumsumexp_cuda_kernelERKNSE_10TensorBaseESI_lENKUlvE_clEvENKUlvE1_clEvEUlS7_S7_E_S7_EEDaPvRmT3_T4_T5_mT6_P12ihipStream_tbENKUlT_T0_E_clISt17integral_constantIbLb1EESY_IbLb0EEEEDaSU_SV_EUlSU_E0_NS1_11comp_targetILNS1_3genE5ELNS1_11target_archE942ELNS1_3gpuE9ELNS1_3repE0EEENS1_30default_config_static_selectorELNS0_4arch9wavefront6targetE0EEEvT1_.uses_flat_scratch, 0
	.set _ZN7rocprim17ROCPRIM_400000_NS6detail17trampoline_kernelINS0_14default_configENS1_20scan_config_selectorIN3c107complexIdEEEEZZNS1_9scan_implILNS1_25lookback_scan_determinismE0ELb0ELb0ES3_PKS7_PS7_S7_ZZZN2at6native31launch_logcumsumexp_cuda_kernelERKNSE_10TensorBaseESI_lENKUlvE_clEvENKUlvE1_clEvEUlS7_S7_E_S7_EEDaPvRmT3_T4_T5_mT6_P12ihipStream_tbENKUlT_T0_E_clISt17integral_constantIbLb1EESY_IbLb0EEEEDaSU_SV_EUlSU_E0_NS1_11comp_targetILNS1_3genE5ELNS1_11target_archE942ELNS1_3gpuE9ELNS1_3repE0EEENS1_30default_config_static_selectorELNS0_4arch9wavefront6targetE0EEEvT1_.has_dyn_sized_stack, 0
	.set _ZN7rocprim17ROCPRIM_400000_NS6detail17trampoline_kernelINS0_14default_configENS1_20scan_config_selectorIN3c107complexIdEEEEZZNS1_9scan_implILNS1_25lookback_scan_determinismE0ELb0ELb0ES3_PKS7_PS7_S7_ZZZN2at6native31launch_logcumsumexp_cuda_kernelERKNSE_10TensorBaseESI_lENKUlvE_clEvENKUlvE1_clEvEUlS7_S7_E_S7_EEDaPvRmT3_T4_T5_mT6_P12ihipStream_tbENKUlT_T0_E_clISt17integral_constantIbLb1EESY_IbLb0EEEEDaSU_SV_EUlSU_E0_NS1_11comp_targetILNS1_3genE5ELNS1_11target_archE942ELNS1_3gpuE9ELNS1_3repE0EEENS1_30default_config_static_selectorELNS0_4arch9wavefront6targetE0EEEvT1_.has_recursion, 0
	.set _ZN7rocprim17ROCPRIM_400000_NS6detail17trampoline_kernelINS0_14default_configENS1_20scan_config_selectorIN3c107complexIdEEEEZZNS1_9scan_implILNS1_25lookback_scan_determinismE0ELb0ELb0ES3_PKS7_PS7_S7_ZZZN2at6native31launch_logcumsumexp_cuda_kernelERKNSE_10TensorBaseESI_lENKUlvE_clEvENKUlvE1_clEvEUlS7_S7_E_S7_EEDaPvRmT3_T4_T5_mT6_P12ihipStream_tbENKUlT_T0_E_clISt17integral_constantIbLb1EESY_IbLb0EEEEDaSU_SV_EUlSU_E0_NS1_11comp_targetILNS1_3genE5ELNS1_11target_archE942ELNS1_3gpuE9ELNS1_3repE0EEENS1_30default_config_static_selectorELNS0_4arch9wavefront6targetE0EEEvT1_.has_indirect_call, 0
	.section	.AMDGPU.csdata,"",@progbits
; Kernel info:
; codeLenInByte = 0
; TotalNumSgprs: 0
; NumVgprs: 0
; ScratchSize: 0
; MemoryBound: 0
; FloatMode: 240
; IeeeMode: 1
; LDSByteSize: 0 bytes/workgroup (compile time only)
; SGPRBlocks: 0
; VGPRBlocks: 0
; NumSGPRsForWavesPerEU: 1
; NumVGPRsForWavesPerEU: 1
; Occupancy: 16
; WaveLimiterHint : 0
; COMPUTE_PGM_RSRC2:SCRATCH_EN: 0
; COMPUTE_PGM_RSRC2:USER_SGPR: 6
; COMPUTE_PGM_RSRC2:TRAP_HANDLER: 0
; COMPUTE_PGM_RSRC2:TGID_X_EN: 1
; COMPUTE_PGM_RSRC2:TGID_Y_EN: 0
; COMPUTE_PGM_RSRC2:TGID_Z_EN: 0
; COMPUTE_PGM_RSRC2:TIDIG_COMP_CNT: 0
	.section	.text._ZN7rocprim17ROCPRIM_400000_NS6detail17trampoline_kernelINS0_14default_configENS1_20scan_config_selectorIN3c107complexIdEEEEZZNS1_9scan_implILNS1_25lookback_scan_determinismE0ELb0ELb0ES3_PKS7_PS7_S7_ZZZN2at6native31launch_logcumsumexp_cuda_kernelERKNSE_10TensorBaseESI_lENKUlvE_clEvENKUlvE1_clEvEUlS7_S7_E_S7_EEDaPvRmT3_T4_T5_mT6_P12ihipStream_tbENKUlT_T0_E_clISt17integral_constantIbLb1EESY_IbLb0EEEEDaSU_SV_EUlSU_E0_NS1_11comp_targetILNS1_3genE4ELNS1_11target_archE910ELNS1_3gpuE8ELNS1_3repE0EEENS1_30default_config_static_selectorELNS0_4arch9wavefront6targetE0EEEvT1_,"axG",@progbits,_ZN7rocprim17ROCPRIM_400000_NS6detail17trampoline_kernelINS0_14default_configENS1_20scan_config_selectorIN3c107complexIdEEEEZZNS1_9scan_implILNS1_25lookback_scan_determinismE0ELb0ELb0ES3_PKS7_PS7_S7_ZZZN2at6native31launch_logcumsumexp_cuda_kernelERKNSE_10TensorBaseESI_lENKUlvE_clEvENKUlvE1_clEvEUlS7_S7_E_S7_EEDaPvRmT3_T4_T5_mT6_P12ihipStream_tbENKUlT_T0_E_clISt17integral_constantIbLb1EESY_IbLb0EEEEDaSU_SV_EUlSU_E0_NS1_11comp_targetILNS1_3genE4ELNS1_11target_archE910ELNS1_3gpuE8ELNS1_3repE0EEENS1_30default_config_static_selectorELNS0_4arch9wavefront6targetE0EEEvT1_,comdat
	.globl	_ZN7rocprim17ROCPRIM_400000_NS6detail17trampoline_kernelINS0_14default_configENS1_20scan_config_selectorIN3c107complexIdEEEEZZNS1_9scan_implILNS1_25lookback_scan_determinismE0ELb0ELb0ES3_PKS7_PS7_S7_ZZZN2at6native31launch_logcumsumexp_cuda_kernelERKNSE_10TensorBaseESI_lENKUlvE_clEvENKUlvE1_clEvEUlS7_S7_E_S7_EEDaPvRmT3_T4_T5_mT6_P12ihipStream_tbENKUlT_T0_E_clISt17integral_constantIbLb1EESY_IbLb0EEEEDaSU_SV_EUlSU_E0_NS1_11comp_targetILNS1_3genE4ELNS1_11target_archE910ELNS1_3gpuE8ELNS1_3repE0EEENS1_30default_config_static_selectorELNS0_4arch9wavefront6targetE0EEEvT1_ ; -- Begin function _ZN7rocprim17ROCPRIM_400000_NS6detail17trampoline_kernelINS0_14default_configENS1_20scan_config_selectorIN3c107complexIdEEEEZZNS1_9scan_implILNS1_25lookback_scan_determinismE0ELb0ELb0ES3_PKS7_PS7_S7_ZZZN2at6native31launch_logcumsumexp_cuda_kernelERKNSE_10TensorBaseESI_lENKUlvE_clEvENKUlvE1_clEvEUlS7_S7_E_S7_EEDaPvRmT3_T4_T5_mT6_P12ihipStream_tbENKUlT_T0_E_clISt17integral_constantIbLb1EESY_IbLb0EEEEDaSU_SV_EUlSU_E0_NS1_11comp_targetILNS1_3genE4ELNS1_11target_archE910ELNS1_3gpuE8ELNS1_3repE0EEENS1_30default_config_static_selectorELNS0_4arch9wavefront6targetE0EEEvT1_
	.p2align	8
	.type	_ZN7rocprim17ROCPRIM_400000_NS6detail17trampoline_kernelINS0_14default_configENS1_20scan_config_selectorIN3c107complexIdEEEEZZNS1_9scan_implILNS1_25lookback_scan_determinismE0ELb0ELb0ES3_PKS7_PS7_S7_ZZZN2at6native31launch_logcumsumexp_cuda_kernelERKNSE_10TensorBaseESI_lENKUlvE_clEvENKUlvE1_clEvEUlS7_S7_E_S7_EEDaPvRmT3_T4_T5_mT6_P12ihipStream_tbENKUlT_T0_E_clISt17integral_constantIbLb1EESY_IbLb0EEEEDaSU_SV_EUlSU_E0_NS1_11comp_targetILNS1_3genE4ELNS1_11target_archE910ELNS1_3gpuE8ELNS1_3repE0EEENS1_30default_config_static_selectorELNS0_4arch9wavefront6targetE0EEEvT1_,@function
_ZN7rocprim17ROCPRIM_400000_NS6detail17trampoline_kernelINS0_14default_configENS1_20scan_config_selectorIN3c107complexIdEEEEZZNS1_9scan_implILNS1_25lookback_scan_determinismE0ELb0ELb0ES3_PKS7_PS7_S7_ZZZN2at6native31launch_logcumsumexp_cuda_kernelERKNSE_10TensorBaseESI_lENKUlvE_clEvENKUlvE1_clEvEUlS7_S7_E_S7_EEDaPvRmT3_T4_T5_mT6_P12ihipStream_tbENKUlT_T0_E_clISt17integral_constantIbLb1EESY_IbLb0EEEEDaSU_SV_EUlSU_E0_NS1_11comp_targetILNS1_3genE4ELNS1_11target_archE910ELNS1_3gpuE8ELNS1_3repE0EEENS1_30default_config_static_selectorELNS0_4arch9wavefront6targetE0EEEvT1_: ; @_ZN7rocprim17ROCPRIM_400000_NS6detail17trampoline_kernelINS0_14default_configENS1_20scan_config_selectorIN3c107complexIdEEEEZZNS1_9scan_implILNS1_25lookback_scan_determinismE0ELb0ELb0ES3_PKS7_PS7_S7_ZZZN2at6native31launch_logcumsumexp_cuda_kernelERKNSE_10TensorBaseESI_lENKUlvE_clEvENKUlvE1_clEvEUlS7_S7_E_S7_EEDaPvRmT3_T4_T5_mT6_P12ihipStream_tbENKUlT_T0_E_clISt17integral_constantIbLb1EESY_IbLb0EEEEDaSU_SV_EUlSU_E0_NS1_11comp_targetILNS1_3genE4ELNS1_11target_archE910ELNS1_3gpuE8ELNS1_3repE0EEENS1_30default_config_static_selectorELNS0_4arch9wavefront6targetE0EEEvT1_
; %bb.0:
	.section	.rodata,"a",@progbits
	.p2align	6, 0x0
	.amdhsa_kernel _ZN7rocprim17ROCPRIM_400000_NS6detail17trampoline_kernelINS0_14default_configENS1_20scan_config_selectorIN3c107complexIdEEEEZZNS1_9scan_implILNS1_25lookback_scan_determinismE0ELb0ELb0ES3_PKS7_PS7_S7_ZZZN2at6native31launch_logcumsumexp_cuda_kernelERKNSE_10TensorBaseESI_lENKUlvE_clEvENKUlvE1_clEvEUlS7_S7_E_S7_EEDaPvRmT3_T4_T5_mT6_P12ihipStream_tbENKUlT_T0_E_clISt17integral_constantIbLb1EESY_IbLb0EEEEDaSU_SV_EUlSU_E0_NS1_11comp_targetILNS1_3genE4ELNS1_11target_archE910ELNS1_3gpuE8ELNS1_3repE0EEENS1_30default_config_static_selectorELNS0_4arch9wavefront6targetE0EEEvT1_
		.amdhsa_group_segment_fixed_size 0
		.amdhsa_private_segment_fixed_size 0
		.amdhsa_kernarg_size 48
		.amdhsa_user_sgpr_count 6
		.amdhsa_user_sgpr_private_segment_buffer 1
		.amdhsa_user_sgpr_dispatch_ptr 0
		.amdhsa_user_sgpr_queue_ptr 0
		.amdhsa_user_sgpr_kernarg_segment_ptr 1
		.amdhsa_user_sgpr_dispatch_id 0
		.amdhsa_user_sgpr_flat_scratch_init 0
		.amdhsa_user_sgpr_private_segment_size 0
		.amdhsa_wavefront_size32 1
		.amdhsa_uses_dynamic_stack 0
		.amdhsa_system_sgpr_private_segment_wavefront_offset 0
		.amdhsa_system_sgpr_workgroup_id_x 1
		.amdhsa_system_sgpr_workgroup_id_y 0
		.amdhsa_system_sgpr_workgroup_id_z 0
		.amdhsa_system_sgpr_workgroup_info 0
		.amdhsa_system_vgpr_workitem_id 0
		.amdhsa_next_free_vgpr 1
		.amdhsa_next_free_sgpr 1
		.amdhsa_reserve_vcc 0
		.amdhsa_reserve_flat_scratch 0
		.amdhsa_float_round_mode_32 0
		.amdhsa_float_round_mode_16_64 0
		.amdhsa_float_denorm_mode_32 3
		.amdhsa_float_denorm_mode_16_64 3
		.amdhsa_dx10_clamp 1
		.amdhsa_ieee_mode 1
		.amdhsa_fp16_overflow 0
		.amdhsa_workgroup_processor_mode 1
		.amdhsa_memory_ordered 1
		.amdhsa_forward_progress 1
		.amdhsa_shared_vgpr_count 0
		.amdhsa_exception_fp_ieee_invalid_op 0
		.amdhsa_exception_fp_denorm_src 0
		.amdhsa_exception_fp_ieee_div_zero 0
		.amdhsa_exception_fp_ieee_overflow 0
		.amdhsa_exception_fp_ieee_underflow 0
		.amdhsa_exception_fp_ieee_inexact 0
		.amdhsa_exception_int_div_zero 0
	.end_amdhsa_kernel
	.section	.text._ZN7rocprim17ROCPRIM_400000_NS6detail17trampoline_kernelINS0_14default_configENS1_20scan_config_selectorIN3c107complexIdEEEEZZNS1_9scan_implILNS1_25lookback_scan_determinismE0ELb0ELb0ES3_PKS7_PS7_S7_ZZZN2at6native31launch_logcumsumexp_cuda_kernelERKNSE_10TensorBaseESI_lENKUlvE_clEvENKUlvE1_clEvEUlS7_S7_E_S7_EEDaPvRmT3_T4_T5_mT6_P12ihipStream_tbENKUlT_T0_E_clISt17integral_constantIbLb1EESY_IbLb0EEEEDaSU_SV_EUlSU_E0_NS1_11comp_targetILNS1_3genE4ELNS1_11target_archE910ELNS1_3gpuE8ELNS1_3repE0EEENS1_30default_config_static_selectorELNS0_4arch9wavefront6targetE0EEEvT1_,"axG",@progbits,_ZN7rocprim17ROCPRIM_400000_NS6detail17trampoline_kernelINS0_14default_configENS1_20scan_config_selectorIN3c107complexIdEEEEZZNS1_9scan_implILNS1_25lookback_scan_determinismE0ELb0ELb0ES3_PKS7_PS7_S7_ZZZN2at6native31launch_logcumsumexp_cuda_kernelERKNSE_10TensorBaseESI_lENKUlvE_clEvENKUlvE1_clEvEUlS7_S7_E_S7_EEDaPvRmT3_T4_T5_mT6_P12ihipStream_tbENKUlT_T0_E_clISt17integral_constantIbLb1EESY_IbLb0EEEEDaSU_SV_EUlSU_E0_NS1_11comp_targetILNS1_3genE4ELNS1_11target_archE910ELNS1_3gpuE8ELNS1_3repE0EEENS1_30default_config_static_selectorELNS0_4arch9wavefront6targetE0EEEvT1_,comdat
.Lfunc_end233:
	.size	_ZN7rocprim17ROCPRIM_400000_NS6detail17trampoline_kernelINS0_14default_configENS1_20scan_config_selectorIN3c107complexIdEEEEZZNS1_9scan_implILNS1_25lookback_scan_determinismE0ELb0ELb0ES3_PKS7_PS7_S7_ZZZN2at6native31launch_logcumsumexp_cuda_kernelERKNSE_10TensorBaseESI_lENKUlvE_clEvENKUlvE1_clEvEUlS7_S7_E_S7_EEDaPvRmT3_T4_T5_mT6_P12ihipStream_tbENKUlT_T0_E_clISt17integral_constantIbLb1EESY_IbLb0EEEEDaSU_SV_EUlSU_E0_NS1_11comp_targetILNS1_3genE4ELNS1_11target_archE910ELNS1_3gpuE8ELNS1_3repE0EEENS1_30default_config_static_selectorELNS0_4arch9wavefront6targetE0EEEvT1_, .Lfunc_end233-_ZN7rocprim17ROCPRIM_400000_NS6detail17trampoline_kernelINS0_14default_configENS1_20scan_config_selectorIN3c107complexIdEEEEZZNS1_9scan_implILNS1_25lookback_scan_determinismE0ELb0ELb0ES3_PKS7_PS7_S7_ZZZN2at6native31launch_logcumsumexp_cuda_kernelERKNSE_10TensorBaseESI_lENKUlvE_clEvENKUlvE1_clEvEUlS7_S7_E_S7_EEDaPvRmT3_T4_T5_mT6_P12ihipStream_tbENKUlT_T0_E_clISt17integral_constantIbLb1EESY_IbLb0EEEEDaSU_SV_EUlSU_E0_NS1_11comp_targetILNS1_3genE4ELNS1_11target_archE910ELNS1_3gpuE8ELNS1_3repE0EEENS1_30default_config_static_selectorELNS0_4arch9wavefront6targetE0EEEvT1_
                                        ; -- End function
	.set _ZN7rocprim17ROCPRIM_400000_NS6detail17trampoline_kernelINS0_14default_configENS1_20scan_config_selectorIN3c107complexIdEEEEZZNS1_9scan_implILNS1_25lookback_scan_determinismE0ELb0ELb0ES3_PKS7_PS7_S7_ZZZN2at6native31launch_logcumsumexp_cuda_kernelERKNSE_10TensorBaseESI_lENKUlvE_clEvENKUlvE1_clEvEUlS7_S7_E_S7_EEDaPvRmT3_T4_T5_mT6_P12ihipStream_tbENKUlT_T0_E_clISt17integral_constantIbLb1EESY_IbLb0EEEEDaSU_SV_EUlSU_E0_NS1_11comp_targetILNS1_3genE4ELNS1_11target_archE910ELNS1_3gpuE8ELNS1_3repE0EEENS1_30default_config_static_selectorELNS0_4arch9wavefront6targetE0EEEvT1_.num_vgpr, 0
	.set _ZN7rocprim17ROCPRIM_400000_NS6detail17trampoline_kernelINS0_14default_configENS1_20scan_config_selectorIN3c107complexIdEEEEZZNS1_9scan_implILNS1_25lookback_scan_determinismE0ELb0ELb0ES3_PKS7_PS7_S7_ZZZN2at6native31launch_logcumsumexp_cuda_kernelERKNSE_10TensorBaseESI_lENKUlvE_clEvENKUlvE1_clEvEUlS7_S7_E_S7_EEDaPvRmT3_T4_T5_mT6_P12ihipStream_tbENKUlT_T0_E_clISt17integral_constantIbLb1EESY_IbLb0EEEEDaSU_SV_EUlSU_E0_NS1_11comp_targetILNS1_3genE4ELNS1_11target_archE910ELNS1_3gpuE8ELNS1_3repE0EEENS1_30default_config_static_selectorELNS0_4arch9wavefront6targetE0EEEvT1_.num_agpr, 0
	.set _ZN7rocprim17ROCPRIM_400000_NS6detail17trampoline_kernelINS0_14default_configENS1_20scan_config_selectorIN3c107complexIdEEEEZZNS1_9scan_implILNS1_25lookback_scan_determinismE0ELb0ELb0ES3_PKS7_PS7_S7_ZZZN2at6native31launch_logcumsumexp_cuda_kernelERKNSE_10TensorBaseESI_lENKUlvE_clEvENKUlvE1_clEvEUlS7_S7_E_S7_EEDaPvRmT3_T4_T5_mT6_P12ihipStream_tbENKUlT_T0_E_clISt17integral_constantIbLb1EESY_IbLb0EEEEDaSU_SV_EUlSU_E0_NS1_11comp_targetILNS1_3genE4ELNS1_11target_archE910ELNS1_3gpuE8ELNS1_3repE0EEENS1_30default_config_static_selectorELNS0_4arch9wavefront6targetE0EEEvT1_.numbered_sgpr, 0
	.set _ZN7rocprim17ROCPRIM_400000_NS6detail17trampoline_kernelINS0_14default_configENS1_20scan_config_selectorIN3c107complexIdEEEEZZNS1_9scan_implILNS1_25lookback_scan_determinismE0ELb0ELb0ES3_PKS7_PS7_S7_ZZZN2at6native31launch_logcumsumexp_cuda_kernelERKNSE_10TensorBaseESI_lENKUlvE_clEvENKUlvE1_clEvEUlS7_S7_E_S7_EEDaPvRmT3_T4_T5_mT6_P12ihipStream_tbENKUlT_T0_E_clISt17integral_constantIbLb1EESY_IbLb0EEEEDaSU_SV_EUlSU_E0_NS1_11comp_targetILNS1_3genE4ELNS1_11target_archE910ELNS1_3gpuE8ELNS1_3repE0EEENS1_30default_config_static_selectorELNS0_4arch9wavefront6targetE0EEEvT1_.num_named_barrier, 0
	.set _ZN7rocprim17ROCPRIM_400000_NS6detail17trampoline_kernelINS0_14default_configENS1_20scan_config_selectorIN3c107complexIdEEEEZZNS1_9scan_implILNS1_25lookback_scan_determinismE0ELb0ELb0ES3_PKS7_PS7_S7_ZZZN2at6native31launch_logcumsumexp_cuda_kernelERKNSE_10TensorBaseESI_lENKUlvE_clEvENKUlvE1_clEvEUlS7_S7_E_S7_EEDaPvRmT3_T4_T5_mT6_P12ihipStream_tbENKUlT_T0_E_clISt17integral_constantIbLb1EESY_IbLb0EEEEDaSU_SV_EUlSU_E0_NS1_11comp_targetILNS1_3genE4ELNS1_11target_archE910ELNS1_3gpuE8ELNS1_3repE0EEENS1_30default_config_static_selectorELNS0_4arch9wavefront6targetE0EEEvT1_.private_seg_size, 0
	.set _ZN7rocprim17ROCPRIM_400000_NS6detail17trampoline_kernelINS0_14default_configENS1_20scan_config_selectorIN3c107complexIdEEEEZZNS1_9scan_implILNS1_25lookback_scan_determinismE0ELb0ELb0ES3_PKS7_PS7_S7_ZZZN2at6native31launch_logcumsumexp_cuda_kernelERKNSE_10TensorBaseESI_lENKUlvE_clEvENKUlvE1_clEvEUlS7_S7_E_S7_EEDaPvRmT3_T4_T5_mT6_P12ihipStream_tbENKUlT_T0_E_clISt17integral_constantIbLb1EESY_IbLb0EEEEDaSU_SV_EUlSU_E0_NS1_11comp_targetILNS1_3genE4ELNS1_11target_archE910ELNS1_3gpuE8ELNS1_3repE0EEENS1_30default_config_static_selectorELNS0_4arch9wavefront6targetE0EEEvT1_.uses_vcc, 0
	.set _ZN7rocprim17ROCPRIM_400000_NS6detail17trampoline_kernelINS0_14default_configENS1_20scan_config_selectorIN3c107complexIdEEEEZZNS1_9scan_implILNS1_25lookback_scan_determinismE0ELb0ELb0ES3_PKS7_PS7_S7_ZZZN2at6native31launch_logcumsumexp_cuda_kernelERKNSE_10TensorBaseESI_lENKUlvE_clEvENKUlvE1_clEvEUlS7_S7_E_S7_EEDaPvRmT3_T4_T5_mT6_P12ihipStream_tbENKUlT_T0_E_clISt17integral_constantIbLb1EESY_IbLb0EEEEDaSU_SV_EUlSU_E0_NS1_11comp_targetILNS1_3genE4ELNS1_11target_archE910ELNS1_3gpuE8ELNS1_3repE0EEENS1_30default_config_static_selectorELNS0_4arch9wavefront6targetE0EEEvT1_.uses_flat_scratch, 0
	.set _ZN7rocprim17ROCPRIM_400000_NS6detail17trampoline_kernelINS0_14default_configENS1_20scan_config_selectorIN3c107complexIdEEEEZZNS1_9scan_implILNS1_25lookback_scan_determinismE0ELb0ELb0ES3_PKS7_PS7_S7_ZZZN2at6native31launch_logcumsumexp_cuda_kernelERKNSE_10TensorBaseESI_lENKUlvE_clEvENKUlvE1_clEvEUlS7_S7_E_S7_EEDaPvRmT3_T4_T5_mT6_P12ihipStream_tbENKUlT_T0_E_clISt17integral_constantIbLb1EESY_IbLb0EEEEDaSU_SV_EUlSU_E0_NS1_11comp_targetILNS1_3genE4ELNS1_11target_archE910ELNS1_3gpuE8ELNS1_3repE0EEENS1_30default_config_static_selectorELNS0_4arch9wavefront6targetE0EEEvT1_.has_dyn_sized_stack, 0
	.set _ZN7rocprim17ROCPRIM_400000_NS6detail17trampoline_kernelINS0_14default_configENS1_20scan_config_selectorIN3c107complexIdEEEEZZNS1_9scan_implILNS1_25lookback_scan_determinismE0ELb0ELb0ES3_PKS7_PS7_S7_ZZZN2at6native31launch_logcumsumexp_cuda_kernelERKNSE_10TensorBaseESI_lENKUlvE_clEvENKUlvE1_clEvEUlS7_S7_E_S7_EEDaPvRmT3_T4_T5_mT6_P12ihipStream_tbENKUlT_T0_E_clISt17integral_constantIbLb1EESY_IbLb0EEEEDaSU_SV_EUlSU_E0_NS1_11comp_targetILNS1_3genE4ELNS1_11target_archE910ELNS1_3gpuE8ELNS1_3repE0EEENS1_30default_config_static_selectorELNS0_4arch9wavefront6targetE0EEEvT1_.has_recursion, 0
	.set _ZN7rocprim17ROCPRIM_400000_NS6detail17trampoline_kernelINS0_14default_configENS1_20scan_config_selectorIN3c107complexIdEEEEZZNS1_9scan_implILNS1_25lookback_scan_determinismE0ELb0ELb0ES3_PKS7_PS7_S7_ZZZN2at6native31launch_logcumsumexp_cuda_kernelERKNSE_10TensorBaseESI_lENKUlvE_clEvENKUlvE1_clEvEUlS7_S7_E_S7_EEDaPvRmT3_T4_T5_mT6_P12ihipStream_tbENKUlT_T0_E_clISt17integral_constantIbLb1EESY_IbLb0EEEEDaSU_SV_EUlSU_E0_NS1_11comp_targetILNS1_3genE4ELNS1_11target_archE910ELNS1_3gpuE8ELNS1_3repE0EEENS1_30default_config_static_selectorELNS0_4arch9wavefront6targetE0EEEvT1_.has_indirect_call, 0
	.section	.AMDGPU.csdata,"",@progbits
; Kernel info:
; codeLenInByte = 0
; TotalNumSgprs: 0
; NumVgprs: 0
; ScratchSize: 0
; MemoryBound: 0
; FloatMode: 240
; IeeeMode: 1
; LDSByteSize: 0 bytes/workgroup (compile time only)
; SGPRBlocks: 0
; VGPRBlocks: 0
; NumSGPRsForWavesPerEU: 1
; NumVGPRsForWavesPerEU: 1
; Occupancy: 16
; WaveLimiterHint : 0
; COMPUTE_PGM_RSRC2:SCRATCH_EN: 0
; COMPUTE_PGM_RSRC2:USER_SGPR: 6
; COMPUTE_PGM_RSRC2:TRAP_HANDLER: 0
; COMPUTE_PGM_RSRC2:TGID_X_EN: 1
; COMPUTE_PGM_RSRC2:TGID_Y_EN: 0
; COMPUTE_PGM_RSRC2:TGID_Z_EN: 0
; COMPUTE_PGM_RSRC2:TIDIG_COMP_CNT: 0
	.section	.text._ZN7rocprim17ROCPRIM_400000_NS6detail17trampoline_kernelINS0_14default_configENS1_20scan_config_selectorIN3c107complexIdEEEEZZNS1_9scan_implILNS1_25lookback_scan_determinismE0ELb0ELb0ES3_PKS7_PS7_S7_ZZZN2at6native31launch_logcumsumexp_cuda_kernelERKNSE_10TensorBaseESI_lENKUlvE_clEvENKUlvE1_clEvEUlS7_S7_E_S7_EEDaPvRmT3_T4_T5_mT6_P12ihipStream_tbENKUlT_T0_E_clISt17integral_constantIbLb1EESY_IbLb0EEEEDaSU_SV_EUlSU_E0_NS1_11comp_targetILNS1_3genE3ELNS1_11target_archE908ELNS1_3gpuE7ELNS1_3repE0EEENS1_30default_config_static_selectorELNS0_4arch9wavefront6targetE0EEEvT1_,"axG",@progbits,_ZN7rocprim17ROCPRIM_400000_NS6detail17trampoline_kernelINS0_14default_configENS1_20scan_config_selectorIN3c107complexIdEEEEZZNS1_9scan_implILNS1_25lookback_scan_determinismE0ELb0ELb0ES3_PKS7_PS7_S7_ZZZN2at6native31launch_logcumsumexp_cuda_kernelERKNSE_10TensorBaseESI_lENKUlvE_clEvENKUlvE1_clEvEUlS7_S7_E_S7_EEDaPvRmT3_T4_T5_mT6_P12ihipStream_tbENKUlT_T0_E_clISt17integral_constantIbLb1EESY_IbLb0EEEEDaSU_SV_EUlSU_E0_NS1_11comp_targetILNS1_3genE3ELNS1_11target_archE908ELNS1_3gpuE7ELNS1_3repE0EEENS1_30default_config_static_selectorELNS0_4arch9wavefront6targetE0EEEvT1_,comdat
	.globl	_ZN7rocprim17ROCPRIM_400000_NS6detail17trampoline_kernelINS0_14default_configENS1_20scan_config_selectorIN3c107complexIdEEEEZZNS1_9scan_implILNS1_25lookback_scan_determinismE0ELb0ELb0ES3_PKS7_PS7_S7_ZZZN2at6native31launch_logcumsumexp_cuda_kernelERKNSE_10TensorBaseESI_lENKUlvE_clEvENKUlvE1_clEvEUlS7_S7_E_S7_EEDaPvRmT3_T4_T5_mT6_P12ihipStream_tbENKUlT_T0_E_clISt17integral_constantIbLb1EESY_IbLb0EEEEDaSU_SV_EUlSU_E0_NS1_11comp_targetILNS1_3genE3ELNS1_11target_archE908ELNS1_3gpuE7ELNS1_3repE0EEENS1_30default_config_static_selectorELNS0_4arch9wavefront6targetE0EEEvT1_ ; -- Begin function _ZN7rocprim17ROCPRIM_400000_NS6detail17trampoline_kernelINS0_14default_configENS1_20scan_config_selectorIN3c107complexIdEEEEZZNS1_9scan_implILNS1_25lookback_scan_determinismE0ELb0ELb0ES3_PKS7_PS7_S7_ZZZN2at6native31launch_logcumsumexp_cuda_kernelERKNSE_10TensorBaseESI_lENKUlvE_clEvENKUlvE1_clEvEUlS7_S7_E_S7_EEDaPvRmT3_T4_T5_mT6_P12ihipStream_tbENKUlT_T0_E_clISt17integral_constantIbLb1EESY_IbLb0EEEEDaSU_SV_EUlSU_E0_NS1_11comp_targetILNS1_3genE3ELNS1_11target_archE908ELNS1_3gpuE7ELNS1_3repE0EEENS1_30default_config_static_selectorELNS0_4arch9wavefront6targetE0EEEvT1_
	.p2align	8
	.type	_ZN7rocprim17ROCPRIM_400000_NS6detail17trampoline_kernelINS0_14default_configENS1_20scan_config_selectorIN3c107complexIdEEEEZZNS1_9scan_implILNS1_25lookback_scan_determinismE0ELb0ELb0ES3_PKS7_PS7_S7_ZZZN2at6native31launch_logcumsumexp_cuda_kernelERKNSE_10TensorBaseESI_lENKUlvE_clEvENKUlvE1_clEvEUlS7_S7_E_S7_EEDaPvRmT3_T4_T5_mT6_P12ihipStream_tbENKUlT_T0_E_clISt17integral_constantIbLb1EESY_IbLb0EEEEDaSU_SV_EUlSU_E0_NS1_11comp_targetILNS1_3genE3ELNS1_11target_archE908ELNS1_3gpuE7ELNS1_3repE0EEENS1_30default_config_static_selectorELNS0_4arch9wavefront6targetE0EEEvT1_,@function
_ZN7rocprim17ROCPRIM_400000_NS6detail17trampoline_kernelINS0_14default_configENS1_20scan_config_selectorIN3c107complexIdEEEEZZNS1_9scan_implILNS1_25lookback_scan_determinismE0ELb0ELb0ES3_PKS7_PS7_S7_ZZZN2at6native31launch_logcumsumexp_cuda_kernelERKNSE_10TensorBaseESI_lENKUlvE_clEvENKUlvE1_clEvEUlS7_S7_E_S7_EEDaPvRmT3_T4_T5_mT6_P12ihipStream_tbENKUlT_T0_E_clISt17integral_constantIbLb1EESY_IbLb0EEEEDaSU_SV_EUlSU_E0_NS1_11comp_targetILNS1_3genE3ELNS1_11target_archE908ELNS1_3gpuE7ELNS1_3repE0EEENS1_30default_config_static_selectorELNS0_4arch9wavefront6targetE0EEEvT1_: ; @_ZN7rocprim17ROCPRIM_400000_NS6detail17trampoline_kernelINS0_14default_configENS1_20scan_config_selectorIN3c107complexIdEEEEZZNS1_9scan_implILNS1_25lookback_scan_determinismE0ELb0ELb0ES3_PKS7_PS7_S7_ZZZN2at6native31launch_logcumsumexp_cuda_kernelERKNSE_10TensorBaseESI_lENKUlvE_clEvENKUlvE1_clEvEUlS7_S7_E_S7_EEDaPvRmT3_T4_T5_mT6_P12ihipStream_tbENKUlT_T0_E_clISt17integral_constantIbLb1EESY_IbLb0EEEEDaSU_SV_EUlSU_E0_NS1_11comp_targetILNS1_3genE3ELNS1_11target_archE908ELNS1_3gpuE7ELNS1_3repE0EEENS1_30default_config_static_selectorELNS0_4arch9wavefront6targetE0EEEvT1_
; %bb.0:
	.section	.rodata,"a",@progbits
	.p2align	6, 0x0
	.amdhsa_kernel _ZN7rocprim17ROCPRIM_400000_NS6detail17trampoline_kernelINS0_14default_configENS1_20scan_config_selectorIN3c107complexIdEEEEZZNS1_9scan_implILNS1_25lookback_scan_determinismE0ELb0ELb0ES3_PKS7_PS7_S7_ZZZN2at6native31launch_logcumsumexp_cuda_kernelERKNSE_10TensorBaseESI_lENKUlvE_clEvENKUlvE1_clEvEUlS7_S7_E_S7_EEDaPvRmT3_T4_T5_mT6_P12ihipStream_tbENKUlT_T0_E_clISt17integral_constantIbLb1EESY_IbLb0EEEEDaSU_SV_EUlSU_E0_NS1_11comp_targetILNS1_3genE3ELNS1_11target_archE908ELNS1_3gpuE7ELNS1_3repE0EEENS1_30default_config_static_selectorELNS0_4arch9wavefront6targetE0EEEvT1_
		.amdhsa_group_segment_fixed_size 0
		.amdhsa_private_segment_fixed_size 0
		.amdhsa_kernarg_size 48
		.amdhsa_user_sgpr_count 6
		.amdhsa_user_sgpr_private_segment_buffer 1
		.amdhsa_user_sgpr_dispatch_ptr 0
		.amdhsa_user_sgpr_queue_ptr 0
		.amdhsa_user_sgpr_kernarg_segment_ptr 1
		.amdhsa_user_sgpr_dispatch_id 0
		.amdhsa_user_sgpr_flat_scratch_init 0
		.amdhsa_user_sgpr_private_segment_size 0
		.amdhsa_wavefront_size32 1
		.amdhsa_uses_dynamic_stack 0
		.amdhsa_system_sgpr_private_segment_wavefront_offset 0
		.amdhsa_system_sgpr_workgroup_id_x 1
		.amdhsa_system_sgpr_workgroup_id_y 0
		.amdhsa_system_sgpr_workgroup_id_z 0
		.amdhsa_system_sgpr_workgroup_info 0
		.amdhsa_system_vgpr_workitem_id 0
		.amdhsa_next_free_vgpr 1
		.amdhsa_next_free_sgpr 1
		.amdhsa_reserve_vcc 0
		.amdhsa_reserve_flat_scratch 0
		.amdhsa_float_round_mode_32 0
		.amdhsa_float_round_mode_16_64 0
		.amdhsa_float_denorm_mode_32 3
		.amdhsa_float_denorm_mode_16_64 3
		.amdhsa_dx10_clamp 1
		.amdhsa_ieee_mode 1
		.amdhsa_fp16_overflow 0
		.amdhsa_workgroup_processor_mode 1
		.amdhsa_memory_ordered 1
		.amdhsa_forward_progress 1
		.amdhsa_shared_vgpr_count 0
		.amdhsa_exception_fp_ieee_invalid_op 0
		.amdhsa_exception_fp_denorm_src 0
		.amdhsa_exception_fp_ieee_div_zero 0
		.amdhsa_exception_fp_ieee_overflow 0
		.amdhsa_exception_fp_ieee_underflow 0
		.amdhsa_exception_fp_ieee_inexact 0
		.amdhsa_exception_int_div_zero 0
	.end_amdhsa_kernel
	.section	.text._ZN7rocprim17ROCPRIM_400000_NS6detail17trampoline_kernelINS0_14default_configENS1_20scan_config_selectorIN3c107complexIdEEEEZZNS1_9scan_implILNS1_25lookback_scan_determinismE0ELb0ELb0ES3_PKS7_PS7_S7_ZZZN2at6native31launch_logcumsumexp_cuda_kernelERKNSE_10TensorBaseESI_lENKUlvE_clEvENKUlvE1_clEvEUlS7_S7_E_S7_EEDaPvRmT3_T4_T5_mT6_P12ihipStream_tbENKUlT_T0_E_clISt17integral_constantIbLb1EESY_IbLb0EEEEDaSU_SV_EUlSU_E0_NS1_11comp_targetILNS1_3genE3ELNS1_11target_archE908ELNS1_3gpuE7ELNS1_3repE0EEENS1_30default_config_static_selectorELNS0_4arch9wavefront6targetE0EEEvT1_,"axG",@progbits,_ZN7rocprim17ROCPRIM_400000_NS6detail17trampoline_kernelINS0_14default_configENS1_20scan_config_selectorIN3c107complexIdEEEEZZNS1_9scan_implILNS1_25lookback_scan_determinismE0ELb0ELb0ES3_PKS7_PS7_S7_ZZZN2at6native31launch_logcumsumexp_cuda_kernelERKNSE_10TensorBaseESI_lENKUlvE_clEvENKUlvE1_clEvEUlS7_S7_E_S7_EEDaPvRmT3_T4_T5_mT6_P12ihipStream_tbENKUlT_T0_E_clISt17integral_constantIbLb1EESY_IbLb0EEEEDaSU_SV_EUlSU_E0_NS1_11comp_targetILNS1_3genE3ELNS1_11target_archE908ELNS1_3gpuE7ELNS1_3repE0EEENS1_30default_config_static_selectorELNS0_4arch9wavefront6targetE0EEEvT1_,comdat
.Lfunc_end234:
	.size	_ZN7rocprim17ROCPRIM_400000_NS6detail17trampoline_kernelINS0_14default_configENS1_20scan_config_selectorIN3c107complexIdEEEEZZNS1_9scan_implILNS1_25lookback_scan_determinismE0ELb0ELb0ES3_PKS7_PS7_S7_ZZZN2at6native31launch_logcumsumexp_cuda_kernelERKNSE_10TensorBaseESI_lENKUlvE_clEvENKUlvE1_clEvEUlS7_S7_E_S7_EEDaPvRmT3_T4_T5_mT6_P12ihipStream_tbENKUlT_T0_E_clISt17integral_constantIbLb1EESY_IbLb0EEEEDaSU_SV_EUlSU_E0_NS1_11comp_targetILNS1_3genE3ELNS1_11target_archE908ELNS1_3gpuE7ELNS1_3repE0EEENS1_30default_config_static_selectorELNS0_4arch9wavefront6targetE0EEEvT1_, .Lfunc_end234-_ZN7rocprim17ROCPRIM_400000_NS6detail17trampoline_kernelINS0_14default_configENS1_20scan_config_selectorIN3c107complexIdEEEEZZNS1_9scan_implILNS1_25lookback_scan_determinismE0ELb0ELb0ES3_PKS7_PS7_S7_ZZZN2at6native31launch_logcumsumexp_cuda_kernelERKNSE_10TensorBaseESI_lENKUlvE_clEvENKUlvE1_clEvEUlS7_S7_E_S7_EEDaPvRmT3_T4_T5_mT6_P12ihipStream_tbENKUlT_T0_E_clISt17integral_constantIbLb1EESY_IbLb0EEEEDaSU_SV_EUlSU_E0_NS1_11comp_targetILNS1_3genE3ELNS1_11target_archE908ELNS1_3gpuE7ELNS1_3repE0EEENS1_30default_config_static_selectorELNS0_4arch9wavefront6targetE0EEEvT1_
                                        ; -- End function
	.set _ZN7rocprim17ROCPRIM_400000_NS6detail17trampoline_kernelINS0_14default_configENS1_20scan_config_selectorIN3c107complexIdEEEEZZNS1_9scan_implILNS1_25lookback_scan_determinismE0ELb0ELb0ES3_PKS7_PS7_S7_ZZZN2at6native31launch_logcumsumexp_cuda_kernelERKNSE_10TensorBaseESI_lENKUlvE_clEvENKUlvE1_clEvEUlS7_S7_E_S7_EEDaPvRmT3_T4_T5_mT6_P12ihipStream_tbENKUlT_T0_E_clISt17integral_constantIbLb1EESY_IbLb0EEEEDaSU_SV_EUlSU_E0_NS1_11comp_targetILNS1_3genE3ELNS1_11target_archE908ELNS1_3gpuE7ELNS1_3repE0EEENS1_30default_config_static_selectorELNS0_4arch9wavefront6targetE0EEEvT1_.num_vgpr, 0
	.set _ZN7rocprim17ROCPRIM_400000_NS6detail17trampoline_kernelINS0_14default_configENS1_20scan_config_selectorIN3c107complexIdEEEEZZNS1_9scan_implILNS1_25lookback_scan_determinismE0ELb0ELb0ES3_PKS7_PS7_S7_ZZZN2at6native31launch_logcumsumexp_cuda_kernelERKNSE_10TensorBaseESI_lENKUlvE_clEvENKUlvE1_clEvEUlS7_S7_E_S7_EEDaPvRmT3_T4_T5_mT6_P12ihipStream_tbENKUlT_T0_E_clISt17integral_constantIbLb1EESY_IbLb0EEEEDaSU_SV_EUlSU_E0_NS1_11comp_targetILNS1_3genE3ELNS1_11target_archE908ELNS1_3gpuE7ELNS1_3repE0EEENS1_30default_config_static_selectorELNS0_4arch9wavefront6targetE0EEEvT1_.num_agpr, 0
	.set _ZN7rocprim17ROCPRIM_400000_NS6detail17trampoline_kernelINS0_14default_configENS1_20scan_config_selectorIN3c107complexIdEEEEZZNS1_9scan_implILNS1_25lookback_scan_determinismE0ELb0ELb0ES3_PKS7_PS7_S7_ZZZN2at6native31launch_logcumsumexp_cuda_kernelERKNSE_10TensorBaseESI_lENKUlvE_clEvENKUlvE1_clEvEUlS7_S7_E_S7_EEDaPvRmT3_T4_T5_mT6_P12ihipStream_tbENKUlT_T0_E_clISt17integral_constantIbLb1EESY_IbLb0EEEEDaSU_SV_EUlSU_E0_NS1_11comp_targetILNS1_3genE3ELNS1_11target_archE908ELNS1_3gpuE7ELNS1_3repE0EEENS1_30default_config_static_selectorELNS0_4arch9wavefront6targetE0EEEvT1_.numbered_sgpr, 0
	.set _ZN7rocprim17ROCPRIM_400000_NS6detail17trampoline_kernelINS0_14default_configENS1_20scan_config_selectorIN3c107complexIdEEEEZZNS1_9scan_implILNS1_25lookback_scan_determinismE0ELb0ELb0ES3_PKS7_PS7_S7_ZZZN2at6native31launch_logcumsumexp_cuda_kernelERKNSE_10TensorBaseESI_lENKUlvE_clEvENKUlvE1_clEvEUlS7_S7_E_S7_EEDaPvRmT3_T4_T5_mT6_P12ihipStream_tbENKUlT_T0_E_clISt17integral_constantIbLb1EESY_IbLb0EEEEDaSU_SV_EUlSU_E0_NS1_11comp_targetILNS1_3genE3ELNS1_11target_archE908ELNS1_3gpuE7ELNS1_3repE0EEENS1_30default_config_static_selectorELNS0_4arch9wavefront6targetE0EEEvT1_.num_named_barrier, 0
	.set _ZN7rocprim17ROCPRIM_400000_NS6detail17trampoline_kernelINS0_14default_configENS1_20scan_config_selectorIN3c107complexIdEEEEZZNS1_9scan_implILNS1_25lookback_scan_determinismE0ELb0ELb0ES3_PKS7_PS7_S7_ZZZN2at6native31launch_logcumsumexp_cuda_kernelERKNSE_10TensorBaseESI_lENKUlvE_clEvENKUlvE1_clEvEUlS7_S7_E_S7_EEDaPvRmT3_T4_T5_mT6_P12ihipStream_tbENKUlT_T0_E_clISt17integral_constantIbLb1EESY_IbLb0EEEEDaSU_SV_EUlSU_E0_NS1_11comp_targetILNS1_3genE3ELNS1_11target_archE908ELNS1_3gpuE7ELNS1_3repE0EEENS1_30default_config_static_selectorELNS0_4arch9wavefront6targetE0EEEvT1_.private_seg_size, 0
	.set _ZN7rocprim17ROCPRIM_400000_NS6detail17trampoline_kernelINS0_14default_configENS1_20scan_config_selectorIN3c107complexIdEEEEZZNS1_9scan_implILNS1_25lookback_scan_determinismE0ELb0ELb0ES3_PKS7_PS7_S7_ZZZN2at6native31launch_logcumsumexp_cuda_kernelERKNSE_10TensorBaseESI_lENKUlvE_clEvENKUlvE1_clEvEUlS7_S7_E_S7_EEDaPvRmT3_T4_T5_mT6_P12ihipStream_tbENKUlT_T0_E_clISt17integral_constantIbLb1EESY_IbLb0EEEEDaSU_SV_EUlSU_E0_NS1_11comp_targetILNS1_3genE3ELNS1_11target_archE908ELNS1_3gpuE7ELNS1_3repE0EEENS1_30default_config_static_selectorELNS0_4arch9wavefront6targetE0EEEvT1_.uses_vcc, 0
	.set _ZN7rocprim17ROCPRIM_400000_NS6detail17trampoline_kernelINS0_14default_configENS1_20scan_config_selectorIN3c107complexIdEEEEZZNS1_9scan_implILNS1_25lookback_scan_determinismE0ELb0ELb0ES3_PKS7_PS7_S7_ZZZN2at6native31launch_logcumsumexp_cuda_kernelERKNSE_10TensorBaseESI_lENKUlvE_clEvENKUlvE1_clEvEUlS7_S7_E_S7_EEDaPvRmT3_T4_T5_mT6_P12ihipStream_tbENKUlT_T0_E_clISt17integral_constantIbLb1EESY_IbLb0EEEEDaSU_SV_EUlSU_E0_NS1_11comp_targetILNS1_3genE3ELNS1_11target_archE908ELNS1_3gpuE7ELNS1_3repE0EEENS1_30default_config_static_selectorELNS0_4arch9wavefront6targetE0EEEvT1_.uses_flat_scratch, 0
	.set _ZN7rocprim17ROCPRIM_400000_NS6detail17trampoline_kernelINS0_14default_configENS1_20scan_config_selectorIN3c107complexIdEEEEZZNS1_9scan_implILNS1_25lookback_scan_determinismE0ELb0ELb0ES3_PKS7_PS7_S7_ZZZN2at6native31launch_logcumsumexp_cuda_kernelERKNSE_10TensorBaseESI_lENKUlvE_clEvENKUlvE1_clEvEUlS7_S7_E_S7_EEDaPvRmT3_T4_T5_mT6_P12ihipStream_tbENKUlT_T0_E_clISt17integral_constantIbLb1EESY_IbLb0EEEEDaSU_SV_EUlSU_E0_NS1_11comp_targetILNS1_3genE3ELNS1_11target_archE908ELNS1_3gpuE7ELNS1_3repE0EEENS1_30default_config_static_selectorELNS0_4arch9wavefront6targetE0EEEvT1_.has_dyn_sized_stack, 0
	.set _ZN7rocprim17ROCPRIM_400000_NS6detail17trampoline_kernelINS0_14default_configENS1_20scan_config_selectorIN3c107complexIdEEEEZZNS1_9scan_implILNS1_25lookback_scan_determinismE0ELb0ELb0ES3_PKS7_PS7_S7_ZZZN2at6native31launch_logcumsumexp_cuda_kernelERKNSE_10TensorBaseESI_lENKUlvE_clEvENKUlvE1_clEvEUlS7_S7_E_S7_EEDaPvRmT3_T4_T5_mT6_P12ihipStream_tbENKUlT_T0_E_clISt17integral_constantIbLb1EESY_IbLb0EEEEDaSU_SV_EUlSU_E0_NS1_11comp_targetILNS1_3genE3ELNS1_11target_archE908ELNS1_3gpuE7ELNS1_3repE0EEENS1_30default_config_static_selectorELNS0_4arch9wavefront6targetE0EEEvT1_.has_recursion, 0
	.set _ZN7rocprim17ROCPRIM_400000_NS6detail17trampoline_kernelINS0_14default_configENS1_20scan_config_selectorIN3c107complexIdEEEEZZNS1_9scan_implILNS1_25lookback_scan_determinismE0ELb0ELb0ES3_PKS7_PS7_S7_ZZZN2at6native31launch_logcumsumexp_cuda_kernelERKNSE_10TensorBaseESI_lENKUlvE_clEvENKUlvE1_clEvEUlS7_S7_E_S7_EEDaPvRmT3_T4_T5_mT6_P12ihipStream_tbENKUlT_T0_E_clISt17integral_constantIbLb1EESY_IbLb0EEEEDaSU_SV_EUlSU_E0_NS1_11comp_targetILNS1_3genE3ELNS1_11target_archE908ELNS1_3gpuE7ELNS1_3repE0EEENS1_30default_config_static_selectorELNS0_4arch9wavefront6targetE0EEEvT1_.has_indirect_call, 0
	.section	.AMDGPU.csdata,"",@progbits
; Kernel info:
; codeLenInByte = 0
; TotalNumSgprs: 0
; NumVgprs: 0
; ScratchSize: 0
; MemoryBound: 0
; FloatMode: 240
; IeeeMode: 1
; LDSByteSize: 0 bytes/workgroup (compile time only)
; SGPRBlocks: 0
; VGPRBlocks: 0
; NumSGPRsForWavesPerEU: 1
; NumVGPRsForWavesPerEU: 1
; Occupancy: 16
; WaveLimiterHint : 0
; COMPUTE_PGM_RSRC2:SCRATCH_EN: 0
; COMPUTE_PGM_RSRC2:USER_SGPR: 6
; COMPUTE_PGM_RSRC2:TRAP_HANDLER: 0
; COMPUTE_PGM_RSRC2:TGID_X_EN: 1
; COMPUTE_PGM_RSRC2:TGID_Y_EN: 0
; COMPUTE_PGM_RSRC2:TGID_Z_EN: 0
; COMPUTE_PGM_RSRC2:TIDIG_COMP_CNT: 0
	.section	.text._ZN7rocprim17ROCPRIM_400000_NS6detail17trampoline_kernelINS0_14default_configENS1_20scan_config_selectorIN3c107complexIdEEEEZZNS1_9scan_implILNS1_25lookback_scan_determinismE0ELb0ELb0ES3_PKS7_PS7_S7_ZZZN2at6native31launch_logcumsumexp_cuda_kernelERKNSE_10TensorBaseESI_lENKUlvE_clEvENKUlvE1_clEvEUlS7_S7_E_S7_EEDaPvRmT3_T4_T5_mT6_P12ihipStream_tbENKUlT_T0_E_clISt17integral_constantIbLb1EESY_IbLb0EEEEDaSU_SV_EUlSU_E0_NS1_11comp_targetILNS1_3genE2ELNS1_11target_archE906ELNS1_3gpuE6ELNS1_3repE0EEENS1_30default_config_static_selectorELNS0_4arch9wavefront6targetE0EEEvT1_,"axG",@progbits,_ZN7rocprim17ROCPRIM_400000_NS6detail17trampoline_kernelINS0_14default_configENS1_20scan_config_selectorIN3c107complexIdEEEEZZNS1_9scan_implILNS1_25lookback_scan_determinismE0ELb0ELb0ES3_PKS7_PS7_S7_ZZZN2at6native31launch_logcumsumexp_cuda_kernelERKNSE_10TensorBaseESI_lENKUlvE_clEvENKUlvE1_clEvEUlS7_S7_E_S7_EEDaPvRmT3_T4_T5_mT6_P12ihipStream_tbENKUlT_T0_E_clISt17integral_constantIbLb1EESY_IbLb0EEEEDaSU_SV_EUlSU_E0_NS1_11comp_targetILNS1_3genE2ELNS1_11target_archE906ELNS1_3gpuE6ELNS1_3repE0EEENS1_30default_config_static_selectorELNS0_4arch9wavefront6targetE0EEEvT1_,comdat
	.globl	_ZN7rocprim17ROCPRIM_400000_NS6detail17trampoline_kernelINS0_14default_configENS1_20scan_config_selectorIN3c107complexIdEEEEZZNS1_9scan_implILNS1_25lookback_scan_determinismE0ELb0ELb0ES3_PKS7_PS7_S7_ZZZN2at6native31launch_logcumsumexp_cuda_kernelERKNSE_10TensorBaseESI_lENKUlvE_clEvENKUlvE1_clEvEUlS7_S7_E_S7_EEDaPvRmT3_T4_T5_mT6_P12ihipStream_tbENKUlT_T0_E_clISt17integral_constantIbLb1EESY_IbLb0EEEEDaSU_SV_EUlSU_E0_NS1_11comp_targetILNS1_3genE2ELNS1_11target_archE906ELNS1_3gpuE6ELNS1_3repE0EEENS1_30default_config_static_selectorELNS0_4arch9wavefront6targetE0EEEvT1_ ; -- Begin function _ZN7rocprim17ROCPRIM_400000_NS6detail17trampoline_kernelINS0_14default_configENS1_20scan_config_selectorIN3c107complexIdEEEEZZNS1_9scan_implILNS1_25lookback_scan_determinismE0ELb0ELb0ES3_PKS7_PS7_S7_ZZZN2at6native31launch_logcumsumexp_cuda_kernelERKNSE_10TensorBaseESI_lENKUlvE_clEvENKUlvE1_clEvEUlS7_S7_E_S7_EEDaPvRmT3_T4_T5_mT6_P12ihipStream_tbENKUlT_T0_E_clISt17integral_constantIbLb1EESY_IbLb0EEEEDaSU_SV_EUlSU_E0_NS1_11comp_targetILNS1_3genE2ELNS1_11target_archE906ELNS1_3gpuE6ELNS1_3repE0EEENS1_30default_config_static_selectorELNS0_4arch9wavefront6targetE0EEEvT1_
	.p2align	8
	.type	_ZN7rocprim17ROCPRIM_400000_NS6detail17trampoline_kernelINS0_14default_configENS1_20scan_config_selectorIN3c107complexIdEEEEZZNS1_9scan_implILNS1_25lookback_scan_determinismE0ELb0ELb0ES3_PKS7_PS7_S7_ZZZN2at6native31launch_logcumsumexp_cuda_kernelERKNSE_10TensorBaseESI_lENKUlvE_clEvENKUlvE1_clEvEUlS7_S7_E_S7_EEDaPvRmT3_T4_T5_mT6_P12ihipStream_tbENKUlT_T0_E_clISt17integral_constantIbLb1EESY_IbLb0EEEEDaSU_SV_EUlSU_E0_NS1_11comp_targetILNS1_3genE2ELNS1_11target_archE906ELNS1_3gpuE6ELNS1_3repE0EEENS1_30default_config_static_selectorELNS0_4arch9wavefront6targetE0EEEvT1_,@function
_ZN7rocprim17ROCPRIM_400000_NS6detail17trampoline_kernelINS0_14default_configENS1_20scan_config_selectorIN3c107complexIdEEEEZZNS1_9scan_implILNS1_25lookback_scan_determinismE0ELb0ELb0ES3_PKS7_PS7_S7_ZZZN2at6native31launch_logcumsumexp_cuda_kernelERKNSE_10TensorBaseESI_lENKUlvE_clEvENKUlvE1_clEvEUlS7_S7_E_S7_EEDaPvRmT3_T4_T5_mT6_P12ihipStream_tbENKUlT_T0_E_clISt17integral_constantIbLb1EESY_IbLb0EEEEDaSU_SV_EUlSU_E0_NS1_11comp_targetILNS1_3genE2ELNS1_11target_archE906ELNS1_3gpuE6ELNS1_3repE0EEENS1_30default_config_static_selectorELNS0_4arch9wavefront6targetE0EEEvT1_: ; @_ZN7rocprim17ROCPRIM_400000_NS6detail17trampoline_kernelINS0_14default_configENS1_20scan_config_selectorIN3c107complexIdEEEEZZNS1_9scan_implILNS1_25lookback_scan_determinismE0ELb0ELb0ES3_PKS7_PS7_S7_ZZZN2at6native31launch_logcumsumexp_cuda_kernelERKNSE_10TensorBaseESI_lENKUlvE_clEvENKUlvE1_clEvEUlS7_S7_E_S7_EEDaPvRmT3_T4_T5_mT6_P12ihipStream_tbENKUlT_T0_E_clISt17integral_constantIbLb1EESY_IbLb0EEEEDaSU_SV_EUlSU_E0_NS1_11comp_targetILNS1_3genE2ELNS1_11target_archE906ELNS1_3gpuE6ELNS1_3repE0EEENS1_30default_config_static_selectorELNS0_4arch9wavefront6targetE0EEEvT1_
; %bb.0:
	.section	.rodata,"a",@progbits
	.p2align	6, 0x0
	.amdhsa_kernel _ZN7rocprim17ROCPRIM_400000_NS6detail17trampoline_kernelINS0_14default_configENS1_20scan_config_selectorIN3c107complexIdEEEEZZNS1_9scan_implILNS1_25lookback_scan_determinismE0ELb0ELb0ES3_PKS7_PS7_S7_ZZZN2at6native31launch_logcumsumexp_cuda_kernelERKNSE_10TensorBaseESI_lENKUlvE_clEvENKUlvE1_clEvEUlS7_S7_E_S7_EEDaPvRmT3_T4_T5_mT6_P12ihipStream_tbENKUlT_T0_E_clISt17integral_constantIbLb1EESY_IbLb0EEEEDaSU_SV_EUlSU_E0_NS1_11comp_targetILNS1_3genE2ELNS1_11target_archE906ELNS1_3gpuE6ELNS1_3repE0EEENS1_30default_config_static_selectorELNS0_4arch9wavefront6targetE0EEEvT1_
		.amdhsa_group_segment_fixed_size 0
		.amdhsa_private_segment_fixed_size 0
		.amdhsa_kernarg_size 48
		.amdhsa_user_sgpr_count 6
		.amdhsa_user_sgpr_private_segment_buffer 1
		.amdhsa_user_sgpr_dispatch_ptr 0
		.amdhsa_user_sgpr_queue_ptr 0
		.amdhsa_user_sgpr_kernarg_segment_ptr 1
		.amdhsa_user_sgpr_dispatch_id 0
		.amdhsa_user_sgpr_flat_scratch_init 0
		.amdhsa_user_sgpr_private_segment_size 0
		.amdhsa_wavefront_size32 1
		.amdhsa_uses_dynamic_stack 0
		.amdhsa_system_sgpr_private_segment_wavefront_offset 0
		.amdhsa_system_sgpr_workgroup_id_x 1
		.amdhsa_system_sgpr_workgroup_id_y 0
		.amdhsa_system_sgpr_workgroup_id_z 0
		.amdhsa_system_sgpr_workgroup_info 0
		.amdhsa_system_vgpr_workitem_id 0
		.amdhsa_next_free_vgpr 1
		.amdhsa_next_free_sgpr 1
		.amdhsa_reserve_vcc 0
		.amdhsa_reserve_flat_scratch 0
		.amdhsa_float_round_mode_32 0
		.amdhsa_float_round_mode_16_64 0
		.amdhsa_float_denorm_mode_32 3
		.amdhsa_float_denorm_mode_16_64 3
		.amdhsa_dx10_clamp 1
		.amdhsa_ieee_mode 1
		.amdhsa_fp16_overflow 0
		.amdhsa_workgroup_processor_mode 1
		.amdhsa_memory_ordered 1
		.amdhsa_forward_progress 1
		.amdhsa_shared_vgpr_count 0
		.amdhsa_exception_fp_ieee_invalid_op 0
		.amdhsa_exception_fp_denorm_src 0
		.amdhsa_exception_fp_ieee_div_zero 0
		.amdhsa_exception_fp_ieee_overflow 0
		.amdhsa_exception_fp_ieee_underflow 0
		.amdhsa_exception_fp_ieee_inexact 0
		.amdhsa_exception_int_div_zero 0
	.end_amdhsa_kernel
	.section	.text._ZN7rocprim17ROCPRIM_400000_NS6detail17trampoline_kernelINS0_14default_configENS1_20scan_config_selectorIN3c107complexIdEEEEZZNS1_9scan_implILNS1_25lookback_scan_determinismE0ELb0ELb0ES3_PKS7_PS7_S7_ZZZN2at6native31launch_logcumsumexp_cuda_kernelERKNSE_10TensorBaseESI_lENKUlvE_clEvENKUlvE1_clEvEUlS7_S7_E_S7_EEDaPvRmT3_T4_T5_mT6_P12ihipStream_tbENKUlT_T0_E_clISt17integral_constantIbLb1EESY_IbLb0EEEEDaSU_SV_EUlSU_E0_NS1_11comp_targetILNS1_3genE2ELNS1_11target_archE906ELNS1_3gpuE6ELNS1_3repE0EEENS1_30default_config_static_selectorELNS0_4arch9wavefront6targetE0EEEvT1_,"axG",@progbits,_ZN7rocprim17ROCPRIM_400000_NS6detail17trampoline_kernelINS0_14default_configENS1_20scan_config_selectorIN3c107complexIdEEEEZZNS1_9scan_implILNS1_25lookback_scan_determinismE0ELb0ELb0ES3_PKS7_PS7_S7_ZZZN2at6native31launch_logcumsumexp_cuda_kernelERKNSE_10TensorBaseESI_lENKUlvE_clEvENKUlvE1_clEvEUlS7_S7_E_S7_EEDaPvRmT3_T4_T5_mT6_P12ihipStream_tbENKUlT_T0_E_clISt17integral_constantIbLb1EESY_IbLb0EEEEDaSU_SV_EUlSU_E0_NS1_11comp_targetILNS1_3genE2ELNS1_11target_archE906ELNS1_3gpuE6ELNS1_3repE0EEENS1_30default_config_static_selectorELNS0_4arch9wavefront6targetE0EEEvT1_,comdat
.Lfunc_end235:
	.size	_ZN7rocprim17ROCPRIM_400000_NS6detail17trampoline_kernelINS0_14default_configENS1_20scan_config_selectorIN3c107complexIdEEEEZZNS1_9scan_implILNS1_25lookback_scan_determinismE0ELb0ELb0ES3_PKS7_PS7_S7_ZZZN2at6native31launch_logcumsumexp_cuda_kernelERKNSE_10TensorBaseESI_lENKUlvE_clEvENKUlvE1_clEvEUlS7_S7_E_S7_EEDaPvRmT3_T4_T5_mT6_P12ihipStream_tbENKUlT_T0_E_clISt17integral_constantIbLb1EESY_IbLb0EEEEDaSU_SV_EUlSU_E0_NS1_11comp_targetILNS1_3genE2ELNS1_11target_archE906ELNS1_3gpuE6ELNS1_3repE0EEENS1_30default_config_static_selectorELNS0_4arch9wavefront6targetE0EEEvT1_, .Lfunc_end235-_ZN7rocprim17ROCPRIM_400000_NS6detail17trampoline_kernelINS0_14default_configENS1_20scan_config_selectorIN3c107complexIdEEEEZZNS1_9scan_implILNS1_25lookback_scan_determinismE0ELb0ELb0ES3_PKS7_PS7_S7_ZZZN2at6native31launch_logcumsumexp_cuda_kernelERKNSE_10TensorBaseESI_lENKUlvE_clEvENKUlvE1_clEvEUlS7_S7_E_S7_EEDaPvRmT3_T4_T5_mT6_P12ihipStream_tbENKUlT_T0_E_clISt17integral_constantIbLb1EESY_IbLb0EEEEDaSU_SV_EUlSU_E0_NS1_11comp_targetILNS1_3genE2ELNS1_11target_archE906ELNS1_3gpuE6ELNS1_3repE0EEENS1_30default_config_static_selectorELNS0_4arch9wavefront6targetE0EEEvT1_
                                        ; -- End function
	.set _ZN7rocprim17ROCPRIM_400000_NS6detail17trampoline_kernelINS0_14default_configENS1_20scan_config_selectorIN3c107complexIdEEEEZZNS1_9scan_implILNS1_25lookback_scan_determinismE0ELb0ELb0ES3_PKS7_PS7_S7_ZZZN2at6native31launch_logcumsumexp_cuda_kernelERKNSE_10TensorBaseESI_lENKUlvE_clEvENKUlvE1_clEvEUlS7_S7_E_S7_EEDaPvRmT3_T4_T5_mT6_P12ihipStream_tbENKUlT_T0_E_clISt17integral_constantIbLb1EESY_IbLb0EEEEDaSU_SV_EUlSU_E0_NS1_11comp_targetILNS1_3genE2ELNS1_11target_archE906ELNS1_3gpuE6ELNS1_3repE0EEENS1_30default_config_static_selectorELNS0_4arch9wavefront6targetE0EEEvT1_.num_vgpr, 0
	.set _ZN7rocprim17ROCPRIM_400000_NS6detail17trampoline_kernelINS0_14default_configENS1_20scan_config_selectorIN3c107complexIdEEEEZZNS1_9scan_implILNS1_25lookback_scan_determinismE0ELb0ELb0ES3_PKS7_PS7_S7_ZZZN2at6native31launch_logcumsumexp_cuda_kernelERKNSE_10TensorBaseESI_lENKUlvE_clEvENKUlvE1_clEvEUlS7_S7_E_S7_EEDaPvRmT3_T4_T5_mT6_P12ihipStream_tbENKUlT_T0_E_clISt17integral_constantIbLb1EESY_IbLb0EEEEDaSU_SV_EUlSU_E0_NS1_11comp_targetILNS1_3genE2ELNS1_11target_archE906ELNS1_3gpuE6ELNS1_3repE0EEENS1_30default_config_static_selectorELNS0_4arch9wavefront6targetE0EEEvT1_.num_agpr, 0
	.set _ZN7rocprim17ROCPRIM_400000_NS6detail17trampoline_kernelINS0_14default_configENS1_20scan_config_selectorIN3c107complexIdEEEEZZNS1_9scan_implILNS1_25lookback_scan_determinismE0ELb0ELb0ES3_PKS7_PS7_S7_ZZZN2at6native31launch_logcumsumexp_cuda_kernelERKNSE_10TensorBaseESI_lENKUlvE_clEvENKUlvE1_clEvEUlS7_S7_E_S7_EEDaPvRmT3_T4_T5_mT6_P12ihipStream_tbENKUlT_T0_E_clISt17integral_constantIbLb1EESY_IbLb0EEEEDaSU_SV_EUlSU_E0_NS1_11comp_targetILNS1_3genE2ELNS1_11target_archE906ELNS1_3gpuE6ELNS1_3repE0EEENS1_30default_config_static_selectorELNS0_4arch9wavefront6targetE0EEEvT1_.numbered_sgpr, 0
	.set _ZN7rocprim17ROCPRIM_400000_NS6detail17trampoline_kernelINS0_14default_configENS1_20scan_config_selectorIN3c107complexIdEEEEZZNS1_9scan_implILNS1_25lookback_scan_determinismE0ELb0ELb0ES3_PKS7_PS7_S7_ZZZN2at6native31launch_logcumsumexp_cuda_kernelERKNSE_10TensorBaseESI_lENKUlvE_clEvENKUlvE1_clEvEUlS7_S7_E_S7_EEDaPvRmT3_T4_T5_mT6_P12ihipStream_tbENKUlT_T0_E_clISt17integral_constantIbLb1EESY_IbLb0EEEEDaSU_SV_EUlSU_E0_NS1_11comp_targetILNS1_3genE2ELNS1_11target_archE906ELNS1_3gpuE6ELNS1_3repE0EEENS1_30default_config_static_selectorELNS0_4arch9wavefront6targetE0EEEvT1_.num_named_barrier, 0
	.set _ZN7rocprim17ROCPRIM_400000_NS6detail17trampoline_kernelINS0_14default_configENS1_20scan_config_selectorIN3c107complexIdEEEEZZNS1_9scan_implILNS1_25lookback_scan_determinismE0ELb0ELb0ES3_PKS7_PS7_S7_ZZZN2at6native31launch_logcumsumexp_cuda_kernelERKNSE_10TensorBaseESI_lENKUlvE_clEvENKUlvE1_clEvEUlS7_S7_E_S7_EEDaPvRmT3_T4_T5_mT6_P12ihipStream_tbENKUlT_T0_E_clISt17integral_constantIbLb1EESY_IbLb0EEEEDaSU_SV_EUlSU_E0_NS1_11comp_targetILNS1_3genE2ELNS1_11target_archE906ELNS1_3gpuE6ELNS1_3repE0EEENS1_30default_config_static_selectorELNS0_4arch9wavefront6targetE0EEEvT1_.private_seg_size, 0
	.set _ZN7rocprim17ROCPRIM_400000_NS6detail17trampoline_kernelINS0_14default_configENS1_20scan_config_selectorIN3c107complexIdEEEEZZNS1_9scan_implILNS1_25lookback_scan_determinismE0ELb0ELb0ES3_PKS7_PS7_S7_ZZZN2at6native31launch_logcumsumexp_cuda_kernelERKNSE_10TensorBaseESI_lENKUlvE_clEvENKUlvE1_clEvEUlS7_S7_E_S7_EEDaPvRmT3_T4_T5_mT6_P12ihipStream_tbENKUlT_T0_E_clISt17integral_constantIbLb1EESY_IbLb0EEEEDaSU_SV_EUlSU_E0_NS1_11comp_targetILNS1_3genE2ELNS1_11target_archE906ELNS1_3gpuE6ELNS1_3repE0EEENS1_30default_config_static_selectorELNS0_4arch9wavefront6targetE0EEEvT1_.uses_vcc, 0
	.set _ZN7rocprim17ROCPRIM_400000_NS6detail17trampoline_kernelINS0_14default_configENS1_20scan_config_selectorIN3c107complexIdEEEEZZNS1_9scan_implILNS1_25lookback_scan_determinismE0ELb0ELb0ES3_PKS7_PS7_S7_ZZZN2at6native31launch_logcumsumexp_cuda_kernelERKNSE_10TensorBaseESI_lENKUlvE_clEvENKUlvE1_clEvEUlS7_S7_E_S7_EEDaPvRmT3_T4_T5_mT6_P12ihipStream_tbENKUlT_T0_E_clISt17integral_constantIbLb1EESY_IbLb0EEEEDaSU_SV_EUlSU_E0_NS1_11comp_targetILNS1_3genE2ELNS1_11target_archE906ELNS1_3gpuE6ELNS1_3repE0EEENS1_30default_config_static_selectorELNS0_4arch9wavefront6targetE0EEEvT1_.uses_flat_scratch, 0
	.set _ZN7rocprim17ROCPRIM_400000_NS6detail17trampoline_kernelINS0_14default_configENS1_20scan_config_selectorIN3c107complexIdEEEEZZNS1_9scan_implILNS1_25lookback_scan_determinismE0ELb0ELb0ES3_PKS7_PS7_S7_ZZZN2at6native31launch_logcumsumexp_cuda_kernelERKNSE_10TensorBaseESI_lENKUlvE_clEvENKUlvE1_clEvEUlS7_S7_E_S7_EEDaPvRmT3_T4_T5_mT6_P12ihipStream_tbENKUlT_T0_E_clISt17integral_constantIbLb1EESY_IbLb0EEEEDaSU_SV_EUlSU_E0_NS1_11comp_targetILNS1_3genE2ELNS1_11target_archE906ELNS1_3gpuE6ELNS1_3repE0EEENS1_30default_config_static_selectorELNS0_4arch9wavefront6targetE0EEEvT1_.has_dyn_sized_stack, 0
	.set _ZN7rocprim17ROCPRIM_400000_NS6detail17trampoline_kernelINS0_14default_configENS1_20scan_config_selectorIN3c107complexIdEEEEZZNS1_9scan_implILNS1_25lookback_scan_determinismE0ELb0ELb0ES3_PKS7_PS7_S7_ZZZN2at6native31launch_logcumsumexp_cuda_kernelERKNSE_10TensorBaseESI_lENKUlvE_clEvENKUlvE1_clEvEUlS7_S7_E_S7_EEDaPvRmT3_T4_T5_mT6_P12ihipStream_tbENKUlT_T0_E_clISt17integral_constantIbLb1EESY_IbLb0EEEEDaSU_SV_EUlSU_E0_NS1_11comp_targetILNS1_3genE2ELNS1_11target_archE906ELNS1_3gpuE6ELNS1_3repE0EEENS1_30default_config_static_selectorELNS0_4arch9wavefront6targetE0EEEvT1_.has_recursion, 0
	.set _ZN7rocprim17ROCPRIM_400000_NS6detail17trampoline_kernelINS0_14default_configENS1_20scan_config_selectorIN3c107complexIdEEEEZZNS1_9scan_implILNS1_25lookback_scan_determinismE0ELb0ELb0ES3_PKS7_PS7_S7_ZZZN2at6native31launch_logcumsumexp_cuda_kernelERKNSE_10TensorBaseESI_lENKUlvE_clEvENKUlvE1_clEvEUlS7_S7_E_S7_EEDaPvRmT3_T4_T5_mT6_P12ihipStream_tbENKUlT_T0_E_clISt17integral_constantIbLb1EESY_IbLb0EEEEDaSU_SV_EUlSU_E0_NS1_11comp_targetILNS1_3genE2ELNS1_11target_archE906ELNS1_3gpuE6ELNS1_3repE0EEENS1_30default_config_static_selectorELNS0_4arch9wavefront6targetE0EEEvT1_.has_indirect_call, 0
	.section	.AMDGPU.csdata,"",@progbits
; Kernel info:
; codeLenInByte = 0
; TotalNumSgprs: 0
; NumVgprs: 0
; ScratchSize: 0
; MemoryBound: 0
; FloatMode: 240
; IeeeMode: 1
; LDSByteSize: 0 bytes/workgroup (compile time only)
; SGPRBlocks: 0
; VGPRBlocks: 0
; NumSGPRsForWavesPerEU: 1
; NumVGPRsForWavesPerEU: 1
; Occupancy: 16
; WaveLimiterHint : 0
; COMPUTE_PGM_RSRC2:SCRATCH_EN: 0
; COMPUTE_PGM_RSRC2:USER_SGPR: 6
; COMPUTE_PGM_RSRC2:TRAP_HANDLER: 0
; COMPUTE_PGM_RSRC2:TGID_X_EN: 1
; COMPUTE_PGM_RSRC2:TGID_Y_EN: 0
; COMPUTE_PGM_RSRC2:TGID_Z_EN: 0
; COMPUTE_PGM_RSRC2:TIDIG_COMP_CNT: 0
	.section	.text._ZN7rocprim17ROCPRIM_400000_NS6detail17trampoline_kernelINS0_14default_configENS1_20scan_config_selectorIN3c107complexIdEEEEZZNS1_9scan_implILNS1_25lookback_scan_determinismE0ELb0ELb0ES3_PKS7_PS7_S7_ZZZN2at6native31launch_logcumsumexp_cuda_kernelERKNSE_10TensorBaseESI_lENKUlvE_clEvENKUlvE1_clEvEUlS7_S7_E_S7_EEDaPvRmT3_T4_T5_mT6_P12ihipStream_tbENKUlT_T0_E_clISt17integral_constantIbLb1EESY_IbLb0EEEEDaSU_SV_EUlSU_E0_NS1_11comp_targetILNS1_3genE10ELNS1_11target_archE1201ELNS1_3gpuE5ELNS1_3repE0EEENS1_30default_config_static_selectorELNS0_4arch9wavefront6targetE0EEEvT1_,"axG",@progbits,_ZN7rocprim17ROCPRIM_400000_NS6detail17trampoline_kernelINS0_14default_configENS1_20scan_config_selectorIN3c107complexIdEEEEZZNS1_9scan_implILNS1_25lookback_scan_determinismE0ELb0ELb0ES3_PKS7_PS7_S7_ZZZN2at6native31launch_logcumsumexp_cuda_kernelERKNSE_10TensorBaseESI_lENKUlvE_clEvENKUlvE1_clEvEUlS7_S7_E_S7_EEDaPvRmT3_T4_T5_mT6_P12ihipStream_tbENKUlT_T0_E_clISt17integral_constantIbLb1EESY_IbLb0EEEEDaSU_SV_EUlSU_E0_NS1_11comp_targetILNS1_3genE10ELNS1_11target_archE1201ELNS1_3gpuE5ELNS1_3repE0EEENS1_30default_config_static_selectorELNS0_4arch9wavefront6targetE0EEEvT1_,comdat
	.globl	_ZN7rocprim17ROCPRIM_400000_NS6detail17trampoline_kernelINS0_14default_configENS1_20scan_config_selectorIN3c107complexIdEEEEZZNS1_9scan_implILNS1_25lookback_scan_determinismE0ELb0ELb0ES3_PKS7_PS7_S7_ZZZN2at6native31launch_logcumsumexp_cuda_kernelERKNSE_10TensorBaseESI_lENKUlvE_clEvENKUlvE1_clEvEUlS7_S7_E_S7_EEDaPvRmT3_T4_T5_mT6_P12ihipStream_tbENKUlT_T0_E_clISt17integral_constantIbLb1EESY_IbLb0EEEEDaSU_SV_EUlSU_E0_NS1_11comp_targetILNS1_3genE10ELNS1_11target_archE1201ELNS1_3gpuE5ELNS1_3repE0EEENS1_30default_config_static_selectorELNS0_4arch9wavefront6targetE0EEEvT1_ ; -- Begin function _ZN7rocprim17ROCPRIM_400000_NS6detail17trampoline_kernelINS0_14default_configENS1_20scan_config_selectorIN3c107complexIdEEEEZZNS1_9scan_implILNS1_25lookback_scan_determinismE0ELb0ELb0ES3_PKS7_PS7_S7_ZZZN2at6native31launch_logcumsumexp_cuda_kernelERKNSE_10TensorBaseESI_lENKUlvE_clEvENKUlvE1_clEvEUlS7_S7_E_S7_EEDaPvRmT3_T4_T5_mT6_P12ihipStream_tbENKUlT_T0_E_clISt17integral_constantIbLb1EESY_IbLb0EEEEDaSU_SV_EUlSU_E0_NS1_11comp_targetILNS1_3genE10ELNS1_11target_archE1201ELNS1_3gpuE5ELNS1_3repE0EEENS1_30default_config_static_selectorELNS0_4arch9wavefront6targetE0EEEvT1_
	.p2align	8
	.type	_ZN7rocprim17ROCPRIM_400000_NS6detail17trampoline_kernelINS0_14default_configENS1_20scan_config_selectorIN3c107complexIdEEEEZZNS1_9scan_implILNS1_25lookback_scan_determinismE0ELb0ELb0ES3_PKS7_PS7_S7_ZZZN2at6native31launch_logcumsumexp_cuda_kernelERKNSE_10TensorBaseESI_lENKUlvE_clEvENKUlvE1_clEvEUlS7_S7_E_S7_EEDaPvRmT3_T4_T5_mT6_P12ihipStream_tbENKUlT_T0_E_clISt17integral_constantIbLb1EESY_IbLb0EEEEDaSU_SV_EUlSU_E0_NS1_11comp_targetILNS1_3genE10ELNS1_11target_archE1201ELNS1_3gpuE5ELNS1_3repE0EEENS1_30default_config_static_selectorELNS0_4arch9wavefront6targetE0EEEvT1_,@function
_ZN7rocprim17ROCPRIM_400000_NS6detail17trampoline_kernelINS0_14default_configENS1_20scan_config_selectorIN3c107complexIdEEEEZZNS1_9scan_implILNS1_25lookback_scan_determinismE0ELb0ELb0ES3_PKS7_PS7_S7_ZZZN2at6native31launch_logcumsumexp_cuda_kernelERKNSE_10TensorBaseESI_lENKUlvE_clEvENKUlvE1_clEvEUlS7_S7_E_S7_EEDaPvRmT3_T4_T5_mT6_P12ihipStream_tbENKUlT_T0_E_clISt17integral_constantIbLb1EESY_IbLb0EEEEDaSU_SV_EUlSU_E0_NS1_11comp_targetILNS1_3genE10ELNS1_11target_archE1201ELNS1_3gpuE5ELNS1_3repE0EEENS1_30default_config_static_selectorELNS0_4arch9wavefront6targetE0EEEvT1_: ; @_ZN7rocprim17ROCPRIM_400000_NS6detail17trampoline_kernelINS0_14default_configENS1_20scan_config_selectorIN3c107complexIdEEEEZZNS1_9scan_implILNS1_25lookback_scan_determinismE0ELb0ELb0ES3_PKS7_PS7_S7_ZZZN2at6native31launch_logcumsumexp_cuda_kernelERKNSE_10TensorBaseESI_lENKUlvE_clEvENKUlvE1_clEvEUlS7_S7_E_S7_EEDaPvRmT3_T4_T5_mT6_P12ihipStream_tbENKUlT_T0_E_clISt17integral_constantIbLb1EESY_IbLb0EEEEDaSU_SV_EUlSU_E0_NS1_11comp_targetILNS1_3genE10ELNS1_11target_archE1201ELNS1_3gpuE5ELNS1_3repE0EEENS1_30default_config_static_selectorELNS0_4arch9wavefront6targetE0EEEvT1_
; %bb.0:
	.section	.rodata,"a",@progbits
	.p2align	6, 0x0
	.amdhsa_kernel _ZN7rocprim17ROCPRIM_400000_NS6detail17trampoline_kernelINS0_14default_configENS1_20scan_config_selectorIN3c107complexIdEEEEZZNS1_9scan_implILNS1_25lookback_scan_determinismE0ELb0ELb0ES3_PKS7_PS7_S7_ZZZN2at6native31launch_logcumsumexp_cuda_kernelERKNSE_10TensorBaseESI_lENKUlvE_clEvENKUlvE1_clEvEUlS7_S7_E_S7_EEDaPvRmT3_T4_T5_mT6_P12ihipStream_tbENKUlT_T0_E_clISt17integral_constantIbLb1EESY_IbLb0EEEEDaSU_SV_EUlSU_E0_NS1_11comp_targetILNS1_3genE10ELNS1_11target_archE1201ELNS1_3gpuE5ELNS1_3repE0EEENS1_30default_config_static_selectorELNS0_4arch9wavefront6targetE0EEEvT1_
		.amdhsa_group_segment_fixed_size 0
		.amdhsa_private_segment_fixed_size 0
		.amdhsa_kernarg_size 48
		.amdhsa_user_sgpr_count 6
		.amdhsa_user_sgpr_private_segment_buffer 1
		.amdhsa_user_sgpr_dispatch_ptr 0
		.amdhsa_user_sgpr_queue_ptr 0
		.amdhsa_user_sgpr_kernarg_segment_ptr 1
		.amdhsa_user_sgpr_dispatch_id 0
		.amdhsa_user_sgpr_flat_scratch_init 0
		.amdhsa_user_sgpr_private_segment_size 0
		.amdhsa_wavefront_size32 1
		.amdhsa_uses_dynamic_stack 0
		.amdhsa_system_sgpr_private_segment_wavefront_offset 0
		.amdhsa_system_sgpr_workgroup_id_x 1
		.amdhsa_system_sgpr_workgroup_id_y 0
		.amdhsa_system_sgpr_workgroup_id_z 0
		.amdhsa_system_sgpr_workgroup_info 0
		.amdhsa_system_vgpr_workitem_id 0
		.amdhsa_next_free_vgpr 1
		.amdhsa_next_free_sgpr 1
		.amdhsa_reserve_vcc 0
		.amdhsa_reserve_flat_scratch 0
		.amdhsa_float_round_mode_32 0
		.amdhsa_float_round_mode_16_64 0
		.amdhsa_float_denorm_mode_32 3
		.amdhsa_float_denorm_mode_16_64 3
		.amdhsa_dx10_clamp 1
		.amdhsa_ieee_mode 1
		.amdhsa_fp16_overflow 0
		.amdhsa_workgroup_processor_mode 1
		.amdhsa_memory_ordered 1
		.amdhsa_forward_progress 1
		.amdhsa_shared_vgpr_count 0
		.amdhsa_exception_fp_ieee_invalid_op 0
		.amdhsa_exception_fp_denorm_src 0
		.amdhsa_exception_fp_ieee_div_zero 0
		.amdhsa_exception_fp_ieee_overflow 0
		.amdhsa_exception_fp_ieee_underflow 0
		.amdhsa_exception_fp_ieee_inexact 0
		.amdhsa_exception_int_div_zero 0
	.end_amdhsa_kernel
	.section	.text._ZN7rocprim17ROCPRIM_400000_NS6detail17trampoline_kernelINS0_14default_configENS1_20scan_config_selectorIN3c107complexIdEEEEZZNS1_9scan_implILNS1_25lookback_scan_determinismE0ELb0ELb0ES3_PKS7_PS7_S7_ZZZN2at6native31launch_logcumsumexp_cuda_kernelERKNSE_10TensorBaseESI_lENKUlvE_clEvENKUlvE1_clEvEUlS7_S7_E_S7_EEDaPvRmT3_T4_T5_mT6_P12ihipStream_tbENKUlT_T0_E_clISt17integral_constantIbLb1EESY_IbLb0EEEEDaSU_SV_EUlSU_E0_NS1_11comp_targetILNS1_3genE10ELNS1_11target_archE1201ELNS1_3gpuE5ELNS1_3repE0EEENS1_30default_config_static_selectorELNS0_4arch9wavefront6targetE0EEEvT1_,"axG",@progbits,_ZN7rocprim17ROCPRIM_400000_NS6detail17trampoline_kernelINS0_14default_configENS1_20scan_config_selectorIN3c107complexIdEEEEZZNS1_9scan_implILNS1_25lookback_scan_determinismE0ELb0ELb0ES3_PKS7_PS7_S7_ZZZN2at6native31launch_logcumsumexp_cuda_kernelERKNSE_10TensorBaseESI_lENKUlvE_clEvENKUlvE1_clEvEUlS7_S7_E_S7_EEDaPvRmT3_T4_T5_mT6_P12ihipStream_tbENKUlT_T0_E_clISt17integral_constantIbLb1EESY_IbLb0EEEEDaSU_SV_EUlSU_E0_NS1_11comp_targetILNS1_3genE10ELNS1_11target_archE1201ELNS1_3gpuE5ELNS1_3repE0EEENS1_30default_config_static_selectorELNS0_4arch9wavefront6targetE0EEEvT1_,comdat
.Lfunc_end236:
	.size	_ZN7rocprim17ROCPRIM_400000_NS6detail17trampoline_kernelINS0_14default_configENS1_20scan_config_selectorIN3c107complexIdEEEEZZNS1_9scan_implILNS1_25lookback_scan_determinismE0ELb0ELb0ES3_PKS7_PS7_S7_ZZZN2at6native31launch_logcumsumexp_cuda_kernelERKNSE_10TensorBaseESI_lENKUlvE_clEvENKUlvE1_clEvEUlS7_S7_E_S7_EEDaPvRmT3_T4_T5_mT6_P12ihipStream_tbENKUlT_T0_E_clISt17integral_constantIbLb1EESY_IbLb0EEEEDaSU_SV_EUlSU_E0_NS1_11comp_targetILNS1_3genE10ELNS1_11target_archE1201ELNS1_3gpuE5ELNS1_3repE0EEENS1_30default_config_static_selectorELNS0_4arch9wavefront6targetE0EEEvT1_, .Lfunc_end236-_ZN7rocprim17ROCPRIM_400000_NS6detail17trampoline_kernelINS0_14default_configENS1_20scan_config_selectorIN3c107complexIdEEEEZZNS1_9scan_implILNS1_25lookback_scan_determinismE0ELb0ELb0ES3_PKS7_PS7_S7_ZZZN2at6native31launch_logcumsumexp_cuda_kernelERKNSE_10TensorBaseESI_lENKUlvE_clEvENKUlvE1_clEvEUlS7_S7_E_S7_EEDaPvRmT3_T4_T5_mT6_P12ihipStream_tbENKUlT_T0_E_clISt17integral_constantIbLb1EESY_IbLb0EEEEDaSU_SV_EUlSU_E0_NS1_11comp_targetILNS1_3genE10ELNS1_11target_archE1201ELNS1_3gpuE5ELNS1_3repE0EEENS1_30default_config_static_selectorELNS0_4arch9wavefront6targetE0EEEvT1_
                                        ; -- End function
	.set _ZN7rocprim17ROCPRIM_400000_NS6detail17trampoline_kernelINS0_14default_configENS1_20scan_config_selectorIN3c107complexIdEEEEZZNS1_9scan_implILNS1_25lookback_scan_determinismE0ELb0ELb0ES3_PKS7_PS7_S7_ZZZN2at6native31launch_logcumsumexp_cuda_kernelERKNSE_10TensorBaseESI_lENKUlvE_clEvENKUlvE1_clEvEUlS7_S7_E_S7_EEDaPvRmT3_T4_T5_mT6_P12ihipStream_tbENKUlT_T0_E_clISt17integral_constantIbLb1EESY_IbLb0EEEEDaSU_SV_EUlSU_E0_NS1_11comp_targetILNS1_3genE10ELNS1_11target_archE1201ELNS1_3gpuE5ELNS1_3repE0EEENS1_30default_config_static_selectorELNS0_4arch9wavefront6targetE0EEEvT1_.num_vgpr, 0
	.set _ZN7rocprim17ROCPRIM_400000_NS6detail17trampoline_kernelINS0_14default_configENS1_20scan_config_selectorIN3c107complexIdEEEEZZNS1_9scan_implILNS1_25lookback_scan_determinismE0ELb0ELb0ES3_PKS7_PS7_S7_ZZZN2at6native31launch_logcumsumexp_cuda_kernelERKNSE_10TensorBaseESI_lENKUlvE_clEvENKUlvE1_clEvEUlS7_S7_E_S7_EEDaPvRmT3_T4_T5_mT6_P12ihipStream_tbENKUlT_T0_E_clISt17integral_constantIbLb1EESY_IbLb0EEEEDaSU_SV_EUlSU_E0_NS1_11comp_targetILNS1_3genE10ELNS1_11target_archE1201ELNS1_3gpuE5ELNS1_3repE0EEENS1_30default_config_static_selectorELNS0_4arch9wavefront6targetE0EEEvT1_.num_agpr, 0
	.set _ZN7rocprim17ROCPRIM_400000_NS6detail17trampoline_kernelINS0_14default_configENS1_20scan_config_selectorIN3c107complexIdEEEEZZNS1_9scan_implILNS1_25lookback_scan_determinismE0ELb0ELb0ES3_PKS7_PS7_S7_ZZZN2at6native31launch_logcumsumexp_cuda_kernelERKNSE_10TensorBaseESI_lENKUlvE_clEvENKUlvE1_clEvEUlS7_S7_E_S7_EEDaPvRmT3_T4_T5_mT6_P12ihipStream_tbENKUlT_T0_E_clISt17integral_constantIbLb1EESY_IbLb0EEEEDaSU_SV_EUlSU_E0_NS1_11comp_targetILNS1_3genE10ELNS1_11target_archE1201ELNS1_3gpuE5ELNS1_3repE0EEENS1_30default_config_static_selectorELNS0_4arch9wavefront6targetE0EEEvT1_.numbered_sgpr, 0
	.set _ZN7rocprim17ROCPRIM_400000_NS6detail17trampoline_kernelINS0_14default_configENS1_20scan_config_selectorIN3c107complexIdEEEEZZNS1_9scan_implILNS1_25lookback_scan_determinismE0ELb0ELb0ES3_PKS7_PS7_S7_ZZZN2at6native31launch_logcumsumexp_cuda_kernelERKNSE_10TensorBaseESI_lENKUlvE_clEvENKUlvE1_clEvEUlS7_S7_E_S7_EEDaPvRmT3_T4_T5_mT6_P12ihipStream_tbENKUlT_T0_E_clISt17integral_constantIbLb1EESY_IbLb0EEEEDaSU_SV_EUlSU_E0_NS1_11comp_targetILNS1_3genE10ELNS1_11target_archE1201ELNS1_3gpuE5ELNS1_3repE0EEENS1_30default_config_static_selectorELNS0_4arch9wavefront6targetE0EEEvT1_.num_named_barrier, 0
	.set _ZN7rocprim17ROCPRIM_400000_NS6detail17trampoline_kernelINS0_14default_configENS1_20scan_config_selectorIN3c107complexIdEEEEZZNS1_9scan_implILNS1_25lookback_scan_determinismE0ELb0ELb0ES3_PKS7_PS7_S7_ZZZN2at6native31launch_logcumsumexp_cuda_kernelERKNSE_10TensorBaseESI_lENKUlvE_clEvENKUlvE1_clEvEUlS7_S7_E_S7_EEDaPvRmT3_T4_T5_mT6_P12ihipStream_tbENKUlT_T0_E_clISt17integral_constantIbLb1EESY_IbLb0EEEEDaSU_SV_EUlSU_E0_NS1_11comp_targetILNS1_3genE10ELNS1_11target_archE1201ELNS1_3gpuE5ELNS1_3repE0EEENS1_30default_config_static_selectorELNS0_4arch9wavefront6targetE0EEEvT1_.private_seg_size, 0
	.set _ZN7rocprim17ROCPRIM_400000_NS6detail17trampoline_kernelINS0_14default_configENS1_20scan_config_selectorIN3c107complexIdEEEEZZNS1_9scan_implILNS1_25lookback_scan_determinismE0ELb0ELb0ES3_PKS7_PS7_S7_ZZZN2at6native31launch_logcumsumexp_cuda_kernelERKNSE_10TensorBaseESI_lENKUlvE_clEvENKUlvE1_clEvEUlS7_S7_E_S7_EEDaPvRmT3_T4_T5_mT6_P12ihipStream_tbENKUlT_T0_E_clISt17integral_constantIbLb1EESY_IbLb0EEEEDaSU_SV_EUlSU_E0_NS1_11comp_targetILNS1_3genE10ELNS1_11target_archE1201ELNS1_3gpuE5ELNS1_3repE0EEENS1_30default_config_static_selectorELNS0_4arch9wavefront6targetE0EEEvT1_.uses_vcc, 0
	.set _ZN7rocprim17ROCPRIM_400000_NS6detail17trampoline_kernelINS0_14default_configENS1_20scan_config_selectorIN3c107complexIdEEEEZZNS1_9scan_implILNS1_25lookback_scan_determinismE0ELb0ELb0ES3_PKS7_PS7_S7_ZZZN2at6native31launch_logcumsumexp_cuda_kernelERKNSE_10TensorBaseESI_lENKUlvE_clEvENKUlvE1_clEvEUlS7_S7_E_S7_EEDaPvRmT3_T4_T5_mT6_P12ihipStream_tbENKUlT_T0_E_clISt17integral_constantIbLb1EESY_IbLb0EEEEDaSU_SV_EUlSU_E0_NS1_11comp_targetILNS1_3genE10ELNS1_11target_archE1201ELNS1_3gpuE5ELNS1_3repE0EEENS1_30default_config_static_selectorELNS0_4arch9wavefront6targetE0EEEvT1_.uses_flat_scratch, 0
	.set _ZN7rocprim17ROCPRIM_400000_NS6detail17trampoline_kernelINS0_14default_configENS1_20scan_config_selectorIN3c107complexIdEEEEZZNS1_9scan_implILNS1_25lookback_scan_determinismE0ELb0ELb0ES3_PKS7_PS7_S7_ZZZN2at6native31launch_logcumsumexp_cuda_kernelERKNSE_10TensorBaseESI_lENKUlvE_clEvENKUlvE1_clEvEUlS7_S7_E_S7_EEDaPvRmT3_T4_T5_mT6_P12ihipStream_tbENKUlT_T0_E_clISt17integral_constantIbLb1EESY_IbLb0EEEEDaSU_SV_EUlSU_E0_NS1_11comp_targetILNS1_3genE10ELNS1_11target_archE1201ELNS1_3gpuE5ELNS1_3repE0EEENS1_30default_config_static_selectorELNS0_4arch9wavefront6targetE0EEEvT1_.has_dyn_sized_stack, 0
	.set _ZN7rocprim17ROCPRIM_400000_NS6detail17trampoline_kernelINS0_14default_configENS1_20scan_config_selectorIN3c107complexIdEEEEZZNS1_9scan_implILNS1_25lookback_scan_determinismE0ELb0ELb0ES3_PKS7_PS7_S7_ZZZN2at6native31launch_logcumsumexp_cuda_kernelERKNSE_10TensorBaseESI_lENKUlvE_clEvENKUlvE1_clEvEUlS7_S7_E_S7_EEDaPvRmT3_T4_T5_mT6_P12ihipStream_tbENKUlT_T0_E_clISt17integral_constantIbLb1EESY_IbLb0EEEEDaSU_SV_EUlSU_E0_NS1_11comp_targetILNS1_3genE10ELNS1_11target_archE1201ELNS1_3gpuE5ELNS1_3repE0EEENS1_30default_config_static_selectorELNS0_4arch9wavefront6targetE0EEEvT1_.has_recursion, 0
	.set _ZN7rocprim17ROCPRIM_400000_NS6detail17trampoline_kernelINS0_14default_configENS1_20scan_config_selectorIN3c107complexIdEEEEZZNS1_9scan_implILNS1_25lookback_scan_determinismE0ELb0ELb0ES3_PKS7_PS7_S7_ZZZN2at6native31launch_logcumsumexp_cuda_kernelERKNSE_10TensorBaseESI_lENKUlvE_clEvENKUlvE1_clEvEUlS7_S7_E_S7_EEDaPvRmT3_T4_T5_mT6_P12ihipStream_tbENKUlT_T0_E_clISt17integral_constantIbLb1EESY_IbLb0EEEEDaSU_SV_EUlSU_E0_NS1_11comp_targetILNS1_3genE10ELNS1_11target_archE1201ELNS1_3gpuE5ELNS1_3repE0EEENS1_30default_config_static_selectorELNS0_4arch9wavefront6targetE0EEEvT1_.has_indirect_call, 0
	.section	.AMDGPU.csdata,"",@progbits
; Kernel info:
; codeLenInByte = 0
; TotalNumSgprs: 0
; NumVgprs: 0
; ScratchSize: 0
; MemoryBound: 0
; FloatMode: 240
; IeeeMode: 1
; LDSByteSize: 0 bytes/workgroup (compile time only)
; SGPRBlocks: 0
; VGPRBlocks: 0
; NumSGPRsForWavesPerEU: 1
; NumVGPRsForWavesPerEU: 1
; Occupancy: 16
; WaveLimiterHint : 0
; COMPUTE_PGM_RSRC2:SCRATCH_EN: 0
; COMPUTE_PGM_RSRC2:USER_SGPR: 6
; COMPUTE_PGM_RSRC2:TRAP_HANDLER: 0
; COMPUTE_PGM_RSRC2:TGID_X_EN: 1
; COMPUTE_PGM_RSRC2:TGID_Y_EN: 0
; COMPUTE_PGM_RSRC2:TGID_Z_EN: 0
; COMPUTE_PGM_RSRC2:TIDIG_COMP_CNT: 0
	.section	.text._ZN7rocprim17ROCPRIM_400000_NS6detail17trampoline_kernelINS0_14default_configENS1_20scan_config_selectorIN3c107complexIdEEEEZZNS1_9scan_implILNS1_25lookback_scan_determinismE0ELb0ELb0ES3_PKS7_PS7_S7_ZZZN2at6native31launch_logcumsumexp_cuda_kernelERKNSE_10TensorBaseESI_lENKUlvE_clEvENKUlvE1_clEvEUlS7_S7_E_S7_EEDaPvRmT3_T4_T5_mT6_P12ihipStream_tbENKUlT_T0_E_clISt17integral_constantIbLb1EESY_IbLb0EEEEDaSU_SV_EUlSU_E0_NS1_11comp_targetILNS1_3genE10ELNS1_11target_archE1200ELNS1_3gpuE4ELNS1_3repE0EEENS1_30default_config_static_selectorELNS0_4arch9wavefront6targetE0EEEvT1_,"axG",@progbits,_ZN7rocprim17ROCPRIM_400000_NS6detail17trampoline_kernelINS0_14default_configENS1_20scan_config_selectorIN3c107complexIdEEEEZZNS1_9scan_implILNS1_25lookback_scan_determinismE0ELb0ELb0ES3_PKS7_PS7_S7_ZZZN2at6native31launch_logcumsumexp_cuda_kernelERKNSE_10TensorBaseESI_lENKUlvE_clEvENKUlvE1_clEvEUlS7_S7_E_S7_EEDaPvRmT3_T4_T5_mT6_P12ihipStream_tbENKUlT_T0_E_clISt17integral_constantIbLb1EESY_IbLb0EEEEDaSU_SV_EUlSU_E0_NS1_11comp_targetILNS1_3genE10ELNS1_11target_archE1200ELNS1_3gpuE4ELNS1_3repE0EEENS1_30default_config_static_selectorELNS0_4arch9wavefront6targetE0EEEvT1_,comdat
	.globl	_ZN7rocprim17ROCPRIM_400000_NS6detail17trampoline_kernelINS0_14default_configENS1_20scan_config_selectorIN3c107complexIdEEEEZZNS1_9scan_implILNS1_25lookback_scan_determinismE0ELb0ELb0ES3_PKS7_PS7_S7_ZZZN2at6native31launch_logcumsumexp_cuda_kernelERKNSE_10TensorBaseESI_lENKUlvE_clEvENKUlvE1_clEvEUlS7_S7_E_S7_EEDaPvRmT3_T4_T5_mT6_P12ihipStream_tbENKUlT_T0_E_clISt17integral_constantIbLb1EESY_IbLb0EEEEDaSU_SV_EUlSU_E0_NS1_11comp_targetILNS1_3genE10ELNS1_11target_archE1200ELNS1_3gpuE4ELNS1_3repE0EEENS1_30default_config_static_selectorELNS0_4arch9wavefront6targetE0EEEvT1_ ; -- Begin function _ZN7rocprim17ROCPRIM_400000_NS6detail17trampoline_kernelINS0_14default_configENS1_20scan_config_selectorIN3c107complexIdEEEEZZNS1_9scan_implILNS1_25lookback_scan_determinismE0ELb0ELb0ES3_PKS7_PS7_S7_ZZZN2at6native31launch_logcumsumexp_cuda_kernelERKNSE_10TensorBaseESI_lENKUlvE_clEvENKUlvE1_clEvEUlS7_S7_E_S7_EEDaPvRmT3_T4_T5_mT6_P12ihipStream_tbENKUlT_T0_E_clISt17integral_constantIbLb1EESY_IbLb0EEEEDaSU_SV_EUlSU_E0_NS1_11comp_targetILNS1_3genE10ELNS1_11target_archE1200ELNS1_3gpuE4ELNS1_3repE0EEENS1_30default_config_static_selectorELNS0_4arch9wavefront6targetE0EEEvT1_
	.p2align	8
	.type	_ZN7rocprim17ROCPRIM_400000_NS6detail17trampoline_kernelINS0_14default_configENS1_20scan_config_selectorIN3c107complexIdEEEEZZNS1_9scan_implILNS1_25lookback_scan_determinismE0ELb0ELb0ES3_PKS7_PS7_S7_ZZZN2at6native31launch_logcumsumexp_cuda_kernelERKNSE_10TensorBaseESI_lENKUlvE_clEvENKUlvE1_clEvEUlS7_S7_E_S7_EEDaPvRmT3_T4_T5_mT6_P12ihipStream_tbENKUlT_T0_E_clISt17integral_constantIbLb1EESY_IbLb0EEEEDaSU_SV_EUlSU_E0_NS1_11comp_targetILNS1_3genE10ELNS1_11target_archE1200ELNS1_3gpuE4ELNS1_3repE0EEENS1_30default_config_static_selectorELNS0_4arch9wavefront6targetE0EEEvT1_,@function
_ZN7rocprim17ROCPRIM_400000_NS6detail17trampoline_kernelINS0_14default_configENS1_20scan_config_selectorIN3c107complexIdEEEEZZNS1_9scan_implILNS1_25lookback_scan_determinismE0ELb0ELb0ES3_PKS7_PS7_S7_ZZZN2at6native31launch_logcumsumexp_cuda_kernelERKNSE_10TensorBaseESI_lENKUlvE_clEvENKUlvE1_clEvEUlS7_S7_E_S7_EEDaPvRmT3_T4_T5_mT6_P12ihipStream_tbENKUlT_T0_E_clISt17integral_constantIbLb1EESY_IbLb0EEEEDaSU_SV_EUlSU_E0_NS1_11comp_targetILNS1_3genE10ELNS1_11target_archE1200ELNS1_3gpuE4ELNS1_3repE0EEENS1_30default_config_static_selectorELNS0_4arch9wavefront6targetE0EEEvT1_: ; @_ZN7rocprim17ROCPRIM_400000_NS6detail17trampoline_kernelINS0_14default_configENS1_20scan_config_selectorIN3c107complexIdEEEEZZNS1_9scan_implILNS1_25lookback_scan_determinismE0ELb0ELb0ES3_PKS7_PS7_S7_ZZZN2at6native31launch_logcumsumexp_cuda_kernelERKNSE_10TensorBaseESI_lENKUlvE_clEvENKUlvE1_clEvEUlS7_S7_E_S7_EEDaPvRmT3_T4_T5_mT6_P12ihipStream_tbENKUlT_T0_E_clISt17integral_constantIbLb1EESY_IbLb0EEEEDaSU_SV_EUlSU_E0_NS1_11comp_targetILNS1_3genE10ELNS1_11target_archE1200ELNS1_3gpuE4ELNS1_3repE0EEENS1_30default_config_static_selectorELNS0_4arch9wavefront6targetE0EEEvT1_
; %bb.0:
	.section	.rodata,"a",@progbits
	.p2align	6, 0x0
	.amdhsa_kernel _ZN7rocprim17ROCPRIM_400000_NS6detail17trampoline_kernelINS0_14default_configENS1_20scan_config_selectorIN3c107complexIdEEEEZZNS1_9scan_implILNS1_25lookback_scan_determinismE0ELb0ELb0ES3_PKS7_PS7_S7_ZZZN2at6native31launch_logcumsumexp_cuda_kernelERKNSE_10TensorBaseESI_lENKUlvE_clEvENKUlvE1_clEvEUlS7_S7_E_S7_EEDaPvRmT3_T4_T5_mT6_P12ihipStream_tbENKUlT_T0_E_clISt17integral_constantIbLb1EESY_IbLb0EEEEDaSU_SV_EUlSU_E0_NS1_11comp_targetILNS1_3genE10ELNS1_11target_archE1200ELNS1_3gpuE4ELNS1_3repE0EEENS1_30default_config_static_selectorELNS0_4arch9wavefront6targetE0EEEvT1_
		.amdhsa_group_segment_fixed_size 0
		.amdhsa_private_segment_fixed_size 0
		.amdhsa_kernarg_size 48
		.amdhsa_user_sgpr_count 6
		.amdhsa_user_sgpr_private_segment_buffer 1
		.amdhsa_user_sgpr_dispatch_ptr 0
		.amdhsa_user_sgpr_queue_ptr 0
		.amdhsa_user_sgpr_kernarg_segment_ptr 1
		.amdhsa_user_sgpr_dispatch_id 0
		.amdhsa_user_sgpr_flat_scratch_init 0
		.amdhsa_user_sgpr_private_segment_size 0
		.amdhsa_wavefront_size32 1
		.amdhsa_uses_dynamic_stack 0
		.amdhsa_system_sgpr_private_segment_wavefront_offset 0
		.amdhsa_system_sgpr_workgroup_id_x 1
		.amdhsa_system_sgpr_workgroup_id_y 0
		.amdhsa_system_sgpr_workgroup_id_z 0
		.amdhsa_system_sgpr_workgroup_info 0
		.amdhsa_system_vgpr_workitem_id 0
		.amdhsa_next_free_vgpr 1
		.amdhsa_next_free_sgpr 1
		.amdhsa_reserve_vcc 0
		.amdhsa_reserve_flat_scratch 0
		.amdhsa_float_round_mode_32 0
		.amdhsa_float_round_mode_16_64 0
		.amdhsa_float_denorm_mode_32 3
		.amdhsa_float_denorm_mode_16_64 3
		.amdhsa_dx10_clamp 1
		.amdhsa_ieee_mode 1
		.amdhsa_fp16_overflow 0
		.amdhsa_workgroup_processor_mode 1
		.amdhsa_memory_ordered 1
		.amdhsa_forward_progress 1
		.amdhsa_shared_vgpr_count 0
		.amdhsa_exception_fp_ieee_invalid_op 0
		.amdhsa_exception_fp_denorm_src 0
		.amdhsa_exception_fp_ieee_div_zero 0
		.amdhsa_exception_fp_ieee_overflow 0
		.amdhsa_exception_fp_ieee_underflow 0
		.amdhsa_exception_fp_ieee_inexact 0
		.amdhsa_exception_int_div_zero 0
	.end_amdhsa_kernel
	.section	.text._ZN7rocprim17ROCPRIM_400000_NS6detail17trampoline_kernelINS0_14default_configENS1_20scan_config_selectorIN3c107complexIdEEEEZZNS1_9scan_implILNS1_25lookback_scan_determinismE0ELb0ELb0ES3_PKS7_PS7_S7_ZZZN2at6native31launch_logcumsumexp_cuda_kernelERKNSE_10TensorBaseESI_lENKUlvE_clEvENKUlvE1_clEvEUlS7_S7_E_S7_EEDaPvRmT3_T4_T5_mT6_P12ihipStream_tbENKUlT_T0_E_clISt17integral_constantIbLb1EESY_IbLb0EEEEDaSU_SV_EUlSU_E0_NS1_11comp_targetILNS1_3genE10ELNS1_11target_archE1200ELNS1_3gpuE4ELNS1_3repE0EEENS1_30default_config_static_selectorELNS0_4arch9wavefront6targetE0EEEvT1_,"axG",@progbits,_ZN7rocprim17ROCPRIM_400000_NS6detail17trampoline_kernelINS0_14default_configENS1_20scan_config_selectorIN3c107complexIdEEEEZZNS1_9scan_implILNS1_25lookback_scan_determinismE0ELb0ELb0ES3_PKS7_PS7_S7_ZZZN2at6native31launch_logcumsumexp_cuda_kernelERKNSE_10TensorBaseESI_lENKUlvE_clEvENKUlvE1_clEvEUlS7_S7_E_S7_EEDaPvRmT3_T4_T5_mT6_P12ihipStream_tbENKUlT_T0_E_clISt17integral_constantIbLb1EESY_IbLb0EEEEDaSU_SV_EUlSU_E0_NS1_11comp_targetILNS1_3genE10ELNS1_11target_archE1200ELNS1_3gpuE4ELNS1_3repE0EEENS1_30default_config_static_selectorELNS0_4arch9wavefront6targetE0EEEvT1_,comdat
.Lfunc_end237:
	.size	_ZN7rocprim17ROCPRIM_400000_NS6detail17trampoline_kernelINS0_14default_configENS1_20scan_config_selectorIN3c107complexIdEEEEZZNS1_9scan_implILNS1_25lookback_scan_determinismE0ELb0ELb0ES3_PKS7_PS7_S7_ZZZN2at6native31launch_logcumsumexp_cuda_kernelERKNSE_10TensorBaseESI_lENKUlvE_clEvENKUlvE1_clEvEUlS7_S7_E_S7_EEDaPvRmT3_T4_T5_mT6_P12ihipStream_tbENKUlT_T0_E_clISt17integral_constantIbLb1EESY_IbLb0EEEEDaSU_SV_EUlSU_E0_NS1_11comp_targetILNS1_3genE10ELNS1_11target_archE1200ELNS1_3gpuE4ELNS1_3repE0EEENS1_30default_config_static_selectorELNS0_4arch9wavefront6targetE0EEEvT1_, .Lfunc_end237-_ZN7rocprim17ROCPRIM_400000_NS6detail17trampoline_kernelINS0_14default_configENS1_20scan_config_selectorIN3c107complexIdEEEEZZNS1_9scan_implILNS1_25lookback_scan_determinismE0ELb0ELb0ES3_PKS7_PS7_S7_ZZZN2at6native31launch_logcumsumexp_cuda_kernelERKNSE_10TensorBaseESI_lENKUlvE_clEvENKUlvE1_clEvEUlS7_S7_E_S7_EEDaPvRmT3_T4_T5_mT6_P12ihipStream_tbENKUlT_T0_E_clISt17integral_constantIbLb1EESY_IbLb0EEEEDaSU_SV_EUlSU_E0_NS1_11comp_targetILNS1_3genE10ELNS1_11target_archE1200ELNS1_3gpuE4ELNS1_3repE0EEENS1_30default_config_static_selectorELNS0_4arch9wavefront6targetE0EEEvT1_
                                        ; -- End function
	.set _ZN7rocprim17ROCPRIM_400000_NS6detail17trampoline_kernelINS0_14default_configENS1_20scan_config_selectorIN3c107complexIdEEEEZZNS1_9scan_implILNS1_25lookback_scan_determinismE0ELb0ELb0ES3_PKS7_PS7_S7_ZZZN2at6native31launch_logcumsumexp_cuda_kernelERKNSE_10TensorBaseESI_lENKUlvE_clEvENKUlvE1_clEvEUlS7_S7_E_S7_EEDaPvRmT3_T4_T5_mT6_P12ihipStream_tbENKUlT_T0_E_clISt17integral_constantIbLb1EESY_IbLb0EEEEDaSU_SV_EUlSU_E0_NS1_11comp_targetILNS1_3genE10ELNS1_11target_archE1200ELNS1_3gpuE4ELNS1_3repE0EEENS1_30default_config_static_selectorELNS0_4arch9wavefront6targetE0EEEvT1_.num_vgpr, 0
	.set _ZN7rocprim17ROCPRIM_400000_NS6detail17trampoline_kernelINS0_14default_configENS1_20scan_config_selectorIN3c107complexIdEEEEZZNS1_9scan_implILNS1_25lookback_scan_determinismE0ELb0ELb0ES3_PKS7_PS7_S7_ZZZN2at6native31launch_logcumsumexp_cuda_kernelERKNSE_10TensorBaseESI_lENKUlvE_clEvENKUlvE1_clEvEUlS7_S7_E_S7_EEDaPvRmT3_T4_T5_mT6_P12ihipStream_tbENKUlT_T0_E_clISt17integral_constantIbLb1EESY_IbLb0EEEEDaSU_SV_EUlSU_E0_NS1_11comp_targetILNS1_3genE10ELNS1_11target_archE1200ELNS1_3gpuE4ELNS1_3repE0EEENS1_30default_config_static_selectorELNS0_4arch9wavefront6targetE0EEEvT1_.num_agpr, 0
	.set _ZN7rocprim17ROCPRIM_400000_NS6detail17trampoline_kernelINS0_14default_configENS1_20scan_config_selectorIN3c107complexIdEEEEZZNS1_9scan_implILNS1_25lookback_scan_determinismE0ELb0ELb0ES3_PKS7_PS7_S7_ZZZN2at6native31launch_logcumsumexp_cuda_kernelERKNSE_10TensorBaseESI_lENKUlvE_clEvENKUlvE1_clEvEUlS7_S7_E_S7_EEDaPvRmT3_T4_T5_mT6_P12ihipStream_tbENKUlT_T0_E_clISt17integral_constantIbLb1EESY_IbLb0EEEEDaSU_SV_EUlSU_E0_NS1_11comp_targetILNS1_3genE10ELNS1_11target_archE1200ELNS1_3gpuE4ELNS1_3repE0EEENS1_30default_config_static_selectorELNS0_4arch9wavefront6targetE0EEEvT1_.numbered_sgpr, 0
	.set _ZN7rocprim17ROCPRIM_400000_NS6detail17trampoline_kernelINS0_14default_configENS1_20scan_config_selectorIN3c107complexIdEEEEZZNS1_9scan_implILNS1_25lookback_scan_determinismE0ELb0ELb0ES3_PKS7_PS7_S7_ZZZN2at6native31launch_logcumsumexp_cuda_kernelERKNSE_10TensorBaseESI_lENKUlvE_clEvENKUlvE1_clEvEUlS7_S7_E_S7_EEDaPvRmT3_T4_T5_mT6_P12ihipStream_tbENKUlT_T0_E_clISt17integral_constantIbLb1EESY_IbLb0EEEEDaSU_SV_EUlSU_E0_NS1_11comp_targetILNS1_3genE10ELNS1_11target_archE1200ELNS1_3gpuE4ELNS1_3repE0EEENS1_30default_config_static_selectorELNS0_4arch9wavefront6targetE0EEEvT1_.num_named_barrier, 0
	.set _ZN7rocprim17ROCPRIM_400000_NS6detail17trampoline_kernelINS0_14default_configENS1_20scan_config_selectorIN3c107complexIdEEEEZZNS1_9scan_implILNS1_25lookback_scan_determinismE0ELb0ELb0ES3_PKS7_PS7_S7_ZZZN2at6native31launch_logcumsumexp_cuda_kernelERKNSE_10TensorBaseESI_lENKUlvE_clEvENKUlvE1_clEvEUlS7_S7_E_S7_EEDaPvRmT3_T4_T5_mT6_P12ihipStream_tbENKUlT_T0_E_clISt17integral_constantIbLb1EESY_IbLb0EEEEDaSU_SV_EUlSU_E0_NS1_11comp_targetILNS1_3genE10ELNS1_11target_archE1200ELNS1_3gpuE4ELNS1_3repE0EEENS1_30default_config_static_selectorELNS0_4arch9wavefront6targetE0EEEvT1_.private_seg_size, 0
	.set _ZN7rocprim17ROCPRIM_400000_NS6detail17trampoline_kernelINS0_14default_configENS1_20scan_config_selectorIN3c107complexIdEEEEZZNS1_9scan_implILNS1_25lookback_scan_determinismE0ELb0ELb0ES3_PKS7_PS7_S7_ZZZN2at6native31launch_logcumsumexp_cuda_kernelERKNSE_10TensorBaseESI_lENKUlvE_clEvENKUlvE1_clEvEUlS7_S7_E_S7_EEDaPvRmT3_T4_T5_mT6_P12ihipStream_tbENKUlT_T0_E_clISt17integral_constantIbLb1EESY_IbLb0EEEEDaSU_SV_EUlSU_E0_NS1_11comp_targetILNS1_3genE10ELNS1_11target_archE1200ELNS1_3gpuE4ELNS1_3repE0EEENS1_30default_config_static_selectorELNS0_4arch9wavefront6targetE0EEEvT1_.uses_vcc, 0
	.set _ZN7rocprim17ROCPRIM_400000_NS6detail17trampoline_kernelINS0_14default_configENS1_20scan_config_selectorIN3c107complexIdEEEEZZNS1_9scan_implILNS1_25lookback_scan_determinismE0ELb0ELb0ES3_PKS7_PS7_S7_ZZZN2at6native31launch_logcumsumexp_cuda_kernelERKNSE_10TensorBaseESI_lENKUlvE_clEvENKUlvE1_clEvEUlS7_S7_E_S7_EEDaPvRmT3_T4_T5_mT6_P12ihipStream_tbENKUlT_T0_E_clISt17integral_constantIbLb1EESY_IbLb0EEEEDaSU_SV_EUlSU_E0_NS1_11comp_targetILNS1_3genE10ELNS1_11target_archE1200ELNS1_3gpuE4ELNS1_3repE0EEENS1_30default_config_static_selectorELNS0_4arch9wavefront6targetE0EEEvT1_.uses_flat_scratch, 0
	.set _ZN7rocprim17ROCPRIM_400000_NS6detail17trampoline_kernelINS0_14default_configENS1_20scan_config_selectorIN3c107complexIdEEEEZZNS1_9scan_implILNS1_25lookback_scan_determinismE0ELb0ELb0ES3_PKS7_PS7_S7_ZZZN2at6native31launch_logcumsumexp_cuda_kernelERKNSE_10TensorBaseESI_lENKUlvE_clEvENKUlvE1_clEvEUlS7_S7_E_S7_EEDaPvRmT3_T4_T5_mT6_P12ihipStream_tbENKUlT_T0_E_clISt17integral_constantIbLb1EESY_IbLb0EEEEDaSU_SV_EUlSU_E0_NS1_11comp_targetILNS1_3genE10ELNS1_11target_archE1200ELNS1_3gpuE4ELNS1_3repE0EEENS1_30default_config_static_selectorELNS0_4arch9wavefront6targetE0EEEvT1_.has_dyn_sized_stack, 0
	.set _ZN7rocprim17ROCPRIM_400000_NS6detail17trampoline_kernelINS0_14default_configENS1_20scan_config_selectorIN3c107complexIdEEEEZZNS1_9scan_implILNS1_25lookback_scan_determinismE0ELb0ELb0ES3_PKS7_PS7_S7_ZZZN2at6native31launch_logcumsumexp_cuda_kernelERKNSE_10TensorBaseESI_lENKUlvE_clEvENKUlvE1_clEvEUlS7_S7_E_S7_EEDaPvRmT3_T4_T5_mT6_P12ihipStream_tbENKUlT_T0_E_clISt17integral_constantIbLb1EESY_IbLb0EEEEDaSU_SV_EUlSU_E0_NS1_11comp_targetILNS1_3genE10ELNS1_11target_archE1200ELNS1_3gpuE4ELNS1_3repE0EEENS1_30default_config_static_selectorELNS0_4arch9wavefront6targetE0EEEvT1_.has_recursion, 0
	.set _ZN7rocprim17ROCPRIM_400000_NS6detail17trampoline_kernelINS0_14default_configENS1_20scan_config_selectorIN3c107complexIdEEEEZZNS1_9scan_implILNS1_25lookback_scan_determinismE0ELb0ELb0ES3_PKS7_PS7_S7_ZZZN2at6native31launch_logcumsumexp_cuda_kernelERKNSE_10TensorBaseESI_lENKUlvE_clEvENKUlvE1_clEvEUlS7_S7_E_S7_EEDaPvRmT3_T4_T5_mT6_P12ihipStream_tbENKUlT_T0_E_clISt17integral_constantIbLb1EESY_IbLb0EEEEDaSU_SV_EUlSU_E0_NS1_11comp_targetILNS1_3genE10ELNS1_11target_archE1200ELNS1_3gpuE4ELNS1_3repE0EEENS1_30default_config_static_selectorELNS0_4arch9wavefront6targetE0EEEvT1_.has_indirect_call, 0
	.section	.AMDGPU.csdata,"",@progbits
; Kernel info:
; codeLenInByte = 0
; TotalNumSgprs: 0
; NumVgprs: 0
; ScratchSize: 0
; MemoryBound: 0
; FloatMode: 240
; IeeeMode: 1
; LDSByteSize: 0 bytes/workgroup (compile time only)
; SGPRBlocks: 0
; VGPRBlocks: 0
; NumSGPRsForWavesPerEU: 1
; NumVGPRsForWavesPerEU: 1
; Occupancy: 16
; WaveLimiterHint : 0
; COMPUTE_PGM_RSRC2:SCRATCH_EN: 0
; COMPUTE_PGM_RSRC2:USER_SGPR: 6
; COMPUTE_PGM_RSRC2:TRAP_HANDLER: 0
; COMPUTE_PGM_RSRC2:TGID_X_EN: 1
; COMPUTE_PGM_RSRC2:TGID_Y_EN: 0
; COMPUTE_PGM_RSRC2:TGID_Z_EN: 0
; COMPUTE_PGM_RSRC2:TIDIG_COMP_CNT: 0
	.section	.text._ZN7rocprim17ROCPRIM_400000_NS6detail17trampoline_kernelINS0_14default_configENS1_20scan_config_selectorIN3c107complexIdEEEEZZNS1_9scan_implILNS1_25lookback_scan_determinismE0ELb0ELb0ES3_PKS7_PS7_S7_ZZZN2at6native31launch_logcumsumexp_cuda_kernelERKNSE_10TensorBaseESI_lENKUlvE_clEvENKUlvE1_clEvEUlS7_S7_E_S7_EEDaPvRmT3_T4_T5_mT6_P12ihipStream_tbENKUlT_T0_E_clISt17integral_constantIbLb1EESY_IbLb0EEEEDaSU_SV_EUlSU_E0_NS1_11comp_targetILNS1_3genE9ELNS1_11target_archE1100ELNS1_3gpuE3ELNS1_3repE0EEENS1_30default_config_static_selectorELNS0_4arch9wavefront6targetE0EEEvT1_,"axG",@progbits,_ZN7rocprim17ROCPRIM_400000_NS6detail17trampoline_kernelINS0_14default_configENS1_20scan_config_selectorIN3c107complexIdEEEEZZNS1_9scan_implILNS1_25lookback_scan_determinismE0ELb0ELb0ES3_PKS7_PS7_S7_ZZZN2at6native31launch_logcumsumexp_cuda_kernelERKNSE_10TensorBaseESI_lENKUlvE_clEvENKUlvE1_clEvEUlS7_S7_E_S7_EEDaPvRmT3_T4_T5_mT6_P12ihipStream_tbENKUlT_T0_E_clISt17integral_constantIbLb1EESY_IbLb0EEEEDaSU_SV_EUlSU_E0_NS1_11comp_targetILNS1_3genE9ELNS1_11target_archE1100ELNS1_3gpuE3ELNS1_3repE0EEENS1_30default_config_static_selectorELNS0_4arch9wavefront6targetE0EEEvT1_,comdat
	.globl	_ZN7rocprim17ROCPRIM_400000_NS6detail17trampoline_kernelINS0_14default_configENS1_20scan_config_selectorIN3c107complexIdEEEEZZNS1_9scan_implILNS1_25lookback_scan_determinismE0ELb0ELb0ES3_PKS7_PS7_S7_ZZZN2at6native31launch_logcumsumexp_cuda_kernelERKNSE_10TensorBaseESI_lENKUlvE_clEvENKUlvE1_clEvEUlS7_S7_E_S7_EEDaPvRmT3_T4_T5_mT6_P12ihipStream_tbENKUlT_T0_E_clISt17integral_constantIbLb1EESY_IbLb0EEEEDaSU_SV_EUlSU_E0_NS1_11comp_targetILNS1_3genE9ELNS1_11target_archE1100ELNS1_3gpuE3ELNS1_3repE0EEENS1_30default_config_static_selectorELNS0_4arch9wavefront6targetE0EEEvT1_ ; -- Begin function _ZN7rocprim17ROCPRIM_400000_NS6detail17trampoline_kernelINS0_14default_configENS1_20scan_config_selectorIN3c107complexIdEEEEZZNS1_9scan_implILNS1_25lookback_scan_determinismE0ELb0ELb0ES3_PKS7_PS7_S7_ZZZN2at6native31launch_logcumsumexp_cuda_kernelERKNSE_10TensorBaseESI_lENKUlvE_clEvENKUlvE1_clEvEUlS7_S7_E_S7_EEDaPvRmT3_T4_T5_mT6_P12ihipStream_tbENKUlT_T0_E_clISt17integral_constantIbLb1EESY_IbLb0EEEEDaSU_SV_EUlSU_E0_NS1_11comp_targetILNS1_3genE9ELNS1_11target_archE1100ELNS1_3gpuE3ELNS1_3repE0EEENS1_30default_config_static_selectorELNS0_4arch9wavefront6targetE0EEEvT1_
	.p2align	8
	.type	_ZN7rocprim17ROCPRIM_400000_NS6detail17trampoline_kernelINS0_14default_configENS1_20scan_config_selectorIN3c107complexIdEEEEZZNS1_9scan_implILNS1_25lookback_scan_determinismE0ELb0ELb0ES3_PKS7_PS7_S7_ZZZN2at6native31launch_logcumsumexp_cuda_kernelERKNSE_10TensorBaseESI_lENKUlvE_clEvENKUlvE1_clEvEUlS7_S7_E_S7_EEDaPvRmT3_T4_T5_mT6_P12ihipStream_tbENKUlT_T0_E_clISt17integral_constantIbLb1EESY_IbLb0EEEEDaSU_SV_EUlSU_E0_NS1_11comp_targetILNS1_3genE9ELNS1_11target_archE1100ELNS1_3gpuE3ELNS1_3repE0EEENS1_30default_config_static_selectorELNS0_4arch9wavefront6targetE0EEEvT1_,@function
_ZN7rocprim17ROCPRIM_400000_NS6detail17trampoline_kernelINS0_14default_configENS1_20scan_config_selectorIN3c107complexIdEEEEZZNS1_9scan_implILNS1_25lookback_scan_determinismE0ELb0ELb0ES3_PKS7_PS7_S7_ZZZN2at6native31launch_logcumsumexp_cuda_kernelERKNSE_10TensorBaseESI_lENKUlvE_clEvENKUlvE1_clEvEUlS7_S7_E_S7_EEDaPvRmT3_T4_T5_mT6_P12ihipStream_tbENKUlT_T0_E_clISt17integral_constantIbLb1EESY_IbLb0EEEEDaSU_SV_EUlSU_E0_NS1_11comp_targetILNS1_3genE9ELNS1_11target_archE1100ELNS1_3gpuE3ELNS1_3repE0EEENS1_30default_config_static_selectorELNS0_4arch9wavefront6targetE0EEEvT1_: ; @_ZN7rocprim17ROCPRIM_400000_NS6detail17trampoline_kernelINS0_14default_configENS1_20scan_config_selectorIN3c107complexIdEEEEZZNS1_9scan_implILNS1_25lookback_scan_determinismE0ELb0ELb0ES3_PKS7_PS7_S7_ZZZN2at6native31launch_logcumsumexp_cuda_kernelERKNSE_10TensorBaseESI_lENKUlvE_clEvENKUlvE1_clEvEUlS7_S7_E_S7_EEDaPvRmT3_T4_T5_mT6_P12ihipStream_tbENKUlT_T0_E_clISt17integral_constantIbLb1EESY_IbLb0EEEEDaSU_SV_EUlSU_E0_NS1_11comp_targetILNS1_3genE9ELNS1_11target_archE1100ELNS1_3gpuE3ELNS1_3repE0EEENS1_30default_config_static_selectorELNS0_4arch9wavefront6targetE0EEEvT1_
; %bb.0:
	.section	.rodata,"a",@progbits
	.p2align	6, 0x0
	.amdhsa_kernel _ZN7rocprim17ROCPRIM_400000_NS6detail17trampoline_kernelINS0_14default_configENS1_20scan_config_selectorIN3c107complexIdEEEEZZNS1_9scan_implILNS1_25lookback_scan_determinismE0ELb0ELb0ES3_PKS7_PS7_S7_ZZZN2at6native31launch_logcumsumexp_cuda_kernelERKNSE_10TensorBaseESI_lENKUlvE_clEvENKUlvE1_clEvEUlS7_S7_E_S7_EEDaPvRmT3_T4_T5_mT6_P12ihipStream_tbENKUlT_T0_E_clISt17integral_constantIbLb1EESY_IbLb0EEEEDaSU_SV_EUlSU_E0_NS1_11comp_targetILNS1_3genE9ELNS1_11target_archE1100ELNS1_3gpuE3ELNS1_3repE0EEENS1_30default_config_static_selectorELNS0_4arch9wavefront6targetE0EEEvT1_
		.amdhsa_group_segment_fixed_size 0
		.amdhsa_private_segment_fixed_size 0
		.amdhsa_kernarg_size 48
		.amdhsa_user_sgpr_count 6
		.amdhsa_user_sgpr_private_segment_buffer 1
		.amdhsa_user_sgpr_dispatch_ptr 0
		.amdhsa_user_sgpr_queue_ptr 0
		.amdhsa_user_sgpr_kernarg_segment_ptr 1
		.amdhsa_user_sgpr_dispatch_id 0
		.amdhsa_user_sgpr_flat_scratch_init 0
		.amdhsa_user_sgpr_private_segment_size 0
		.amdhsa_wavefront_size32 1
		.amdhsa_uses_dynamic_stack 0
		.amdhsa_system_sgpr_private_segment_wavefront_offset 0
		.amdhsa_system_sgpr_workgroup_id_x 1
		.amdhsa_system_sgpr_workgroup_id_y 0
		.amdhsa_system_sgpr_workgroup_id_z 0
		.amdhsa_system_sgpr_workgroup_info 0
		.amdhsa_system_vgpr_workitem_id 0
		.amdhsa_next_free_vgpr 1
		.amdhsa_next_free_sgpr 1
		.amdhsa_reserve_vcc 0
		.amdhsa_reserve_flat_scratch 0
		.amdhsa_float_round_mode_32 0
		.amdhsa_float_round_mode_16_64 0
		.amdhsa_float_denorm_mode_32 3
		.amdhsa_float_denorm_mode_16_64 3
		.amdhsa_dx10_clamp 1
		.amdhsa_ieee_mode 1
		.amdhsa_fp16_overflow 0
		.amdhsa_workgroup_processor_mode 1
		.amdhsa_memory_ordered 1
		.amdhsa_forward_progress 1
		.amdhsa_shared_vgpr_count 0
		.amdhsa_exception_fp_ieee_invalid_op 0
		.amdhsa_exception_fp_denorm_src 0
		.amdhsa_exception_fp_ieee_div_zero 0
		.amdhsa_exception_fp_ieee_overflow 0
		.amdhsa_exception_fp_ieee_underflow 0
		.amdhsa_exception_fp_ieee_inexact 0
		.amdhsa_exception_int_div_zero 0
	.end_amdhsa_kernel
	.section	.text._ZN7rocprim17ROCPRIM_400000_NS6detail17trampoline_kernelINS0_14default_configENS1_20scan_config_selectorIN3c107complexIdEEEEZZNS1_9scan_implILNS1_25lookback_scan_determinismE0ELb0ELb0ES3_PKS7_PS7_S7_ZZZN2at6native31launch_logcumsumexp_cuda_kernelERKNSE_10TensorBaseESI_lENKUlvE_clEvENKUlvE1_clEvEUlS7_S7_E_S7_EEDaPvRmT3_T4_T5_mT6_P12ihipStream_tbENKUlT_T0_E_clISt17integral_constantIbLb1EESY_IbLb0EEEEDaSU_SV_EUlSU_E0_NS1_11comp_targetILNS1_3genE9ELNS1_11target_archE1100ELNS1_3gpuE3ELNS1_3repE0EEENS1_30default_config_static_selectorELNS0_4arch9wavefront6targetE0EEEvT1_,"axG",@progbits,_ZN7rocprim17ROCPRIM_400000_NS6detail17trampoline_kernelINS0_14default_configENS1_20scan_config_selectorIN3c107complexIdEEEEZZNS1_9scan_implILNS1_25lookback_scan_determinismE0ELb0ELb0ES3_PKS7_PS7_S7_ZZZN2at6native31launch_logcumsumexp_cuda_kernelERKNSE_10TensorBaseESI_lENKUlvE_clEvENKUlvE1_clEvEUlS7_S7_E_S7_EEDaPvRmT3_T4_T5_mT6_P12ihipStream_tbENKUlT_T0_E_clISt17integral_constantIbLb1EESY_IbLb0EEEEDaSU_SV_EUlSU_E0_NS1_11comp_targetILNS1_3genE9ELNS1_11target_archE1100ELNS1_3gpuE3ELNS1_3repE0EEENS1_30default_config_static_selectorELNS0_4arch9wavefront6targetE0EEEvT1_,comdat
.Lfunc_end238:
	.size	_ZN7rocprim17ROCPRIM_400000_NS6detail17trampoline_kernelINS0_14default_configENS1_20scan_config_selectorIN3c107complexIdEEEEZZNS1_9scan_implILNS1_25lookback_scan_determinismE0ELb0ELb0ES3_PKS7_PS7_S7_ZZZN2at6native31launch_logcumsumexp_cuda_kernelERKNSE_10TensorBaseESI_lENKUlvE_clEvENKUlvE1_clEvEUlS7_S7_E_S7_EEDaPvRmT3_T4_T5_mT6_P12ihipStream_tbENKUlT_T0_E_clISt17integral_constantIbLb1EESY_IbLb0EEEEDaSU_SV_EUlSU_E0_NS1_11comp_targetILNS1_3genE9ELNS1_11target_archE1100ELNS1_3gpuE3ELNS1_3repE0EEENS1_30default_config_static_selectorELNS0_4arch9wavefront6targetE0EEEvT1_, .Lfunc_end238-_ZN7rocprim17ROCPRIM_400000_NS6detail17trampoline_kernelINS0_14default_configENS1_20scan_config_selectorIN3c107complexIdEEEEZZNS1_9scan_implILNS1_25lookback_scan_determinismE0ELb0ELb0ES3_PKS7_PS7_S7_ZZZN2at6native31launch_logcumsumexp_cuda_kernelERKNSE_10TensorBaseESI_lENKUlvE_clEvENKUlvE1_clEvEUlS7_S7_E_S7_EEDaPvRmT3_T4_T5_mT6_P12ihipStream_tbENKUlT_T0_E_clISt17integral_constantIbLb1EESY_IbLb0EEEEDaSU_SV_EUlSU_E0_NS1_11comp_targetILNS1_3genE9ELNS1_11target_archE1100ELNS1_3gpuE3ELNS1_3repE0EEENS1_30default_config_static_selectorELNS0_4arch9wavefront6targetE0EEEvT1_
                                        ; -- End function
	.set _ZN7rocprim17ROCPRIM_400000_NS6detail17trampoline_kernelINS0_14default_configENS1_20scan_config_selectorIN3c107complexIdEEEEZZNS1_9scan_implILNS1_25lookback_scan_determinismE0ELb0ELb0ES3_PKS7_PS7_S7_ZZZN2at6native31launch_logcumsumexp_cuda_kernelERKNSE_10TensorBaseESI_lENKUlvE_clEvENKUlvE1_clEvEUlS7_S7_E_S7_EEDaPvRmT3_T4_T5_mT6_P12ihipStream_tbENKUlT_T0_E_clISt17integral_constantIbLb1EESY_IbLb0EEEEDaSU_SV_EUlSU_E0_NS1_11comp_targetILNS1_3genE9ELNS1_11target_archE1100ELNS1_3gpuE3ELNS1_3repE0EEENS1_30default_config_static_selectorELNS0_4arch9wavefront6targetE0EEEvT1_.num_vgpr, 0
	.set _ZN7rocprim17ROCPRIM_400000_NS6detail17trampoline_kernelINS0_14default_configENS1_20scan_config_selectorIN3c107complexIdEEEEZZNS1_9scan_implILNS1_25lookback_scan_determinismE0ELb0ELb0ES3_PKS7_PS7_S7_ZZZN2at6native31launch_logcumsumexp_cuda_kernelERKNSE_10TensorBaseESI_lENKUlvE_clEvENKUlvE1_clEvEUlS7_S7_E_S7_EEDaPvRmT3_T4_T5_mT6_P12ihipStream_tbENKUlT_T0_E_clISt17integral_constantIbLb1EESY_IbLb0EEEEDaSU_SV_EUlSU_E0_NS1_11comp_targetILNS1_3genE9ELNS1_11target_archE1100ELNS1_3gpuE3ELNS1_3repE0EEENS1_30default_config_static_selectorELNS0_4arch9wavefront6targetE0EEEvT1_.num_agpr, 0
	.set _ZN7rocprim17ROCPRIM_400000_NS6detail17trampoline_kernelINS0_14default_configENS1_20scan_config_selectorIN3c107complexIdEEEEZZNS1_9scan_implILNS1_25lookback_scan_determinismE0ELb0ELb0ES3_PKS7_PS7_S7_ZZZN2at6native31launch_logcumsumexp_cuda_kernelERKNSE_10TensorBaseESI_lENKUlvE_clEvENKUlvE1_clEvEUlS7_S7_E_S7_EEDaPvRmT3_T4_T5_mT6_P12ihipStream_tbENKUlT_T0_E_clISt17integral_constantIbLb1EESY_IbLb0EEEEDaSU_SV_EUlSU_E0_NS1_11comp_targetILNS1_3genE9ELNS1_11target_archE1100ELNS1_3gpuE3ELNS1_3repE0EEENS1_30default_config_static_selectorELNS0_4arch9wavefront6targetE0EEEvT1_.numbered_sgpr, 0
	.set _ZN7rocprim17ROCPRIM_400000_NS6detail17trampoline_kernelINS0_14default_configENS1_20scan_config_selectorIN3c107complexIdEEEEZZNS1_9scan_implILNS1_25lookback_scan_determinismE0ELb0ELb0ES3_PKS7_PS7_S7_ZZZN2at6native31launch_logcumsumexp_cuda_kernelERKNSE_10TensorBaseESI_lENKUlvE_clEvENKUlvE1_clEvEUlS7_S7_E_S7_EEDaPvRmT3_T4_T5_mT6_P12ihipStream_tbENKUlT_T0_E_clISt17integral_constantIbLb1EESY_IbLb0EEEEDaSU_SV_EUlSU_E0_NS1_11comp_targetILNS1_3genE9ELNS1_11target_archE1100ELNS1_3gpuE3ELNS1_3repE0EEENS1_30default_config_static_selectorELNS0_4arch9wavefront6targetE0EEEvT1_.num_named_barrier, 0
	.set _ZN7rocprim17ROCPRIM_400000_NS6detail17trampoline_kernelINS0_14default_configENS1_20scan_config_selectorIN3c107complexIdEEEEZZNS1_9scan_implILNS1_25lookback_scan_determinismE0ELb0ELb0ES3_PKS7_PS7_S7_ZZZN2at6native31launch_logcumsumexp_cuda_kernelERKNSE_10TensorBaseESI_lENKUlvE_clEvENKUlvE1_clEvEUlS7_S7_E_S7_EEDaPvRmT3_T4_T5_mT6_P12ihipStream_tbENKUlT_T0_E_clISt17integral_constantIbLb1EESY_IbLb0EEEEDaSU_SV_EUlSU_E0_NS1_11comp_targetILNS1_3genE9ELNS1_11target_archE1100ELNS1_3gpuE3ELNS1_3repE0EEENS1_30default_config_static_selectorELNS0_4arch9wavefront6targetE0EEEvT1_.private_seg_size, 0
	.set _ZN7rocprim17ROCPRIM_400000_NS6detail17trampoline_kernelINS0_14default_configENS1_20scan_config_selectorIN3c107complexIdEEEEZZNS1_9scan_implILNS1_25lookback_scan_determinismE0ELb0ELb0ES3_PKS7_PS7_S7_ZZZN2at6native31launch_logcumsumexp_cuda_kernelERKNSE_10TensorBaseESI_lENKUlvE_clEvENKUlvE1_clEvEUlS7_S7_E_S7_EEDaPvRmT3_T4_T5_mT6_P12ihipStream_tbENKUlT_T0_E_clISt17integral_constantIbLb1EESY_IbLb0EEEEDaSU_SV_EUlSU_E0_NS1_11comp_targetILNS1_3genE9ELNS1_11target_archE1100ELNS1_3gpuE3ELNS1_3repE0EEENS1_30default_config_static_selectorELNS0_4arch9wavefront6targetE0EEEvT1_.uses_vcc, 0
	.set _ZN7rocprim17ROCPRIM_400000_NS6detail17trampoline_kernelINS0_14default_configENS1_20scan_config_selectorIN3c107complexIdEEEEZZNS1_9scan_implILNS1_25lookback_scan_determinismE0ELb0ELb0ES3_PKS7_PS7_S7_ZZZN2at6native31launch_logcumsumexp_cuda_kernelERKNSE_10TensorBaseESI_lENKUlvE_clEvENKUlvE1_clEvEUlS7_S7_E_S7_EEDaPvRmT3_T4_T5_mT6_P12ihipStream_tbENKUlT_T0_E_clISt17integral_constantIbLb1EESY_IbLb0EEEEDaSU_SV_EUlSU_E0_NS1_11comp_targetILNS1_3genE9ELNS1_11target_archE1100ELNS1_3gpuE3ELNS1_3repE0EEENS1_30default_config_static_selectorELNS0_4arch9wavefront6targetE0EEEvT1_.uses_flat_scratch, 0
	.set _ZN7rocprim17ROCPRIM_400000_NS6detail17trampoline_kernelINS0_14default_configENS1_20scan_config_selectorIN3c107complexIdEEEEZZNS1_9scan_implILNS1_25lookback_scan_determinismE0ELb0ELb0ES3_PKS7_PS7_S7_ZZZN2at6native31launch_logcumsumexp_cuda_kernelERKNSE_10TensorBaseESI_lENKUlvE_clEvENKUlvE1_clEvEUlS7_S7_E_S7_EEDaPvRmT3_T4_T5_mT6_P12ihipStream_tbENKUlT_T0_E_clISt17integral_constantIbLb1EESY_IbLb0EEEEDaSU_SV_EUlSU_E0_NS1_11comp_targetILNS1_3genE9ELNS1_11target_archE1100ELNS1_3gpuE3ELNS1_3repE0EEENS1_30default_config_static_selectorELNS0_4arch9wavefront6targetE0EEEvT1_.has_dyn_sized_stack, 0
	.set _ZN7rocprim17ROCPRIM_400000_NS6detail17trampoline_kernelINS0_14default_configENS1_20scan_config_selectorIN3c107complexIdEEEEZZNS1_9scan_implILNS1_25lookback_scan_determinismE0ELb0ELb0ES3_PKS7_PS7_S7_ZZZN2at6native31launch_logcumsumexp_cuda_kernelERKNSE_10TensorBaseESI_lENKUlvE_clEvENKUlvE1_clEvEUlS7_S7_E_S7_EEDaPvRmT3_T4_T5_mT6_P12ihipStream_tbENKUlT_T0_E_clISt17integral_constantIbLb1EESY_IbLb0EEEEDaSU_SV_EUlSU_E0_NS1_11comp_targetILNS1_3genE9ELNS1_11target_archE1100ELNS1_3gpuE3ELNS1_3repE0EEENS1_30default_config_static_selectorELNS0_4arch9wavefront6targetE0EEEvT1_.has_recursion, 0
	.set _ZN7rocprim17ROCPRIM_400000_NS6detail17trampoline_kernelINS0_14default_configENS1_20scan_config_selectorIN3c107complexIdEEEEZZNS1_9scan_implILNS1_25lookback_scan_determinismE0ELb0ELb0ES3_PKS7_PS7_S7_ZZZN2at6native31launch_logcumsumexp_cuda_kernelERKNSE_10TensorBaseESI_lENKUlvE_clEvENKUlvE1_clEvEUlS7_S7_E_S7_EEDaPvRmT3_T4_T5_mT6_P12ihipStream_tbENKUlT_T0_E_clISt17integral_constantIbLb1EESY_IbLb0EEEEDaSU_SV_EUlSU_E0_NS1_11comp_targetILNS1_3genE9ELNS1_11target_archE1100ELNS1_3gpuE3ELNS1_3repE0EEENS1_30default_config_static_selectorELNS0_4arch9wavefront6targetE0EEEvT1_.has_indirect_call, 0
	.section	.AMDGPU.csdata,"",@progbits
; Kernel info:
; codeLenInByte = 0
; TotalNumSgprs: 0
; NumVgprs: 0
; ScratchSize: 0
; MemoryBound: 0
; FloatMode: 240
; IeeeMode: 1
; LDSByteSize: 0 bytes/workgroup (compile time only)
; SGPRBlocks: 0
; VGPRBlocks: 0
; NumSGPRsForWavesPerEU: 1
; NumVGPRsForWavesPerEU: 1
; Occupancy: 16
; WaveLimiterHint : 0
; COMPUTE_PGM_RSRC2:SCRATCH_EN: 0
; COMPUTE_PGM_RSRC2:USER_SGPR: 6
; COMPUTE_PGM_RSRC2:TRAP_HANDLER: 0
; COMPUTE_PGM_RSRC2:TGID_X_EN: 1
; COMPUTE_PGM_RSRC2:TGID_Y_EN: 0
; COMPUTE_PGM_RSRC2:TGID_Z_EN: 0
; COMPUTE_PGM_RSRC2:TIDIG_COMP_CNT: 0
	.section	.text._ZN7rocprim17ROCPRIM_400000_NS6detail17trampoline_kernelINS0_14default_configENS1_20scan_config_selectorIN3c107complexIdEEEEZZNS1_9scan_implILNS1_25lookback_scan_determinismE0ELb0ELb0ES3_PKS7_PS7_S7_ZZZN2at6native31launch_logcumsumexp_cuda_kernelERKNSE_10TensorBaseESI_lENKUlvE_clEvENKUlvE1_clEvEUlS7_S7_E_S7_EEDaPvRmT3_T4_T5_mT6_P12ihipStream_tbENKUlT_T0_E_clISt17integral_constantIbLb1EESY_IbLb0EEEEDaSU_SV_EUlSU_E0_NS1_11comp_targetILNS1_3genE8ELNS1_11target_archE1030ELNS1_3gpuE2ELNS1_3repE0EEENS1_30default_config_static_selectorELNS0_4arch9wavefront6targetE0EEEvT1_,"axG",@progbits,_ZN7rocprim17ROCPRIM_400000_NS6detail17trampoline_kernelINS0_14default_configENS1_20scan_config_selectorIN3c107complexIdEEEEZZNS1_9scan_implILNS1_25lookback_scan_determinismE0ELb0ELb0ES3_PKS7_PS7_S7_ZZZN2at6native31launch_logcumsumexp_cuda_kernelERKNSE_10TensorBaseESI_lENKUlvE_clEvENKUlvE1_clEvEUlS7_S7_E_S7_EEDaPvRmT3_T4_T5_mT6_P12ihipStream_tbENKUlT_T0_E_clISt17integral_constantIbLb1EESY_IbLb0EEEEDaSU_SV_EUlSU_E0_NS1_11comp_targetILNS1_3genE8ELNS1_11target_archE1030ELNS1_3gpuE2ELNS1_3repE0EEENS1_30default_config_static_selectorELNS0_4arch9wavefront6targetE0EEEvT1_,comdat
	.globl	_ZN7rocprim17ROCPRIM_400000_NS6detail17trampoline_kernelINS0_14default_configENS1_20scan_config_selectorIN3c107complexIdEEEEZZNS1_9scan_implILNS1_25lookback_scan_determinismE0ELb0ELb0ES3_PKS7_PS7_S7_ZZZN2at6native31launch_logcumsumexp_cuda_kernelERKNSE_10TensorBaseESI_lENKUlvE_clEvENKUlvE1_clEvEUlS7_S7_E_S7_EEDaPvRmT3_T4_T5_mT6_P12ihipStream_tbENKUlT_T0_E_clISt17integral_constantIbLb1EESY_IbLb0EEEEDaSU_SV_EUlSU_E0_NS1_11comp_targetILNS1_3genE8ELNS1_11target_archE1030ELNS1_3gpuE2ELNS1_3repE0EEENS1_30default_config_static_selectorELNS0_4arch9wavefront6targetE0EEEvT1_ ; -- Begin function _ZN7rocprim17ROCPRIM_400000_NS6detail17trampoline_kernelINS0_14default_configENS1_20scan_config_selectorIN3c107complexIdEEEEZZNS1_9scan_implILNS1_25lookback_scan_determinismE0ELb0ELb0ES3_PKS7_PS7_S7_ZZZN2at6native31launch_logcumsumexp_cuda_kernelERKNSE_10TensorBaseESI_lENKUlvE_clEvENKUlvE1_clEvEUlS7_S7_E_S7_EEDaPvRmT3_T4_T5_mT6_P12ihipStream_tbENKUlT_T0_E_clISt17integral_constantIbLb1EESY_IbLb0EEEEDaSU_SV_EUlSU_E0_NS1_11comp_targetILNS1_3genE8ELNS1_11target_archE1030ELNS1_3gpuE2ELNS1_3repE0EEENS1_30default_config_static_selectorELNS0_4arch9wavefront6targetE0EEEvT1_
	.p2align	8
	.type	_ZN7rocprim17ROCPRIM_400000_NS6detail17trampoline_kernelINS0_14default_configENS1_20scan_config_selectorIN3c107complexIdEEEEZZNS1_9scan_implILNS1_25lookback_scan_determinismE0ELb0ELb0ES3_PKS7_PS7_S7_ZZZN2at6native31launch_logcumsumexp_cuda_kernelERKNSE_10TensorBaseESI_lENKUlvE_clEvENKUlvE1_clEvEUlS7_S7_E_S7_EEDaPvRmT3_T4_T5_mT6_P12ihipStream_tbENKUlT_T0_E_clISt17integral_constantIbLb1EESY_IbLb0EEEEDaSU_SV_EUlSU_E0_NS1_11comp_targetILNS1_3genE8ELNS1_11target_archE1030ELNS1_3gpuE2ELNS1_3repE0EEENS1_30default_config_static_selectorELNS0_4arch9wavefront6targetE0EEEvT1_,@function
_ZN7rocprim17ROCPRIM_400000_NS6detail17trampoline_kernelINS0_14default_configENS1_20scan_config_selectorIN3c107complexIdEEEEZZNS1_9scan_implILNS1_25lookback_scan_determinismE0ELb0ELb0ES3_PKS7_PS7_S7_ZZZN2at6native31launch_logcumsumexp_cuda_kernelERKNSE_10TensorBaseESI_lENKUlvE_clEvENKUlvE1_clEvEUlS7_S7_E_S7_EEDaPvRmT3_T4_T5_mT6_P12ihipStream_tbENKUlT_T0_E_clISt17integral_constantIbLb1EESY_IbLb0EEEEDaSU_SV_EUlSU_E0_NS1_11comp_targetILNS1_3genE8ELNS1_11target_archE1030ELNS1_3gpuE2ELNS1_3repE0EEENS1_30default_config_static_selectorELNS0_4arch9wavefront6targetE0EEEvT1_: ; @_ZN7rocprim17ROCPRIM_400000_NS6detail17trampoline_kernelINS0_14default_configENS1_20scan_config_selectorIN3c107complexIdEEEEZZNS1_9scan_implILNS1_25lookback_scan_determinismE0ELb0ELb0ES3_PKS7_PS7_S7_ZZZN2at6native31launch_logcumsumexp_cuda_kernelERKNSE_10TensorBaseESI_lENKUlvE_clEvENKUlvE1_clEvEUlS7_S7_E_S7_EEDaPvRmT3_T4_T5_mT6_P12ihipStream_tbENKUlT_T0_E_clISt17integral_constantIbLb1EESY_IbLb0EEEEDaSU_SV_EUlSU_E0_NS1_11comp_targetILNS1_3genE8ELNS1_11target_archE1030ELNS1_3gpuE2ELNS1_3repE0EEENS1_30default_config_static_selectorELNS0_4arch9wavefront6targetE0EEEvT1_
; %bb.0:
	s_load_dwordx4 s[8:11], s[4:5], 0x0
	v_mov_b32_e32 v72, v0
	s_add_u32 s0, s0, s7
	s_addc_u32 s1, s1, 0
	s_mov_b32 s32, 0
	v_lshlrev_b32_e32 v73, 4, v72
	s_waitcnt lgkmcnt(0)
	s_load_dwordx4 s[12:15], s[8:9], 0x0
	v_cmp_gt_u32_e64 s27, s10, v72
	s_waitcnt lgkmcnt(0)
	v_mov_b32_e32 v2, s14
	v_mov_b32_e32 v0, s12
	v_mov_b32_e32 v3, s15
	v_mov_b32_e32 v1, s13
	s_and_saveexec_b32 s6, s27
	s_cbranch_execz .LBB239_2
; %bb.1:
	global_load_dwordx4 v[0:3], v73, s[8:9]
.LBB239_2:
	s_or_b32 exec_lo, exec_lo, s6
	v_or_b32_e32 v8, 0x100, v72
	v_mov_b32_e32 v6, s14
	v_mov_b32_e32 v4, s12
	;; [unrolled: 1-line block ×4, first 2 shown]
	v_cmp_gt_u32_e64 s33, s10, v8
	s_and_saveexec_b32 s6, s33
	s_cbranch_execz .LBB239_4
; %bb.3:
	v_lshlrev_b32_e32 v4, 4, v8
	global_load_dwordx4 v[4:7], v4, s[8:9]
.LBB239_4:
	s_or_b32 exec_lo, exec_lo, s6
	v_lshrrev_b32_e32 v9, 1, v72
	v_lshrrev_b32_e32 v8, 1, v8
	v_and_b32_e32 v10, 0xf0, v72
	v_lshlrev_b32_e32 v11, 5, v72
	s_load_dwordx2 s[34:35], s[4:5], 0x28
	v_and_b32_e32 v9, 0x70, v9
	v_and_b32_e32 v8, 0xf0, v8
	s_getpc_b64 s[36:37]
	s_add_u32 s36, s36, _ZZZZN2at6native31launch_logcumsumexp_cuda_kernelERKNS_10TensorBaseES3_lENKUlvE_clEvENKUlvE1_clEvENKUlN3c107complexIdEES8_E_clES8_S8_@rel32@lo+4
	s_addc_u32 s37, s37, _ZZZZN2at6native31launch_logcumsumexp_cuda_kernelERKNS_10TensorBaseES3_lENKUlvE_clEvENKUlvE1_clEvENKUlN3c107complexIdEES8_E_clES8_S8_@rel32@hi+12
	v_add_nc_u32_e32 v76, v10, v11
	v_add_nc_u32_e32 v74, v9, v73
	v_add_nc_u32_e32 v75, v8, v73
	s_waitcnt vmcnt(0)
	ds_write_b128 v74, v[0:3]
	ds_write_b128 v75, v[4:7] offset:4096
	s_waitcnt lgkmcnt(0)
	s_barrier
	buffer_gl0_inv
	ds_read_b128 v[40:43], v76
	ds_read_b128 v[44:47], v76 offset:16
	s_waitcnt lgkmcnt(0)
	s_barrier
	buffer_gl0_inv
	v_mov_b32_e32 v0, v40
	v_mov_b32_e32 v1, v41
	;; [unrolled: 1-line block ×8, first 2 shown]
	s_swappc_b64 s[30:31], s[36:37]
	v_mov_b32_e32 v56, v0
	v_mov_b32_e32 v57, v1
	;; [unrolled: 1-line block ×4, first 2 shown]
	s_mov_b32 s38, exec_lo
	ds_write_b128 v74, v[56:59]
	s_waitcnt lgkmcnt(0)
	s_waitcnt_vscnt null, 0x0
	s_barrier
	buffer_gl0_inv
	v_cmpx_gt_u32_e32 32, v72
	s_cbranch_execz .LBB239_16
; %bb.5:
	v_lshlrev_b32_e32 v0, 2, v72
	v_lshlrev_b32_e32 v1, 7, v72
	v_and_b32_e32 v0, 0x3f0, v0
	v_add_nc_u32_e32 v77, v0, v1
	ds_read_b128 v[60:63], v77
	ds_read_b128 v[4:7], v77 offset:16
	s_waitcnt lgkmcnt(1)
	v_mov_b32_e32 v0, v60
	v_mov_b32_e32 v1, v61
	;; [unrolled: 1-line block ×4, first 2 shown]
	s_swappc_b64 s[30:31], s[36:37]
	ds_read_b128 v[4:7], v77 offset:32
	s_swappc_b64 s[30:31], s[36:37]
	ds_read_b128 v[4:7], v77 offset:48
	;; [unrolled: 2-line block ×6, first 2 shown]
	s_swappc_b64 s[30:31], s[36:37]
	v_mov_b32_e32 v4, v0
	v_mov_b32_e32 v5, v1
	;; [unrolled: 1-line block ×4, first 2 shown]
	v_mbcnt_lo_u32_b32 v78, -1, 0
	v_mov_b32_dpp v0, v4 row_shr:1 row_mask:0xf bank_mask:0xf
	v_mov_b32_dpp v1, v5 row_shr:1 row_mask:0xf bank_mask:0xf
	v_mov_b32_dpp v2, v6 row_shr:1 row_mask:0xf bank_mask:0xf
	v_mov_b32_dpp v3, v7 row_shr:1 row_mask:0xf bank_mask:0xf
	v_and_b32_e32 v79, 15, v78
	s_mov_b32 s36, exec_lo
	v_cmpx_ne_u32_e32 0, v79
	s_cbranch_execz .LBB239_7
; %bb.6:
	s_getpc_b64 s[4:5]
	s_add_u32 s4, s4, _ZZZZN2at6native31launch_logcumsumexp_cuda_kernelERKNS_10TensorBaseES3_lENKUlvE_clEvENKUlvE1_clEvENKUlN3c107complexIdEES8_E_clES8_S8_@rel32@lo+4
	s_addc_u32 s5, s5, _ZZZZN2at6native31launch_logcumsumexp_cuda_kernelERKNS_10TensorBaseES3_lENKUlvE_clEvENKUlvE1_clEvENKUlN3c107complexIdEES8_E_clES8_S8_@rel32@hi+12
	s_swappc_b64 s[30:31], s[4:5]
	v_mov_b32_e32 v4, v0
	v_mov_b32_e32 v5, v1
	v_mov_b32_e32 v6, v2
	v_mov_b32_e32 v7, v3
.LBB239_7:
	s_or_b32 exec_lo, exec_lo, s36
	v_mov_b32_dpp v0, v4 row_shr:2 row_mask:0xf bank_mask:0xf
	v_mov_b32_dpp v1, v5 row_shr:2 row_mask:0xf bank_mask:0xf
	v_mov_b32_dpp v2, v6 row_shr:2 row_mask:0xf bank_mask:0xf
	v_mov_b32_dpp v3, v7 row_shr:2 row_mask:0xf bank_mask:0xf
	s_mov_b32 s36, exec_lo
	v_cmpx_lt_u32_e32 1, v79
	s_cbranch_execz .LBB239_9
; %bb.8:
	s_getpc_b64 s[4:5]
	s_add_u32 s4, s4, _ZZZZN2at6native31launch_logcumsumexp_cuda_kernelERKNS_10TensorBaseES3_lENKUlvE_clEvENKUlvE1_clEvENKUlN3c107complexIdEES8_E_clES8_S8_@rel32@lo+4
	s_addc_u32 s5, s5, _ZZZZN2at6native31launch_logcumsumexp_cuda_kernelERKNS_10TensorBaseES3_lENKUlvE_clEvENKUlvE1_clEvENKUlN3c107complexIdEES8_E_clES8_S8_@rel32@hi+12
	s_swappc_b64 s[30:31], s[4:5]
	v_mov_b32_e32 v4, v0
	v_mov_b32_e32 v5, v1
	v_mov_b32_e32 v6, v2
	v_mov_b32_e32 v7, v3
.LBB239_9:
	s_or_b32 exec_lo, exec_lo, s36
	v_mov_b32_dpp v0, v4 row_shr:4 row_mask:0xf bank_mask:0xf
	v_mov_b32_dpp v1, v5 row_shr:4 row_mask:0xf bank_mask:0xf
	v_mov_b32_dpp v2, v6 row_shr:4 row_mask:0xf bank_mask:0xf
	v_mov_b32_dpp v3, v7 row_shr:4 row_mask:0xf bank_mask:0xf
	s_mov_b32 s36, exec_lo
	v_cmpx_lt_u32_e32 3, v79
	;; [unrolled: 18-line block ×3, first 2 shown]
	s_cbranch_execz .LBB239_13
; %bb.12:
	s_getpc_b64 s[4:5]
	s_add_u32 s4, s4, _ZZZZN2at6native31launch_logcumsumexp_cuda_kernelERKNS_10TensorBaseES3_lENKUlvE_clEvENKUlvE1_clEvENKUlN3c107complexIdEES8_E_clES8_S8_@rel32@lo+4
	s_addc_u32 s5, s5, _ZZZZN2at6native31launch_logcumsumexp_cuda_kernelERKNS_10TensorBaseES3_lENKUlvE_clEvENKUlvE1_clEvENKUlN3c107complexIdEES8_E_clES8_S8_@rel32@hi+12
	s_swappc_b64 s[30:31], s[4:5]
	v_mov_b32_e32 v4, v0
	v_mov_b32_e32 v5, v1
	;; [unrolled: 1-line block ×4, first 2 shown]
.LBB239_13:
	s_or_b32 exec_lo, exec_lo, s36
	ds_swizzle_b32 v0, v4 offset:swizzle(BROADCAST,32,15)
	ds_swizzle_b32 v1, v5 offset:swizzle(BROADCAST,32,15)
	ds_swizzle_b32 v2, v6 offset:swizzle(BROADCAST,32,15)
	ds_swizzle_b32 v3, v7 offset:swizzle(BROADCAST,32,15)
	v_and_b32_e32 v8, 16, v78
	s_mov_b32 s36, exec_lo
	v_cmpx_ne_u32_e32 0, v8
	s_cbranch_execz .LBB239_15
; %bb.14:
	s_getpc_b64 s[4:5]
	s_add_u32 s4, s4, _ZZZZN2at6native31launch_logcumsumexp_cuda_kernelERKNS_10TensorBaseES3_lENKUlvE_clEvENKUlvE1_clEvENKUlN3c107complexIdEES8_E_clES8_S8_@rel32@lo+4
	s_addc_u32 s5, s5, _ZZZZN2at6native31launch_logcumsumexp_cuda_kernelERKNS_10TensorBaseES3_lENKUlvE_clEvENKUlvE1_clEvENKUlN3c107complexIdEES8_E_clES8_S8_@rel32@hi+12
	s_swappc_b64 s[30:31], s[4:5]
	v_mov_b32_e32 v4, v0
	v_mov_b32_e32 v5, v1
	;; [unrolled: 1-line block ×4, first 2 shown]
.LBB239_15:
	s_or_b32 exec_lo, exec_lo, s36
	s_waitcnt lgkmcnt(3)
	v_add_nc_u32_e32 v0, -1, v78
	s_getpc_b64 s[36:37]
	s_add_u32 s36, s36, _ZZZZN2at6native31launch_logcumsumexp_cuda_kernelERKNS_10TensorBaseES3_lENKUlvE_clEvENKUlvE1_clEvENKUlN3c107complexIdEES8_E_clES8_S8_@rel32@lo+4
	s_addc_u32 s37, s37, _ZZZZN2at6native31launch_logcumsumexp_cuda_kernelERKNS_10TensorBaseES3_lENKUlvE_clEvENKUlvE1_clEvENKUlN3c107complexIdEES8_E_clES8_S8_@rel32@hi+12
	v_cmp_gt_i32_e32 vcc_lo, 0, v0
	v_cndmask_b32_e32 v0, v0, v78, vcc_lo
	s_waitcnt lgkmcnt(0)
	v_lshlrev_b32_e32 v3, 2, v0
	ds_bpermute_b32 v0, v3, v4
	ds_bpermute_b32 v1, v3, v5
	;; [unrolled: 1-line block ×4, first 2 shown]
	v_mov_b32_e32 v4, v60
	v_mov_b32_e32 v5, v61
	;; [unrolled: 1-line block ×4, first 2 shown]
	s_swappc_b64 s[30:31], s[36:37]
	v_cmp_eq_u32_e32 vcc_lo, 0, v72
	; wave barrier
	v_cndmask_b32_e32 v3, v3, v59, vcc_lo
	v_cndmask_b32_e32 v2, v2, v58, vcc_lo
	;; [unrolled: 1-line block ×4, first 2 shown]
	ds_write_b128 v77, v[0:3]
	; wave barrier
	ds_read_b128 v[4:7], v77 offset:16
	s_swappc_b64 s[30:31], s[36:37]
	ds_read_b128 v[4:7], v77 offset:32
	ds_write_b128 v77, v[0:3] offset:16
	s_swappc_b64 s[30:31], s[36:37]
	ds_read_b128 v[4:7], v77 offset:48
	ds_write_b128 v77, v[0:3] offset:32
	;; [unrolled: 3-line block ×6, first 2 shown]
	s_swappc_b64 s[30:31], s[36:37]
	ds_write_b128 v77, v[0:3] offset:112
.LBB239_16:
	s_or_b32 exec_lo, exec_lo, s38
	s_mov_b32 s36, exec_lo
	s_waitcnt lgkmcnt(0)
	s_waitcnt_vscnt null, 0x0
	s_barrier
	buffer_gl0_inv
	v_cmpx_ne_u32_e32 0, v72
	s_cbranch_execz .LBB239_18
; %bb.17:
	v_add_nc_u32_e32 v0, -1, v72
	v_mov_b32_e32 v4, v40
	v_mov_b32_e32 v5, v41
	;; [unrolled: 1-line block ×4, first 2 shown]
	v_lshrrev_b32_e32 v1, 1, v0
	s_getpc_b64 s[38:39]
	s_add_u32 s38, s38, _ZZZZN2at6native31launch_logcumsumexp_cuda_kernelERKNS_10TensorBaseES3_lENKUlvE_clEvENKUlvE1_clEvENKUlN3c107complexIdEES8_E_clES8_S8_@rel32@lo+4
	s_addc_u32 s39, s39, _ZZZZN2at6native31launch_logcumsumexp_cuda_kernelERKNS_10TensorBaseES3_lENKUlvE_clEvENKUlvE1_clEvENKUlN3c107complexIdEES8_E_clES8_S8_@rel32@hi+12
	v_and_b32_e32 v1, 0x7ffffff0, v1
	v_lshl_add_u32 v0, v0, 4, v1
	ds_read_b128 v[0:3], v0
	s_swappc_b64 s[30:31], s[38:39]
	v_mov_b32_e32 v4, v44
	v_mov_b32_e32 v5, v45
	;; [unrolled: 1-line block ×8, first 2 shown]
	;;#ASMSTART
	;;#ASMEND
	s_swappc_b64 s[30:31], s[38:39]
	v_mov_b32_e32 v56, v0
	v_mov_b32_e32 v57, v1
	;; [unrolled: 1-line block ×4, first 2 shown]
.LBB239_18:
	s_or_b32 exec_lo, exec_lo, s36
	s_waitcnt_vscnt null, 0x0
	s_barrier
	buffer_gl0_inv
	ds_write_b128 v76, v[40:43]
	ds_write_b128 v76, v[56:59] offset:16
	s_waitcnt lgkmcnt(0)
	s_barrier
	buffer_gl0_inv
	ds_read_b128 v[0:3], v75 offset:4096
	v_add_co_u32 v4, s4, s34, v73
	v_add_co_ci_u32_e64 v5, null, s35, 0, s4
	s_and_saveexec_b32 s4, s27
	s_cbranch_execnz .LBB239_21
; %bb.19:
	s_or_b32 exec_lo, exec_lo, s4
	s_and_saveexec_b32 s4, s33
	s_cbranch_execnz .LBB239_22
.LBB239_20:
	s_endpgm
.LBB239_21:
	ds_read_b128 v[6:9], v74
	s_waitcnt lgkmcnt(0)
	global_store_dwordx4 v[4:5], v[6:9], off
	s_or_b32 exec_lo, exec_lo, s4
	s_and_saveexec_b32 s4, s33
	s_cbranch_execz .LBB239_20
.LBB239_22:
	v_add_co_u32 v4, vcc_lo, 0x1000, v4
	v_add_co_ci_u32_e64 v5, null, 0, v5, vcc_lo
	s_waitcnt lgkmcnt(0)
	global_store_dwordx4 v[4:5], v[0:3], off
	s_endpgm
	.section	.rodata,"a",@progbits
	.p2align	6, 0x0
	.amdhsa_kernel _ZN7rocprim17ROCPRIM_400000_NS6detail17trampoline_kernelINS0_14default_configENS1_20scan_config_selectorIN3c107complexIdEEEEZZNS1_9scan_implILNS1_25lookback_scan_determinismE0ELb0ELb0ES3_PKS7_PS7_S7_ZZZN2at6native31launch_logcumsumexp_cuda_kernelERKNSE_10TensorBaseESI_lENKUlvE_clEvENKUlvE1_clEvEUlS7_S7_E_S7_EEDaPvRmT3_T4_T5_mT6_P12ihipStream_tbENKUlT_T0_E_clISt17integral_constantIbLb1EESY_IbLb0EEEEDaSU_SV_EUlSU_E0_NS1_11comp_targetILNS1_3genE8ELNS1_11target_archE1030ELNS1_3gpuE2ELNS1_3repE0EEENS1_30default_config_static_selectorELNS0_4arch9wavefront6targetE0EEEvT1_
		.amdhsa_group_segment_fixed_size 8448
		.amdhsa_private_segment_fixed_size 0
		.amdhsa_kernarg_size 48
		.amdhsa_user_sgpr_count 6
		.amdhsa_user_sgpr_private_segment_buffer 1
		.amdhsa_user_sgpr_dispatch_ptr 0
		.amdhsa_user_sgpr_queue_ptr 0
		.amdhsa_user_sgpr_kernarg_segment_ptr 1
		.amdhsa_user_sgpr_dispatch_id 0
		.amdhsa_user_sgpr_flat_scratch_init 0
		.amdhsa_user_sgpr_private_segment_size 0
		.amdhsa_wavefront_size32 1
		.amdhsa_uses_dynamic_stack 0
		.amdhsa_system_sgpr_private_segment_wavefront_offset 0
		.amdhsa_system_sgpr_workgroup_id_x 1
		.amdhsa_system_sgpr_workgroup_id_y 0
		.amdhsa_system_sgpr_workgroup_id_z 0
		.amdhsa_system_sgpr_workgroup_info 0
		.amdhsa_system_vgpr_workitem_id 0
		.amdhsa_next_free_vgpr 86
		.amdhsa_next_free_sgpr 42
		.amdhsa_reserve_vcc 1
		.amdhsa_reserve_flat_scratch 0
		.amdhsa_float_round_mode_32 0
		.amdhsa_float_round_mode_16_64 0
		.amdhsa_float_denorm_mode_32 3
		.amdhsa_float_denorm_mode_16_64 3
		.amdhsa_dx10_clamp 1
		.amdhsa_ieee_mode 1
		.amdhsa_fp16_overflow 0
		.amdhsa_workgroup_processor_mode 1
		.amdhsa_memory_ordered 1
		.amdhsa_forward_progress 1
		.amdhsa_shared_vgpr_count 0
		.amdhsa_exception_fp_ieee_invalid_op 0
		.amdhsa_exception_fp_denorm_src 0
		.amdhsa_exception_fp_ieee_div_zero 0
		.amdhsa_exception_fp_ieee_overflow 0
		.amdhsa_exception_fp_ieee_underflow 0
		.amdhsa_exception_fp_ieee_inexact 0
		.amdhsa_exception_int_div_zero 0
	.end_amdhsa_kernel
	.section	.text._ZN7rocprim17ROCPRIM_400000_NS6detail17trampoline_kernelINS0_14default_configENS1_20scan_config_selectorIN3c107complexIdEEEEZZNS1_9scan_implILNS1_25lookback_scan_determinismE0ELb0ELb0ES3_PKS7_PS7_S7_ZZZN2at6native31launch_logcumsumexp_cuda_kernelERKNSE_10TensorBaseESI_lENKUlvE_clEvENKUlvE1_clEvEUlS7_S7_E_S7_EEDaPvRmT3_T4_T5_mT6_P12ihipStream_tbENKUlT_T0_E_clISt17integral_constantIbLb1EESY_IbLb0EEEEDaSU_SV_EUlSU_E0_NS1_11comp_targetILNS1_3genE8ELNS1_11target_archE1030ELNS1_3gpuE2ELNS1_3repE0EEENS1_30default_config_static_selectorELNS0_4arch9wavefront6targetE0EEEvT1_,"axG",@progbits,_ZN7rocprim17ROCPRIM_400000_NS6detail17trampoline_kernelINS0_14default_configENS1_20scan_config_selectorIN3c107complexIdEEEEZZNS1_9scan_implILNS1_25lookback_scan_determinismE0ELb0ELb0ES3_PKS7_PS7_S7_ZZZN2at6native31launch_logcumsumexp_cuda_kernelERKNSE_10TensorBaseESI_lENKUlvE_clEvENKUlvE1_clEvEUlS7_S7_E_S7_EEDaPvRmT3_T4_T5_mT6_P12ihipStream_tbENKUlT_T0_E_clISt17integral_constantIbLb1EESY_IbLb0EEEEDaSU_SV_EUlSU_E0_NS1_11comp_targetILNS1_3genE8ELNS1_11target_archE1030ELNS1_3gpuE2ELNS1_3repE0EEENS1_30default_config_static_selectorELNS0_4arch9wavefront6targetE0EEEvT1_,comdat
.Lfunc_end239:
	.size	_ZN7rocprim17ROCPRIM_400000_NS6detail17trampoline_kernelINS0_14default_configENS1_20scan_config_selectorIN3c107complexIdEEEEZZNS1_9scan_implILNS1_25lookback_scan_determinismE0ELb0ELb0ES3_PKS7_PS7_S7_ZZZN2at6native31launch_logcumsumexp_cuda_kernelERKNSE_10TensorBaseESI_lENKUlvE_clEvENKUlvE1_clEvEUlS7_S7_E_S7_EEDaPvRmT3_T4_T5_mT6_P12ihipStream_tbENKUlT_T0_E_clISt17integral_constantIbLb1EESY_IbLb0EEEEDaSU_SV_EUlSU_E0_NS1_11comp_targetILNS1_3genE8ELNS1_11target_archE1030ELNS1_3gpuE2ELNS1_3repE0EEENS1_30default_config_static_selectorELNS0_4arch9wavefront6targetE0EEEvT1_, .Lfunc_end239-_ZN7rocprim17ROCPRIM_400000_NS6detail17trampoline_kernelINS0_14default_configENS1_20scan_config_selectorIN3c107complexIdEEEEZZNS1_9scan_implILNS1_25lookback_scan_determinismE0ELb0ELb0ES3_PKS7_PS7_S7_ZZZN2at6native31launch_logcumsumexp_cuda_kernelERKNSE_10TensorBaseESI_lENKUlvE_clEvENKUlvE1_clEvEUlS7_S7_E_S7_EEDaPvRmT3_T4_T5_mT6_P12ihipStream_tbENKUlT_T0_E_clISt17integral_constantIbLb1EESY_IbLb0EEEEDaSU_SV_EUlSU_E0_NS1_11comp_targetILNS1_3genE8ELNS1_11target_archE1030ELNS1_3gpuE2ELNS1_3repE0EEENS1_30default_config_static_selectorELNS0_4arch9wavefront6targetE0EEEvT1_
                                        ; -- End function
	.set _ZN7rocprim17ROCPRIM_400000_NS6detail17trampoline_kernelINS0_14default_configENS1_20scan_config_selectorIN3c107complexIdEEEEZZNS1_9scan_implILNS1_25lookback_scan_determinismE0ELb0ELb0ES3_PKS7_PS7_S7_ZZZN2at6native31launch_logcumsumexp_cuda_kernelERKNSE_10TensorBaseESI_lENKUlvE_clEvENKUlvE1_clEvEUlS7_S7_E_S7_EEDaPvRmT3_T4_T5_mT6_P12ihipStream_tbENKUlT_T0_E_clISt17integral_constantIbLb1EESY_IbLb0EEEEDaSU_SV_EUlSU_E0_NS1_11comp_targetILNS1_3genE8ELNS1_11target_archE1030ELNS1_3gpuE2ELNS1_3repE0EEENS1_30default_config_static_selectorELNS0_4arch9wavefront6targetE0EEEvT1_.num_vgpr, max(80, .L_ZZZZN2at6native31launch_logcumsumexp_cuda_kernelERKNS_10TensorBaseES3_lENKUlvE_clEvENKUlvE1_clEvENKUlN3c107complexIdEES8_E_clES8_S8_.num_vgpr)
	.set _ZN7rocprim17ROCPRIM_400000_NS6detail17trampoline_kernelINS0_14default_configENS1_20scan_config_selectorIN3c107complexIdEEEEZZNS1_9scan_implILNS1_25lookback_scan_determinismE0ELb0ELb0ES3_PKS7_PS7_S7_ZZZN2at6native31launch_logcumsumexp_cuda_kernelERKNSE_10TensorBaseESI_lENKUlvE_clEvENKUlvE1_clEvEUlS7_S7_E_S7_EEDaPvRmT3_T4_T5_mT6_P12ihipStream_tbENKUlT_T0_E_clISt17integral_constantIbLb1EESY_IbLb0EEEEDaSU_SV_EUlSU_E0_NS1_11comp_targetILNS1_3genE8ELNS1_11target_archE1030ELNS1_3gpuE2ELNS1_3repE0EEENS1_30default_config_static_selectorELNS0_4arch9wavefront6targetE0EEEvT1_.num_agpr, max(0, .L_ZZZZN2at6native31launch_logcumsumexp_cuda_kernelERKNS_10TensorBaseES3_lENKUlvE_clEvENKUlvE1_clEvENKUlN3c107complexIdEES8_E_clES8_S8_.num_agpr)
	.set _ZN7rocprim17ROCPRIM_400000_NS6detail17trampoline_kernelINS0_14default_configENS1_20scan_config_selectorIN3c107complexIdEEEEZZNS1_9scan_implILNS1_25lookback_scan_determinismE0ELb0ELb0ES3_PKS7_PS7_S7_ZZZN2at6native31launch_logcumsumexp_cuda_kernelERKNSE_10TensorBaseESI_lENKUlvE_clEvENKUlvE1_clEvEUlS7_S7_E_S7_EEDaPvRmT3_T4_T5_mT6_P12ihipStream_tbENKUlT_T0_E_clISt17integral_constantIbLb1EESY_IbLb0EEEEDaSU_SV_EUlSU_E0_NS1_11comp_targetILNS1_3genE8ELNS1_11target_archE1030ELNS1_3gpuE2ELNS1_3repE0EEENS1_30default_config_static_selectorELNS0_4arch9wavefront6targetE0EEEvT1_.numbered_sgpr, max(40, .L_ZZZZN2at6native31launch_logcumsumexp_cuda_kernelERKNS_10TensorBaseES3_lENKUlvE_clEvENKUlvE1_clEvENKUlN3c107complexIdEES8_E_clES8_S8_.numbered_sgpr)
	.set _ZN7rocprim17ROCPRIM_400000_NS6detail17trampoline_kernelINS0_14default_configENS1_20scan_config_selectorIN3c107complexIdEEEEZZNS1_9scan_implILNS1_25lookback_scan_determinismE0ELb0ELb0ES3_PKS7_PS7_S7_ZZZN2at6native31launch_logcumsumexp_cuda_kernelERKNSE_10TensorBaseESI_lENKUlvE_clEvENKUlvE1_clEvEUlS7_S7_E_S7_EEDaPvRmT3_T4_T5_mT6_P12ihipStream_tbENKUlT_T0_E_clISt17integral_constantIbLb1EESY_IbLb0EEEEDaSU_SV_EUlSU_E0_NS1_11comp_targetILNS1_3genE8ELNS1_11target_archE1030ELNS1_3gpuE2ELNS1_3repE0EEENS1_30default_config_static_selectorELNS0_4arch9wavefront6targetE0EEEvT1_.num_named_barrier, max(0, .L_ZZZZN2at6native31launch_logcumsumexp_cuda_kernelERKNS_10TensorBaseES3_lENKUlvE_clEvENKUlvE1_clEvENKUlN3c107complexIdEES8_E_clES8_S8_.num_named_barrier)
	.set _ZN7rocprim17ROCPRIM_400000_NS6detail17trampoline_kernelINS0_14default_configENS1_20scan_config_selectorIN3c107complexIdEEEEZZNS1_9scan_implILNS1_25lookback_scan_determinismE0ELb0ELb0ES3_PKS7_PS7_S7_ZZZN2at6native31launch_logcumsumexp_cuda_kernelERKNSE_10TensorBaseESI_lENKUlvE_clEvENKUlvE1_clEvEUlS7_S7_E_S7_EEDaPvRmT3_T4_T5_mT6_P12ihipStream_tbENKUlT_T0_E_clISt17integral_constantIbLb1EESY_IbLb0EEEEDaSU_SV_EUlSU_E0_NS1_11comp_targetILNS1_3genE8ELNS1_11target_archE1030ELNS1_3gpuE2ELNS1_3repE0EEENS1_30default_config_static_selectorELNS0_4arch9wavefront6targetE0EEEvT1_.private_seg_size, 0+max(.L_ZZZZN2at6native31launch_logcumsumexp_cuda_kernelERKNS_10TensorBaseES3_lENKUlvE_clEvENKUlvE1_clEvENKUlN3c107complexIdEES8_E_clES8_S8_.private_seg_size)
	.set _ZN7rocprim17ROCPRIM_400000_NS6detail17trampoline_kernelINS0_14default_configENS1_20scan_config_selectorIN3c107complexIdEEEEZZNS1_9scan_implILNS1_25lookback_scan_determinismE0ELb0ELb0ES3_PKS7_PS7_S7_ZZZN2at6native31launch_logcumsumexp_cuda_kernelERKNSE_10TensorBaseESI_lENKUlvE_clEvENKUlvE1_clEvEUlS7_S7_E_S7_EEDaPvRmT3_T4_T5_mT6_P12ihipStream_tbENKUlT_T0_E_clISt17integral_constantIbLb1EESY_IbLb0EEEEDaSU_SV_EUlSU_E0_NS1_11comp_targetILNS1_3genE8ELNS1_11target_archE1030ELNS1_3gpuE2ELNS1_3repE0EEENS1_30default_config_static_selectorELNS0_4arch9wavefront6targetE0EEEvT1_.uses_vcc, or(1, .L_ZZZZN2at6native31launch_logcumsumexp_cuda_kernelERKNS_10TensorBaseES3_lENKUlvE_clEvENKUlvE1_clEvENKUlN3c107complexIdEES8_E_clES8_S8_.uses_vcc)
	.set _ZN7rocprim17ROCPRIM_400000_NS6detail17trampoline_kernelINS0_14default_configENS1_20scan_config_selectorIN3c107complexIdEEEEZZNS1_9scan_implILNS1_25lookback_scan_determinismE0ELb0ELb0ES3_PKS7_PS7_S7_ZZZN2at6native31launch_logcumsumexp_cuda_kernelERKNSE_10TensorBaseESI_lENKUlvE_clEvENKUlvE1_clEvEUlS7_S7_E_S7_EEDaPvRmT3_T4_T5_mT6_P12ihipStream_tbENKUlT_T0_E_clISt17integral_constantIbLb1EESY_IbLb0EEEEDaSU_SV_EUlSU_E0_NS1_11comp_targetILNS1_3genE8ELNS1_11target_archE1030ELNS1_3gpuE2ELNS1_3repE0EEENS1_30default_config_static_selectorELNS0_4arch9wavefront6targetE0EEEvT1_.uses_flat_scratch, or(0, .L_ZZZZN2at6native31launch_logcumsumexp_cuda_kernelERKNS_10TensorBaseES3_lENKUlvE_clEvENKUlvE1_clEvENKUlN3c107complexIdEES8_E_clES8_S8_.uses_flat_scratch)
	.set _ZN7rocprim17ROCPRIM_400000_NS6detail17trampoline_kernelINS0_14default_configENS1_20scan_config_selectorIN3c107complexIdEEEEZZNS1_9scan_implILNS1_25lookback_scan_determinismE0ELb0ELb0ES3_PKS7_PS7_S7_ZZZN2at6native31launch_logcumsumexp_cuda_kernelERKNSE_10TensorBaseESI_lENKUlvE_clEvENKUlvE1_clEvEUlS7_S7_E_S7_EEDaPvRmT3_T4_T5_mT6_P12ihipStream_tbENKUlT_T0_E_clISt17integral_constantIbLb1EESY_IbLb0EEEEDaSU_SV_EUlSU_E0_NS1_11comp_targetILNS1_3genE8ELNS1_11target_archE1030ELNS1_3gpuE2ELNS1_3repE0EEENS1_30default_config_static_selectorELNS0_4arch9wavefront6targetE0EEEvT1_.has_dyn_sized_stack, or(0, .L_ZZZZN2at6native31launch_logcumsumexp_cuda_kernelERKNS_10TensorBaseES3_lENKUlvE_clEvENKUlvE1_clEvENKUlN3c107complexIdEES8_E_clES8_S8_.has_dyn_sized_stack)
	.set _ZN7rocprim17ROCPRIM_400000_NS6detail17trampoline_kernelINS0_14default_configENS1_20scan_config_selectorIN3c107complexIdEEEEZZNS1_9scan_implILNS1_25lookback_scan_determinismE0ELb0ELb0ES3_PKS7_PS7_S7_ZZZN2at6native31launch_logcumsumexp_cuda_kernelERKNSE_10TensorBaseESI_lENKUlvE_clEvENKUlvE1_clEvEUlS7_S7_E_S7_EEDaPvRmT3_T4_T5_mT6_P12ihipStream_tbENKUlT_T0_E_clISt17integral_constantIbLb1EESY_IbLb0EEEEDaSU_SV_EUlSU_E0_NS1_11comp_targetILNS1_3genE8ELNS1_11target_archE1030ELNS1_3gpuE2ELNS1_3repE0EEENS1_30default_config_static_selectorELNS0_4arch9wavefront6targetE0EEEvT1_.has_recursion, or(0, .L_ZZZZN2at6native31launch_logcumsumexp_cuda_kernelERKNS_10TensorBaseES3_lENKUlvE_clEvENKUlvE1_clEvENKUlN3c107complexIdEES8_E_clES8_S8_.has_recursion)
	.set _ZN7rocprim17ROCPRIM_400000_NS6detail17trampoline_kernelINS0_14default_configENS1_20scan_config_selectorIN3c107complexIdEEEEZZNS1_9scan_implILNS1_25lookback_scan_determinismE0ELb0ELb0ES3_PKS7_PS7_S7_ZZZN2at6native31launch_logcumsumexp_cuda_kernelERKNSE_10TensorBaseESI_lENKUlvE_clEvENKUlvE1_clEvEUlS7_S7_E_S7_EEDaPvRmT3_T4_T5_mT6_P12ihipStream_tbENKUlT_T0_E_clISt17integral_constantIbLb1EESY_IbLb0EEEEDaSU_SV_EUlSU_E0_NS1_11comp_targetILNS1_3genE8ELNS1_11target_archE1030ELNS1_3gpuE2ELNS1_3repE0EEENS1_30default_config_static_selectorELNS0_4arch9wavefront6targetE0EEEvT1_.has_indirect_call, or(0, .L_ZZZZN2at6native31launch_logcumsumexp_cuda_kernelERKNS_10TensorBaseES3_lENKUlvE_clEvENKUlvE1_clEvENKUlN3c107complexIdEES8_E_clES8_S8_.has_indirect_call)
	.section	.AMDGPU.csdata,"",@progbits
; Kernel info:
; codeLenInByte = 1576
; TotalNumSgprs: 44
; NumVgprs: 86
; ScratchSize: 0
; MemoryBound: 1
; FloatMode: 240
; IeeeMode: 1
; LDSByteSize: 8448 bytes/workgroup (compile time only)
; SGPRBlocks: 0
; VGPRBlocks: 10
; NumSGPRsForWavesPerEU: 44
; NumVGPRsForWavesPerEU: 86
; Occupancy: 10
; WaveLimiterHint : 0
; COMPUTE_PGM_RSRC2:SCRATCH_EN: 0
; COMPUTE_PGM_RSRC2:USER_SGPR: 6
; COMPUTE_PGM_RSRC2:TRAP_HANDLER: 0
; COMPUTE_PGM_RSRC2:TGID_X_EN: 1
; COMPUTE_PGM_RSRC2:TGID_Y_EN: 0
; COMPUTE_PGM_RSRC2:TGID_Z_EN: 0
; COMPUTE_PGM_RSRC2:TIDIG_COMP_CNT: 0
	.section	.text._ZN7rocprim17ROCPRIM_400000_NS6detail31init_lookback_scan_state_kernelINS1_19lookback_scan_stateIN3c107complexIdEELb0ELb0EEENS1_16block_id_wrapperIjLb1EEEEEvT_jT0_jPNSA_10value_typeE,"axG",@progbits,_ZN7rocprim17ROCPRIM_400000_NS6detail31init_lookback_scan_state_kernelINS1_19lookback_scan_stateIN3c107complexIdEELb0ELb0EEENS1_16block_id_wrapperIjLb1EEEEEvT_jT0_jPNSA_10value_typeE,comdat
	.protected	_ZN7rocprim17ROCPRIM_400000_NS6detail31init_lookback_scan_state_kernelINS1_19lookback_scan_stateIN3c107complexIdEELb0ELb0EEENS1_16block_id_wrapperIjLb1EEEEEvT_jT0_jPNSA_10value_typeE ; -- Begin function _ZN7rocprim17ROCPRIM_400000_NS6detail31init_lookback_scan_state_kernelINS1_19lookback_scan_stateIN3c107complexIdEELb0ELb0EEENS1_16block_id_wrapperIjLb1EEEEEvT_jT0_jPNSA_10value_typeE
	.globl	_ZN7rocprim17ROCPRIM_400000_NS6detail31init_lookback_scan_state_kernelINS1_19lookback_scan_stateIN3c107complexIdEELb0ELb0EEENS1_16block_id_wrapperIjLb1EEEEEvT_jT0_jPNSA_10value_typeE
	.p2align	8
	.type	_ZN7rocprim17ROCPRIM_400000_NS6detail31init_lookback_scan_state_kernelINS1_19lookback_scan_stateIN3c107complexIdEELb0ELb0EEENS1_16block_id_wrapperIjLb1EEEEEvT_jT0_jPNSA_10value_typeE,@function
_ZN7rocprim17ROCPRIM_400000_NS6detail31init_lookback_scan_state_kernelINS1_19lookback_scan_stateIN3c107complexIdEELb0ELb0EEENS1_16block_id_wrapperIjLb1EEEEEvT_jT0_jPNSA_10value_typeE: ; @_ZN7rocprim17ROCPRIM_400000_NS6detail31init_lookback_scan_state_kernelINS1_19lookback_scan_stateIN3c107complexIdEELb0ELb0EEENS1_16block_id_wrapperIjLb1EEEEEvT_jT0_jPNSA_10value_typeE
; %bb.0:
	s_clause 0x3
	s_load_dword s0, s[4:5], 0x44
	s_load_dwordx2 s[10:11], s[4:5], 0x30
	s_load_dwordx2 s[8:9], s[4:5], 0x10
	s_load_dword s14, s[4:5], 0x18
	s_waitcnt lgkmcnt(0)
	s_and_b32 s0, s0, 0xffff
	s_cmp_eq_u64 s[10:11], 0
	v_mad_u64_u32 v[0:1], null, s6, s0, v[0:1]
	s_cbranch_scc1 .LBB240_6
; %bb.1:
	s_load_dword s0, s[4:5], 0x28
	s_mov_b32 s7, 0
	s_mov_b32 s15, exec_lo
	s_waitcnt lgkmcnt(0)
	s_cmp_lt_u32 s0, s14
	s_cselect_b32 s1, s0, 0
	v_cmpx_eq_u32_e64 s1, v0
	s_cbranch_execz .LBB240_5
; %bb.2:
	s_add_i32 s6, s0, 32
	s_load_dwordx4 s[0:3], s[4:5], 0x0
	v_mov_b32_e32 v1, s6
	s_add_u32 s12, s8, s6
	s_addc_u32 s13, s9, 0
	global_load_ubyte v2, v1, s[8:9] glc dlc
	v_mov_b32_e32 v1, 0
	s_waitcnt vmcnt(0)
	v_cmp_ne_u32_sdwa s17, v2, v1 src0_sel:WORD_0 src1_sel:DWORD
	v_readfirstlane_b32 s16, v2
	s_and_b32 vcc_lo, exec_lo, s17
	s_cbranch_vccnz .LBB240_4
.LBB240_3:                              ; =>This Inner Loop Header: Depth=1
	global_load_ubyte v2, v1, s[12:13] glc dlc
	s_waitcnt vmcnt(0)
	v_cmp_eq_u32_sdwa s17, v2, v1 src0_sel:WORD_0 src1_sel:DWORD
	v_readfirstlane_b32 s16, v2
	s_and_b32 vcc_lo, exec_lo, s17
	s_cbranch_vccnz .LBB240_3
.LBB240_4:
	s_and_b32 s12, 0xffff, s16
	v_mov_b32_e32 v5, 0
	s_cmp_eq_u32 s12, 1
	s_waitcnt lgkmcnt(0)
	buffer_gl1_inv
	buffer_gl0_inv
	s_cselect_b32 s3, s1, s3
	s_cselect_b32 s2, s0, s2
	s_lshl_b64 s[0:1], s[6:7], 4
	s_add_u32 s0, s2, s0
	s_addc_u32 s1, s3, s1
	global_load_dwordx4 v[1:4], v5, s[0:1]
	s_waitcnt vmcnt(0)
	global_store_dwordx4 v5, v[1:4], s[10:11]
.LBB240_5:
	s_or_b32 exec_lo, exec_lo, s15
.LBB240_6:
	s_mov_b32 s0, exec_lo
	v_cmpx_eq_u32_e32 0, v0
	s_cbranch_execz .LBB240_8
; %bb.7:
	s_load_dwordx2 s[2:3], s[4:5], 0x20
	v_mov_b32_e32 v1, 0
	s_waitcnt lgkmcnt(0)
	global_store_dword v1, v1, s[2:3]
.LBB240_8:
	s_or_b32 exec_lo, exec_lo, s0
	s_mov_b32 s0, exec_lo
	v_cmpx_gt_u32_e64 s14, v0
	s_cbranch_execz .LBB240_10
; %bb.9:
	v_add_nc_u32_e32 v1, 32, v0
	v_mov_b32_e32 v2, 0
	global_store_byte v1, v2, s[8:9]
.LBB240_10:
	s_or_b32 exec_lo, exec_lo, s0
	s_mov_b32 s0, exec_lo
	v_cmpx_gt_u32_e32 32, v0
	s_cbranch_execz .LBB240_12
; %bb.11:
	v_mov_b32_e32 v1, 0xff
	global_store_byte v0, v1, s[8:9]
.LBB240_12:
	s_endpgm
	.section	.rodata,"a",@progbits
	.p2align	6, 0x0
	.amdhsa_kernel _ZN7rocprim17ROCPRIM_400000_NS6detail31init_lookback_scan_state_kernelINS1_19lookback_scan_stateIN3c107complexIdEELb0ELb0EEENS1_16block_id_wrapperIjLb1EEEEEvT_jT0_jPNSA_10value_typeE
		.amdhsa_group_segment_fixed_size 0
		.amdhsa_private_segment_fixed_size 0
		.amdhsa_kernarg_size 312
		.amdhsa_user_sgpr_count 6
		.amdhsa_user_sgpr_private_segment_buffer 1
		.amdhsa_user_sgpr_dispatch_ptr 0
		.amdhsa_user_sgpr_queue_ptr 0
		.amdhsa_user_sgpr_kernarg_segment_ptr 1
		.amdhsa_user_sgpr_dispatch_id 0
		.amdhsa_user_sgpr_flat_scratch_init 0
		.amdhsa_user_sgpr_private_segment_size 0
		.amdhsa_wavefront_size32 1
		.amdhsa_uses_dynamic_stack 0
		.amdhsa_system_sgpr_private_segment_wavefront_offset 0
		.amdhsa_system_sgpr_workgroup_id_x 1
		.amdhsa_system_sgpr_workgroup_id_y 0
		.amdhsa_system_sgpr_workgroup_id_z 0
		.amdhsa_system_sgpr_workgroup_info 0
		.amdhsa_system_vgpr_workitem_id 0
		.amdhsa_next_free_vgpr 6
		.amdhsa_next_free_sgpr 18
		.amdhsa_reserve_vcc 1
		.amdhsa_reserve_flat_scratch 0
		.amdhsa_float_round_mode_32 0
		.amdhsa_float_round_mode_16_64 0
		.amdhsa_float_denorm_mode_32 3
		.amdhsa_float_denorm_mode_16_64 3
		.amdhsa_dx10_clamp 1
		.amdhsa_ieee_mode 1
		.amdhsa_fp16_overflow 0
		.amdhsa_workgroup_processor_mode 1
		.amdhsa_memory_ordered 1
		.amdhsa_forward_progress 1
		.amdhsa_shared_vgpr_count 0
		.amdhsa_exception_fp_ieee_invalid_op 0
		.amdhsa_exception_fp_denorm_src 0
		.amdhsa_exception_fp_ieee_div_zero 0
		.amdhsa_exception_fp_ieee_overflow 0
		.amdhsa_exception_fp_ieee_underflow 0
		.amdhsa_exception_fp_ieee_inexact 0
		.amdhsa_exception_int_div_zero 0
	.end_amdhsa_kernel
	.section	.text._ZN7rocprim17ROCPRIM_400000_NS6detail31init_lookback_scan_state_kernelINS1_19lookback_scan_stateIN3c107complexIdEELb0ELb0EEENS1_16block_id_wrapperIjLb1EEEEEvT_jT0_jPNSA_10value_typeE,"axG",@progbits,_ZN7rocprim17ROCPRIM_400000_NS6detail31init_lookback_scan_state_kernelINS1_19lookback_scan_stateIN3c107complexIdEELb0ELb0EEENS1_16block_id_wrapperIjLb1EEEEEvT_jT0_jPNSA_10value_typeE,comdat
.Lfunc_end240:
	.size	_ZN7rocprim17ROCPRIM_400000_NS6detail31init_lookback_scan_state_kernelINS1_19lookback_scan_stateIN3c107complexIdEELb0ELb0EEENS1_16block_id_wrapperIjLb1EEEEEvT_jT0_jPNSA_10value_typeE, .Lfunc_end240-_ZN7rocprim17ROCPRIM_400000_NS6detail31init_lookback_scan_state_kernelINS1_19lookback_scan_stateIN3c107complexIdEELb0ELb0EEENS1_16block_id_wrapperIjLb1EEEEEvT_jT0_jPNSA_10value_typeE
                                        ; -- End function
	.set _ZN7rocprim17ROCPRIM_400000_NS6detail31init_lookback_scan_state_kernelINS1_19lookback_scan_stateIN3c107complexIdEELb0ELb0EEENS1_16block_id_wrapperIjLb1EEEEEvT_jT0_jPNSA_10value_typeE.num_vgpr, 6
	.set _ZN7rocprim17ROCPRIM_400000_NS6detail31init_lookback_scan_state_kernelINS1_19lookback_scan_stateIN3c107complexIdEELb0ELb0EEENS1_16block_id_wrapperIjLb1EEEEEvT_jT0_jPNSA_10value_typeE.num_agpr, 0
	.set _ZN7rocprim17ROCPRIM_400000_NS6detail31init_lookback_scan_state_kernelINS1_19lookback_scan_stateIN3c107complexIdEELb0ELb0EEENS1_16block_id_wrapperIjLb1EEEEEvT_jT0_jPNSA_10value_typeE.numbered_sgpr, 18
	.set _ZN7rocprim17ROCPRIM_400000_NS6detail31init_lookback_scan_state_kernelINS1_19lookback_scan_stateIN3c107complexIdEELb0ELb0EEENS1_16block_id_wrapperIjLb1EEEEEvT_jT0_jPNSA_10value_typeE.num_named_barrier, 0
	.set _ZN7rocprim17ROCPRIM_400000_NS6detail31init_lookback_scan_state_kernelINS1_19lookback_scan_stateIN3c107complexIdEELb0ELb0EEENS1_16block_id_wrapperIjLb1EEEEEvT_jT0_jPNSA_10value_typeE.private_seg_size, 0
	.set _ZN7rocprim17ROCPRIM_400000_NS6detail31init_lookback_scan_state_kernelINS1_19lookback_scan_stateIN3c107complexIdEELb0ELb0EEENS1_16block_id_wrapperIjLb1EEEEEvT_jT0_jPNSA_10value_typeE.uses_vcc, 1
	.set _ZN7rocprim17ROCPRIM_400000_NS6detail31init_lookback_scan_state_kernelINS1_19lookback_scan_stateIN3c107complexIdEELb0ELb0EEENS1_16block_id_wrapperIjLb1EEEEEvT_jT0_jPNSA_10value_typeE.uses_flat_scratch, 0
	.set _ZN7rocprim17ROCPRIM_400000_NS6detail31init_lookback_scan_state_kernelINS1_19lookback_scan_stateIN3c107complexIdEELb0ELb0EEENS1_16block_id_wrapperIjLb1EEEEEvT_jT0_jPNSA_10value_typeE.has_dyn_sized_stack, 0
	.set _ZN7rocprim17ROCPRIM_400000_NS6detail31init_lookback_scan_state_kernelINS1_19lookback_scan_stateIN3c107complexIdEELb0ELb0EEENS1_16block_id_wrapperIjLb1EEEEEvT_jT0_jPNSA_10value_typeE.has_recursion, 0
	.set _ZN7rocprim17ROCPRIM_400000_NS6detail31init_lookback_scan_state_kernelINS1_19lookback_scan_stateIN3c107complexIdEELb0ELb0EEENS1_16block_id_wrapperIjLb1EEEEEvT_jT0_jPNSA_10value_typeE.has_indirect_call, 0
	.section	.AMDGPU.csdata,"",@progbits
; Kernel info:
; codeLenInByte = 384
; TotalNumSgprs: 20
; NumVgprs: 6
; ScratchSize: 0
; MemoryBound: 0
; FloatMode: 240
; IeeeMode: 1
; LDSByteSize: 0 bytes/workgroup (compile time only)
; SGPRBlocks: 0
; VGPRBlocks: 0
; NumSGPRsForWavesPerEU: 20
; NumVGPRsForWavesPerEU: 6
; Occupancy: 16
; WaveLimiterHint : 0
; COMPUTE_PGM_RSRC2:SCRATCH_EN: 0
; COMPUTE_PGM_RSRC2:USER_SGPR: 6
; COMPUTE_PGM_RSRC2:TRAP_HANDLER: 0
; COMPUTE_PGM_RSRC2:TGID_X_EN: 1
; COMPUTE_PGM_RSRC2:TGID_Y_EN: 0
; COMPUTE_PGM_RSRC2:TGID_Z_EN: 0
; COMPUTE_PGM_RSRC2:TIDIG_COMP_CNT: 0
	.section	.text._ZN7rocprim17ROCPRIM_400000_NS6detail17trampoline_kernelINS0_14default_configENS1_20scan_config_selectorIN3c107complexIdEEEEZZNS1_9scan_implILNS1_25lookback_scan_determinismE0ELb0ELb0ES3_PKS7_PS7_S7_ZZZN2at6native31launch_logcumsumexp_cuda_kernelERKNSE_10TensorBaseESI_lENKUlvE_clEvENKUlvE1_clEvEUlS7_S7_E_S7_EEDaPvRmT3_T4_T5_mT6_P12ihipStream_tbENKUlT_T0_E_clISt17integral_constantIbLb0EESY_IbLb1EEEEDaSU_SV_EUlSU_E_NS1_11comp_targetILNS1_3genE0ELNS1_11target_archE4294967295ELNS1_3gpuE0ELNS1_3repE0EEENS1_30default_config_static_selectorELNS0_4arch9wavefront6targetE0EEEvT1_,"axG",@progbits,_ZN7rocprim17ROCPRIM_400000_NS6detail17trampoline_kernelINS0_14default_configENS1_20scan_config_selectorIN3c107complexIdEEEEZZNS1_9scan_implILNS1_25lookback_scan_determinismE0ELb0ELb0ES3_PKS7_PS7_S7_ZZZN2at6native31launch_logcumsumexp_cuda_kernelERKNSE_10TensorBaseESI_lENKUlvE_clEvENKUlvE1_clEvEUlS7_S7_E_S7_EEDaPvRmT3_T4_T5_mT6_P12ihipStream_tbENKUlT_T0_E_clISt17integral_constantIbLb0EESY_IbLb1EEEEDaSU_SV_EUlSU_E_NS1_11comp_targetILNS1_3genE0ELNS1_11target_archE4294967295ELNS1_3gpuE0ELNS1_3repE0EEENS1_30default_config_static_selectorELNS0_4arch9wavefront6targetE0EEEvT1_,comdat
	.globl	_ZN7rocprim17ROCPRIM_400000_NS6detail17trampoline_kernelINS0_14default_configENS1_20scan_config_selectorIN3c107complexIdEEEEZZNS1_9scan_implILNS1_25lookback_scan_determinismE0ELb0ELb0ES3_PKS7_PS7_S7_ZZZN2at6native31launch_logcumsumexp_cuda_kernelERKNSE_10TensorBaseESI_lENKUlvE_clEvENKUlvE1_clEvEUlS7_S7_E_S7_EEDaPvRmT3_T4_T5_mT6_P12ihipStream_tbENKUlT_T0_E_clISt17integral_constantIbLb0EESY_IbLb1EEEEDaSU_SV_EUlSU_E_NS1_11comp_targetILNS1_3genE0ELNS1_11target_archE4294967295ELNS1_3gpuE0ELNS1_3repE0EEENS1_30default_config_static_selectorELNS0_4arch9wavefront6targetE0EEEvT1_ ; -- Begin function _ZN7rocprim17ROCPRIM_400000_NS6detail17trampoline_kernelINS0_14default_configENS1_20scan_config_selectorIN3c107complexIdEEEEZZNS1_9scan_implILNS1_25lookback_scan_determinismE0ELb0ELb0ES3_PKS7_PS7_S7_ZZZN2at6native31launch_logcumsumexp_cuda_kernelERKNSE_10TensorBaseESI_lENKUlvE_clEvENKUlvE1_clEvEUlS7_S7_E_S7_EEDaPvRmT3_T4_T5_mT6_P12ihipStream_tbENKUlT_T0_E_clISt17integral_constantIbLb0EESY_IbLb1EEEEDaSU_SV_EUlSU_E_NS1_11comp_targetILNS1_3genE0ELNS1_11target_archE4294967295ELNS1_3gpuE0ELNS1_3repE0EEENS1_30default_config_static_selectorELNS0_4arch9wavefront6targetE0EEEvT1_
	.p2align	8
	.type	_ZN7rocprim17ROCPRIM_400000_NS6detail17trampoline_kernelINS0_14default_configENS1_20scan_config_selectorIN3c107complexIdEEEEZZNS1_9scan_implILNS1_25lookback_scan_determinismE0ELb0ELb0ES3_PKS7_PS7_S7_ZZZN2at6native31launch_logcumsumexp_cuda_kernelERKNSE_10TensorBaseESI_lENKUlvE_clEvENKUlvE1_clEvEUlS7_S7_E_S7_EEDaPvRmT3_T4_T5_mT6_P12ihipStream_tbENKUlT_T0_E_clISt17integral_constantIbLb0EESY_IbLb1EEEEDaSU_SV_EUlSU_E_NS1_11comp_targetILNS1_3genE0ELNS1_11target_archE4294967295ELNS1_3gpuE0ELNS1_3repE0EEENS1_30default_config_static_selectorELNS0_4arch9wavefront6targetE0EEEvT1_,@function
_ZN7rocprim17ROCPRIM_400000_NS6detail17trampoline_kernelINS0_14default_configENS1_20scan_config_selectorIN3c107complexIdEEEEZZNS1_9scan_implILNS1_25lookback_scan_determinismE0ELb0ELb0ES3_PKS7_PS7_S7_ZZZN2at6native31launch_logcumsumexp_cuda_kernelERKNSE_10TensorBaseESI_lENKUlvE_clEvENKUlvE1_clEvEUlS7_S7_E_S7_EEDaPvRmT3_T4_T5_mT6_P12ihipStream_tbENKUlT_T0_E_clISt17integral_constantIbLb0EESY_IbLb1EEEEDaSU_SV_EUlSU_E_NS1_11comp_targetILNS1_3genE0ELNS1_11target_archE4294967295ELNS1_3gpuE0ELNS1_3repE0EEENS1_30default_config_static_selectorELNS0_4arch9wavefront6targetE0EEEvT1_: ; @_ZN7rocprim17ROCPRIM_400000_NS6detail17trampoline_kernelINS0_14default_configENS1_20scan_config_selectorIN3c107complexIdEEEEZZNS1_9scan_implILNS1_25lookback_scan_determinismE0ELb0ELb0ES3_PKS7_PS7_S7_ZZZN2at6native31launch_logcumsumexp_cuda_kernelERKNSE_10TensorBaseESI_lENKUlvE_clEvENKUlvE1_clEvEUlS7_S7_E_S7_EEDaPvRmT3_T4_T5_mT6_P12ihipStream_tbENKUlT_T0_E_clISt17integral_constantIbLb0EESY_IbLb1EEEEDaSU_SV_EUlSU_E_NS1_11comp_targetILNS1_3genE0ELNS1_11target_archE4294967295ELNS1_3gpuE0ELNS1_3repE0EEENS1_30default_config_static_selectorELNS0_4arch9wavefront6targetE0EEEvT1_
; %bb.0:
	.section	.rodata,"a",@progbits
	.p2align	6, 0x0
	.amdhsa_kernel _ZN7rocprim17ROCPRIM_400000_NS6detail17trampoline_kernelINS0_14default_configENS1_20scan_config_selectorIN3c107complexIdEEEEZZNS1_9scan_implILNS1_25lookback_scan_determinismE0ELb0ELb0ES3_PKS7_PS7_S7_ZZZN2at6native31launch_logcumsumexp_cuda_kernelERKNSE_10TensorBaseESI_lENKUlvE_clEvENKUlvE1_clEvEUlS7_S7_E_S7_EEDaPvRmT3_T4_T5_mT6_P12ihipStream_tbENKUlT_T0_E_clISt17integral_constantIbLb0EESY_IbLb1EEEEDaSU_SV_EUlSU_E_NS1_11comp_targetILNS1_3genE0ELNS1_11target_archE4294967295ELNS1_3gpuE0ELNS1_3repE0EEENS1_30default_config_static_selectorELNS0_4arch9wavefront6targetE0EEEvT1_
		.amdhsa_group_segment_fixed_size 0
		.amdhsa_private_segment_fixed_size 0
		.amdhsa_kernarg_size 128
		.amdhsa_user_sgpr_count 6
		.amdhsa_user_sgpr_private_segment_buffer 1
		.amdhsa_user_sgpr_dispatch_ptr 0
		.amdhsa_user_sgpr_queue_ptr 0
		.amdhsa_user_sgpr_kernarg_segment_ptr 1
		.amdhsa_user_sgpr_dispatch_id 0
		.amdhsa_user_sgpr_flat_scratch_init 0
		.amdhsa_user_sgpr_private_segment_size 0
		.amdhsa_wavefront_size32 1
		.amdhsa_uses_dynamic_stack 0
		.amdhsa_system_sgpr_private_segment_wavefront_offset 0
		.amdhsa_system_sgpr_workgroup_id_x 1
		.amdhsa_system_sgpr_workgroup_id_y 0
		.amdhsa_system_sgpr_workgroup_id_z 0
		.amdhsa_system_sgpr_workgroup_info 0
		.amdhsa_system_vgpr_workitem_id 0
		.amdhsa_next_free_vgpr 1
		.amdhsa_next_free_sgpr 1
		.amdhsa_reserve_vcc 0
		.amdhsa_reserve_flat_scratch 0
		.amdhsa_float_round_mode_32 0
		.amdhsa_float_round_mode_16_64 0
		.amdhsa_float_denorm_mode_32 3
		.amdhsa_float_denorm_mode_16_64 3
		.amdhsa_dx10_clamp 1
		.amdhsa_ieee_mode 1
		.amdhsa_fp16_overflow 0
		.amdhsa_workgroup_processor_mode 1
		.amdhsa_memory_ordered 1
		.amdhsa_forward_progress 1
		.amdhsa_shared_vgpr_count 0
		.amdhsa_exception_fp_ieee_invalid_op 0
		.amdhsa_exception_fp_denorm_src 0
		.amdhsa_exception_fp_ieee_div_zero 0
		.amdhsa_exception_fp_ieee_overflow 0
		.amdhsa_exception_fp_ieee_underflow 0
		.amdhsa_exception_fp_ieee_inexact 0
		.amdhsa_exception_int_div_zero 0
	.end_amdhsa_kernel
	.section	.text._ZN7rocprim17ROCPRIM_400000_NS6detail17trampoline_kernelINS0_14default_configENS1_20scan_config_selectorIN3c107complexIdEEEEZZNS1_9scan_implILNS1_25lookback_scan_determinismE0ELb0ELb0ES3_PKS7_PS7_S7_ZZZN2at6native31launch_logcumsumexp_cuda_kernelERKNSE_10TensorBaseESI_lENKUlvE_clEvENKUlvE1_clEvEUlS7_S7_E_S7_EEDaPvRmT3_T4_T5_mT6_P12ihipStream_tbENKUlT_T0_E_clISt17integral_constantIbLb0EESY_IbLb1EEEEDaSU_SV_EUlSU_E_NS1_11comp_targetILNS1_3genE0ELNS1_11target_archE4294967295ELNS1_3gpuE0ELNS1_3repE0EEENS1_30default_config_static_selectorELNS0_4arch9wavefront6targetE0EEEvT1_,"axG",@progbits,_ZN7rocprim17ROCPRIM_400000_NS6detail17trampoline_kernelINS0_14default_configENS1_20scan_config_selectorIN3c107complexIdEEEEZZNS1_9scan_implILNS1_25lookback_scan_determinismE0ELb0ELb0ES3_PKS7_PS7_S7_ZZZN2at6native31launch_logcumsumexp_cuda_kernelERKNSE_10TensorBaseESI_lENKUlvE_clEvENKUlvE1_clEvEUlS7_S7_E_S7_EEDaPvRmT3_T4_T5_mT6_P12ihipStream_tbENKUlT_T0_E_clISt17integral_constantIbLb0EESY_IbLb1EEEEDaSU_SV_EUlSU_E_NS1_11comp_targetILNS1_3genE0ELNS1_11target_archE4294967295ELNS1_3gpuE0ELNS1_3repE0EEENS1_30default_config_static_selectorELNS0_4arch9wavefront6targetE0EEEvT1_,comdat
.Lfunc_end241:
	.size	_ZN7rocprim17ROCPRIM_400000_NS6detail17trampoline_kernelINS0_14default_configENS1_20scan_config_selectorIN3c107complexIdEEEEZZNS1_9scan_implILNS1_25lookback_scan_determinismE0ELb0ELb0ES3_PKS7_PS7_S7_ZZZN2at6native31launch_logcumsumexp_cuda_kernelERKNSE_10TensorBaseESI_lENKUlvE_clEvENKUlvE1_clEvEUlS7_S7_E_S7_EEDaPvRmT3_T4_T5_mT6_P12ihipStream_tbENKUlT_T0_E_clISt17integral_constantIbLb0EESY_IbLb1EEEEDaSU_SV_EUlSU_E_NS1_11comp_targetILNS1_3genE0ELNS1_11target_archE4294967295ELNS1_3gpuE0ELNS1_3repE0EEENS1_30default_config_static_selectorELNS0_4arch9wavefront6targetE0EEEvT1_, .Lfunc_end241-_ZN7rocprim17ROCPRIM_400000_NS6detail17trampoline_kernelINS0_14default_configENS1_20scan_config_selectorIN3c107complexIdEEEEZZNS1_9scan_implILNS1_25lookback_scan_determinismE0ELb0ELb0ES3_PKS7_PS7_S7_ZZZN2at6native31launch_logcumsumexp_cuda_kernelERKNSE_10TensorBaseESI_lENKUlvE_clEvENKUlvE1_clEvEUlS7_S7_E_S7_EEDaPvRmT3_T4_T5_mT6_P12ihipStream_tbENKUlT_T0_E_clISt17integral_constantIbLb0EESY_IbLb1EEEEDaSU_SV_EUlSU_E_NS1_11comp_targetILNS1_3genE0ELNS1_11target_archE4294967295ELNS1_3gpuE0ELNS1_3repE0EEENS1_30default_config_static_selectorELNS0_4arch9wavefront6targetE0EEEvT1_
                                        ; -- End function
	.set _ZN7rocprim17ROCPRIM_400000_NS6detail17trampoline_kernelINS0_14default_configENS1_20scan_config_selectorIN3c107complexIdEEEEZZNS1_9scan_implILNS1_25lookback_scan_determinismE0ELb0ELb0ES3_PKS7_PS7_S7_ZZZN2at6native31launch_logcumsumexp_cuda_kernelERKNSE_10TensorBaseESI_lENKUlvE_clEvENKUlvE1_clEvEUlS7_S7_E_S7_EEDaPvRmT3_T4_T5_mT6_P12ihipStream_tbENKUlT_T0_E_clISt17integral_constantIbLb0EESY_IbLb1EEEEDaSU_SV_EUlSU_E_NS1_11comp_targetILNS1_3genE0ELNS1_11target_archE4294967295ELNS1_3gpuE0ELNS1_3repE0EEENS1_30default_config_static_selectorELNS0_4arch9wavefront6targetE0EEEvT1_.num_vgpr, 0
	.set _ZN7rocprim17ROCPRIM_400000_NS6detail17trampoline_kernelINS0_14default_configENS1_20scan_config_selectorIN3c107complexIdEEEEZZNS1_9scan_implILNS1_25lookback_scan_determinismE0ELb0ELb0ES3_PKS7_PS7_S7_ZZZN2at6native31launch_logcumsumexp_cuda_kernelERKNSE_10TensorBaseESI_lENKUlvE_clEvENKUlvE1_clEvEUlS7_S7_E_S7_EEDaPvRmT3_T4_T5_mT6_P12ihipStream_tbENKUlT_T0_E_clISt17integral_constantIbLb0EESY_IbLb1EEEEDaSU_SV_EUlSU_E_NS1_11comp_targetILNS1_3genE0ELNS1_11target_archE4294967295ELNS1_3gpuE0ELNS1_3repE0EEENS1_30default_config_static_selectorELNS0_4arch9wavefront6targetE0EEEvT1_.num_agpr, 0
	.set _ZN7rocprim17ROCPRIM_400000_NS6detail17trampoline_kernelINS0_14default_configENS1_20scan_config_selectorIN3c107complexIdEEEEZZNS1_9scan_implILNS1_25lookback_scan_determinismE0ELb0ELb0ES3_PKS7_PS7_S7_ZZZN2at6native31launch_logcumsumexp_cuda_kernelERKNSE_10TensorBaseESI_lENKUlvE_clEvENKUlvE1_clEvEUlS7_S7_E_S7_EEDaPvRmT3_T4_T5_mT6_P12ihipStream_tbENKUlT_T0_E_clISt17integral_constantIbLb0EESY_IbLb1EEEEDaSU_SV_EUlSU_E_NS1_11comp_targetILNS1_3genE0ELNS1_11target_archE4294967295ELNS1_3gpuE0ELNS1_3repE0EEENS1_30default_config_static_selectorELNS0_4arch9wavefront6targetE0EEEvT1_.numbered_sgpr, 0
	.set _ZN7rocprim17ROCPRIM_400000_NS6detail17trampoline_kernelINS0_14default_configENS1_20scan_config_selectorIN3c107complexIdEEEEZZNS1_9scan_implILNS1_25lookback_scan_determinismE0ELb0ELb0ES3_PKS7_PS7_S7_ZZZN2at6native31launch_logcumsumexp_cuda_kernelERKNSE_10TensorBaseESI_lENKUlvE_clEvENKUlvE1_clEvEUlS7_S7_E_S7_EEDaPvRmT3_T4_T5_mT6_P12ihipStream_tbENKUlT_T0_E_clISt17integral_constantIbLb0EESY_IbLb1EEEEDaSU_SV_EUlSU_E_NS1_11comp_targetILNS1_3genE0ELNS1_11target_archE4294967295ELNS1_3gpuE0ELNS1_3repE0EEENS1_30default_config_static_selectorELNS0_4arch9wavefront6targetE0EEEvT1_.num_named_barrier, 0
	.set _ZN7rocprim17ROCPRIM_400000_NS6detail17trampoline_kernelINS0_14default_configENS1_20scan_config_selectorIN3c107complexIdEEEEZZNS1_9scan_implILNS1_25lookback_scan_determinismE0ELb0ELb0ES3_PKS7_PS7_S7_ZZZN2at6native31launch_logcumsumexp_cuda_kernelERKNSE_10TensorBaseESI_lENKUlvE_clEvENKUlvE1_clEvEUlS7_S7_E_S7_EEDaPvRmT3_T4_T5_mT6_P12ihipStream_tbENKUlT_T0_E_clISt17integral_constantIbLb0EESY_IbLb1EEEEDaSU_SV_EUlSU_E_NS1_11comp_targetILNS1_3genE0ELNS1_11target_archE4294967295ELNS1_3gpuE0ELNS1_3repE0EEENS1_30default_config_static_selectorELNS0_4arch9wavefront6targetE0EEEvT1_.private_seg_size, 0
	.set _ZN7rocprim17ROCPRIM_400000_NS6detail17trampoline_kernelINS0_14default_configENS1_20scan_config_selectorIN3c107complexIdEEEEZZNS1_9scan_implILNS1_25lookback_scan_determinismE0ELb0ELb0ES3_PKS7_PS7_S7_ZZZN2at6native31launch_logcumsumexp_cuda_kernelERKNSE_10TensorBaseESI_lENKUlvE_clEvENKUlvE1_clEvEUlS7_S7_E_S7_EEDaPvRmT3_T4_T5_mT6_P12ihipStream_tbENKUlT_T0_E_clISt17integral_constantIbLb0EESY_IbLb1EEEEDaSU_SV_EUlSU_E_NS1_11comp_targetILNS1_3genE0ELNS1_11target_archE4294967295ELNS1_3gpuE0ELNS1_3repE0EEENS1_30default_config_static_selectorELNS0_4arch9wavefront6targetE0EEEvT1_.uses_vcc, 0
	.set _ZN7rocprim17ROCPRIM_400000_NS6detail17trampoline_kernelINS0_14default_configENS1_20scan_config_selectorIN3c107complexIdEEEEZZNS1_9scan_implILNS1_25lookback_scan_determinismE0ELb0ELb0ES3_PKS7_PS7_S7_ZZZN2at6native31launch_logcumsumexp_cuda_kernelERKNSE_10TensorBaseESI_lENKUlvE_clEvENKUlvE1_clEvEUlS7_S7_E_S7_EEDaPvRmT3_T4_T5_mT6_P12ihipStream_tbENKUlT_T0_E_clISt17integral_constantIbLb0EESY_IbLb1EEEEDaSU_SV_EUlSU_E_NS1_11comp_targetILNS1_3genE0ELNS1_11target_archE4294967295ELNS1_3gpuE0ELNS1_3repE0EEENS1_30default_config_static_selectorELNS0_4arch9wavefront6targetE0EEEvT1_.uses_flat_scratch, 0
	.set _ZN7rocprim17ROCPRIM_400000_NS6detail17trampoline_kernelINS0_14default_configENS1_20scan_config_selectorIN3c107complexIdEEEEZZNS1_9scan_implILNS1_25lookback_scan_determinismE0ELb0ELb0ES3_PKS7_PS7_S7_ZZZN2at6native31launch_logcumsumexp_cuda_kernelERKNSE_10TensorBaseESI_lENKUlvE_clEvENKUlvE1_clEvEUlS7_S7_E_S7_EEDaPvRmT3_T4_T5_mT6_P12ihipStream_tbENKUlT_T0_E_clISt17integral_constantIbLb0EESY_IbLb1EEEEDaSU_SV_EUlSU_E_NS1_11comp_targetILNS1_3genE0ELNS1_11target_archE4294967295ELNS1_3gpuE0ELNS1_3repE0EEENS1_30default_config_static_selectorELNS0_4arch9wavefront6targetE0EEEvT1_.has_dyn_sized_stack, 0
	.set _ZN7rocprim17ROCPRIM_400000_NS6detail17trampoline_kernelINS0_14default_configENS1_20scan_config_selectorIN3c107complexIdEEEEZZNS1_9scan_implILNS1_25lookback_scan_determinismE0ELb0ELb0ES3_PKS7_PS7_S7_ZZZN2at6native31launch_logcumsumexp_cuda_kernelERKNSE_10TensorBaseESI_lENKUlvE_clEvENKUlvE1_clEvEUlS7_S7_E_S7_EEDaPvRmT3_T4_T5_mT6_P12ihipStream_tbENKUlT_T0_E_clISt17integral_constantIbLb0EESY_IbLb1EEEEDaSU_SV_EUlSU_E_NS1_11comp_targetILNS1_3genE0ELNS1_11target_archE4294967295ELNS1_3gpuE0ELNS1_3repE0EEENS1_30default_config_static_selectorELNS0_4arch9wavefront6targetE0EEEvT1_.has_recursion, 0
	.set _ZN7rocprim17ROCPRIM_400000_NS6detail17trampoline_kernelINS0_14default_configENS1_20scan_config_selectorIN3c107complexIdEEEEZZNS1_9scan_implILNS1_25lookback_scan_determinismE0ELb0ELb0ES3_PKS7_PS7_S7_ZZZN2at6native31launch_logcumsumexp_cuda_kernelERKNSE_10TensorBaseESI_lENKUlvE_clEvENKUlvE1_clEvEUlS7_S7_E_S7_EEDaPvRmT3_T4_T5_mT6_P12ihipStream_tbENKUlT_T0_E_clISt17integral_constantIbLb0EESY_IbLb1EEEEDaSU_SV_EUlSU_E_NS1_11comp_targetILNS1_3genE0ELNS1_11target_archE4294967295ELNS1_3gpuE0ELNS1_3repE0EEENS1_30default_config_static_selectorELNS0_4arch9wavefront6targetE0EEEvT1_.has_indirect_call, 0
	.section	.AMDGPU.csdata,"",@progbits
; Kernel info:
; codeLenInByte = 0
; TotalNumSgprs: 0
; NumVgprs: 0
; ScratchSize: 0
; MemoryBound: 0
; FloatMode: 240
; IeeeMode: 1
; LDSByteSize: 0 bytes/workgroup (compile time only)
; SGPRBlocks: 0
; VGPRBlocks: 0
; NumSGPRsForWavesPerEU: 1
; NumVGPRsForWavesPerEU: 1
; Occupancy: 16
; WaveLimiterHint : 0
; COMPUTE_PGM_RSRC2:SCRATCH_EN: 0
; COMPUTE_PGM_RSRC2:USER_SGPR: 6
; COMPUTE_PGM_RSRC2:TRAP_HANDLER: 0
; COMPUTE_PGM_RSRC2:TGID_X_EN: 1
; COMPUTE_PGM_RSRC2:TGID_Y_EN: 0
; COMPUTE_PGM_RSRC2:TGID_Z_EN: 0
; COMPUTE_PGM_RSRC2:TIDIG_COMP_CNT: 0
	.section	.text._ZN7rocprim17ROCPRIM_400000_NS6detail17trampoline_kernelINS0_14default_configENS1_20scan_config_selectorIN3c107complexIdEEEEZZNS1_9scan_implILNS1_25lookback_scan_determinismE0ELb0ELb0ES3_PKS7_PS7_S7_ZZZN2at6native31launch_logcumsumexp_cuda_kernelERKNSE_10TensorBaseESI_lENKUlvE_clEvENKUlvE1_clEvEUlS7_S7_E_S7_EEDaPvRmT3_T4_T5_mT6_P12ihipStream_tbENKUlT_T0_E_clISt17integral_constantIbLb0EESY_IbLb1EEEEDaSU_SV_EUlSU_E_NS1_11comp_targetILNS1_3genE5ELNS1_11target_archE942ELNS1_3gpuE9ELNS1_3repE0EEENS1_30default_config_static_selectorELNS0_4arch9wavefront6targetE0EEEvT1_,"axG",@progbits,_ZN7rocprim17ROCPRIM_400000_NS6detail17trampoline_kernelINS0_14default_configENS1_20scan_config_selectorIN3c107complexIdEEEEZZNS1_9scan_implILNS1_25lookback_scan_determinismE0ELb0ELb0ES3_PKS7_PS7_S7_ZZZN2at6native31launch_logcumsumexp_cuda_kernelERKNSE_10TensorBaseESI_lENKUlvE_clEvENKUlvE1_clEvEUlS7_S7_E_S7_EEDaPvRmT3_T4_T5_mT6_P12ihipStream_tbENKUlT_T0_E_clISt17integral_constantIbLb0EESY_IbLb1EEEEDaSU_SV_EUlSU_E_NS1_11comp_targetILNS1_3genE5ELNS1_11target_archE942ELNS1_3gpuE9ELNS1_3repE0EEENS1_30default_config_static_selectorELNS0_4arch9wavefront6targetE0EEEvT1_,comdat
	.globl	_ZN7rocprim17ROCPRIM_400000_NS6detail17trampoline_kernelINS0_14default_configENS1_20scan_config_selectorIN3c107complexIdEEEEZZNS1_9scan_implILNS1_25lookback_scan_determinismE0ELb0ELb0ES3_PKS7_PS7_S7_ZZZN2at6native31launch_logcumsumexp_cuda_kernelERKNSE_10TensorBaseESI_lENKUlvE_clEvENKUlvE1_clEvEUlS7_S7_E_S7_EEDaPvRmT3_T4_T5_mT6_P12ihipStream_tbENKUlT_T0_E_clISt17integral_constantIbLb0EESY_IbLb1EEEEDaSU_SV_EUlSU_E_NS1_11comp_targetILNS1_3genE5ELNS1_11target_archE942ELNS1_3gpuE9ELNS1_3repE0EEENS1_30default_config_static_selectorELNS0_4arch9wavefront6targetE0EEEvT1_ ; -- Begin function _ZN7rocprim17ROCPRIM_400000_NS6detail17trampoline_kernelINS0_14default_configENS1_20scan_config_selectorIN3c107complexIdEEEEZZNS1_9scan_implILNS1_25lookback_scan_determinismE0ELb0ELb0ES3_PKS7_PS7_S7_ZZZN2at6native31launch_logcumsumexp_cuda_kernelERKNSE_10TensorBaseESI_lENKUlvE_clEvENKUlvE1_clEvEUlS7_S7_E_S7_EEDaPvRmT3_T4_T5_mT6_P12ihipStream_tbENKUlT_T0_E_clISt17integral_constantIbLb0EESY_IbLb1EEEEDaSU_SV_EUlSU_E_NS1_11comp_targetILNS1_3genE5ELNS1_11target_archE942ELNS1_3gpuE9ELNS1_3repE0EEENS1_30default_config_static_selectorELNS0_4arch9wavefront6targetE0EEEvT1_
	.p2align	8
	.type	_ZN7rocprim17ROCPRIM_400000_NS6detail17trampoline_kernelINS0_14default_configENS1_20scan_config_selectorIN3c107complexIdEEEEZZNS1_9scan_implILNS1_25lookback_scan_determinismE0ELb0ELb0ES3_PKS7_PS7_S7_ZZZN2at6native31launch_logcumsumexp_cuda_kernelERKNSE_10TensorBaseESI_lENKUlvE_clEvENKUlvE1_clEvEUlS7_S7_E_S7_EEDaPvRmT3_T4_T5_mT6_P12ihipStream_tbENKUlT_T0_E_clISt17integral_constantIbLb0EESY_IbLb1EEEEDaSU_SV_EUlSU_E_NS1_11comp_targetILNS1_3genE5ELNS1_11target_archE942ELNS1_3gpuE9ELNS1_3repE0EEENS1_30default_config_static_selectorELNS0_4arch9wavefront6targetE0EEEvT1_,@function
_ZN7rocprim17ROCPRIM_400000_NS6detail17trampoline_kernelINS0_14default_configENS1_20scan_config_selectorIN3c107complexIdEEEEZZNS1_9scan_implILNS1_25lookback_scan_determinismE0ELb0ELb0ES3_PKS7_PS7_S7_ZZZN2at6native31launch_logcumsumexp_cuda_kernelERKNSE_10TensorBaseESI_lENKUlvE_clEvENKUlvE1_clEvEUlS7_S7_E_S7_EEDaPvRmT3_T4_T5_mT6_P12ihipStream_tbENKUlT_T0_E_clISt17integral_constantIbLb0EESY_IbLb1EEEEDaSU_SV_EUlSU_E_NS1_11comp_targetILNS1_3genE5ELNS1_11target_archE942ELNS1_3gpuE9ELNS1_3repE0EEENS1_30default_config_static_selectorELNS0_4arch9wavefront6targetE0EEEvT1_: ; @_ZN7rocprim17ROCPRIM_400000_NS6detail17trampoline_kernelINS0_14default_configENS1_20scan_config_selectorIN3c107complexIdEEEEZZNS1_9scan_implILNS1_25lookback_scan_determinismE0ELb0ELb0ES3_PKS7_PS7_S7_ZZZN2at6native31launch_logcumsumexp_cuda_kernelERKNSE_10TensorBaseESI_lENKUlvE_clEvENKUlvE1_clEvEUlS7_S7_E_S7_EEDaPvRmT3_T4_T5_mT6_P12ihipStream_tbENKUlT_T0_E_clISt17integral_constantIbLb0EESY_IbLb1EEEEDaSU_SV_EUlSU_E_NS1_11comp_targetILNS1_3genE5ELNS1_11target_archE942ELNS1_3gpuE9ELNS1_3repE0EEENS1_30default_config_static_selectorELNS0_4arch9wavefront6targetE0EEEvT1_
; %bb.0:
	.section	.rodata,"a",@progbits
	.p2align	6, 0x0
	.amdhsa_kernel _ZN7rocprim17ROCPRIM_400000_NS6detail17trampoline_kernelINS0_14default_configENS1_20scan_config_selectorIN3c107complexIdEEEEZZNS1_9scan_implILNS1_25lookback_scan_determinismE0ELb0ELb0ES3_PKS7_PS7_S7_ZZZN2at6native31launch_logcumsumexp_cuda_kernelERKNSE_10TensorBaseESI_lENKUlvE_clEvENKUlvE1_clEvEUlS7_S7_E_S7_EEDaPvRmT3_T4_T5_mT6_P12ihipStream_tbENKUlT_T0_E_clISt17integral_constantIbLb0EESY_IbLb1EEEEDaSU_SV_EUlSU_E_NS1_11comp_targetILNS1_3genE5ELNS1_11target_archE942ELNS1_3gpuE9ELNS1_3repE0EEENS1_30default_config_static_selectorELNS0_4arch9wavefront6targetE0EEEvT1_
		.amdhsa_group_segment_fixed_size 0
		.amdhsa_private_segment_fixed_size 0
		.amdhsa_kernarg_size 128
		.amdhsa_user_sgpr_count 6
		.amdhsa_user_sgpr_private_segment_buffer 1
		.amdhsa_user_sgpr_dispatch_ptr 0
		.amdhsa_user_sgpr_queue_ptr 0
		.amdhsa_user_sgpr_kernarg_segment_ptr 1
		.amdhsa_user_sgpr_dispatch_id 0
		.amdhsa_user_sgpr_flat_scratch_init 0
		.amdhsa_user_sgpr_private_segment_size 0
		.amdhsa_wavefront_size32 1
		.amdhsa_uses_dynamic_stack 0
		.amdhsa_system_sgpr_private_segment_wavefront_offset 0
		.amdhsa_system_sgpr_workgroup_id_x 1
		.amdhsa_system_sgpr_workgroup_id_y 0
		.amdhsa_system_sgpr_workgroup_id_z 0
		.amdhsa_system_sgpr_workgroup_info 0
		.amdhsa_system_vgpr_workitem_id 0
		.amdhsa_next_free_vgpr 1
		.amdhsa_next_free_sgpr 1
		.amdhsa_reserve_vcc 0
		.amdhsa_reserve_flat_scratch 0
		.amdhsa_float_round_mode_32 0
		.amdhsa_float_round_mode_16_64 0
		.amdhsa_float_denorm_mode_32 3
		.amdhsa_float_denorm_mode_16_64 3
		.amdhsa_dx10_clamp 1
		.amdhsa_ieee_mode 1
		.amdhsa_fp16_overflow 0
		.amdhsa_workgroup_processor_mode 1
		.amdhsa_memory_ordered 1
		.amdhsa_forward_progress 1
		.amdhsa_shared_vgpr_count 0
		.amdhsa_exception_fp_ieee_invalid_op 0
		.amdhsa_exception_fp_denorm_src 0
		.amdhsa_exception_fp_ieee_div_zero 0
		.amdhsa_exception_fp_ieee_overflow 0
		.amdhsa_exception_fp_ieee_underflow 0
		.amdhsa_exception_fp_ieee_inexact 0
		.amdhsa_exception_int_div_zero 0
	.end_amdhsa_kernel
	.section	.text._ZN7rocprim17ROCPRIM_400000_NS6detail17trampoline_kernelINS0_14default_configENS1_20scan_config_selectorIN3c107complexIdEEEEZZNS1_9scan_implILNS1_25lookback_scan_determinismE0ELb0ELb0ES3_PKS7_PS7_S7_ZZZN2at6native31launch_logcumsumexp_cuda_kernelERKNSE_10TensorBaseESI_lENKUlvE_clEvENKUlvE1_clEvEUlS7_S7_E_S7_EEDaPvRmT3_T4_T5_mT6_P12ihipStream_tbENKUlT_T0_E_clISt17integral_constantIbLb0EESY_IbLb1EEEEDaSU_SV_EUlSU_E_NS1_11comp_targetILNS1_3genE5ELNS1_11target_archE942ELNS1_3gpuE9ELNS1_3repE0EEENS1_30default_config_static_selectorELNS0_4arch9wavefront6targetE0EEEvT1_,"axG",@progbits,_ZN7rocprim17ROCPRIM_400000_NS6detail17trampoline_kernelINS0_14default_configENS1_20scan_config_selectorIN3c107complexIdEEEEZZNS1_9scan_implILNS1_25lookback_scan_determinismE0ELb0ELb0ES3_PKS7_PS7_S7_ZZZN2at6native31launch_logcumsumexp_cuda_kernelERKNSE_10TensorBaseESI_lENKUlvE_clEvENKUlvE1_clEvEUlS7_S7_E_S7_EEDaPvRmT3_T4_T5_mT6_P12ihipStream_tbENKUlT_T0_E_clISt17integral_constantIbLb0EESY_IbLb1EEEEDaSU_SV_EUlSU_E_NS1_11comp_targetILNS1_3genE5ELNS1_11target_archE942ELNS1_3gpuE9ELNS1_3repE0EEENS1_30default_config_static_selectorELNS0_4arch9wavefront6targetE0EEEvT1_,comdat
.Lfunc_end242:
	.size	_ZN7rocprim17ROCPRIM_400000_NS6detail17trampoline_kernelINS0_14default_configENS1_20scan_config_selectorIN3c107complexIdEEEEZZNS1_9scan_implILNS1_25lookback_scan_determinismE0ELb0ELb0ES3_PKS7_PS7_S7_ZZZN2at6native31launch_logcumsumexp_cuda_kernelERKNSE_10TensorBaseESI_lENKUlvE_clEvENKUlvE1_clEvEUlS7_S7_E_S7_EEDaPvRmT3_T4_T5_mT6_P12ihipStream_tbENKUlT_T0_E_clISt17integral_constantIbLb0EESY_IbLb1EEEEDaSU_SV_EUlSU_E_NS1_11comp_targetILNS1_3genE5ELNS1_11target_archE942ELNS1_3gpuE9ELNS1_3repE0EEENS1_30default_config_static_selectorELNS0_4arch9wavefront6targetE0EEEvT1_, .Lfunc_end242-_ZN7rocprim17ROCPRIM_400000_NS6detail17trampoline_kernelINS0_14default_configENS1_20scan_config_selectorIN3c107complexIdEEEEZZNS1_9scan_implILNS1_25lookback_scan_determinismE0ELb0ELb0ES3_PKS7_PS7_S7_ZZZN2at6native31launch_logcumsumexp_cuda_kernelERKNSE_10TensorBaseESI_lENKUlvE_clEvENKUlvE1_clEvEUlS7_S7_E_S7_EEDaPvRmT3_T4_T5_mT6_P12ihipStream_tbENKUlT_T0_E_clISt17integral_constantIbLb0EESY_IbLb1EEEEDaSU_SV_EUlSU_E_NS1_11comp_targetILNS1_3genE5ELNS1_11target_archE942ELNS1_3gpuE9ELNS1_3repE0EEENS1_30default_config_static_selectorELNS0_4arch9wavefront6targetE0EEEvT1_
                                        ; -- End function
	.set _ZN7rocprim17ROCPRIM_400000_NS6detail17trampoline_kernelINS0_14default_configENS1_20scan_config_selectorIN3c107complexIdEEEEZZNS1_9scan_implILNS1_25lookback_scan_determinismE0ELb0ELb0ES3_PKS7_PS7_S7_ZZZN2at6native31launch_logcumsumexp_cuda_kernelERKNSE_10TensorBaseESI_lENKUlvE_clEvENKUlvE1_clEvEUlS7_S7_E_S7_EEDaPvRmT3_T4_T5_mT6_P12ihipStream_tbENKUlT_T0_E_clISt17integral_constantIbLb0EESY_IbLb1EEEEDaSU_SV_EUlSU_E_NS1_11comp_targetILNS1_3genE5ELNS1_11target_archE942ELNS1_3gpuE9ELNS1_3repE0EEENS1_30default_config_static_selectorELNS0_4arch9wavefront6targetE0EEEvT1_.num_vgpr, 0
	.set _ZN7rocprim17ROCPRIM_400000_NS6detail17trampoline_kernelINS0_14default_configENS1_20scan_config_selectorIN3c107complexIdEEEEZZNS1_9scan_implILNS1_25lookback_scan_determinismE0ELb0ELb0ES3_PKS7_PS7_S7_ZZZN2at6native31launch_logcumsumexp_cuda_kernelERKNSE_10TensorBaseESI_lENKUlvE_clEvENKUlvE1_clEvEUlS7_S7_E_S7_EEDaPvRmT3_T4_T5_mT6_P12ihipStream_tbENKUlT_T0_E_clISt17integral_constantIbLb0EESY_IbLb1EEEEDaSU_SV_EUlSU_E_NS1_11comp_targetILNS1_3genE5ELNS1_11target_archE942ELNS1_3gpuE9ELNS1_3repE0EEENS1_30default_config_static_selectorELNS0_4arch9wavefront6targetE0EEEvT1_.num_agpr, 0
	.set _ZN7rocprim17ROCPRIM_400000_NS6detail17trampoline_kernelINS0_14default_configENS1_20scan_config_selectorIN3c107complexIdEEEEZZNS1_9scan_implILNS1_25lookback_scan_determinismE0ELb0ELb0ES3_PKS7_PS7_S7_ZZZN2at6native31launch_logcumsumexp_cuda_kernelERKNSE_10TensorBaseESI_lENKUlvE_clEvENKUlvE1_clEvEUlS7_S7_E_S7_EEDaPvRmT3_T4_T5_mT6_P12ihipStream_tbENKUlT_T0_E_clISt17integral_constantIbLb0EESY_IbLb1EEEEDaSU_SV_EUlSU_E_NS1_11comp_targetILNS1_3genE5ELNS1_11target_archE942ELNS1_3gpuE9ELNS1_3repE0EEENS1_30default_config_static_selectorELNS0_4arch9wavefront6targetE0EEEvT1_.numbered_sgpr, 0
	.set _ZN7rocprim17ROCPRIM_400000_NS6detail17trampoline_kernelINS0_14default_configENS1_20scan_config_selectorIN3c107complexIdEEEEZZNS1_9scan_implILNS1_25lookback_scan_determinismE0ELb0ELb0ES3_PKS7_PS7_S7_ZZZN2at6native31launch_logcumsumexp_cuda_kernelERKNSE_10TensorBaseESI_lENKUlvE_clEvENKUlvE1_clEvEUlS7_S7_E_S7_EEDaPvRmT3_T4_T5_mT6_P12ihipStream_tbENKUlT_T0_E_clISt17integral_constantIbLb0EESY_IbLb1EEEEDaSU_SV_EUlSU_E_NS1_11comp_targetILNS1_3genE5ELNS1_11target_archE942ELNS1_3gpuE9ELNS1_3repE0EEENS1_30default_config_static_selectorELNS0_4arch9wavefront6targetE0EEEvT1_.num_named_barrier, 0
	.set _ZN7rocprim17ROCPRIM_400000_NS6detail17trampoline_kernelINS0_14default_configENS1_20scan_config_selectorIN3c107complexIdEEEEZZNS1_9scan_implILNS1_25lookback_scan_determinismE0ELb0ELb0ES3_PKS7_PS7_S7_ZZZN2at6native31launch_logcumsumexp_cuda_kernelERKNSE_10TensorBaseESI_lENKUlvE_clEvENKUlvE1_clEvEUlS7_S7_E_S7_EEDaPvRmT3_T4_T5_mT6_P12ihipStream_tbENKUlT_T0_E_clISt17integral_constantIbLb0EESY_IbLb1EEEEDaSU_SV_EUlSU_E_NS1_11comp_targetILNS1_3genE5ELNS1_11target_archE942ELNS1_3gpuE9ELNS1_3repE0EEENS1_30default_config_static_selectorELNS0_4arch9wavefront6targetE0EEEvT1_.private_seg_size, 0
	.set _ZN7rocprim17ROCPRIM_400000_NS6detail17trampoline_kernelINS0_14default_configENS1_20scan_config_selectorIN3c107complexIdEEEEZZNS1_9scan_implILNS1_25lookback_scan_determinismE0ELb0ELb0ES3_PKS7_PS7_S7_ZZZN2at6native31launch_logcumsumexp_cuda_kernelERKNSE_10TensorBaseESI_lENKUlvE_clEvENKUlvE1_clEvEUlS7_S7_E_S7_EEDaPvRmT3_T4_T5_mT6_P12ihipStream_tbENKUlT_T0_E_clISt17integral_constantIbLb0EESY_IbLb1EEEEDaSU_SV_EUlSU_E_NS1_11comp_targetILNS1_3genE5ELNS1_11target_archE942ELNS1_3gpuE9ELNS1_3repE0EEENS1_30default_config_static_selectorELNS0_4arch9wavefront6targetE0EEEvT1_.uses_vcc, 0
	.set _ZN7rocprim17ROCPRIM_400000_NS6detail17trampoline_kernelINS0_14default_configENS1_20scan_config_selectorIN3c107complexIdEEEEZZNS1_9scan_implILNS1_25lookback_scan_determinismE0ELb0ELb0ES3_PKS7_PS7_S7_ZZZN2at6native31launch_logcumsumexp_cuda_kernelERKNSE_10TensorBaseESI_lENKUlvE_clEvENKUlvE1_clEvEUlS7_S7_E_S7_EEDaPvRmT3_T4_T5_mT6_P12ihipStream_tbENKUlT_T0_E_clISt17integral_constantIbLb0EESY_IbLb1EEEEDaSU_SV_EUlSU_E_NS1_11comp_targetILNS1_3genE5ELNS1_11target_archE942ELNS1_3gpuE9ELNS1_3repE0EEENS1_30default_config_static_selectorELNS0_4arch9wavefront6targetE0EEEvT1_.uses_flat_scratch, 0
	.set _ZN7rocprim17ROCPRIM_400000_NS6detail17trampoline_kernelINS0_14default_configENS1_20scan_config_selectorIN3c107complexIdEEEEZZNS1_9scan_implILNS1_25lookback_scan_determinismE0ELb0ELb0ES3_PKS7_PS7_S7_ZZZN2at6native31launch_logcumsumexp_cuda_kernelERKNSE_10TensorBaseESI_lENKUlvE_clEvENKUlvE1_clEvEUlS7_S7_E_S7_EEDaPvRmT3_T4_T5_mT6_P12ihipStream_tbENKUlT_T0_E_clISt17integral_constantIbLb0EESY_IbLb1EEEEDaSU_SV_EUlSU_E_NS1_11comp_targetILNS1_3genE5ELNS1_11target_archE942ELNS1_3gpuE9ELNS1_3repE0EEENS1_30default_config_static_selectorELNS0_4arch9wavefront6targetE0EEEvT1_.has_dyn_sized_stack, 0
	.set _ZN7rocprim17ROCPRIM_400000_NS6detail17trampoline_kernelINS0_14default_configENS1_20scan_config_selectorIN3c107complexIdEEEEZZNS1_9scan_implILNS1_25lookback_scan_determinismE0ELb0ELb0ES3_PKS7_PS7_S7_ZZZN2at6native31launch_logcumsumexp_cuda_kernelERKNSE_10TensorBaseESI_lENKUlvE_clEvENKUlvE1_clEvEUlS7_S7_E_S7_EEDaPvRmT3_T4_T5_mT6_P12ihipStream_tbENKUlT_T0_E_clISt17integral_constantIbLb0EESY_IbLb1EEEEDaSU_SV_EUlSU_E_NS1_11comp_targetILNS1_3genE5ELNS1_11target_archE942ELNS1_3gpuE9ELNS1_3repE0EEENS1_30default_config_static_selectorELNS0_4arch9wavefront6targetE0EEEvT1_.has_recursion, 0
	.set _ZN7rocprim17ROCPRIM_400000_NS6detail17trampoline_kernelINS0_14default_configENS1_20scan_config_selectorIN3c107complexIdEEEEZZNS1_9scan_implILNS1_25lookback_scan_determinismE0ELb0ELb0ES3_PKS7_PS7_S7_ZZZN2at6native31launch_logcumsumexp_cuda_kernelERKNSE_10TensorBaseESI_lENKUlvE_clEvENKUlvE1_clEvEUlS7_S7_E_S7_EEDaPvRmT3_T4_T5_mT6_P12ihipStream_tbENKUlT_T0_E_clISt17integral_constantIbLb0EESY_IbLb1EEEEDaSU_SV_EUlSU_E_NS1_11comp_targetILNS1_3genE5ELNS1_11target_archE942ELNS1_3gpuE9ELNS1_3repE0EEENS1_30default_config_static_selectorELNS0_4arch9wavefront6targetE0EEEvT1_.has_indirect_call, 0
	.section	.AMDGPU.csdata,"",@progbits
; Kernel info:
; codeLenInByte = 0
; TotalNumSgprs: 0
; NumVgprs: 0
; ScratchSize: 0
; MemoryBound: 0
; FloatMode: 240
; IeeeMode: 1
; LDSByteSize: 0 bytes/workgroup (compile time only)
; SGPRBlocks: 0
; VGPRBlocks: 0
; NumSGPRsForWavesPerEU: 1
; NumVGPRsForWavesPerEU: 1
; Occupancy: 16
; WaveLimiterHint : 0
; COMPUTE_PGM_RSRC2:SCRATCH_EN: 0
; COMPUTE_PGM_RSRC2:USER_SGPR: 6
; COMPUTE_PGM_RSRC2:TRAP_HANDLER: 0
; COMPUTE_PGM_RSRC2:TGID_X_EN: 1
; COMPUTE_PGM_RSRC2:TGID_Y_EN: 0
; COMPUTE_PGM_RSRC2:TGID_Z_EN: 0
; COMPUTE_PGM_RSRC2:TIDIG_COMP_CNT: 0
	.section	.text._ZN7rocprim17ROCPRIM_400000_NS6detail17trampoline_kernelINS0_14default_configENS1_20scan_config_selectorIN3c107complexIdEEEEZZNS1_9scan_implILNS1_25lookback_scan_determinismE0ELb0ELb0ES3_PKS7_PS7_S7_ZZZN2at6native31launch_logcumsumexp_cuda_kernelERKNSE_10TensorBaseESI_lENKUlvE_clEvENKUlvE1_clEvEUlS7_S7_E_S7_EEDaPvRmT3_T4_T5_mT6_P12ihipStream_tbENKUlT_T0_E_clISt17integral_constantIbLb0EESY_IbLb1EEEEDaSU_SV_EUlSU_E_NS1_11comp_targetILNS1_3genE4ELNS1_11target_archE910ELNS1_3gpuE8ELNS1_3repE0EEENS1_30default_config_static_selectorELNS0_4arch9wavefront6targetE0EEEvT1_,"axG",@progbits,_ZN7rocprim17ROCPRIM_400000_NS6detail17trampoline_kernelINS0_14default_configENS1_20scan_config_selectorIN3c107complexIdEEEEZZNS1_9scan_implILNS1_25lookback_scan_determinismE0ELb0ELb0ES3_PKS7_PS7_S7_ZZZN2at6native31launch_logcumsumexp_cuda_kernelERKNSE_10TensorBaseESI_lENKUlvE_clEvENKUlvE1_clEvEUlS7_S7_E_S7_EEDaPvRmT3_T4_T5_mT6_P12ihipStream_tbENKUlT_T0_E_clISt17integral_constantIbLb0EESY_IbLb1EEEEDaSU_SV_EUlSU_E_NS1_11comp_targetILNS1_3genE4ELNS1_11target_archE910ELNS1_3gpuE8ELNS1_3repE0EEENS1_30default_config_static_selectorELNS0_4arch9wavefront6targetE0EEEvT1_,comdat
	.globl	_ZN7rocprim17ROCPRIM_400000_NS6detail17trampoline_kernelINS0_14default_configENS1_20scan_config_selectorIN3c107complexIdEEEEZZNS1_9scan_implILNS1_25lookback_scan_determinismE0ELb0ELb0ES3_PKS7_PS7_S7_ZZZN2at6native31launch_logcumsumexp_cuda_kernelERKNSE_10TensorBaseESI_lENKUlvE_clEvENKUlvE1_clEvEUlS7_S7_E_S7_EEDaPvRmT3_T4_T5_mT6_P12ihipStream_tbENKUlT_T0_E_clISt17integral_constantIbLb0EESY_IbLb1EEEEDaSU_SV_EUlSU_E_NS1_11comp_targetILNS1_3genE4ELNS1_11target_archE910ELNS1_3gpuE8ELNS1_3repE0EEENS1_30default_config_static_selectorELNS0_4arch9wavefront6targetE0EEEvT1_ ; -- Begin function _ZN7rocprim17ROCPRIM_400000_NS6detail17trampoline_kernelINS0_14default_configENS1_20scan_config_selectorIN3c107complexIdEEEEZZNS1_9scan_implILNS1_25lookback_scan_determinismE0ELb0ELb0ES3_PKS7_PS7_S7_ZZZN2at6native31launch_logcumsumexp_cuda_kernelERKNSE_10TensorBaseESI_lENKUlvE_clEvENKUlvE1_clEvEUlS7_S7_E_S7_EEDaPvRmT3_T4_T5_mT6_P12ihipStream_tbENKUlT_T0_E_clISt17integral_constantIbLb0EESY_IbLb1EEEEDaSU_SV_EUlSU_E_NS1_11comp_targetILNS1_3genE4ELNS1_11target_archE910ELNS1_3gpuE8ELNS1_3repE0EEENS1_30default_config_static_selectorELNS0_4arch9wavefront6targetE0EEEvT1_
	.p2align	8
	.type	_ZN7rocprim17ROCPRIM_400000_NS6detail17trampoline_kernelINS0_14default_configENS1_20scan_config_selectorIN3c107complexIdEEEEZZNS1_9scan_implILNS1_25lookback_scan_determinismE0ELb0ELb0ES3_PKS7_PS7_S7_ZZZN2at6native31launch_logcumsumexp_cuda_kernelERKNSE_10TensorBaseESI_lENKUlvE_clEvENKUlvE1_clEvEUlS7_S7_E_S7_EEDaPvRmT3_T4_T5_mT6_P12ihipStream_tbENKUlT_T0_E_clISt17integral_constantIbLb0EESY_IbLb1EEEEDaSU_SV_EUlSU_E_NS1_11comp_targetILNS1_3genE4ELNS1_11target_archE910ELNS1_3gpuE8ELNS1_3repE0EEENS1_30default_config_static_selectorELNS0_4arch9wavefront6targetE0EEEvT1_,@function
_ZN7rocprim17ROCPRIM_400000_NS6detail17trampoline_kernelINS0_14default_configENS1_20scan_config_selectorIN3c107complexIdEEEEZZNS1_9scan_implILNS1_25lookback_scan_determinismE0ELb0ELb0ES3_PKS7_PS7_S7_ZZZN2at6native31launch_logcumsumexp_cuda_kernelERKNSE_10TensorBaseESI_lENKUlvE_clEvENKUlvE1_clEvEUlS7_S7_E_S7_EEDaPvRmT3_T4_T5_mT6_P12ihipStream_tbENKUlT_T0_E_clISt17integral_constantIbLb0EESY_IbLb1EEEEDaSU_SV_EUlSU_E_NS1_11comp_targetILNS1_3genE4ELNS1_11target_archE910ELNS1_3gpuE8ELNS1_3repE0EEENS1_30default_config_static_selectorELNS0_4arch9wavefront6targetE0EEEvT1_: ; @_ZN7rocprim17ROCPRIM_400000_NS6detail17trampoline_kernelINS0_14default_configENS1_20scan_config_selectorIN3c107complexIdEEEEZZNS1_9scan_implILNS1_25lookback_scan_determinismE0ELb0ELb0ES3_PKS7_PS7_S7_ZZZN2at6native31launch_logcumsumexp_cuda_kernelERKNSE_10TensorBaseESI_lENKUlvE_clEvENKUlvE1_clEvEUlS7_S7_E_S7_EEDaPvRmT3_T4_T5_mT6_P12ihipStream_tbENKUlT_T0_E_clISt17integral_constantIbLb0EESY_IbLb1EEEEDaSU_SV_EUlSU_E_NS1_11comp_targetILNS1_3genE4ELNS1_11target_archE910ELNS1_3gpuE8ELNS1_3repE0EEENS1_30default_config_static_selectorELNS0_4arch9wavefront6targetE0EEEvT1_
; %bb.0:
	.section	.rodata,"a",@progbits
	.p2align	6, 0x0
	.amdhsa_kernel _ZN7rocprim17ROCPRIM_400000_NS6detail17trampoline_kernelINS0_14default_configENS1_20scan_config_selectorIN3c107complexIdEEEEZZNS1_9scan_implILNS1_25lookback_scan_determinismE0ELb0ELb0ES3_PKS7_PS7_S7_ZZZN2at6native31launch_logcumsumexp_cuda_kernelERKNSE_10TensorBaseESI_lENKUlvE_clEvENKUlvE1_clEvEUlS7_S7_E_S7_EEDaPvRmT3_T4_T5_mT6_P12ihipStream_tbENKUlT_T0_E_clISt17integral_constantIbLb0EESY_IbLb1EEEEDaSU_SV_EUlSU_E_NS1_11comp_targetILNS1_3genE4ELNS1_11target_archE910ELNS1_3gpuE8ELNS1_3repE0EEENS1_30default_config_static_selectorELNS0_4arch9wavefront6targetE0EEEvT1_
		.amdhsa_group_segment_fixed_size 0
		.amdhsa_private_segment_fixed_size 0
		.amdhsa_kernarg_size 128
		.amdhsa_user_sgpr_count 6
		.amdhsa_user_sgpr_private_segment_buffer 1
		.amdhsa_user_sgpr_dispatch_ptr 0
		.amdhsa_user_sgpr_queue_ptr 0
		.amdhsa_user_sgpr_kernarg_segment_ptr 1
		.amdhsa_user_sgpr_dispatch_id 0
		.amdhsa_user_sgpr_flat_scratch_init 0
		.amdhsa_user_sgpr_private_segment_size 0
		.amdhsa_wavefront_size32 1
		.amdhsa_uses_dynamic_stack 0
		.amdhsa_system_sgpr_private_segment_wavefront_offset 0
		.amdhsa_system_sgpr_workgroup_id_x 1
		.amdhsa_system_sgpr_workgroup_id_y 0
		.amdhsa_system_sgpr_workgroup_id_z 0
		.amdhsa_system_sgpr_workgroup_info 0
		.amdhsa_system_vgpr_workitem_id 0
		.amdhsa_next_free_vgpr 1
		.amdhsa_next_free_sgpr 1
		.amdhsa_reserve_vcc 0
		.amdhsa_reserve_flat_scratch 0
		.amdhsa_float_round_mode_32 0
		.amdhsa_float_round_mode_16_64 0
		.amdhsa_float_denorm_mode_32 3
		.amdhsa_float_denorm_mode_16_64 3
		.amdhsa_dx10_clamp 1
		.amdhsa_ieee_mode 1
		.amdhsa_fp16_overflow 0
		.amdhsa_workgroup_processor_mode 1
		.amdhsa_memory_ordered 1
		.amdhsa_forward_progress 1
		.amdhsa_shared_vgpr_count 0
		.amdhsa_exception_fp_ieee_invalid_op 0
		.amdhsa_exception_fp_denorm_src 0
		.amdhsa_exception_fp_ieee_div_zero 0
		.amdhsa_exception_fp_ieee_overflow 0
		.amdhsa_exception_fp_ieee_underflow 0
		.amdhsa_exception_fp_ieee_inexact 0
		.amdhsa_exception_int_div_zero 0
	.end_amdhsa_kernel
	.section	.text._ZN7rocprim17ROCPRIM_400000_NS6detail17trampoline_kernelINS0_14default_configENS1_20scan_config_selectorIN3c107complexIdEEEEZZNS1_9scan_implILNS1_25lookback_scan_determinismE0ELb0ELb0ES3_PKS7_PS7_S7_ZZZN2at6native31launch_logcumsumexp_cuda_kernelERKNSE_10TensorBaseESI_lENKUlvE_clEvENKUlvE1_clEvEUlS7_S7_E_S7_EEDaPvRmT3_T4_T5_mT6_P12ihipStream_tbENKUlT_T0_E_clISt17integral_constantIbLb0EESY_IbLb1EEEEDaSU_SV_EUlSU_E_NS1_11comp_targetILNS1_3genE4ELNS1_11target_archE910ELNS1_3gpuE8ELNS1_3repE0EEENS1_30default_config_static_selectorELNS0_4arch9wavefront6targetE0EEEvT1_,"axG",@progbits,_ZN7rocprim17ROCPRIM_400000_NS6detail17trampoline_kernelINS0_14default_configENS1_20scan_config_selectorIN3c107complexIdEEEEZZNS1_9scan_implILNS1_25lookback_scan_determinismE0ELb0ELb0ES3_PKS7_PS7_S7_ZZZN2at6native31launch_logcumsumexp_cuda_kernelERKNSE_10TensorBaseESI_lENKUlvE_clEvENKUlvE1_clEvEUlS7_S7_E_S7_EEDaPvRmT3_T4_T5_mT6_P12ihipStream_tbENKUlT_T0_E_clISt17integral_constantIbLb0EESY_IbLb1EEEEDaSU_SV_EUlSU_E_NS1_11comp_targetILNS1_3genE4ELNS1_11target_archE910ELNS1_3gpuE8ELNS1_3repE0EEENS1_30default_config_static_selectorELNS0_4arch9wavefront6targetE0EEEvT1_,comdat
.Lfunc_end243:
	.size	_ZN7rocprim17ROCPRIM_400000_NS6detail17trampoline_kernelINS0_14default_configENS1_20scan_config_selectorIN3c107complexIdEEEEZZNS1_9scan_implILNS1_25lookback_scan_determinismE0ELb0ELb0ES3_PKS7_PS7_S7_ZZZN2at6native31launch_logcumsumexp_cuda_kernelERKNSE_10TensorBaseESI_lENKUlvE_clEvENKUlvE1_clEvEUlS7_S7_E_S7_EEDaPvRmT3_T4_T5_mT6_P12ihipStream_tbENKUlT_T0_E_clISt17integral_constantIbLb0EESY_IbLb1EEEEDaSU_SV_EUlSU_E_NS1_11comp_targetILNS1_3genE4ELNS1_11target_archE910ELNS1_3gpuE8ELNS1_3repE0EEENS1_30default_config_static_selectorELNS0_4arch9wavefront6targetE0EEEvT1_, .Lfunc_end243-_ZN7rocprim17ROCPRIM_400000_NS6detail17trampoline_kernelINS0_14default_configENS1_20scan_config_selectorIN3c107complexIdEEEEZZNS1_9scan_implILNS1_25lookback_scan_determinismE0ELb0ELb0ES3_PKS7_PS7_S7_ZZZN2at6native31launch_logcumsumexp_cuda_kernelERKNSE_10TensorBaseESI_lENKUlvE_clEvENKUlvE1_clEvEUlS7_S7_E_S7_EEDaPvRmT3_T4_T5_mT6_P12ihipStream_tbENKUlT_T0_E_clISt17integral_constantIbLb0EESY_IbLb1EEEEDaSU_SV_EUlSU_E_NS1_11comp_targetILNS1_3genE4ELNS1_11target_archE910ELNS1_3gpuE8ELNS1_3repE0EEENS1_30default_config_static_selectorELNS0_4arch9wavefront6targetE0EEEvT1_
                                        ; -- End function
	.set _ZN7rocprim17ROCPRIM_400000_NS6detail17trampoline_kernelINS0_14default_configENS1_20scan_config_selectorIN3c107complexIdEEEEZZNS1_9scan_implILNS1_25lookback_scan_determinismE0ELb0ELb0ES3_PKS7_PS7_S7_ZZZN2at6native31launch_logcumsumexp_cuda_kernelERKNSE_10TensorBaseESI_lENKUlvE_clEvENKUlvE1_clEvEUlS7_S7_E_S7_EEDaPvRmT3_T4_T5_mT6_P12ihipStream_tbENKUlT_T0_E_clISt17integral_constantIbLb0EESY_IbLb1EEEEDaSU_SV_EUlSU_E_NS1_11comp_targetILNS1_3genE4ELNS1_11target_archE910ELNS1_3gpuE8ELNS1_3repE0EEENS1_30default_config_static_selectorELNS0_4arch9wavefront6targetE0EEEvT1_.num_vgpr, 0
	.set _ZN7rocprim17ROCPRIM_400000_NS6detail17trampoline_kernelINS0_14default_configENS1_20scan_config_selectorIN3c107complexIdEEEEZZNS1_9scan_implILNS1_25lookback_scan_determinismE0ELb0ELb0ES3_PKS7_PS7_S7_ZZZN2at6native31launch_logcumsumexp_cuda_kernelERKNSE_10TensorBaseESI_lENKUlvE_clEvENKUlvE1_clEvEUlS7_S7_E_S7_EEDaPvRmT3_T4_T5_mT6_P12ihipStream_tbENKUlT_T0_E_clISt17integral_constantIbLb0EESY_IbLb1EEEEDaSU_SV_EUlSU_E_NS1_11comp_targetILNS1_3genE4ELNS1_11target_archE910ELNS1_3gpuE8ELNS1_3repE0EEENS1_30default_config_static_selectorELNS0_4arch9wavefront6targetE0EEEvT1_.num_agpr, 0
	.set _ZN7rocprim17ROCPRIM_400000_NS6detail17trampoline_kernelINS0_14default_configENS1_20scan_config_selectorIN3c107complexIdEEEEZZNS1_9scan_implILNS1_25lookback_scan_determinismE0ELb0ELb0ES3_PKS7_PS7_S7_ZZZN2at6native31launch_logcumsumexp_cuda_kernelERKNSE_10TensorBaseESI_lENKUlvE_clEvENKUlvE1_clEvEUlS7_S7_E_S7_EEDaPvRmT3_T4_T5_mT6_P12ihipStream_tbENKUlT_T0_E_clISt17integral_constantIbLb0EESY_IbLb1EEEEDaSU_SV_EUlSU_E_NS1_11comp_targetILNS1_3genE4ELNS1_11target_archE910ELNS1_3gpuE8ELNS1_3repE0EEENS1_30default_config_static_selectorELNS0_4arch9wavefront6targetE0EEEvT1_.numbered_sgpr, 0
	.set _ZN7rocprim17ROCPRIM_400000_NS6detail17trampoline_kernelINS0_14default_configENS1_20scan_config_selectorIN3c107complexIdEEEEZZNS1_9scan_implILNS1_25lookback_scan_determinismE0ELb0ELb0ES3_PKS7_PS7_S7_ZZZN2at6native31launch_logcumsumexp_cuda_kernelERKNSE_10TensorBaseESI_lENKUlvE_clEvENKUlvE1_clEvEUlS7_S7_E_S7_EEDaPvRmT3_T4_T5_mT6_P12ihipStream_tbENKUlT_T0_E_clISt17integral_constantIbLb0EESY_IbLb1EEEEDaSU_SV_EUlSU_E_NS1_11comp_targetILNS1_3genE4ELNS1_11target_archE910ELNS1_3gpuE8ELNS1_3repE0EEENS1_30default_config_static_selectorELNS0_4arch9wavefront6targetE0EEEvT1_.num_named_barrier, 0
	.set _ZN7rocprim17ROCPRIM_400000_NS6detail17trampoline_kernelINS0_14default_configENS1_20scan_config_selectorIN3c107complexIdEEEEZZNS1_9scan_implILNS1_25lookback_scan_determinismE0ELb0ELb0ES3_PKS7_PS7_S7_ZZZN2at6native31launch_logcumsumexp_cuda_kernelERKNSE_10TensorBaseESI_lENKUlvE_clEvENKUlvE1_clEvEUlS7_S7_E_S7_EEDaPvRmT3_T4_T5_mT6_P12ihipStream_tbENKUlT_T0_E_clISt17integral_constantIbLb0EESY_IbLb1EEEEDaSU_SV_EUlSU_E_NS1_11comp_targetILNS1_3genE4ELNS1_11target_archE910ELNS1_3gpuE8ELNS1_3repE0EEENS1_30default_config_static_selectorELNS0_4arch9wavefront6targetE0EEEvT1_.private_seg_size, 0
	.set _ZN7rocprim17ROCPRIM_400000_NS6detail17trampoline_kernelINS0_14default_configENS1_20scan_config_selectorIN3c107complexIdEEEEZZNS1_9scan_implILNS1_25lookback_scan_determinismE0ELb0ELb0ES3_PKS7_PS7_S7_ZZZN2at6native31launch_logcumsumexp_cuda_kernelERKNSE_10TensorBaseESI_lENKUlvE_clEvENKUlvE1_clEvEUlS7_S7_E_S7_EEDaPvRmT3_T4_T5_mT6_P12ihipStream_tbENKUlT_T0_E_clISt17integral_constantIbLb0EESY_IbLb1EEEEDaSU_SV_EUlSU_E_NS1_11comp_targetILNS1_3genE4ELNS1_11target_archE910ELNS1_3gpuE8ELNS1_3repE0EEENS1_30default_config_static_selectorELNS0_4arch9wavefront6targetE0EEEvT1_.uses_vcc, 0
	.set _ZN7rocprim17ROCPRIM_400000_NS6detail17trampoline_kernelINS0_14default_configENS1_20scan_config_selectorIN3c107complexIdEEEEZZNS1_9scan_implILNS1_25lookback_scan_determinismE0ELb0ELb0ES3_PKS7_PS7_S7_ZZZN2at6native31launch_logcumsumexp_cuda_kernelERKNSE_10TensorBaseESI_lENKUlvE_clEvENKUlvE1_clEvEUlS7_S7_E_S7_EEDaPvRmT3_T4_T5_mT6_P12ihipStream_tbENKUlT_T0_E_clISt17integral_constantIbLb0EESY_IbLb1EEEEDaSU_SV_EUlSU_E_NS1_11comp_targetILNS1_3genE4ELNS1_11target_archE910ELNS1_3gpuE8ELNS1_3repE0EEENS1_30default_config_static_selectorELNS0_4arch9wavefront6targetE0EEEvT1_.uses_flat_scratch, 0
	.set _ZN7rocprim17ROCPRIM_400000_NS6detail17trampoline_kernelINS0_14default_configENS1_20scan_config_selectorIN3c107complexIdEEEEZZNS1_9scan_implILNS1_25lookback_scan_determinismE0ELb0ELb0ES3_PKS7_PS7_S7_ZZZN2at6native31launch_logcumsumexp_cuda_kernelERKNSE_10TensorBaseESI_lENKUlvE_clEvENKUlvE1_clEvEUlS7_S7_E_S7_EEDaPvRmT3_T4_T5_mT6_P12ihipStream_tbENKUlT_T0_E_clISt17integral_constantIbLb0EESY_IbLb1EEEEDaSU_SV_EUlSU_E_NS1_11comp_targetILNS1_3genE4ELNS1_11target_archE910ELNS1_3gpuE8ELNS1_3repE0EEENS1_30default_config_static_selectorELNS0_4arch9wavefront6targetE0EEEvT1_.has_dyn_sized_stack, 0
	.set _ZN7rocprim17ROCPRIM_400000_NS6detail17trampoline_kernelINS0_14default_configENS1_20scan_config_selectorIN3c107complexIdEEEEZZNS1_9scan_implILNS1_25lookback_scan_determinismE0ELb0ELb0ES3_PKS7_PS7_S7_ZZZN2at6native31launch_logcumsumexp_cuda_kernelERKNSE_10TensorBaseESI_lENKUlvE_clEvENKUlvE1_clEvEUlS7_S7_E_S7_EEDaPvRmT3_T4_T5_mT6_P12ihipStream_tbENKUlT_T0_E_clISt17integral_constantIbLb0EESY_IbLb1EEEEDaSU_SV_EUlSU_E_NS1_11comp_targetILNS1_3genE4ELNS1_11target_archE910ELNS1_3gpuE8ELNS1_3repE0EEENS1_30default_config_static_selectorELNS0_4arch9wavefront6targetE0EEEvT1_.has_recursion, 0
	.set _ZN7rocprim17ROCPRIM_400000_NS6detail17trampoline_kernelINS0_14default_configENS1_20scan_config_selectorIN3c107complexIdEEEEZZNS1_9scan_implILNS1_25lookback_scan_determinismE0ELb0ELb0ES3_PKS7_PS7_S7_ZZZN2at6native31launch_logcumsumexp_cuda_kernelERKNSE_10TensorBaseESI_lENKUlvE_clEvENKUlvE1_clEvEUlS7_S7_E_S7_EEDaPvRmT3_T4_T5_mT6_P12ihipStream_tbENKUlT_T0_E_clISt17integral_constantIbLb0EESY_IbLb1EEEEDaSU_SV_EUlSU_E_NS1_11comp_targetILNS1_3genE4ELNS1_11target_archE910ELNS1_3gpuE8ELNS1_3repE0EEENS1_30default_config_static_selectorELNS0_4arch9wavefront6targetE0EEEvT1_.has_indirect_call, 0
	.section	.AMDGPU.csdata,"",@progbits
; Kernel info:
; codeLenInByte = 0
; TotalNumSgprs: 0
; NumVgprs: 0
; ScratchSize: 0
; MemoryBound: 0
; FloatMode: 240
; IeeeMode: 1
; LDSByteSize: 0 bytes/workgroup (compile time only)
; SGPRBlocks: 0
; VGPRBlocks: 0
; NumSGPRsForWavesPerEU: 1
; NumVGPRsForWavesPerEU: 1
; Occupancy: 16
; WaveLimiterHint : 0
; COMPUTE_PGM_RSRC2:SCRATCH_EN: 0
; COMPUTE_PGM_RSRC2:USER_SGPR: 6
; COMPUTE_PGM_RSRC2:TRAP_HANDLER: 0
; COMPUTE_PGM_RSRC2:TGID_X_EN: 1
; COMPUTE_PGM_RSRC2:TGID_Y_EN: 0
; COMPUTE_PGM_RSRC2:TGID_Z_EN: 0
; COMPUTE_PGM_RSRC2:TIDIG_COMP_CNT: 0
	.section	.text._ZN7rocprim17ROCPRIM_400000_NS6detail17trampoline_kernelINS0_14default_configENS1_20scan_config_selectorIN3c107complexIdEEEEZZNS1_9scan_implILNS1_25lookback_scan_determinismE0ELb0ELb0ES3_PKS7_PS7_S7_ZZZN2at6native31launch_logcumsumexp_cuda_kernelERKNSE_10TensorBaseESI_lENKUlvE_clEvENKUlvE1_clEvEUlS7_S7_E_S7_EEDaPvRmT3_T4_T5_mT6_P12ihipStream_tbENKUlT_T0_E_clISt17integral_constantIbLb0EESY_IbLb1EEEEDaSU_SV_EUlSU_E_NS1_11comp_targetILNS1_3genE3ELNS1_11target_archE908ELNS1_3gpuE7ELNS1_3repE0EEENS1_30default_config_static_selectorELNS0_4arch9wavefront6targetE0EEEvT1_,"axG",@progbits,_ZN7rocprim17ROCPRIM_400000_NS6detail17trampoline_kernelINS0_14default_configENS1_20scan_config_selectorIN3c107complexIdEEEEZZNS1_9scan_implILNS1_25lookback_scan_determinismE0ELb0ELb0ES3_PKS7_PS7_S7_ZZZN2at6native31launch_logcumsumexp_cuda_kernelERKNSE_10TensorBaseESI_lENKUlvE_clEvENKUlvE1_clEvEUlS7_S7_E_S7_EEDaPvRmT3_T4_T5_mT6_P12ihipStream_tbENKUlT_T0_E_clISt17integral_constantIbLb0EESY_IbLb1EEEEDaSU_SV_EUlSU_E_NS1_11comp_targetILNS1_3genE3ELNS1_11target_archE908ELNS1_3gpuE7ELNS1_3repE0EEENS1_30default_config_static_selectorELNS0_4arch9wavefront6targetE0EEEvT1_,comdat
	.globl	_ZN7rocprim17ROCPRIM_400000_NS6detail17trampoline_kernelINS0_14default_configENS1_20scan_config_selectorIN3c107complexIdEEEEZZNS1_9scan_implILNS1_25lookback_scan_determinismE0ELb0ELb0ES3_PKS7_PS7_S7_ZZZN2at6native31launch_logcumsumexp_cuda_kernelERKNSE_10TensorBaseESI_lENKUlvE_clEvENKUlvE1_clEvEUlS7_S7_E_S7_EEDaPvRmT3_T4_T5_mT6_P12ihipStream_tbENKUlT_T0_E_clISt17integral_constantIbLb0EESY_IbLb1EEEEDaSU_SV_EUlSU_E_NS1_11comp_targetILNS1_3genE3ELNS1_11target_archE908ELNS1_3gpuE7ELNS1_3repE0EEENS1_30default_config_static_selectorELNS0_4arch9wavefront6targetE0EEEvT1_ ; -- Begin function _ZN7rocprim17ROCPRIM_400000_NS6detail17trampoline_kernelINS0_14default_configENS1_20scan_config_selectorIN3c107complexIdEEEEZZNS1_9scan_implILNS1_25lookback_scan_determinismE0ELb0ELb0ES3_PKS7_PS7_S7_ZZZN2at6native31launch_logcumsumexp_cuda_kernelERKNSE_10TensorBaseESI_lENKUlvE_clEvENKUlvE1_clEvEUlS7_S7_E_S7_EEDaPvRmT3_T4_T5_mT6_P12ihipStream_tbENKUlT_T0_E_clISt17integral_constantIbLb0EESY_IbLb1EEEEDaSU_SV_EUlSU_E_NS1_11comp_targetILNS1_3genE3ELNS1_11target_archE908ELNS1_3gpuE7ELNS1_3repE0EEENS1_30default_config_static_selectorELNS0_4arch9wavefront6targetE0EEEvT1_
	.p2align	8
	.type	_ZN7rocprim17ROCPRIM_400000_NS6detail17trampoline_kernelINS0_14default_configENS1_20scan_config_selectorIN3c107complexIdEEEEZZNS1_9scan_implILNS1_25lookback_scan_determinismE0ELb0ELb0ES3_PKS7_PS7_S7_ZZZN2at6native31launch_logcumsumexp_cuda_kernelERKNSE_10TensorBaseESI_lENKUlvE_clEvENKUlvE1_clEvEUlS7_S7_E_S7_EEDaPvRmT3_T4_T5_mT6_P12ihipStream_tbENKUlT_T0_E_clISt17integral_constantIbLb0EESY_IbLb1EEEEDaSU_SV_EUlSU_E_NS1_11comp_targetILNS1_3genE3ELNS1_11target_archE908ELNS1_3gpuE7ELNS1_3repE0EEENS1_30default_config_static_selectorELNS0_4arch9wavefront6targetE0EEEvT1_,@function
_ZN7rocprim17ROCPRIM_400000_NS6detail17trampoline_kernelINS0_14default_configENS1_20scan_config_selectorIN3c107complexIdEEEEZZNS1_9scan_implILNS1_25lookback_scan_determinismE0ELb0ELb0ES3_PKS7_PS7_S7_ZZZN2at6native31launch_logcumsumexp_cuda_kernelERKNSE_10TensorBaseESI_lENKUlvE_clEvENKUlvE1_clEvEUlS7_S7_E_S7_EEDaPvRmT3_T4_T5_mT6_P12ihipStream_tbENKUlT_T0_E_clISt17integral_constantIbLb0EESY_IbLb1EEEEDaSU_SV_EUlSU_E_NS1_11comp_targetILNS1_3genE3ELNS1_11target_archE908ELNS1_3gpuE7ELNS1_3repE0EEENS1_30default_config_static_selectorELNS0_4arch9wavefront6targetE0EEEvT1_: ; @_ZN7rocprim17ROCPRIM_400000_NS6detail17trampoline_kernelINS0_14default_configENS1_20scan_config_selectorIN3c107complexIdEEEEZZNS1_9scan_implILNS1_25lookback_scan_determinismE0ELb0ELb0ES3_PKS7_PS7_S7_ZZZN2at6native31launch_logcumsumexp_cuda_kernelERKNSE_10TensorBaseESI_lENKUlvE_clEvENKUlvE1_clEvEUlS7_S7_E_S7_EEDaPvRmT3_T4_T5_mT6_P12ihipStream_tbENKUlT_T0_E_clISt17integral_constantIbLb0EESY_IbLb1EEEEDaSU_SV_EUlSU_E_NS1_11comp_targetILNS1_3genE3ELNS1_11target_archE908ELNS1_3gpuE7ELNS1_3repE0EEENS1_30default_config_static_selectorELNS0_4arch9wavefront6targetE0EEEvT1_
; %bb.0:
	.section	.rodata,"a",@progbits
	.p2align	6, 0x0
	.amdhsa_kernel _ZN7rocprim17ROCPRIM_400000_NS6detail17trampoline_kernelINS0_14default_configENS1_20scan_config_selectorIN3c107complexIdEEEEZZNS1_9scan_implILNS1_25lookback_scan_determinismE0ELb0ELb0ES3_PKS7_PS7_S7_ZZZN2at6native31launch_logcumsumexp_cuda_kernelERKNSE_10TensorBaseESI_lENKUlvE_clEvENKUlvE1_clEvEUlS7_S7_E_S7_EEDaPvRmT3_T4_T5_mT6_P12ihipStream_tbENKUlT_T0_E_clISt17integral_constantIbLb0EESY_IbLb1EEEEDaSU_SV_EUlSU_E_NS1_11comp_targetILNS1_3genE3ELNS1_11target_archE908ELNS1_3gpuE7ELNS1_3repE0EEENS1_30default_config_static_selectorELNS0_4arch9wavefront6targetE0EEEvT1_
		.amdhsa_group_segment_fixed_size 0
		.amdhsa_private_segment_fixed_size 0
		.amdhsa_kernarg_size 128
		.amdhsa_user_sgpr_count 6
		.amdhsa_user_sgpr_private_segment_buffer 1
		.amdhsa_user_sgpr_dispatch_ptr 0
		.amdhsa_user_sgpr_queue_ptr 0
		.amdhsa_user_sgpr_kernarg_segment_ptr 1
		.amdhsa_user_sgpr_dispatch_id 0
		.amdhsa_user_sgpr_flat_scratch_init 0
		.amdhsa_user_sgpr_private_segment_size 0
		.amdhsa_wavefront_size32 1
		.amdhsa_uses_dynamic_stack 0
		.amdhsa_system_sgpr_private_segment_wavefront_offset 0
		.amdhsa_system_sgpr_workgroup_id_x 1
		.amdhsa_system_sgpr_workgroup_id_y 0
		.amdhsa_system_sgpr_workgroup_id_z 0
		.amdhsa_system_sgpr_workgroup_info 0
		.amdhsa_system_vgpr_workitem_id 0
		.amdhsa_next_free_vgpr 1
		.amdhsa_next_free_sgpr 1
		.amdhsa_reserve_vcc 0
		.amdhsa_reserve_flat_scratch 0
		.amdhsa_float_round_mode_32 0
		.amdhsa_float_round_mode_16_64 0
		.amdhsa_float_denorm_mode_32 3
		.amdhsa_float_denorm_mode_16_64 3
		.amdhsa_dx10_clamp 1
		.amdhsa_ieee_mode 1
		.amdhsa_fp16_overflow 0
		.amdhsa_workgroup_processor_mode 1
		.amdhsa_memory_ordered 1
		.amdhsa_forward_progress 1
		.amdhsa_shared_vgpr_count 0
		.amdhsa_exception_fp_ieee_invalid_op 0
		.amdhsa_exception_fp_denorm_src 0
		.amdhsa_exception_fp_ieee_div_zero 0
		.amdhsa_exception_fp_ieee_overflow 0
		.amdhsa_exception_fp_ieee_underflow 0
		.amdhsa_exception_fp_ieee_inexact 0
		.amdhsa_exception_int_div_zero 0
	.end_amdhsa_kernel
	.section	.text._ZN7rocprim17ROCPRIM_400000_NS6detail17trampoline_kernelINS0_14default_configENS1_20scan_config_selectorIN3c107complexIdEEEEZZNS1_9scan_implILNS1_25lookback_scan_determinismE0ELb0ELb0ES3_PKS7_PS7_S7_ZZZN2at6native31launch_logcumsumexp_cuda_kernelERKNSE_10TensorBaseESI_lENKUlvE_clEvENKUlvE1_clEvEUlS7_S7_E_S7_EEDaPvRmT3_T4_T5_mT6_P12ihipStream_tbENKUlT_T0_E_clISt17integral_constantIbLb0EESY_IbLb1EEEEDaSU_SV_EUlSU_E_NS1_11comp_targetILNS1_3genE3ELNS1_11target_archE908ELNS1_3gpuE7ELNS1_3repE0EEENS1_30default_config_static_selectorELNS0_4arch9wavefront6targetE0EEEvT1_,"axG",@progbits,_ZN7rocprim17ROCPRIM_400000_NS6detail17trampoline_kernelINS0_14default_configENS1_20scan_config_selectorIN3c107complexIdEEEEZZNS1_9scan_implILNS1_25lookback_scan_determinismE0ELb0ELb0ES3_PKS7_PS7_S7_ZZZN2at6native31launch_logcumsumexp_cuda_kernelERKNSE_10TensorBaseESI_lENKUlvE_clEvENKUlvE1_clEvEUlS7_S7_E_S7_EEDaPvRmT3_T4_T5_mT6_P12ihipStream_tbENKUlT_T0_E_clISt17integral_constantIbLb0EESY_IbLb1EEEEDaSU_SV_EUlSU_E_NS1_11comp_targetILNS1_3genE3ELNS1_11target_archE908ELNS1_3gpuE7ELNS1_3repE0EEENS1_30default_config_static_selectorELNS0_4arch9wavefront6targetE0EEEvT1_,comdat
.Lfunc_end244:
	.size	_ZN7rocprim17ROCPRIM_400000_NS6detail17trampoline_kernelINS0_14default_configENS1_20scan_config_selectorIN3c107complexIdEEEEZZNS1_9scan_implILNS1_25lookback_scan_determinismE0ELb0ELb0ES3_PKS7_PS7_S7_ZZZN2at6native31launch_logcumsumexp_cuda_kernelERKNSE_10TensorBaseESI_lENKUlvE_clEvENKUlvE1_clEvEUlS7_S7_E_S7_EEDaPvRmT3_T4_T5_mT6_P12ihipStream_tbENKUlT_T0_E_clISt17integral_constantIbLb0EESY_IbLb1EEEEDaSU_SV_EUlSU_E_NS1_11comp_targetILNS1_3genE3ELNS1_11target_archE908ELNS1_3gpuE7ELNS1_3repE0EEENS1_30default_config_static_selectorELNS0_4arch9wavefront6targetE0EEEvT1_, .Lfunc_end244-_ZN7rocprim17ROCPRIM_400000_NS6detail17trampoline_kernelINS0_14default_configENS1_20scan_config_selectorIN3c107complexIdEEEEZZNS1_9scan_implILNS1_25lookback_scan_determinismE0ELb0ELb0ES3_PKS7_PS7_S7_ZZZN2at6native31launch_logcumsumexp_cuda_kernelERKNSE_10TensorBaseESI_lENKUlvE_clEvENKUlvE1_clEvEUlS7_S7_E_S7_EEDaPvRmT3_T4_T5_mT6_P12ihipStream_tbENKUlT_T0_E_clISt17integral_constantIbLb0EESY_IbLb1EEEEDaSU_SV_EUlSU_E_NS1_11comp_targetILNS1_3genE3ELNS1_11target_archE908ELNS1_3gpuE7ELNS1_3repE0EEENS1_30default_config_static_selectorELNS0_4arch9wavefront6targetE0EEEvT1_
                                        ; -- End function
	.set _ZN7rocprim17ROCPRIM_400000_NS6detail17trampoline_kernelINS0_14default_configENS1_20scan_config_selectorIN3c107complexIdEEEEZZNS1_9scan_implILNS1_25lookback_scan_determinismE0ELb0ELb0ES3_PKS7_PS7_S7_ZZZN2at6native31launch_logcumsumexp_cuda_kernelERKNSE_10TensorBaseESI_lENKUlvE_clEvENKUlvE1_clEvEUlS7_S7_E_S7_EEDaPvRmT3_T4_T5_mT6_P12ihipStream_tbENKUlT_T0_E_clISt17integral_constantIbLb0EESY_IbLb1EEEEDaSU_SV_EUlSU_E_NS1_11comp_targetILNS1_3genE3ELNS1_11target_archE908ELNS1_3gpuE7ELNS1_3repE0EEENS1_30default_config_static_selectorELNS0_4arch9wavefront6targetE0EEEvT1_.num_vgpr, 0
	.set _ZN7rocprim17ROCPRIM_400000_NS6detail17trampoline_kernelINS0_14default_configENS1_20scan_config_selectorIN3c107complexIdEEEEZZNS1_9scan_implILNS1_25lookback_scan_determinismE0ELb0ELb0ES3_PKS7_PS7_S7_ZZZN2at6native31launch_logcumsumexp_cuda_kernelERKNSE_10TensorBaseESI_lENKUlvE_clEvENKUlvE1_clEvEUlS7_S7_E_S7_EEDaPvRmT3_T4_T5_mT6_P12ihipStream_tbENKUlT_T0_E_clISt17integral_constantIbLb0EESY_IbLb1EEEEDaSU_SV_EUlSU_E_NS1_11comp_targetILNS1_3genE3ELNS1_11target_archE908ELNS1_3gpuE7ELNS1_3repE0EEENS1_30default_config_static_selectorELNS0_4arch9wavefront6targetE0EEEvT1_.num_agpr, 0
	.set _ZN7rocprim17ROCPRIM_400000_NS6detail17trampoline_kernelINS0_14default_configENS1_20scan_config_selectorIN3c107complexIdEEEEZZNS1_9scan_implILNS1_25lookback_scan_determinismE0ELb0ELb0ES3_PKS7_PS7_S7_ZZZN2at6native31launch_logcumsumexp_cuda_kernelERKNSE_10TensorBaseESI_lENKUlvE_clEvENKUlvE1_clEvEUlS7_S7_E_S7_EEDaPvRmT3_T4_T5_mT6_P12ihipStream_tbENKUlT_T0_E_clISt17integral_constantIbLb0EESY_IbLb1EEEEDaSU_SV_EUlSU_E_NS1_11comp_targetILNS1_3genE3ELNS1_11target_archE908ELNS1_3gpuE7ELNS1_3repE0EEENS1_30default_config_static_selectorELNS0_4arch9wavefront6targetE0EEEvT1_.numbered_sgpr, 0
	.set _ZN7rocprim17ROCPRIM_400000_NS6detail17trampoline_kernelINS0_14default_configENS1_20scan_config_selectorIN3c107complexIdEEEEZZNS1_9scan_implILNS1_25lookback_scan_determinismE0ELb0ELb0ES3_PKS7_PS7_S7_ZZZN2at6native31launch_logcumsumexp_cuda_kernelERKNSE_10TensorBaseESI_lENKUlvE_clEvENKUlvE1_clEvEUlS7_S7_E_S7_EEDaPvRmT3_T4_T5_mT6_P12ihipStream_tbENKUlT_T0_E_clISt17integral_constantIbLb0EESY_IbLb1EEEEDaSU_SV_EUlSU_E_NS1_11comp_targetILNS1_3genE3ELNS1_11target_archE908ELNS1_3gpuE7ELNS1_3repE0EEENS1_30default_config_static_selectorELNS0_4arch9wavefront6targetE0EEEvT1_.num_named_barrier, 0
	.set _ZN7rocprim17ROCPRIM_400000_NS6detail17trampoline_kernelINS0_14default_configENS1_20scan_config_selectorIN3c107complexIdEEEEZZNS1_9scan_implILNS1_25lookback_scan_determinismE0ELb0ELb0ES3_PKS7_PS7_S7_ZZZN2at6native31launch_logcumsumexp_cuda_kernelERKNSE_10TensorBaseESI_lENKUlvE_clEvENKUlvE1_clEvEUlS7_S7_E_S7_EEDaPvRmT3_T4_T5_mT6_P12ihipStream_tbENKUlT_T0_E_clISt17integral_constantIbLb0EESY_IbLb1EEEEDaSU_SV_EUlSU_E_NS1_11comp_targetILNS1_3genE3ELNS1_11target_archE908ELNS1_3gpuE7ELNS1_3repE0EEENS1_30default_config_static_selectorELNS0_4arch9wavefront6targetE0EEEvT1_.private_seg_size, 0
	.set _ZN7rocprim17ROCPRIM_400000_NS6detail17trampoline_kernelINS0_14default_configENS1_20scan_config_selectorIN3c107complexIdEEEEZZNS1_9scan_implILNS1_25lookback_scan_determinismE0ELb0ELb0ES3_PKS7_PS7_S7_ZZZN2at6native31launch_logcumsumexp_cuda_kernelERKNSE_10TensorBaseESI_lENKUlvE_clEvENKUlvE1_clEvEUlS7_S7_E_S7_EEDaPvRmT3_T4_T5_mT6_P12ihipStream_tbENKUlT_T0_E_clISt17integral_constantIbLb0EESY_IbLb1EEEEDaSU_SV_EUlSU_E_NS1_11comp_targetILNS1_3genE3ELNS1_11target_archE908ELNS1_3gpuE7ELNS1_3repE0EEENS1_30default_config_static_selectorELNS0_4arch9wavefront6targetE0EEEvT1_.uses_vcc, 0
	.set _ZN7rocprim17ROCPRIM_400000_NS6detail17trampoline_kernelINS0_14default_configENS1_20scan_config_selectorIN3c107complexIdEEEEZZNS1_9scan_implILNS1_25lookback_scan_determinismE0ELb0ELb0ES3_PKS7_PS7_S7_ZZZN2at6native31launch_logcumsumexp_cuda_kernelERKNSE_10TensorBaseESI_lENKUlvE_clEvENKUlvE1_clEvEUlS7_S7_E_S7_EEDaPvRmT3_T4_T5_mT6_P12ihipStream_tbENKUlT_T0_E_clISt17integral_constantIbLb0EESY_IbLb1EEEEDaSU_SV_EUlSU_E_NS1_11comp_targetILNS1_3genE3ELNS1_11target_archE908ELNS1_3gpuE7ELNS1_3repE0EEENS1_30default_config_static_selectorELNS0_4arch9wavefront6targetE0EEEvT1_.uses_flat_scratch, 0
	.set _ZN7rocprim17ROCPRIM_400000_NS6detail17trampoline_kernelINS0_14default_configENS1_20scan_config_selectorIN3c107complexIdEEEEZZNS1_9scan_implILNS1_25lookback_scan_determinismE0ELb0ELb0ES3_PKS7_PS7_S7_ZZZN2at6native31launch_logcumsumexp_cuda_kernelERKNSE_10TensorBaseESI_lENKUlvE_clEvENKUlvE1_clEvEUlS7_S7_E_S7_EEDaPvRmT3_T4_T5_mT6_P12ihipStream_tbENKUlT_T0_E_clISt17integral_constantIbLb0EESY_IbLb1EEEEDaSU_SV_EUlSU_E_NS1_11comp_targetILNS1_3genE3ELNS1_11target_archE908ELNS1_3gpuE7ELNS1_3repE0EEENS1_30default_config_static_selectorELNS0_4arch9wavefront6targetE0EEEvT1_.has_dyn_sized_stack, 0
	.set _ZN7rocprim17ROCPRIM_400000_NS6detail17trampoline_kernelINS0_14default_configENS1_20scan_config_selectorIN3c107complexIdEEEEZZNS1_9scan_implILNS1_25lookback_scan_determinismE0ELb0ELb0ES3_PKS7_PS7_S7_ZZZN2at6native31launch_logcumsumexp_cuda_kernelERKNSE_10TensorBaseESI_lENKUlvE_clEvENKUlvE1_clEvEUlS7_S7_E_S7_EEDaPvRmT3_T4_T5_mT6_P12ihipStream_tbENKUlT_T0_E_clISt17integral_constantIbLb0EESY_IbLb1EEEEDaSU_SV_EUlSU_E_NS1_11comp_targetILNS1_3genE3ELNS1_11target_archE908ELNS1_3gpuE7ELNS1_3repE0EEENS1_30default_config_static_selectorELNS0_4arch9wavefront6targetE0EEEvT1_.has_recursion, 0
	.set _ZN7rocprim17ROCPRIM_400000_NS6detail17trampoline_kernelINS0_14default_configENS1_20scan_config_selectorIN3c107complexIdEEEEZZNS1_9scan_implILNS1_25lookback_scan_determinismE0ELb0ELb0ES3_PKS7_PS7_S7_ZZZN2at6native31launch_logcumsumexp_cuda_kernelERKNSE_10TensorBaseESI_lENKUlvE_clEvENKUlvE1_clEvEUlS7_S7_E_S7_EEDaPvRmT3_T4_T5_mT6_P12ihipStream_tbENKUlT_T0_E_clISt17integral_constantIbLb0EESY_IbLb1EEEEDaSU_SV_EUlSU_E_NS1_11comp_targetILNS1_3genE3ELNS1_11target_archE908ELNS1_3gpuE7ELNS1_3repE0EEENS1_30default_config_static_selectorELNS0_4arch9wavefront6targetE0EEEvT1_.has_indirect_call, 0
	.section	.AMDGPU.csdata,"",@progbits
; Kernel info:
; codeLenInByte = 0
; TotalNumSgprs: 0
; NumVgprs: 0
; ScratchSize: 0
; MemoryBound: 0
; FloatMode: 240
; IeeeMode: 1
; LDSByteSize: 0 bytes/workgroup (compile time only)
; SGPRBlocks: 0
; VGPRBlocks: 0
; NumSGPRsForWavesPerEU: 1
; NumVGPRsForWavesPerEU: 1
; Occupancy: 16
; WaveLimiterHint : 0
; COMPUTE_PGM_RSRC2:SCRATCH_EN: 0
; COMPUTE_PGM_RSRC2:USER_SGPR: 6
; COMPUTE_PGM_RSRC2:TRAP_HANDLER: 0
; COMPUTE_PGM_RSRC2:TGID_X_EN: 1
; COMPUTE_PGM_RSRC2:TGID_Y_EN: 0
; COMPUTE_PGM_RSRC2:TGID_Z_EN: 0
; COMPUTE_PGM_RSRC2:TIDIG_COMP_CNT: 0
	.section	.text._ZN7rocprim17ROCPRIM_400000_NS6detail17trampoline_kernelINS0_14default_configENS1_20scan_config_selectorIN3c107complexIdEEEEZZNS1_9scan_implILNS1_25lookback_scan_determinismE0ELb0ELb0ES3_PKS7_PS7_S7_ZZZN2at6native31launch_logcumsumexp_cuda_kernelERKNSE_10TensorBaseESI_lENKUlvE_clEvENKUlvE1_clEvEUlS7_S7_E_S7_EEDaPvRmT3_T4_T5_mT6_P12ihipStream_tbENKUlT_T0_E_clISt17integral_constantIbLb0EESY_IbLb1EEEEDaSU_SV_EUlSU_E_NS1_11comp_targetILNS1_3genE2ELNS1_11target_archE906ELNS1_3gpuE6ELNS1_3repE0EEENS1_30default_config_static_selectorELNS0_4arch9wavefront6targetE0EEEvT1_,"axG",@progbits,_ZN7rocprim17ROCPRIM_400000_NS6detail17trampoline_kernelINS0_14default_configENS1_20scan_config_selectorIN3c107complexIdEEEEZZNS1_9scan_implILNS1_25lookback_scan_determinismE0ELb0ELb0ES3_PKS7_PS7_S7_ZZZN2at6native31launch_logcumsumexp_cuda_kernelERKNSE_10TensorBaseESI_lENKUlvE_clEvENKUlvE1_clEvEUlS7_S7_E_S7_EEDaPvRmT3_T4_T5_mT6_P12ihipStream_tbENKUlT_T0_E_clISt17integral_constantIbLb0EESY_IbLb1EEEEDaSU_SV_EUlSU_E_NS1_11comp_targetILNS1_3genE2ELNS1_11target_archE906ELNS1_3gpuE6ELNS1_3repE0EEENS1_30default_config_static_selectorELNS0_4arch9wavefront6targetE0EEEvT1_,comdat
	.globl	_ZN7rocprim17ROCPRIM_400000_NS6detail17trampoline_kernelINS0_14default_configENS1_20scan_config_selectorIN3c107complexIdEEEEZZNS1_9scan_implILNS1_25lookback_scan_determinismE0ELb0ELb0ES3_PKS7_PS7_S7_ZZZN2at6native31launch_logcumsumexp_cuda_kernelERKNSE_10TensorBaseESI_lENKUlvE_clEvENKUlvE1_clEvEUlS7_S7_E_S7_EEDaPvRmT3_T4_T5_mT6_P12ihipStream_tbENKUlT_T0_E_clISt17integral_constantIbLb0EESY_IbLb1EEEEDaSU_SV_EUlSU_E_NS1_11comp_targetILNS1_3genE2ELNS1_11target_archE906ELNS1_3gpuE6ELNS1_3repE0EEENS1_30default_config_static_selectorELNS0_4arch9wavefront6targetE0EEEvT1_ ; -- Begin function _ZN7rocprim17ROCPRIM_400000_NS6detail17trampoline_kernelINS0_14default_configENS1_20scan_config_selectorIN3c107complexIdEEEEZZNS1_9scan_implILNS1_25lookback_scan_determinismE0ELb0ELb0ES3_PKS7_PS7_S7_ZZZN2at6native31launch_logcumsumexp_cuda_kernelERKNSE_10TensorBaseESI_lENKUlvE_clEvENKUlvE1_clEvEUlS7_S7_E_S7_EEDaPvRmT3_T4_T5_mT6_P12ihipStream_tbENKUlT_T0_E_clISt17integral_constantIbLb0EESY_IbLb1EEEEDaSU_SV_EUlSU_E_NS1_11comp_targetILNS1_3genE2ELNS1_11target_archE906ELNS1_3gpuE6ELNS1_3repE0EEENS1_30default_config_static_selectorELNS0_4arch9wavefront6targetE0EEEvT1_
	.p2align	8
	.type	_ZN7rocprim17ROCPRIM_400000_NS6detail17trampoline_kernelINS0_14default_configENS1_20scan_config_selectorIN3c107complexIdEEEEZZNS1_9scan_implILNS1_25lookback_scan_determinismE0ELb0ELb0ES3_PKS7_PS7_S7_ZZZN2at6native31launch_logcumsumexp_cuda_kernelERKNSE_10TensorBaseESI_lENKUlvE_clEvENKUlvE1_clEvEUlS7_S7_E_S7_EEDaPvRmT3_T4_T5_mT6_P12ihipStream_tbENKUlT_T0_E_clISt17integral_constantIbLb0EESY_IbLb1EEEEDaSU_SV_EUlSU_E_NS1_11comp_targetILNS1_3genE2ELNS1_11target_archE906ELNS1_3gpuE6ELNS1_3repE0EEENS1_30default_config_static_selectorELNS0_4arch9wavefront6targetE0EEEvT1_,@function
_ZN7rocprim17ROCPRIM_400000_NS6detail17trampoline_kernelINS0_14default_configENS1_20scan_config_selectorIN3c107complexIdEEEEZZNS1_9scan_implILNS1_25lookback_scan_determinismE0ELb0ELb0ES3_PKS7_PS7_S7_ZZZN2at6native31launch_logcumsumexp_cuda_kernelERKNSE_10TensorBaseESI_lENKUlvE_clEvENKUlvE1_clEvEUlS7_S7_E_S7_EEDaPvRmT3_T4_T5_mT6_P12ihipStream_tbENKUlT_T0_E_clISt17integral_constantIbLb0EESY_IbLb1EEEEDaSU_SV_EUlSU_E_NS1_11comp_targetILNS1_3genE2ELNS1_11target_archE906ELNS1_3gpuE6ELNS1_3repE0EEENS1_30default_config_static_selectorELNS0_4arch9wavefront6targetE0EEEvT1_: ; @_ZN7rocprim17ROCPRIM_400000_NS6detail17trampoline_kernelINS0_14default_configENS1_20scan_config_selectorIN3c107complexIdEEEEZZNS1_9scan_implILNS1_25lookback_scan_determinismE0ELb0ELb0ES3_PKS7_PS7_S7_ZZZN2at6native31launch_logcumsumexp_cuda_kernelERKNSE_10TensorBaseESI_lENKUlvE_clEvENKUlvE1_clEvEUlS7_S7_E_S7_EEDaPvRmT3_T4_T5_mT6_P12ihipStream_tbENKUlT_T0_E_clISt17integral_constantIbLb0EESY_IbLb1EEEEDaSU_SV_EUlSU_E_NS1_11comp_targetILNS1_3genE2ELNS1_11target_archE906ELNS1_3gpuE6ELNS1_3repE0EEENS1_30default_config_static_selectorELNS0_4arch9wavefront6targetE0EEEvT1_
; %bb.0:
	.section	.rodata,"a",@progbits
	.p2align	6, 0x0
	.amdhsa_kernel _ZN7rocprim17ROCPRIM_400000_NS6detail17trampoline_kernelINS0_14default_configENS1_20scan_config_selectorIN3c107complexIdEEEEZZNS1_9scan_implILNS1_25lookback_scan_determinismE0ELb0ELb0ES3_PKS7_PS7_S7_ZZZN2at6native31launch_logcumsumexp_cuda_kernelERKNSE_10TensorBaseESI_lENKUlvE_clEvENKUlvE1_clEvEUlS7_S7_E_S7_EEDaPvRmT3_T4_T5_mT6_P12ihipStream_tbENKUlT_T0_E_clISt17integral_constantIbLb0EESY_IbLb1EEEEDaSU_SV_EUlSU_E_NS1_11comp_targetILNS1_3genE2ELNS1_11target_archE906ELNS1_3gpuE6ELNS1_3repE0EEENS1_30default_config_static_selectorELNS0_4arch9wavefront6targetE0EEEvT1_
		.amdhsa_group_segment_fixed_size 0
		.amdhsa_private_segment_fixed_size 0
		.amdhsa_kernarg_size 128
		.amdhsa_user_sgpr_count 6
		.amdhsa_user_sgpr_private_segment_buffer 1
		.amdhsa_user_sgpr_dispatch_ptr 0
		.amdhsa_user_sgpr_queue_ptr 0
		.amdhsa_user_sgpr_kernarg_segment_ptr 1
		.amdhsa_user_sgpr_dispatch_id 0
		.amdhsa_user_sgpr_flat_scratch_init 0
		.amdhsa_user_sgpr_private_segment_size 0
		.amdhsa_wavefront_size32 1
		.amdhsa_uses_dynamic_stack 0
		.amdhsa_system_sgpr_private_segment_wavefront_offset 0
		.amdhsa_system_sgpr_workgroup_id_x 1
		.amdhsa_system_sgpr_workgroup_id_y 0
		.amdhsa_system_sgpr_workgroup_id_z 0
		.amdhsa_system_sgpr_workgroup_info 0
		.amdhsa_system_vgpr_workitem_id 0
		.amdhsa_next_free_vgpr 1
		.amdhsa_next_free_sgpr 1
		.amdhsa_reserve_vcc 0
		.amdhsa_reserve_flat_scratch 0
		.amdhsa_float_round_mode_32 0
		.amdhsa_float_round_mode_16_64 0
		.amdhsa_float_denorm_mode_32 3
		.amdhsa_float_denorm_mode_16_64 3
		.amdhsa_dx10_clamp 1
		.amdhsa_ieee_mode 1
		.amdhsa_fp16_overflow 0
		.amdhsa_workgroup_processor_mode 1
		.amdhsa_memory_ordered 1
		.amdhsa_forward_progress 1
		.amdhsa_shared_vgpr_count 0
		.amdhsa_exception_fp_ieee_invalid_op 0
		.amdhsa_exception_fp_denorm_src 0
		.amdhsa_exception_fp_ieee_div_zero 0
		.amdhsa_exception_fp_ieee_overflow 0
		.amdhsa_exception_fp_ieee_underflow 0
		.amdhsa_exception_fp_ieee_inexact 0
		.amdhsa_exception_int_div_zero 0
	.end_amdhsa_kernel
	.section	.text._ZN7rocprim17ROCPRIM_400000_NS6detail17trampoline_kernelINS0_14default_configENS1_20scan_config_selectorIN3c107complexIdEEEEZZNS1_9scan_implILNS1_25lookback_scan_determinismE0ELb0ELb0ES3_PKS7_PS7_S7_ZZZN2at6native31launch_logcumsumexp_cuda_kernelERKNSE_10TensorBaseESI_lENKUlvE_clEvENKUlvE1_clEvEUlS7_S7_E_S7_EEDaPvRmT3_T4_T5_mT6_P12ihipStream_tbENKUlT_T0_E_clISt17integral_constantIbLb0EESY_IbLb1EEEEDaSU_SV_EUlSU_E_NS1_11comp_targetILNS1_3genE2ELNS1_11target_archE906ELNS1_3gpuE6ELNS1_3repE0EEENS1_30default_config_static_selectorELNS0_4arch9wavefront6targetE0EEEvT1_,"axG",@progbits,_ZN7rocprim17ROCPRIM_400000_NS6detail17trampoline_kernelINS0_14default_configENS1_20scan_config_selectorIN3c107complexIdEEEEZZNS1_9scan_implILNS1_25lookback_scan_determinismE0ELb0ELb0ES3_PKS7_PS7_S7_ZZZN2at6native31launch_logcumsumexp_cuda_kernelERKNSE_10TensorBaseESI_lENKUlvE_clEvENKUlvE1_clEvEUlS7_S7_E_S7_EEDaPvRmT3_T4_T5_mT6_P12ihipStream_tbENKUlT_T0_E_clISt17integral_constantIbLb0EESY_IbLb1EEEEDaSU_SV_EUlSU_E_NS1_11comp_targetILNS1_3genE2ELNS1_11target_archE906ELNS1_3gpuE6ELNS1_3repE0EEENS1_30default_config_static_selectorELNS0_4arch9wavefront6targetE0EEEvT1_,comdat
.Lfunc_end245:
	.size	_ZN7rocprim17ROCPRIM_400000_NS6detail17trampoline_kernelINS0_14default_configENS1_20scan_config_selectorIN3c107complexIdEEEEZZNS1_9scan_implILNS1_25lookback_scan_determinismE0ELb0ELb0ES3_PKS7_PS7_S7_ZZZN2at6native31launch_logcumsumexp_cuda_kernelERKNSE_10TensorBaseESI_lENKUlvE_clEvENKUlvE1_clEvEUlS7_S7_E_S7_EEDaPvRmT3_T4_T5_mT6_P12ihipStream_tbENKUlT_T0_E_clISt17integral_constantIbLb0EESY_IbLb1EEEEDaSU_SV_EUlSU_E_NS1_11comp_targetILNS1_3genE2ELNS1_11target_archE906ELNS1_3gpuE6ELNS1_3repE0EEENS1_30default_config_static_selectorELNS0_4arch9wavefront6targetE0EEEvT1_, .Lfunc_end245-_ZN7rocprim17ROCPRIM_400000_NS6detail17trampoline_kernelINS0_14default_configENS1_20scan_config_selectorIN3c107complexIdEEEEZZNS1_9scan_implILNS1_25lookback_scan_determinismE0ELb0ELb0ES3_PKS7_PS7_S7_ZZZN2at6native31launch_logcumsumexp_cuda_kernelERKNSE_10TensorBaseESI_lENKUlvE_clEvENKUlvE1_clEvEUlS7_S7_E_S7_EEDaPvRmT3_T4_T5_mT6_P12ihipStream_tbENKUlT_T0_E_clISt17integral_constantIbLb0EESY_IbLb1EEEEDaSU_SV_EUlSU_E_NS1_11comp_targetILNS1_3genE2ELNS1_11target_archE906ELNS1_3gpuE6ELNS1_3repE0EEENS1_30default_config_static_selectorELNS0_4arch9wavefront6targetE0EEEvT1_
                                        ; -- End function
	.set _ZN7rocprim17ROCPRIM_400000_NS6detail17trampoline_kernelINS0_14default_configENS1_20scan_config_selectorIN3c107complexIdEEEEZZNS1_9scan_implILNS1_25lookback_scan_determinismE0ELb0ELb0ES3_PKS7_PS7_S7_ZZZN2at6native31launch_logcumsumexp_cuda_kernelERKNSE_10TensorBaseESI_lENKUlvE_clEvENKUlvE1_clEvEUlS7_S7_E_S7_EEDaPvRmT3_T4_T5_mT6_P12ihipStream_tbENKUlT_T0_E_clISt17integral_constantIbLb0EESY_IbLb1EEEEDaSU_SV_EUlSU_E_NS1_11comp_targetILNS1_3genE2ELNS1_11target_archE906ELNS1_3gpuE6ELNS1_3repE0EEENS1_30default_config_static_selectorELNS0_4arch9wavefront6targetE0EEEvT1_.num_vgpr, 0
	.set _ZN7rocprim17ROCPRIM_400000_NS6detail17trampoline_kernelINS0_14default_configENS1_20scan_config_selectorIN3c107complexIdEEEEZZNS1_9scan_implILNS1_25lookback_scan_determinismE0ELb0ELb0ES3_PKS7_PS7_S7_ZZZN2at6native31launch_logcumsumexp_cuda_kernelERKNSE_10TensorBaseESI_lENKUlvE_clEvENKUlvE1_clEvEUlS7_S7_E_S7_EEDaPvRmT3_T4_T5_mT6_P12ihipStream_tbENKUlT_T0_E_clISt17integral_constantIbLb0EESY_IbLb1EEEEDaSU_SV_EUlSU_E_NS1_11comp_targetILNS1_3genE2ELNS1_11target_archE906ELNS1_3gpuE6ELNS1_3repE0EEENS1_30default_config_static_selectorELNS0_4arch9wavefront6targetE0EEEvT1_.num_agpr, 0
	.set _ZN7rocprim17ROCPRIM_400000_NS6detail17trampoline_kernelINS0_14default_configENS1_20scan_config_selectorIN3c107complexIdEEEEZZNS1_9scan_implILNS1_25lookback_scan_determinismE0ELb0ELb0ES3_PKS7_PS7_S7_ZZZN2at6native31launch_logcumsumexp_cuda_kernelERKNSE_10TensorBaseESI_lENKUlvE_clEvENKUlvE1_clEvEUlS7_S7_E_S7_EEDaPvRmT3_T4_T5_mT6_P12ihipStream_tbENKUlT_T0_E_clISt17integral_constantIbLb0EESY_IbLb1EEEEDaSU_SV_EUlSU_E_NS1_11comp_targetILNS1_3genE2ELNS1_11target_archE906ELNS1_3gpuE6ELNS1_3repE0EEENS1_30default_config_static_selectorELNS0_4arch9wavefront6targetE0EEEvT1_.numbered_sgpr, 0
	.set _ZN7rocprim17ROCPRIM_400000_NS6detail17trampoline_kernelINS0_14default_configENS1_20scan_config_selectorIN3c107complexIdEEEEZZNS1_9scan_implILNS1_25lookback_scan_determinismE0ELb0ELb0ES3_PKS7_PS7_S7_ZZZN2at6native31launch_logcumsumexp_cuda_kernelERKNSE_10TensorBaseESI_lENKUlvE_clEvENKUlvE1_clEvEUlS7_S7_E_S7_EEDaPvRmT3_T4_T5_mT6_P12ihipStream_tbENKUlT_T0_E_clISt17integral_constantIbLb0EESY_IbLb1EEEEDaSU_SV_EUlSU_E_NS1_11comp_targetILNS1_3genE2ELNS1_11target_archE906ELNS1_3gpuE6ELNS1_3repE0EEENS1_30default_config_static_selectorELNS0_4arch9wavefront6targetE0EEEvT1_.num_named_barrier, 0
	.set _ZN7rocprim17ROCPRIM_400000_NS6detail17trampoline_kernelINS0_14default_configENS1_20scan_config_selectorIN3c107complexIdEEEEZZNS1_9scan_implILNS1_25lookback_scan_determinismE0ELb0ELb0ES3_PKS7_PS7_S7_ZZZN2at6native31launch_logcumsumexp_cuda_kernelERKNSE_10TensorBaseESI_lENKUlvE_clEvENKUlvE1_clEvEUlS7_S7_E_S7_EEDaPvRmT3_T4_T5_mT6_P12ihipStream_tbENKUlT_T0_E_clISt17integral_constantIbLb0EESY_IbLb1EEEEDaSU_SV_EUlSU_E_NS1_11comp_targetILNS1_3genE2ELNS1_11target_archE906ELNS1_3gpuE6ELNS1_3repE0EEENS1_30default_config_static_selectorELNS0_4arch9wavefront6targetE0EEEvT1_.private_seg_size, 0
	.set _ZN7rocprim17ROCPRIM_400000_NS6detail17trampoline_kernelINS0_14default_configENS1_20scan_config_selectorIN3c107complexIdEEEEZZNS1_9scan_implILNS1_25lookback_scan_determinismE0ELb0ELb0ES3_PKS7_PS7_S7_ZZZN2at6native31launch_logcumsumexp_cuda_kernelERKNSE_10TensorBaseESI_lENKUlvE_clEvENKUlvE1_clEvEUlS7_S7_E_S7_EEDaPvRmT3_T4_T5_mT6_P12ihipStream_tbENKUlT_T0_E_clISt17integral_constantIbLb0EESY_IbLb1EEEEDaSU_SV_EUlSU_E_NS1_11comp_targetILNS1_3genE2ELNS1_11target_archE906ELNS1_3gpuE6ELNS1_3repE0EEENS1_30default_config_static_selectorELNS0_4arch9wavefront6targetE0EEEvT1_.uses_vcc, 0
	.set _ZN7rocprim17ROCPRIM_400000_NS6detail17trampoline_kernelINS0_14default_configENS1_20scan_config_selectorIN3c107complexIdEEEEZZNS1_9scan_implILNS1_25lookback_scan_determinismE0ELb0ELb0ES3_PKS7_PS7_S7_ZZZN2at6native31launch_logcumsumexp_cuda_kernelERKNSE_10TensorBaseESI_lENKUlvE_clEvENKUlvE1_clEvEUlS7_S7_E_S7_EEDaPvRmT3_T4_T5_mT6_P12ihipStream_tbENKUlT_T0_E_clISt17integral_constantIbLb0EESY_IbLb1EEEEDaSU_SV_EUlSU_E_NS1_11comp_targetILNS1_3genE2ELNS1_11target_archE906ELNS1_3gpuE6ELNS1_3repE0EEENS1_30default_config_static_selectorELNS0_4arch9wavefront6targetE0EEEvT1_.uses_flat_scratch, 0
	.set _ZN7rocprim17ROCPRIM_400000_NS6detail17trampoline_kernelINS0_14default_configENS1_20scan_config_selectorIN3c107complexIdEEEEZZNS1_9scan_implILNS1_25lookback_scan_determinismE0ELb0ELb0ES3_PKS7_PS7_S7_ZZZN2at6native31launch_logcumsumexp_cuda_kernelERKNSE_10TensorBaseESI_lENKUlvE_clEvENKUlvE1_clEvEUlS7_S7_E_S7_EEDaPvRmT3_T4_T5_mT6_P12ihipStream_tbENKUlT_T0_E_clISt17integral_constantIbLb0EESY_IbLb1EEEEDaSU_SV_EUlSU_E_NS1_11comp_targetILNS1_3genE2ELNS1_11target_archE906ELNS1_3gpuE6ELNS1_3repE0EEENS1_30default_config_static_selectorELNS0_4arch9wavefront6targetE0EEEvT1_.has_dyn_sized_stack, 0
	.set _ZN7rocprim17ROCPRIM_400000_NS6detail17trampoline_kernelINS0_14default_configENS1_20scan_config_selectorIN3c107complexIdEEEEZZNS1_9scan_implILNS1_25lookback_scan_determinismE0ELb0ELb0ES3_PKS7_PS7_S7_ZZZN2at6native31launch_logcumsumexp_cuda_kernelERKNSE_10TensorBaseESI_lENKUlvE_clEvENKUlvE1_clEvEUlS7_S7_E_S7_EEDaPvRmT3_T4_T5_mT6_P12ihipStream_tbENKUlT_T0_E_clISt17integral_constantIbLb0EESY_IbLb1EEEEDaSU_SV_EUlSU_E_NS1_11comp_targetILNS1_3genE2ELNS1_11target_archE906ELNS1_3gpuE6ELNS1_3repE0EEENS1_30default_config_static_selectorELNS0_4arch9wavefront6targetE0EEEvT1_.has_recursion, 0
	.set _ZN7rocprim17ROCPRIM_400000_NS6detail17trampoline_kernelINS0_14default_configENS1_20scan_config_selectorIN3c107complexIdEEEEZZNS1_9scan_implILNS1_25lookback_scan_determinismE0ELb0ELb0ES3_PKS7_PS7_S7_ZZZN2at6native31launch_logcumsumexp_cuda_kernelERKNSE_10TensorBaseESI_lENKUlvE_clEvENKUlvE1_clEvEUlS7_S7_E_S7_EEDaPvRmT3_T4_T5_mT6_P12ihipStream_tbENKUlT_T0_E_clISt17integral_constantIbLb0EESY_IbLb1EEEEDaSU_SV_EUlSU_E_NS1_11comp_targetILNS1_3genE2ELNS1_11target_archE906ELNS1_3gpuE6ELNS1_3repE0EEENS1_30default_config_static_selectorELNS0_4arch9wavefront6targetE0EEEvT1_.has_indirect_call, 0
	.section	.AMDGPU.csdata,"",@progbits
; Kernel info:
; codeLenInByte = 0
; TotalNumSgprs: 0
; NumVgprs: 0
; ScratchSize: 0
; MemoryBound: 0
; FloatMode: 240
; IeeeMode: 1
; LDSByteSize: 0 bytes/workgroup (compile time only)
; SGPRBlocks: 0
; VGPRBlocks: 0
; NumSGPRsForWavesPerEU: 1
; NumVGPRsForWavesPerEU: 1
; Occupancy: 16
; WaveLimiterHint : 0
; COMPUTE_PGM_RSRC2:SCRATCH_EN: 0
; COMPUTE_PGM_RSRC2:USER_SGPR: 6
; COMPUTE_PGM_RSRC2:TRAP_HANDLER: 0
; COMPUTE_PGM_RSRC2:TGID_X_EN: 1
; COMPUTE_PGM_RSRC2:TGID_Y_EN: 0
; COMPUTE_PGM_RSRC2:TGID_Z_EN: 0
; COMPUTE_PGM_RSRC2:TIDIG_COMP_CNT: 0
	.section	.text._ZN7rocprim17ROCPRIM_400000_NS6detail17trampoline_kernelINS0_14default_configENS1_20scan_config_selectorIN3c107complexIdEEEEZZNS1_9scan_implILNS1_25lookback_scan_determinismE0ELb0ELb0ES3_PKS7_PS7_S7_ZZZN2at6native31launch_logcumsumexp_cuda_kernelERKNSE_10TensorBaseESI_lENKUlvE_clEvENKUlvE1_clEvEUlS7_S7_E_S7_EEDaPvRmT3_T4_T5_mT6_P12ihipStream_tbENKUlT_T0_E_clISt17integral_constantIbLb0EESY_IbLb1EEEEDaSU_SV_EUlSU_E_NS1_11comp_targetILNS1_3genE10ELNS1_11target_archE1201ELNS1_3gpuE5ELNS1_3repE0EEENS1_30default_config_static_selectorELNS0_4arch9wavefront6targetE0EEEvT1_,"axG",@progbits,_ZN7rocprim17ROCPRIM_400000_NS6detail17trampoline_kernelINS0_14default_configENS1_20scan_config_selectorIN3c107complexIdEEEEZZNS1_9scan_implILNS1_25lookback_scan_determinismE0ELb0ELb0ES3_PKS7_PS7_S7_ZZZN2at6native31launch_logcumsumexp_cuda_kernelERKNSE_10TensorBaseESI_lENKUlvE_clEvENKUlvE1_clEvEUlS7_S7_E_S7_EEDaPvRmT3_T4_T5_mT6_P12ihipStream_tbENKUlT_T0_E_clISt17integral_constantIbLb0EESY_IbLb1EEEEDaSU_SV_EUlSU_E_NS1_11comp_targetILNS1_3genE10ELNS1_11target_archE1201ELNS1_3gpuE5ELNS1_3repE0EEENS1_30default_config_static_selectorELNS0_4arch9wavefront6targetE0EEEvT1_,comdat
	.globl	_ZN7rocprim17ROCPRIM_400000_NS6detail17trampoline_kernelINS0_14default_configENS1_20scan_config_selectorIN3c107complexIdEEEEZZNS1_9scan_implILNS1_25lookback_scan_determinismE0ELb0ELb0ES3_PKS7_PS7_S7_ZZZN2at6native31launch_logcumsumexp_cuda_kernelERKNSE_10TensorBaseESI_lENKUlvE_clEvENKUlvE1_clEvEUlS7_S7_E_S7_EEDaPvRmT3_T4_T5_mT6_P12ihipStream_tbENKUlT_T0_E_clISt17integral_constantIbLb0EESY_IbLb1EEEEDaSU_SV_EUlSU_E_NS1_11comp_targetILNS1_3genE10ELNS1_11target_archE1201ELNS1_3gpuE5ELNS1_3repE0EEENS1_30default_config_static_selectorELNS0_4arch9wavefront6targetE0EEEvT1_ ; -- Begin function _ZN7rocprim17ROCPRIM_400000_NS6detail17trampoline_kernelINS0_14default_configENS1_20scan_config_selectorIN3c107complexIdEEEEZZNS1_9scan_implILNS1_25lookback_scan_determinismE0ELb0ELb0ES3_PKS7_PS7_S7_ZZZN2at6native31launch_logcumsumexp_cuda_kernelERKNSE_10TensorBaseESI_lENKUlvE_clEvENKUlvE1_clEvEUlS7_S7_E_S7_EEDaPvRmT3_T4_T5_mT6_P12ihipStream_tbENKUlT_T0_E_clISt17integral_constantIbLb0EESY_IbLb1EEEEDaSU_SV_EUlSU_E_NS1_11comp_targetILNS1_3genE10ELNS1_11target_archE1201ELNS1_3gpuE5ELNS1_3repE0EEENS1_30default_config_static_selectorELNS0_4arch9wavefront6targetE0EEEvT1_
	.p2align	8
	.type	_ZN7rocprim17ROCPRIM_400000_NS6detail17trampoline_kernelINS0_14default_configENS1_20scan_config_selectorIN3c107complexIdEEEEZZNS1_9scan_implILNS1_25lookback_scan_determinismE0ELb0ELb0ES3_PKS7_PS7_S7_ZZZN2at6native31launch_logcumsumexp_cuda_kernelERKNSE_10TensorBaseESI_lENKUlvE_clEvENKUlvE1_clEvEUlS7_S7_E_S7_EEDaPvRmT3_T4_T5_mT6_P12ihipStream_tbENKUlT_T0_E_clISt17integral_constantIbLb0EESY_IbLb1EEEEDaSU_SV_EUlSU_E_NS1_11comp_targetILNS1_3genE10ELNS1_11target_archE1201ELNS1_3gpuE5ELNS1_3repE0EEENS1_30default_config_static_selectorELNS0_4arch9wavefront6targetE0EEEvT1_,@function
_ZN7rocprim17ROCPRIM_400000_NS6detail17trampoline_kernelINS0_14default_configENS1_20scan_config_selectorIN3c107complexIdEEEEZZNS1_9scan_implILNS1_25lookback_scan_determinismE0ELb0ELb0ES3_PKS7_PS7_S7_ZZZN2at6native31launch_logcumsumexp_cuda_kernelERKNSE_10TensorBaseESI_lENKUlvE_clEvENKUlvE1_clEvEUlS7_S7_E_S7_EEDaPvRmT3_T4_T5_mT6_P12ihipStream_tbENKUlT_T0_E_clISt17integral_constantIbLb0EESY_IbLb1EEEEDaSU_SV_EUlSU_E_NS1_11comp_targetILNS1_3genE10ELNS1_11target_archE1201ELNS1_3gpuE5ELNS1_3repE0EEENS1_30default_config_static_selectorELNS0_4arch9wavefront6targetE0EEEvT1_: ; @_ZN7rocprim17ROCPRIM_400000_NS6detail17trampoline_kernelINS0_14default_configENS1_20scan_config_selectorIN3c107complexIdEEEEZZNS1_9scan_implILNS1_25lookback_scan_determinismE0ELb0ELb0ES3_PKS7_PS7_S7_ZZZN2at6native31launch_logcumsumexp_cuda_kernelERKNSE_10TensorBaseESI_lENKUlvE_clEvENKUlvE1_clEvEUlS7_S7_E_S7_EEDaPvRmT3_T4_T5_mT6_P12ihipStream_tbENKUlT_T0_E_clISt17integral_constantIbLb0EESY_IbLb1EEEEDaSU_SV_EUlSU_E_NS1_11comp_targetILNS1_3genE10ELNS1_11target_archE1201ELNS1_3gpuE5ELNS1_3repE0EEENS1_30default_config_static_selectorELNS0_4arch9wavefront6targetE0EEEvT1_
; %bb.0:
	.section	.rodata,"a",@progbits
	.p2align	6, 0x0
	.amdhsa_kernel _ZN7rocprim17ROCPRIM_400000_NS6detail17trampoline_kernelINS0_14default_configENS1_20scan_config_selectorIN3c107complexIdEEEEZZNS1_9scan_implILNS1_25lookback_scan_determinismE0ELb0ELb0ES3_PKS7_PS7_S7_ZZZN2at6native31launch_logcumsumexp_cuda_kernelERKNSE_10TensorBaseESI_lENKUlvE_clEvENKUlvE1_clEvEUlS7_S7_E_S7_EEDaPvRmT3_T4_T5_mT6_P12ihipStream_tbENKUlT_T0_E_clISt17integral_constantIbLb0EESY_IbLb1EEEEDaSU_SV_EUlSU_E_NS1_11comp_targetILNS1_3genE10ELNS1_11target_archE1201ELNS1_3gpuE5ELNS1_3repE0EEENS1_30default_config_static_selectorELNS0_4arch9wavefront6targetE0EEEvT1_
		.amdhsa_group_segment_fixed_size 0
		.amdhsa_private_segment_fixed_size 0
		.amdhsa_kernarg_size 128
		.amdhsa_user_sgpr_count 6
		.amdhsa_user_sgpr_private_segment_buffer 1
		.amdhsa_user_sgpr_dispatch_ptr 0
		.amdhsa_user_sgpr_queue_ptr 0
		.amdhsa_user_sgpr_kernarg_segment_ptr 1
		.amdhsa_user_sgpr_dispatch_id 0
		.amdhsa_user_sgpr_flat_scratch_init 0
		.amdhsa_user_sgpr_private_segment_size 0
		.amdhsa_wavefront_size32 1
		.amdhsa_uses_dynamic_stack 0
		.amdhsa_system_sgpr_private_segment_wavefront_offset 0
		.amdhsa_system_sgpr_workgroup_id_x 1
		.amdhsa_system_sgpr_workgroup_id_y 0
		.amdhsa_system_sgpr_workgroup_id_z 0
		.amdhsa_system_sgpr_workgroup_info 0
		.amdhsa_system_vgpr_workitem_id 0
		.amdhsa_next_free_vgpr 1
		.amdhsa_next_free_sgpr 1
		.amdhsa_reserve_vcc 0
		.amdhsa_reserve_flat_scratch 0
		.amdhsa_float_round_mode_32 0
		.amdhsa_float_round_mode_16_64 0
		.amdhsa_float_denorm_mode_32 3
		.amdhsa_float_denorm_mode_16_64 3
		.amdhsa_dx10_clamp 1
		.amdhsa_ieee_mode 1
		.amdhsa_fp16_overflow 0
		.amdhsa_workgroup_processor_mode 1
		.amdhsa_memory_ordered 1
		.amdhsa_forward_progress 1
		.amdhsa_shared_vgpr_count 0
		.amdhsa_exception_fp_ieee_invalid_op 0
		.amdhsa_exception_fp_denorm_src 0
		.amdhsa_exception_fp_ieee_div_zero 0
		.amdhsa_exception_fp_ieee_overflow 0
		.amdhsa_exception_fp_ieee_underflow 0
		.amdhsa_exception_fp_ieee_inexact 0
		.amdhsa_exception_int_div_zero 0
	.end_amdhsa_kernel
	.section	.text._ZN7rocprim17ROCPRIM_400000_NS6detail17trampoline_kernelINS0_14default_configENS1_20scan_config_selectorIN3c107complexIdEEEEZZNS1_9scan_implILNS1_25lookback_scan_determinismE0ELb0ELb0ES3_PKS7_PS7_S7_ZZZN2at6native31launch_logcumsumexp_cuda_kernelERKNSE_10TensorBaseESI_lENKUlvE_clEvENKUlvE1_clEvEUlS7_S7_E_S7_EEDaPvRmT3_T4_T5_mT6_P12ihipStream_tbENKUlT_T0_E_clISt17integral_constantIbLb0EESY_IbLb1EEEEDaSU_SV_EUlSU_E_NS1_11comp_targetILNS1_3genE10ELNS1_11target_archE1201ELNS1_3gpuE5ELNS1_3repE0EEENS1_30default_config_static_selectorELNS0_4arch9wavefront6targetE0EEEvT1_,"axG",@progbits,_ZN7rocprim17ROCPRIM_400000_NS6detail17trampoline_kernelINS0_14default_configENS1_20scan_config_selectorIN3c107complexIdEEEEZZNS1_9scan_implILNS1_25lookback_scan_determinismE0ELb0ELb0ES3_PKS7_PS7_S7_ZZZN2at6native31launch_logcumsumexp_cuda_kernelERKNSE_10TensorBaseESI_lENKUlvE_clEvENKUlvE1_clEvEUlS7_S7_E_S7_EEDaPvRmT3_T4_T5_mT6_P12ihipStream_tbENKUlT_T0_E_clISt17integral_constantIbLb0EESY_IbLb1EEEEDaSU_SV_EUlSU_E_NS1_11comp_targetILNS1_3genE10ELNS1_11target_archE1201ELNS1_3gpuE5ELNS1_3repE0EEENS1_30default_config_static_selectorELNS0_4arch9wavefront6targetE0EEEvT1_,comdat
.Lfunc_end246:
	.size	_ZN7rocprim17ROCPRIM_400000_NS6detail17trampoline_kernelINS0_14default_configENS1_20scan_config_selectorIN3c107complexIdEEEEZZNS1_9scan_implILNS1_25lookback_scan_determinismE0ELb0ELb0ES3_PKS7_PS7_S7_ZZZN2at6native31launch_logcumsumexp_cuda_kernelERKNSE_10TensorBaseESI_lENKUlvE_clEvENKUlvE1_clEvEUlS7_S7_E_S7_EEDaPvRmT3_T4_T5_mT6_P12ihipStream_tbENKUlT_T0_E_clISt17integral_constantIbLb0EESY_IbLb1EEEEDaSU_SV_EUlSU_E_NS1_11comp_targetILNS1_3genE10ELNS1_11target_archE1201ELNS1_3gpuE5ELNS1_3repE0EEENS1_30default_config_static_selectorELNS0_4arch9wavefront6targetE0EEEvT1_, .Lfunc_end246-_ZN7rocprim17ROCPRIM_400000_NS6detail17trampoline_kernelINS0_14default_configENS1_20scan_config_selectorIN3c107complexIdEEEEZZNS1_9scan_implILNS1_25lookback_scan_determinismE0ELb0ELb0ES3_PKS7_PS7_S7_ZZZN2at6native31launch_logcumsumexp_cuda_kernelERKNSE_10TensorBaseESI_lENKUlvE_clEvENKUlvE1_clEvEUlS7_S7_E_S7_EEDaPvRmT3_T4_T5_mT6_P12ihipStream_tbENKUlT_T0_E_clISt17integral_constantIbLb0EESY_IbLb1EEEEDaSU_SV_EUlSU_E_NS1_11comp_targetILNS1_3genE10ELNS1_11target_archE1201ELNS1_3gpuE5ELNS1_3repE0EEENS1_30default_config_static_selectorELNS0_4arch9wavefront6targetE0EEEvT1_
                                        ; -- End function
	.set _ZN7rocprim17ROCPRIM_400000_NS6detail17trampoline_kernelINS0_14default_configENS1_20scan_config_selectorIN3c107complexIdEEEEZZNS1_9scan_implILNS1_25lookback_scan_determinismE0ELb0ELb0ES3_PKS7_PS7_S7_ZZZN2at6native31launch_logcumsumexp_cuda_kernelERKNSE_10TensorBaseESI_lENKUlvE_clEvENKUlvE1_clEvEUlS7_S7_E_S7_EEDaPvRmT3_T4_T5_mT6_P12ihipStream_tbENKUlT_T0_E_clISt17integral_constantIbLb0EESY_IbLb1EEEEDaSU_SV_EUlSU_E_NS1_11comp_targetILNS1_3genE10ELNS1_11target_archE1201ELNS1_3gpuE5ELNS1_3repE0EEENS1_30default_config_static_selectorELNS0_4arch9wavefront6targetE0EEEvT1_.num_vgpr, 0
	.set _ZN7rocprim17ROCPRIM_400000_NS6detail17trampoline_kernelINS0_14default_configENS1_20scan_config_selectorIN3c107complexIdEEEEZZNS1_9scan_implILNS1_25lookback_scan_determinismE0ELb0ELb0ES3_PKS7_PS7_S7_ZZZN2at6native31launch_logcumsumexp_cuda_kernelERKNSE_10TensorBaseESI_lENKUlvE_clEvENKUlvE1_clEvEUlS7_S7_E_S7_EEDaPvRmT3_T4_T5_mT6_P12ihipStream_tbENKUlT_T0_E_clISt17integral_constantIbLb0EESY_IbLb1EEEEDaSU_SV_EUlSU_E_NS1_11comp_targetILNS1_3genE10ELNS1_11target_archE1201ELNS1_3gpuE5ELNS1_3repE0EEENS1_30default_config_static_selectorELNS0_4arch9wavefront6targetE0EEEvT1_.num_agpr, 0
	.set _ZN7rocprim17ROCPRIM_400000_NS6detail17trampoline_kernelINS0_14default_configENS1_20scan_config_selectorIN3c107complexIdEEEEZZNS1_9scan_implILNS1_25lookback_scan_determinismE0ELb0ELb0ES3_PKS7_PS7_S7_ZZZN2at6native31launch_logcumsumexp_cuda_kernelERKNSE_10TensorBaseESI_lENKUlvE_clEvENKUlvE1_clEvEUlS7_S7_E_S7_EEDaPvRmT3_T4_T5_mT6_P12ihipStream_tbENKUlT_T0_E_clISt17integral_constantIbLb0EESY_IbLb1EEEEDaSU_SV_EUlSU_E_NS1_11comp_targetILNS1_3genE10ELNS1_11target_archE1201ELNS1_3gpuE5ELNS1_3repE0EEENS1_30default_config_static_selectorELNS0_4arch9wavefront6targetE0EEEvT1_.numbered_sgpr, 0
	.set _ZN7rocprim17ROCPRIM_400000_NS6detail17trampoline_kernelINS0_14default_configENS1_20scan_config_selectorIN3c107complexIdEEEEZZNS1_9scan_implILNS1_25lookback_scan_determinismE0ELb0ELb0ES3_PKS7_PS7_S7_ZZZN2at6native31launch_logcumsumexp_cuda_kernelERKNSE_10TensorBaseESI_lENKUlvE_clEvENKUlvE1_clEvEUlS7_S7_E_S7_EEDaPvRmT3_T4_T5_mT6_P12ihipStream_tbENKUlT_T0_E_clISt17integral_constantIbLb0EESY_IbLb1EEEEDaSU_SV_EUlSU_E_NS1_11comp_targetILNS1_3genE10ELNS1_11target_archE1201ELNS1_3gpuE5ELNS1_3repE0EEENS1_30default_config_static_selectorELNS0_4arch9wavefront6targetE0EEEvT1_.num_named_barrier, 0
	.set _ZN7rocprim17ROCPRIM_400000_NS6detail17trampoline_kernelINS0_14default_configENS1_20scan_config_selectorIN3c107complexIdEEEEZZNS1_9scan_implILNS1_25lookback_scan_determinismE0ELb0ELb0ES3_PKS7_PS7_S7_ZZZN2at6native31launch_logcumsumexp_cuda_kernelERKNSE_10TensorBaseESI_lENKUlvE_clEvENKUlvE1_clEvEUlS7_S7_E_S7_EEDaPvRmT3_T4_T5_mT6_P12ihipStream_tbENKUlT_T0_E_clISt17integral_constantIbLb0EESY_IbLb1EEEEDaSU_SV_EUlSU_E_NS1_11comp_targetILNS1_3genE10ELNS1_11target_archE1201ELNS1_3gpuE5ELNS1_3repE0EEENS1_30default_config_static_selectorELNS0_4arch9wavefront6targetE0EEEvT1_.private_seg_size, 0
	.set _ZN7rocprim17ROCPRIM_400000_NS6detail17trampoline_kernelINS0_14default_configENS1_20scan_config_selectorIN3c107complexIdEEEEZZNS1_9scan_implILNS1_25lookback_scan_determinismE0ELb0ELb0ES3_PKS7_PS7_S7_ZZZN2at6native31launch_logcumsumexp_cuda_kernelERKNSE_10TensorBaseESI_lENKUlvE_clEvENKUlvE1_clEvEUlS7_S7_E_S7_EEDaPvRmT3_T4_T5_mT6_P12ihipStream_tbENKUlT_T0_E_clISt17integral_constantIbLb0EESY_IbLb1EEEEDaSU_SV_EUlSU_E_NS1_11comp_targetILNS1_3genE10ELNS1_11target_archE1201ELNS1_3gpuE5ELNS1_3repE0EEENS1_30default_config_static_selectorELNS0_4arch9wavefront6targetE0EEEvT1_.uses_vcc, 0
	.set _ZN7rocprim17ROCPRIM_400000_NS6detail17trampoline_kernelINS0_14default_configENS1_20scan_config_selectorIN3c107complexIdEEEEZZNS1_9scan_implILNS1_25lookback_scan_determinismE0ELb0ELb0ES3_PKS7_PS7_S7_ZZZN2at6native31launch_logcumsumexp_cuda_kernelERKNSE_10TensorBaseESI_lENKUlvE_clEvENKUlvE1_clEvEUlS7_S7_E_S7_EEDaPvRmT3_T4_T5_mT6_P12ihipStream_tbENKUlT_T0_E_clISt17integral_constantIbLb0EESY_IbLb1EEEEDaSU_SV_EUlSU_E_NS1_11comp_targetILNS1_3genE10ELNS1_11target_archE1201ELNS1_3gpuE5ELNS1_3repE0EEENS1_30default_config_static_selectorELNS0_4arch9wavefront6targetE0EEEvT1_.uses_flat_scratch, 0
	.set _ZN7rocprim17ROCPRIM_400000_NS6detail17trampoline_kernelINS0_14default_configENS1_20scan_config_selectorIN3c107complexIdEEEEZZNS1_9scan_implILNS1_25lookback_scan_determinismE0ELb0ELb0ES3_PKS7_PS7_S7_ZZZN2at6native31launch_logcumsumexp_cuda_kernelERKNSE_10TensorBaseESI_lENKUlvE_clEvENKUlvE1_clEvEUlS7_S7_E_S7_EEDaPvRmT3_T4_T5_mT6_P12ihipStream_tbENKUlT_T0_E_clISt17integral_constantIbLb0EESY_IbLb1EEEEDaSU_SV_EUlSU_E_NS1_11comp_targetILNS1_3genE10ELNS1_11target_archE1201ELNS1_3gpuE5ELNS1_3repE0EEENS1_30default_config_static_selectorELNS0_4arch9wavefront6targetE0EEEvT1_.has_dyn_sized_stack, 0
	.set _ZN7rocprim17ROCPRIM_400000_NS6detail17trampoline_kernelINS0_14default_configENS1_20scan_config_selectorIN3c107complexIdEEEEZZNS1_9scan_implILNS1_25lookback_scan_determinismE0ELb0ELb0ES3_PKS7_PS7_S7_ZZZN2at6native31launch_logcumsumexp_cuda_kernelERKNSE_10TensorBaseESI_lENKUlvE_clEvENKUlvE1_clEvEUlS7_S7_E_S7_EEDaPvRmT3_T4_T5_mT6_P12ihipStream_tbENKUlT_T0_E_clISt17integral_constantIbLb0EESY_IbLb1EEEEDaSU_SV_EUlSU_E_NS1_11comp_targetILNS1_3genE10ELNS1_11target_archE1201ELNS1_3gpuE5ELNS1_3repE0EEENS1_30default_config_static_selectorELNS0_4arch9wavefront6targetE0EEEvT1_.has_recursion, 0
	.set _ZN7rocprim17ROCPRIM_400000_NS6detail17trampoline_kernelINS0_14default_configENS1_20scan_config_selectorIN3c107complexIdEEEEZZNS1_9scan_implILNS1_25lookback_scan_determinismE0ELb0ELb0ES3_PKS7_PS7_S7_ZZZN2at6native31launch_logcumsumexp_cuda_kernelERKNSE_10TensorBaseESI_lENKUlvE_clEvENKUlvE1_clEvEUlS7_S7_E_S7_EEDaPvRmT3_T4_T5_mT6_P12ihipStream_tbENKUlT_T0_E_clISt17integral_constantIbLb0EESY_IbLb1EEEEDaSU_SV_EUlSU_E_NS1_11comp_targetILNS1_3genE10ELNS1_11target_archE1201ELNS1_3gpuE5ELNS1_3repE0EEENS1_30default_config_static_selectorELNS0_4arch9wavefront6targetE0EEEvT1_.has_indirect_call, 0
	.section	.AMDGPU.csdata,"",@progbits
; Kernel info:
; codeLenInByte = 0
; TotalNumSgprs: 0
; NumVgprs: 0
; ScratchSize: 0
; MemoryBound: 0
; FloatMode: 240
; IeeeMode: 1
; LDSByteSize: 0 bytes/workgroup (compile time only)
; SGPRBlocks: 0
; VGPRBlocks: 0
; NumSGPRsForWavesPerEU: 1
; NumVGPRsForWavesPerEU: 1
; Occupancy: 16
; WaveLimiterHint : 0
; COMPUTE_PGM_RSRC2:SCRATCH_EN: 0
; COMPUTE_PGM_RSRC2:USER_SGPR: 6
; COMPUTE_PGM_RSRC2:TRAP_HANDLER: 0
; COMPUTE_PGM_RSRC2:TGID_X_EN: 1
; COMPUTE_PGM_RSRC2:TGID_Y_EN: 0
; COMPUTE_PGM_RSRC2:TGID_Z_EN: 0
; COMPUTE_PGM_RSRC2:TIDIG_COMP_CNT: 0
	.section	.text._ZN7rocprim17ROCPRIM_400000_NS6detail17trampoline_kernelINS0_14default_configENS1_20scan_config_selectorIN3c107complexIdEEEEZZNS1_9scan_implILNS1_25lookback_scan_determinismE0ELb0ELb0ES3_PKS7_PS7_S7_ZZZN2at6native31launch_logcumsumexp_cuda_kernelERKNSE_10TensorBaseESI_lENKUlvE_clEvENKUlvE1_clEvEUlS7_S7_E_S7_EEDaPvRmT3_T4_T5_mT6_P12ihipStream_tbENKUlT_T0_E_clISt17integral_constantIbLb0EESY_IbLb1EEEEDaSU_SV_EUlSU_E_NS1_11comp_targetILNS1_3genE10ELNS1_11target_archE1200ELNS1_3gpuE4ELNS1_3repE0EEENS1_30default_config_static_selectorELNS0_4arch9wavefront6targetE0EEEvT1_,"axG",@progbits,_ZN7rocprim17ROCPRIM_400000_NS6detail17trampoline_kernelINS0_14default_configENS1_20scan_config_selectorIN3c107complexIdEEEEZZNS1_9scan_implILNS1_25lookback_scan_determinismE0ELb0ELb0ES3_PKS7_PS7_S7_ZZZN2at6native31launch_logcumsumexp_cuda_kernelERKNSE_10TensorBaseESI_lENKUlvE_clEvENKUlvE1_clEvEUlS7_S7_E_S7_EEDaPvRmT3_T4_T5_mT6_P12ihipStream_tbENKUlT_T0_E_clISt17integral_constantIbLb0EESY_IbLb1EEEEDaSU_SV_EUlSU_E_NS1_11comp_targetILNS1_3genE10ELNS1_11target_archE1200ELNS1_3gpuE4ELNS1_3repE0EEENS1_30default_config_static_selectorELNS0_4arch9wavefront6targetE0EEEvT1_,comdat
	.globl	_ZN7rocprim17ROCPRIM_400000_NS6detail17trampoline_kernelINS0_14default_configENS1_20scan_config_selectorIN3c107complexIdEEEEZZNS1_9scan_implILNS1_25lookback_scan_determinismE0ELb0ELb0ES3_PKS7_PS7_S7_ZZZN2at6native31launch_logcumsumexp_cuda_kernelERKNSE_10TensorBaseESI_lENKUlvE_clEvENKUlvE1_clEvEUlS7_S7_E_S7_EEDaPvRmT3_T4_T5_mT6_P12ihipStream_tbENKUlT_T0_E_clISt17integral_constantIbLb0EESY_IbLb1EEEEDaSU_SV_EUlSU_E_NS1_11comp_targetILNS1_3genE10ELNS1_11target_archE1200ELNS1_3gpuE4ELNS1_3repE0EEENS1_30default_config_static_selectorELNS0_4arch9wavefront6targetE0EEEvT1_ ; -- Begin function _ZN7rocprim17ROCPRIM_400000_NS6detail17trampoline_kernelINS0_14default_configENS1_20scan_config_selectorIN3c107complexIdEEEEZZNS1_9scan_implILNS1_25lookback_scan_determinismE0ELb0ELb0ES3_PKS7_PS7_S7_ZZZN2at6native31launch_logcumsumexp_cuda_kernelERKNSE_10TensorBaseESI_lENKUlvE_clEvENKUlvE1_clEvEUlS7_S7_E_S7_EEDaPvRmT3_T4_T5_mT6_P12ihipStream_tbENKUlT_T0_E_clISt17integral_constantIbLb0EESY_IbLb1EEEEDaSU_SV_EUlSU_E_NS1_11comp_targetILNS1_3genE10ELNS1_11target_archE1200ELNS1_3gpuE4ELNS1_3repE0EEENS1_30default_config_static_selectorELNS0_4arch9wavefront6targetE0EEEvT1_
	.p2align	8
	.type	_ZN7rocprim17ROCPRIM_400000_NS6detail17trampoline_kernelINS0_14default_configENS1_20scan_config_selectorIN3c107complexIdEEEEZZNS1_9scan_implILNS1_25lookback_scan_determinismE0ELb0ELb0ES3_PKS7_PS7_S7_ZZZN2at6native31launch_logcumsumexp_cuda_kernelERKNSE_10TensorBaseESI_lENKUlvE_clEvENKUlvE1_clEvEUlS7_S7_E_S7_EEDaPvRmT3_T4_T5_mT6_P12ihipStream_tbENKUlT_T0_E_clISt17integral_constantIbLb0EESY_IbLb1EEEEDaSU_SV_EUlSU_E_NS1_11comp_targetILNS1_3genE10ELNS1_11target_archE1200ELNS1_3gpuE4ELNS1_3repE0EEENS1_30default_config_static_selectorELNS0_4arch9wavefront6targetE0EEEvT1_,@function
_ZN7rocprim17ROCPRIM_400000_NS6detail17trampoline_kernelINS0_14default_configENS1_20scan_config_selectorIN3c107complexIdEEEEZZNS1_9scan_implILNS1_25lookback_scan_determinismE0ELb0ELb0ES3_PKS7_PS7_S7_ZZZN2at6native31launch_logcumsumexp_cuda_kernelERKNSE_10TensorBaseESI_lENKUlvE_clEvENKUlvE1_clEvEUlS7_S7_E_S7_EEDaPvRmT3_T4_T5_mT6_P12ihipStream_tbENKUlT_T0_E_clISt17integral_constantIbLb0EESY_IbLb1EEEEDaSU_SV_EUlSU_E_NS1_11comp_targetILNS1_3genE10ELNS1_11target_archE1200ELNS1_3gpuE4ELNS1_3repE0EEENS1_30default_config_static_selectorELNS0_4arch9wavefront6targetE0EEEvT1_: ; @_ZN7rocprim17ROCPRIM_400000_NS6detail17trampoline_kernelINS0_14default_configENS1_20scan_config_selectorIN3c107complexIdEEEEZZNS1_9scan_implILNS1_25lookback_scan_determinismE0ELb0ELb0ES3_PKS7_PS7_S7_ZZZN2at6native31launch_logcumsumexp_cuda_kernelERKNSE_10TensorBaseESI_lENKUlvE_clEvENKUlvE1_clEvEUlS7_S7_E_S7_EEDaPvRmT3_T4_T5_mT6_P12ihipStream_tbENKUlT_T0_E_clISt17integral_constantIbLb0EESY_IbLb1EEEEDaSU_SV_EUlSU_E_NS1_11comp_targetILNS1_3genE10ELNS1_11target_archE1200ELNS1_3gpuE4ELNS1_3repE0EEENS1_30default_config_static_selectorELNS0_4arch9wavefront6targetE0EEEvT1_
; %bb.0:
	.section	.rodata,"a",@progbits
	.p2align	6, 0x0
	.amdhsa_kernel _ZN7rocprim17ROCPRIM_400000_NS6detail17trampoline_kernelINS0_14default_configENS1_20scan_config_selectorIN3c107complexIdEEEEZZNS1_9scan_implILNS1_25lookback_scan_determinismE0ELb0ELb0ES3_PKS7_PS7_S7_ZZZN2at6native31launch_logcumsumexp_cuda_kernelERKNSE_10TensorBaseESI_lENKUlvE_clEvENKUlvE1_clEvEUlS7_S7_E_S7_EEDaPvRmT3_T4_T5_mT6_P12ihipStream_tbENKUlT_T0_E_clISt17integral_constantIbLb0EESY_IbLb1EEEEDaSU_SV_EUlSU_E_NS1_11comp_targetILNS1_3genE10ELNS1_11target_archE1200ELNS1_3gpuE4ELNS1_3repE0EEENS1_30default_config_static_selectorELNS0_4arch9wavefront6targetE0EEEvT1_
		.amdhsa_group_segment_fixed_size 0
		.amdhsa_private_segment_fixed_size 0
		.amdhsa_kernarg_size 128
		.amdhsa_user_sgpr_count 6
		.amdhsa_user_sgpr_private_segment_buffer 1
		.amdhsa_user_sgpr_dispatch_ptr 0
		.amdhsa_user_sgpr_queue_ptr 0
		.amdhsa_user_sgpr_kernarg_segment_ptr 1
		.amdhsa_user_sgpr_dispatch_id 0
		.amdhsa_user_sgpr_flat_scratch_init 0
		.amdhsa_user_sgpr_private_segment_size 0
		.amdhsa_wavefront_size32 1
		.amdhsa_uses_dynamic_stack 0
		.amdhsa_system_sgpr_private_segment_wavefront_offset 0
		.amdhsa_system_sgpr_workgroup_id_x 1
		.amdhsa_system_sgpr_workgroup_id_y 0
		.amdhsa_system_sgpr_workgroup_id_z 0
		.amdhsa_system_sgpr_workgroup_info 0
		.amdhsa_system_vgpr_workitem_id 0
		.amdhsa_next_free_vgpr 1
		.amdhsa_next_free_sgpr 1
		.amdhsa_reserve_vcc 0
		.amdhsa_reserve_flat_scratch 0
		.amdhsa_float_round_mode_32 0
		.amdhsa_float_round_mode_16_64 0
		.amdhsa_float_denorm_mode_32 3
		.amdhsa_float_denorm_mode_16_64 3
		.amdhsa_dx10_clamp 1
		.amdhsa_ieee_mode 1
		.amdhsa_fp16_overflow 0
		.amdhsa_workgroup_processor_mode 1
		.amdhsa_memory_ordered 1
		.amdhsa_forward_progress 1
		.amdhsa_shared_vgpr_count 0
		.amdhsa_exception_fp_ieee_invalid_op 0
		.amdhsa_exception_fp_denorm_src 0
		.amdhsa_exception_fp_ieee_div_zero 0
		.amdhsa_exception_fp_ieee_overflow 0
		.amdhsa_exception_fp_ieee_underflow 0
		.amdhsa_exception_fp_ieee_inexact 0
		.amdhsa_exception_int_div_zero 0
	.end_amdhsa_kernel
	.section	.text._ZN7rocprim17ROCPRIM_400000_NS6detail17trampoline_kernelINS0_14default_configENS1_20scan_config_selectorIN3c107complexIdEEEEZZNS1_9scan_implILNS1_25lookback_scan_determinismE0ELb0ELb0ES3_PKS7_PS7_S7_ZZZN2at6native31launch_logcumsumexp_cuda_kernelERKNSE_10TensorBaseESI_lENKUlvE_clEvENKUlvE1_clEvEUlS7_S7_E_S7_EEDaPvRmT3_T4_T5_mT6_P12ihipStream_tbENKUlT_T0_E_clISt17integral_constantIbLb0EESY_IbLb1EEEEDaSU_SV_EUlSU_E_NS1_11comp_targetILNS1_3genE10ELNS1_11target_archE1200ELNS1_3gpuE4ELNS1_3repE0EEENS1_30default_config_static_selectorELNS0_4arch9wavefront6targetE0EEEvT1_,"axG",@progbits,_ZN7rocprim17ROCPRIM_400000_NS6detail17trampoline_kernelINS0_14default_configENS1_20scan_config_selectorIN3c107complexIdEEEEZZNS1_9scan_implILNS1_25lookback_scan_determinismE0ELb0ELb0ES3_PKS7_PS7_S7_ZZZN2at6native31launch_logcumsumexp_cuda_kernelERKNSE_10TensorBaseESI_lENKUlvE_clEvENKUlvE1_clEvEUlS7_S7_E_S7_EEDaPvRmT3_T4_T5_mT6_P12ihipStream_tbENKUlT_T0_E_clISt17integral_constantIbLb0EESY_IbLb1EEEEDaSU_SV_EUlSU_E_NS1_11comp_targetILNS1_3genE10ELNS1_11target_archE1200ELNS1_3gpuE4ELNS1_3repE0EEENS1_30default_config_static_selectorELNS0_4arch9wavefront6targetE0EEEvT1_,comdat
.Lfunc_end247:
	.size	_ZN7rocprim17ROCPRIM_400000_NS6detail17trampoline_kernelINS0_14default_configENS1_20scan_config_selectorIN3c107complexIdEEEEZZNS1_9scan_implILNS1_25lookback_scan_determinismE0ELb0ELb0ES3_PKS7_PS7_S7_ZZZN2at6native31launch_logcumsumexp_cuda_kernelERKNSE_10TensorBaseESI_lENKUlvE_clEvENKUlvE1_clEvEUlS7_S7_E_S7_EEDaPvRmT3_T4_T5_mT6_P12ihipStream_tbENKUlT_T0_E_clISt17integral_constantIbLb0EESY_IbLb1EEEEDaSU_SV_EUlSU_E_NS1_11comp_targetILNS1_3genE10ELNS1_11target_archE1200ELNS1_3gpuE4ELNS1_3repE0EEENS1_30default_config_static_selectorELNS0_4arch9wavefront6targetE0EEEvT1_, .Lfunc_end247-_ZN7rocprim17ROCPRIM_400000_NS6detail17trampoline_kernelINS0_14default_configENS1_20scan_config_selectorIN3c107complexIdEEEEZZNS1_9scan_implILNS1_25lookback_scan_determinismE0ELb0ELb0ES3_PKS7_PS7_S7_ZZZN2at6native31launch_logcumsumexp_cuda_kernelERKNSE_10TensorBaseESI_lENKUlvE_clEvENKUlvE1_clEvEUlS7_S7_E_S7_EEDaPvRmT3_T4_T5_mT6_P12ihipStream_tbENKUlT_T0_E_clISt17integral_constantIbLb0EESY_IbLb1EEEEDaSU_SV_EUlSU_E_NS1_11comp_targetILNS1_3genE10ELNS1_11target_archE1200ELNS1_3gpuE4ELNS1_3repE0EEENS1_30default_config_static_selectorELNS0_4arch9wavefront6targetE0EEEvT1_
                                        ; -- End function
	.set _ZN7rocprim17ROCPRIM_400000_NS6detail17trampoline_kernelINS0_14default_configENS1_20scan_config_selectorIN3c107complexIdEEEEZZNS1_9scan_implILNS1_25lookback_scan_determinismE0ELb0ELb0ES3_PKS7_PS7_S7_ZZZN2at6native31launch_logcumsumexp_cuda_kernelERKNSE_10TensorBaseESI_lENKUlvE_clEvENKUlvE1_clEvEUlS7_S7_E_S7_EEDaPvRmT3_T4_T5_mT6_P12ihipStream_tbENKUlT_T0_E_clISt17integral_constantIbLb0EESY_IbLb1EEEEDaSU_SV_EUlSU_E_NS1_11comp_targetILNS1_3genE10ELNS1_11target_archE1200ELNS1_3gpuE4ELNS1_3repE0EEENS1_30default_config_static_selectorELNS0_4arch9wavefront6targetE0EEEvT1_.num_vgpr, 0
	.set _ZN7rocprim17ROCPRIM_400000_NS6detail17trampoline_kernelINS0_14default_configENS1_20scan_config_selectorIN3c107complexIdEEEEZZNS1_9scan_implILNS1_25lookback_scan_determinismE0ELb0ELb0ES3_PKS7_PS7_S7_ZZZN2at6native31launch_logcumsumexp_cuda_kernelERKNSE_10TensorBaseESI_lENKUlvE_clEvENKUlvE1_clEvEUlS7_S7_E_S7_EEDaPvRmT3_T4_T5_mT6_P12ihipStream_tbENKUlT_T0_E_clISt17integral_constantIbLb0EESY_IbLb1EEEEDaSU_SV_EUlSU_E_NS1_11comp_targetILNS1_3genE10ELNS1_11target_archE1200ELNS1_3gpuE4ELNS1_3repE0EEENS1_30default_config_static_selectorELNS0_4arch9wavefront6targetE0EEEvT1_.num_agpr, 0
	.set _ZN7rocprim17ROCPRIM_400000_NS6detail17trampoline_kernelINS0_14default_configENS1_20scan_config_selectorIN3c107complexIdEEEEZZNS1_9scan_implILNS1_25lookback_scan_determinismE0ELb0ELb0ES3_PKS7_PS7_S7_ZZZN2at6native31launch_logcumsumexp_cuda_kernelERKNSE_10TensorBaseESI_lENKUlvE_clEvENKUlvE1_clEvEUlS7_S7_E_S7_EEDaPvRmT3_T4_T5_mT6_P12ihipStream_tbENKUlT_T0_E_clISt17integral_constantIbLb0EESY_IbLb1EEEEDaSU_SV_EUlSU_E_NS1_11comp_targetILNS1_3genE10ELNS1_11target_archE1200ELNS1_3gpuE4ELNS1_3repE0EEENS1_30default_config_static_selectorELNS0_4arch9wavefront6targetE0EEEvT1_.numbered_sgpr, 0
	.set _ZN7rocprim17ROCPRIM_400000_NS6detail17trampoline_kernelINS0_14default_configENS1_20scan_config_selectorIN3c107complexIdEEEEZZNS1_9scan_implILNS1_25lookback_scan_determinismE0ELb0ELb0ES3_PKS7_PS7_S7_ZZZN2at6native31launch_logcumsumexp_cuda_kernelERKNSE_10TensorBaseESI_lENKUlvE_clEvENKUlvE1_clEvEUlS7_S7_E_S7_EEDaPvRmT3_T4_T5_mT6_P12ihipStream_tbENKUlT_T0_E_clISt17integral_constantIbLb0EESY_IbLb1EEEEDaSU_SV_EUlSU_E_NS1_11comp_targetILNS1_3genE10ELNS1_11target_archE1200ELNS1_3gpuE4ELNS1_3repE0EEENS1_30default_config_static_selectorELNS0_4arch9wavefront6targetE0EEEvT1_.num_named_barrier, 0
	.set _ZN7rocprim17ROCPRIM_400000_NS6detail17trampoline_kernelINS0_14default_configENS1_20scan_config_selectorIN3c107complexIdEEEEZZNS1_9scan_implILNS1_25lookback_scan_determinismE0ELb0ELb0ES3_PKS7_PS7_S7_ZZZN2at6native31launch_logcumsumexp_cuda_kernelERKNSE_10TensorBaseESI_lENKUlvE_clEvENKUlvE1_clEvEUlS7_S7_E_S7_EEDaPvRmT3_T4_T5_mT6_P12ihipStream_tbENKUlT_T0_E_clISt17integral_constantIbLb0EESY_IbLb1EEEEDaSU_SV_EUlSU_E_NS1_11comp_targetILNS1_3genE10ELNS1_11target_archE1200ELNS1_3gpuE4ELNS1_3repE0EEENS1_30default_config_static_selectorELNS0_4arch9wavefront6targetE0EEEvT1_.private_seg_size, 0
	.set _ZN7rocprim17ROCPRIM_400000_NS6detail17trampoline_kernelINS0_14default_configENS1_20scan_config_selectorIN3c107complexIdEEEEZZNS1_9scan_implILNS1_25lookback_scan_determinismE0ELb0ELb0ES3_PKS7_PS7_S7_ZZZN2at6native31launch_logcumsumexp_cuda_kernelERKNSE_10TensorBaseESI_lENKUlvE_clEvENKUlvE1_clEvEUlS7_S7_E_S7_EEDaPvRmT3_T4_T5_mT6_P12ihipStream_tbENKUlT_T0_E_clISt17integral_constantIbLb0EESY_IbLb1EEEEDaSU_SV_EUlSU_E_NS1_11comp_targetILNS1_3genE10ELNS1_11target_archE1200ELNS1_3gpuE4ELNS1_3repE0EEENS1_30default_config_static_selectorELNS0_4arch9wavefront6targetE0EEEvT1_.uses_vcc, 0
	.set _ZN7rocprim17ROCPRIM_400000_NS6detail17trampoline_kernelINS0_14default_configENS1_20scan_config_selectorIN3c107complexIdEEEEZZNS1_9scan_implILNS1_25lookback_scan_determinismE0ELb0ELb0ES3_PKS7_PS7_S7_ZZZN2at6native31launch_logcumsumexp_cuda_kernelERKNSE_10TensorBaseESI_lENKUlvE_clEvENKUlvE1_clEvEUlS7_S7_E_S7_EEDaPvRmT3_T4_T5_mT6_P12ihipStream_tbENKUlT_T0_E_clISt17integral_constantIbLb0EESY_IbLb1EEEEDaSU_SV_EUlSU_E_NS1_11comp_targetILNS1_3genE10ELNS1_11target_archE1200ELNS1_3gpuE4ELNS1_3repE0EEENS1_30default_config_static_selectorELNS0_4arch9wavefront6targetE0EEEvT1_.uses_flat_scratch, 0
	.set _ZN7rocprim17ROCPRIM_400000_NS6detail17trampoline_kernelINS0_14default_configENS1_20scan_config_selectorIN3c107complexIdEEEEZZNS1_9scan_implILNS1_25lookback_scan_determinismE0ELb0ELb0ES3_PKS7_PS7_S7_ZZZN2at6native31launch_logcumsumexp_cuda_kernelERKNSE_10TensorBaseESI_lENKUlvE_clEvENKUlvE1_clEvEUlS7_S7_E_S7_EEDaPvRmT3_T4_T5_mT6_P12ihipStream_tbENKUlT_T0_E_clISt17integral_constantIbLb0EESY_IbLb1EEEEDaSU_SV_EUlSU_E_NS1_11comp_targetILNS1_3genE10ELNS1_11target_archE1200ELNS1_3gpuE4ELNS1_3repE0EEENS1_30default_config_static_selectorELNS0_4arch9wavefront6targetE0EEEvT1_.has_dyn_sized_stack, 0
	.set _ZN7rocprim17ROCPRIM_400000_NS6detail17trampoline_kernelINS0_14default_configENS1_20scan_config_selectorIN3c107complexIdEEEEZZNS1_9scan_implILNS1_25lookback_scan_determinismE0ELb0ELb0ES3_PKS7_PS7_S7_ZZZN2at6native31launch_logcumsumexp_cuda_kernelERKNSE_10TensorBaseESI_lENKUlvE_clEvENKUlvE1_clEvEUlS7_S7_E_S7_EEDaPvRmT3_T4_T5_mT6_P12ihipStream_tbENKUlT_T0_E_clISt17integral_constantIbLb0EESY_IbLb1EEEEDaSU_SV_EUlSU_E_NS1_11comp_targetILNS1_3genE10ELNS1_11target_archE1200ELNS1_3gpuE4ELNS1_3repE0EEENS1_30default_config_static_selectorELNS0_4arch9wavefront6targetE0EEEvT1_.has_recursion, 0
	.set _ZN7rocprim17ROCPRIM_400000_NS6detail17trampoline_kernelINS0_14default_configENS1_20scan_config_selectorIN3c107complexIdEEEEZZNS1_9scan_implILNS1_25lookback_scan_determinismE0ELb0ELb0ES3_PKS7_PS7_S7_ZZZN2at6native31launch_logcumsumexp_cuda_kernelERKNSE_10TensorBaseESI_lENKUlvE_clEvENKUlvE1_clEvEUlS7_S7_E_S7_EEDaPvRmT3_T4_T5_mT6_P12ihipStream_tbENKUlT_T0_E_clISt17integral_constantIbLb0EESY_IbLb1EEEEDaSU_SV_EUlSU_E_NS1_11comp_targetILNS1_3genE10ELNS1_11target_archE1200ELNS1_3gpuE4ELNS1_3repE0EEENS1_30default_config_static_selectorELNS0_4arch9wavefront6targetE0EEEvT1_.has_indirect_call, 0
	.section	.AMDGPU.csdata,"",@progbits
; Kernel info:
; codeLenInByte = 0
; TotalNumSgprs: 0
; NumVgprs: 0
; ScratchSize: 0
; MemoryBound: 0
; FloatMode: 240
; IeeeMode: 1
; LDSByteSize: 0 bytes/workgroup (compile time only)
; SGPRBlocks: 0
; VGPRBlocks: 0
; NumSGPRsForWavesPerEU: 1
; NumVGPRsForWavesPerEU: 1
; Occupancy: 16
; WaveLimiterHint : 0
; COMPUTE_PGM_RSRC2:SCRATCH_EN: 0
; COMPUTE_PGM_RSRC2:USER_SGPR: 6
; COMPUTE_PGM_RSRC2:TRAP_HANDLER: 0
; COMPUTE_PGM_RSRC2:TGID_X_EN: 1
; COMPUTE_PGM_RSRC2:TGID_Y_EN: 0
; COMPUTE_PGM_RSRC2:TGID_Z_EN: 0
; COMPUTE_PGM_RSRC2:TIDIG_COMP_CNT: 0
	.section	.text._ZN7rocprim17ROCPRIM_400000_NS6detail17trampoline_kernelINS0_14default_configENS1_20scan_config_selectorIN3c107complexIdEEEEZZNS1_9scan_implILNS1_25lookback_scan_determinismE0ELb0ELb0ES3_PKS7_PS7_S7_ZZZN2at6native31launch_logcumsumexp_cuda_kernelERKNSE_10TensorBaseESI_lENKUlvE_clEvENKUlvE1_clEvEUlS7_S7_E_S7_EEDaPvRmT3_T4_T5_mT6_P12ihipStream_tbENKUlT_T0_E_clISt17integral_constantIbLb0EESY_IbLb1EEEEDaSU_SV_EUlSU_E_NS1_11comp_targetILNS1_3genE9ELNS1_11target_archE1100ELNS1_3gpuE3ELNS1_3repE0EEENS1_30default_config_static_selectorELNS0_4arch9wavefront6targetE0EEEvT1_,"axG",@progbits,_ZN7rocprim17ROCPRIM_400000_NS6detail17trampoline_kernelINS0_14default_configENS1_20scan_config_selectorIN3c107complexIdEEEEZZNS1_9scan_implILNS1_25lookback_scan_determinismE0ELb0ELb0ES3_PKS7_PS7_S7_ZZZN2at6native31launch_logcumsumexp_cuda_kernelERKNSE_10TensorBaseESI_lENKUlvE_clEvENKUlvE1_clEvEUlS7_S7_E_S7_EEDaPvRmT3_T4_T5_mT6_P12ihipStream_tbENKUlT_T0_E_clISt17integral_constantIbLb0EESY_IbLb1EEEEDaSU_SV_EUlSU_E_NS1_11comp_targetILNS1_3genE9ELNS1_11target_archE1100ELNS1_3gpuE3ELNS1_3repE0EEENS1_30default_config_static_selectorELNS0_4arch9wavefront6targetE0EEEvT1_,comdat
	.globl	_ZN7rocprim17ROCPRIM_400000_NS6detail17trampoline_kernelINS0_14default_configENS1_20scan_config_selectorIN3c107complexIdEEEEZZNS1_9scan_implILNS1_25lookback_scan_determinismE0ELb0ELb0ES3_PKS7_PS7_S7_ZZZN2at6native31launch_logcumsumexp_cuda_kernelERKNSE_10TensorBaseESI_lENKUlvE_clEvENKUlvE1_clEvEUlS7_S7_E_S7_EEDaPvRmT3_T4_T5_mT6_P12ihipStream_tbENKUlT_T0_E_clISt17integral_constantIbLb0EESY_IbLb1EEEEDaSU_SV_EUlSU_E_NS1_11comp_targetILNS1_3genE9ELNS1_11target_archE1100ELNS1_3gpuE3ELNS1_3repE0EEENS1_30default_config_static_selectorELNS0_4arch9wavefront6targetE0EEEvT1_ ; -- Begin function _ZN7rocprim17ROCPRIM_400000_NS6detail17trampoline_kernelINS0_14default_configENS1_20scan_config_selectorIN3c107complexIdEEEEZZNS1_9scan_implILNS1_25lookback_scan_determinismE0ELb0ELb0ES3_PKS7_PS7_S7_ZZZN2at6native31launch_logcumsumexp_cuda_kernelERKNSE_10TensorBaseESI_lENKUlvE_clEvENKUlvE1_clEvEUlS7_S7_E_S7_EEDaPvRmT3_T4_T5_mT6_P12ihipStream_tbENKUlT_T0_E_clISt17integral_constantIbLb0EESY_IbLb1EEEEDaSU_SV_EUlSU_E_NS1_11comp_targetILNS1_3genE9ELNS1_11target_archE1100ELNS1_3gpuE3ELNS1_3repE0EEENS1_30default_config_static_selectorELNS0_4arch9wavefront6targetE0EEEvT1_
	.p2align	8
	.type	_ZN7rocprim17ROCPRIM_400000_NS6detail17trampoline_kernelINS0_14default_configENS1_20scan_config_selectorIN3c107complexIdEEEEZZNS1_9scan_implILNS1_25lookback_scan_determinismE0ELb0ELb0ES3_PKS7_PS7_S7_ZZZN2at6native31launch_logcumsumexp_cuda_kernelERKNSE_10TensorBaseESI_lENKUlvE_clEvENKUlvE1_clEvEUlS7_S7_E_S7_EEDaPvRmT3_T4_T5_mT6_P12ihipStream_tbENKUlT_T0_E_clISt17integral_constantIbLb0EESY_IbLb1EEEEDaSU_SV_EUlSU_E_NS1_11comp_targetILNS1_3genE9ELNS1_11target_archE1100ELNS1_3gpuE3ELNS1_3repE0EEENS1_30default_config_static_selectorELNS0_4arch9wavefront6targetE0EEEvT1_,@function
_ZN7rocprim17ROCPRIM_400000_NS6detail17trampoline_kernelINS0_14default_configENS1_20scan_config_selectorIN3c107complexIdEEEEZZNS1_9scan_implILNS1_25lookback_scan_determinismE0ELb0ELb0ES3_PKS7_PS7_S7_ZZZN2at6native31launch_logcumsumexp_cuda_kernelERKNSE_10TensorBaseESI_lENKUlvE_clEvENKUlvE1_clEvEUlS7_S7_E_S7_EEDaPvRmT3_T4_T5_mT6_P12ihipStream_tbENKUlT_T0_E_clISt17integral_constantIbLb0EESY_IbLb1EEEEDaSU_SV_EUlSU_E_NS1_11comp_targetILNS1_3genE9ELNS1_11target_archE1100ELNS1_3gpuE3ELNS1_3repE0EEENS1_30default_config_static_selectorELNS0_4arch9wavefront6targetE0EEEvT1_: ; @_ZN7rocprim17ROCPRIM_400000_NS6detail17trampoline_kernelINS0_14default_configENS1_20scan_config_selectorIN3c107complexIdEEEEZZNS1_9scan_implILNS1_25lookback_scan_determinismE0ELb0ELb0ES3_PKS7_PS7_S7_ZZZN2at6native31launch_logcumsumexp_cuda_kernelERKNSE_10TensorBaseESI_lENKUlvE_clEvENKUlvE1_clEvEUlS7_S7_E_S7_EEDaPvRmT3_T4_T5_mT6_P12ihipStream_tbENKUlT_T0_E_clISt17integral_constantIbLb0EESY_IbLb1EEEEDaSU_SV_EUlSU_E_NS1_11comp_targetILNS1_3genE9ELNS1_11target_archE1100ELNS1_3gpuE3ELNS1_3repE0EEENS1_30default_config_static_selectorELNS0_4arch9wavefront6targetE0EEEvT1_
; %bb.0:
	.section	.rodata,"a",@progbits
	.p2align	6, 0x0
	.amdhsa_kernel _ZN7rocprim17ROCPRIM_400000_NS6detail17trampoline_kernelINS0_14default_configENS1_20scan_config_selectorIN3c107complexIdEEEEZZNS1_9scan_implILNS1_25lookback_scan_determinismE0ELb0ELb0ES3_PKS7_PS7_S7_ZZZN2at6native31launch_logcumsumexp_cuda_kernelERKNSE_10TensorBaseESI_lENKUlvE_clEvENKUlvE1_clEvEUlS7_S7_E_S7_EEDaPvRmT3_T4_T5_mT6_P12ihipStream_tbENKUlT_T0_E_clISt17integral_constantIbLb0EESY_IbLb1EEEEDaSU_SV_EUlSU_E_NS1_11comp_targetILNS1_3genE9ELNS1_11target_archE1100ELNS1_3gpuE3ELNS1_3repE0EEENS1_30default_config_static_selectorELNS0_4arch9wavefront6targetE0EEEvT1_
		.amdhsa_group_segment_fixed_size 0
		.amdhsa_private_segment_fixed_size 0
		.amdhsa_kernarg_size 128
		.amdhsa_user_sgpr_count 6
		.amdhsa_user_sgpr_private_segment_buffer 1
		.amdhsa_user_sgpr_dispatch_ptr 0
		.amdhsa_user_sgpr_queue_ptr 0
		.amdhsa_user_sgpr_kernarg_segment_ptr 1
		.amdhsa_user_sgpr_dispatch_id 0
		.amdhsa_user_sgpr_flat_scratch_init 0
		.amdhsa_user_sgpr_private_segment_size 0
		.amdhsa_wavefront_size32 1
		.amdhsa_uses_dynamic_stack 0
		.amdhsa_system_sgpr_private_segment_wavefront_offset 0
		.amdhsa_system_sgpr_workgroup_id_x 1
		.amdhsa_system_sgpr_workgroup_id_y 0
		.amdhsa_system_sgpr_workgroup_id_z 0
		.amdhsa_system_sgpr_workgroup_info 0
		.amdhsa_system_vgpr_workitem_id 0
		.amdhsa_next_free_vgpr 1
		.amdhsa_next_free_sgpr 1
		.amdhsa_reserve_vcc 0
		.amdhsa_reserve_flat_scratch 0
		.amdhsa_float_round_mode_32 0
		.amdhsa_float_round_mode_16_64 0
		.amdhsa_float_denorm_mode_32 3
		.amdhsa_float_denorm_mode_16_64 3
		.amdhsa_dx10_clamp 1
		.amdhsa_ieee_mode 1
		.amdhsa_fp16_overflow 0
		.amdhsa_workgroup_processor_mode 1
		.amdhsa_memory_ordered 1
		.amdhsa_forward_progress 1
		.amdhsa_shared_vgpr_count 0
		.amdhsa_exception_fp_ieee_invalid_op 0
		.amdhsa_exception_fp_denorm_src 0
		.amdhsa_exception_fp_ieee_div_zero 0
		.amdhsa_exception_fp_ieee_overflow 0
		.amdhsa_exception_fp_ieee_underflow 0
		.amdhsa_exception_fp_ieee_inexact 0
		.amdhsa_exception_int_div_zero 0
	.end_amdhsa_kernel
	.section	.text._ZN7rocprim17ROCPRIM_400000_NS6detail17trampoline_kernelINS0_14default_configENS1_20scan_config_selectorIN3c107complexIdEEEEZZNS1_9scan_implILNS1_25lookback_scan_determinismE0ELb0ELb0ES3_PKS7_PS7_S7_ZZZN2at6native31launch_logcumsumexp_cuda_kernelERKNSE_10TensorBaseESI_lENKUlvE_clEvENKUlvE1_clEvEUlS7_S7_E_S7_EEDaPvRmT3_T4_T5_mT6_P12ihipStream_tbENKUlT_T0_E_clISt17integral_constantIbLb0EESY_IbLb1EEEEDaSU_SV_EUlSU_E_NS1_11comp_targetILNS1_3genE9ELNS1_11target_archE1100ELNS1_3gpuE3ELNS1_3repE0EEENS1_30default_config_static_selectorELNS0_4arch9wavefront6targetE0EEEvT1_,"axG",@progbits,_ZN7rocprim17ROCPRIM_400000_NS6detail17trampoline_kernelINS0_14default_configENS1_20scan_config_selectorIN3c107complexIdEEEEZZNS1_9scan_implILNS1_25lookback_scan_determinismE0ELb0ELb0ES3_PKS7_PS7_S7_ZZZN2at6native31launch_logcumsumexp_cuda_kernelERKNSE_10TensorBaseESI_lENKUlvE_clEvENKUlvE1_clEvEUlS7_S7_E_S7_EEDaPvRmT3_T4_T5_mT6_P12ihipStream_tbENKUlT_T0_E_clISt17integral_constantIbLb0EESY_IbLb1EEEEDaSU_SV_EUlSU_E_NS1_11comp_targetILNS1_3genE9ELNS1_11target_archE1100ELNS1_3gpuE3ELNS1_3repE0EEENS1_30default_config_static_selectorELNS0_4arch9wavefront6targetE0EEEvT1_,comdat
.Lfunc_end248:
	.size	_ZN7rocprim17ROCPRIM_400000_NS6detail17trampoline_kernelINS0_14default_configENS1_20scan_config_selectorIN3c107complexIdEEEEZZNS1_9scan_implILNS1_25lookback_scan_determinismE0ELb0ELb0ES3_PKS7_PS7_S7_ZZZN2at6native31launch_logcumsumexp_cuda_kernelERKNSE_10TensorBaseESI_lENKUlvE_clEvENKUlvE1_clEvEUlS7_S7_E_S7_EEDaPvRmT3_T4_T5_mT6_P12ihipStream_tbENKUlT_T0_E_clISt17integral_constantIbLb0EESY_IbLb1EEEEDaSU_SV_EUlSU_E_NS1_11comp_targetILNS1_3genE9ELNS1_11target_archE1100ELNS1_3gpuE3ELNS1_3repE0EEENS1_30default_config_static_selectorELNS0_4arch9wavefront6targetE0EEEvT1_, .Lfunc_end248-_ZN7rocprim17ROCPRIM_400000_NS6detail17trampoline_kernelINS0_14default_configENS1_20scan_config_selectorIN3c107complexIdEEEEZZNS1_9scan_implILNS1_25lookback_scan_determinismE0ELb0ELb0ES3_PKS7_PS7_S7_ZZZN2at6native31launch_logcumsumexp_cuda_kernelERKNSE_10TensorBaseESI_lENKUlvE_clEvENKUlvE1_clEvEUlS7_S7_E_S7_EEDaPvRmT3_T4_T5_mT6_P12ihipStream_tbENKUlT_T0_E_clISt17integral_constantIbLb0EESY_IbLb1EEEEDaSU_SV_EUlSU_E_NS1_11comp_targetILNS1_3genE9ELNS1_11target_archE1100ELNS1_3gpuE3ELNS1_3repE0EEENS1_30default_config_static_selectorELNS0_4arch9wavefront6targetE0EEEvT1_
                                        ; -- End function
	.set _ZN7rocprim17ROCPRIM_400000_NS6detail17trampoline_kernelINS0_14default_configENS1_20scan_config_selectorIN3c107complexIdEEEEZZNS1_9scan_implILNS1_25lookback_scan_determinismE0ELb0ELb0ES3_PKS7_PS7_S7_ZZZN2at6native31launch_logcumsumexp_cuda_kernelERKNSE_10TensorBaseESI_lENKUlvE_clEvENKUlvE1_clEvEUlS7_S7_E_S7_EEDaPvRmT3_T4_T5_mT6_P12ihipStream_tbENKUlT_T0_E_clISt17integral_constantIbLb0EESY_IbLb1EEEEDaSU_SV_EUlSU_E_NS1_11comp_targetILNS1_3genE9ELNS1_11target_archE1100ELNS1_3gpuE3ELNS1_3repE0EEENS1_30default_config_static_selectorELNS0_4arch9wavefront6targetE0EEEvT1_.num_vgpr, 0
	.set _ZN7rocprim17ROCPRIM_400000_NS6detail17trampoline_kernelINS0_14default_configENS1_20scan_config_selectorIN3c107complexIdEEEEZZNS1_9scan_implILNS1_25lookback_scan_determinismE0ELb0ELb0ES3_PKS7_PS7_S7_ZZZN2at6native31launch_logcumsumexp_cuda_kernelERKNSE_10TensorBaseESI_lENKUlvE_clEvENKUlvE1_clEvEUlS7_S7_E_S7_EEDaPvRmT3_T4_T5_mT6_P12ihipStream_tbENKUlT_T0_E_clISt17integral_constantIbLb0EESY_IbLb1EEEEDaSU_SV_EUlSU_E_NS1_11comp_targetILNS1_3genE9ELNS1_11target_archE1100ELNS1_3gpuE3ELNS1_3repE0EEENS1_30default_config_static_selectorELNS0_4arch9wavefront6targetE0EEEvT1_.num_agpr, 0
	.set _ZN7rocprim17ROCPRIM_400000_NS6detail17trampoline_kernelINS0_14default_configENS1_20scan_config_selectorIN3c107complexIdEEEEZZNS1_9scan_implILNS1_25lookback_scan_determinismE0ELb0ELb0ES3_PKS7_PS7_S7_ZZZN2at6native31launch_logcumsumexp_cuda_kernelERKNSE_10TensorBaseESI_lENKUlvE_clEvENKUlvE1_clEvEUlS7_S7_E_S7_EEDaPvRmT3_T4_T5_mT6_P12ihipStream_tbENKUlT_T0_E_clISt17integral_constantIbLb0EESY_IbLb1EEEEDaSU_SV_EUlSU_E_NS1_11comp_targetILNS1_3genE9ELNS1_11target_archE1100ELNS1_3gpuE3ELNS1_3repE0EEENS1_30default_config_static_selectorELNS0_4arch9wavefront6targetE0EEEvT1_.numbered_sgpr, 0
	.set _ZN7rocprim17ROCPRIM_400000_NS6detail17trampoline_kernelINS0_14default_configENS1_20scan_config_selectorIN3c107complexIdEEEEZZNS1_9scan_implILNS1_25lookback_scan_determinismE0ELb0ELb0ES3_PKS7_PS7_S7_ZZZN2at6native31launch_logcumsumexp_cuda_kernelERKNSE_10TensorBaseESI_lENKUlvE_clEvENKUlvE1_clEvEUlS7_S7_E_S7_EEDaPvRmT3_T4_T5_mT6_P12ihipStream_tbENKUlT_T0_E_clISt17integral_constantIbLb0EESY_IbLb1EEEEDaSU_SV_EUlSU_E_NS1_11comp_targetILNS1_3genE9ELNS1_11target_archE1100ELNS1_3gpuE3ELNS1_3repE0EEENS1_30default_config_static_selectorELNS0_4arch9wavefront6targetE0EEEvT1_.num_named_barrier, 0
	.set _ZN7rocprim17ROCPRIM_400000_NS6detail17trampoline_kernelINS0_14default_configENS1_20scan_config_selectorIN3c107complexIdEEEEZZNS1_9scan_implILNS1_25lookback_scan_determinismE0ELb0ELb0ES3_PKS7_PS7_S7_ZZZN2at6native31launch_logcumsumexp_cuda_kernelERKNSE_10TensorBaseESI_lENKUlvE_clEvENKUlvE1_clEvEUlS7_S7_E_S7_EEDaPvRmT3_T4_T5_mT6_P12ihipStream_tbENKUlT_T0_E_clISt17integral_constantIbLb0EESY_IbLb1EEEEDaSU_SV_EUlSU_E_NS1_11comp_targetILNS1_3genE9ELNS1_11target_archE1100ELNS1_3gpuE3ELNS1_3repE0EEENS1_30default_config_static_selectorELNS0_4arch9wavefront6targetE0EEEvT1_.private_seg_size, 0
	.set _ZN7rocprim17ROCPRIM_400000_NS6detail17trampoline_kernelINS0_14default_configENS1_20scan_config_selectorIN3c107complexIdEEEEZZNS1_9scan_implILNS1_25lookback_scan_determinismE0ELb0ELb0ES3_PKS7_PS7_S7_ZZZN2at6native31launch_logcumsumexp_cuda_kernelERKNSE_10TensorBaseESI_lENKUlvE_clEvENKUlvE1_clEvEUlS7_S7_E_S7_EEDaPvRmT3_T4_T5_mT6_P12ihipStream_tbENKUlT_T0_E_clISt17integral_constantIbLb0EESY_IbLb1EEEEDaSU_SV_EUlSU_E_NS1_11comp_targetILNS1_3genE9ELNS1_11target_archE1100ELNS1_3gpuE3ELNS1_3repE0EEENS1_30default_config_static_selectorELNS0_4arch9wavefront6targetE0EEEvT1_.uses_vcc, 0
	.set _ZN7rocprim17ROCPRIM_400000_NS6detail17trampoline_kernelINS0_14default_configENS1_20scan_config_selectorIN3c107complexIdEEEEZZNS1_9scan_implILNS1_25lookback_scan_determinismE0ELb0ELb0ES3_PKS7_PS7_S7_ZZZN2at6native31launch_logcumsumexp_cuda_kernelERKNSE_10TensorBaseESI_lENKUlvE_clEvENKUlvE1_clEvEUlS7_S7_E_S7_EEDaPvRmT3_T4_T5_mT6_P12ihipStream_tbENKUlT_T0_E_clISt17integral_constantIbLb0EESY_IbLb1EEEEDaSU_SV_EUlSU_E_NS1_11comp_targetILNS1_3genE9ELNS1_11target_archE1100ELNS1_3gpuE3ELNS1_3repE0EEENS1_30default_config_static_selectorELNS0_4arch9wavefront6targetE0EEEvT1_.uses_flat_scratch, 0
	.set _ZN7rocprim17ROCPRIM_400000_NS6detail17trampoline_kernelINS0_14default_configENS1_20scan_config_selectorIN3c107complexIdEEEEZZNS1_9scan_implILNS1_25lookback_scan_determinismE0ELb0ELb0ES3_PKS7_PS7_S7_ZZZN2at6native31launch_logcumsumexp_cuda_kernelERKNSE_10TensorBaseESI_lENKUlvE_clEvENKUlvE1_clEvEUlS7_S7_E_S7_EEDaPvRmT3_T4_T5_mT6_P12ihipStream_tbENKUlT_T0_E_clISt17integral_constantIbLb0EESY_IbLb1EEEEDaSU_SV_EUlSU_E_NS1_11comp_targetILNS1_3genE9ELNS1_11target_archE1100ELNS1_3gpuE3ELNS1_3repE0EEENS1_30default_config_static_selectorELNS0_4arch9wavefront6targetE0EEEvT1_.has_dyn_sized_stack, 0
	.set _ZN7rocprim17ROCPRIM_400000_NS6detail17trampoline_kernelINS0_14default_configENS1_20scan_config_selectorIN3c107complexIdEEEEZZNS1_9scan_implILNS1_25lookback_scan_determinismE0ELb0ELb0ES3_PKS7_PS7_S7_ZZZN2at6native31launch_logcumsumexp_cuda_kernelERKNSE_10TensorBaseESI_lENKUlvE_clEvENKUlvE1_clEvEUlS7_S7_E_S7_EEDaPvRmT3_T4_T5_mT6_P12ihipStream_tbENKUlT_T0_E_clISt17integral_constantIbLb0EESY_IbLb1EEEEDaSU_SV_EUlSU_E_NS1_11comp_targetILNS1_3genE9ELNS1_11target_archE1100ELNS1_3gpuE3ELNS1_3repE0EEENS1_30default_config_static_selectorELNS0_4arch9wavefront6targetE0EEEvT1_.has_recursion, 0
	.set _ZN7rocprim17ROCPRIM_400000_NS6detail17trampoline_kernelINS0_14default_configENS1_20scan_config_selectorIN3c107complexIdEEEEZZNS1_9scan_implILNS1_25lookback_scan_determinismE0ELb0ELb0ES3_PKS7_PS7_S7_ZZZN2at6native31launch_logcumsumexp_cuda_kernelERKNSE_10TensorBaseESI_lENKUlvE_clEvENKUlvE1_clEvEUlS7_S7_E_S7_EEDaPvRmT3_T4_T5_mT6_P12ihipStream_tbENKUlT_T0_E_clISt17integral_constantIbLb0EESY_IbLb1EEEEDaSU_SV_EUlSU_E_NS1_11comp_targetILNS1_3genE9ELNS1_11target_archE1100ELNS1_3gpuE3ELNS1_3repE0EEENS1_30default_config_static_selectorELNS0_4arch9wavefront6targetE0EEEvT1_.has_indirect_call, 0
	.section	.AMDGPU.csdata,"",@progbits
; Kernel info:
; codeLenInByte = 0
; TotalNumSgprs: 0
; NumVgprs: 0
; ScratchSize: 0
; MemoryBound: 0
; FloatMode: 240
; IeeeMode: 1
; LDSByteSize: 0 bytes/workgroup (compile time only)
; SGPRBlocks: 0
; VGPRBlocks: 0
; NumSGPRsForWavesPerEU: 1
; NumVGPRsForWavesPerEU: 1
; Occupancy: 16
; WaveLimiterHint : 0
; COMPUTE_PGM_RSRC2:SCRATCH_EN: 0
; COMPUTE_PGM_RSRC2:USER_SGPR: 6
; COMPUTE_PGM_RSRC2:TRAP_HANDLER: 0
; COMPUTE_PGM_RSRC2:TGID_X_EN: 1
; COMPUTE_PGM_RSRC2:TGID_Y_EN: 0
; COMPUTE_PGM_RSRC2:TGID_Z_EN: 0
; COMPUTE_PGM_RSRC2:TIDIG_COMP_CNT: 0
	.section	.text._ZN7rocprim17ROCPRIM_400000_NS6detail17trampoline_kernelINS0_14default_configENS1_20scan_config_selectorIN3c107complexIdEEEEZZNS1_9scan_implILNS1_25lookback_scan_determinismE0ELb0ELb0ES3_PKS7_PS7_S7_ZZZN2at6native31launch_logcumsumexp_cuda_kernelERKNSE_10TensorBaseESI_lENKUlvE_clEvENKUlvE1_clEvEUlS7_S7_E_S7_EEDaPvRmT3_T4_T5_mT6_P12ihipStream_tbENKUlT_T0_E_clISt17integral_constantIbLb0EESY_IbLb1EEEEDaSU_SV_EUlSU_E_NS1_11comp_targetILNS1_3genE8ELNS1_11target_archE1030ELNS1_3gpuE2ELNS1_3repE0EEENS1_30default_config_static_selectorELNS0_4arch9wavefront6targetE0EEEvT1_,"axG",@progbits,_ZN7rocprim17ROCPRIM_400000_NS6detail17trampoline_kernelINS0_14default_configENS1_20scan_config_selectorIN3c107complexIdEEEEZZNS1_9scan_implILNS1_25lookback_scan_determinismE0ELb0ELb0ES3_PKS7_PS7_S7_ZZZN2at6native31launch_logcumsumexp_cuda_kernelERKNSE_10TensorBaseESI_lENKUlvE_clEvENKUlvE1_clEvEUlS7_S7_E_S7_EEDaPvRmT3_T4_T5_mT6_P12ihipStream_tbENKUlT_T0_E_clISt17integral_constantIbLb0EESY_IbLb1EEEEDaSU_SV_EUlSU_E_NS1_11comp_targetILNS1_3genE8ELNS1_11target_archE1030ELNS1_3gpuE2ELNS1_3repE0EEENS1_30default_config_static_selectorELNS0_4arch9wavefront6targetE0EEEvT1_,comdat
	.globl	_ZN7rocprim17ROCPRIM_400000_NS6detail17trampoline_kernelINS0_14default_configENS1_20scan_config_selectorIN3c107complexIdEEEEZZNS1_9scan_implILNS1_25lookback_scan_determinismE0ELb0ELb0ES3_PKS7_PS7_S7_ZZZN2at6native31launch_logcumsumexp_cuda_kernelERKNSE_10TensorBaseESI_lENKUlvE_clEvENKUlvE1_clEvEUlS7_S7_E_S7_EEDaPvRmT3_T4_T5_mT6_P12ihipStream_tbENKUlT_T0_E_clISt17integral_constantIbLb0EESY_IbLb1EEEEDaSU_SV_EUlSU_E_NS1_11comp_targetILNS1_3genE8ELNS1_11target_archE1030ELNS1_3gpuE2ELNS1_3repE0EEENS1_30default_config_static_selectorELNS0_4arch9wavefront6targetE0EEEvT1_ ; -- Begin function _ZN7rocprim17ROCPRIM_400000_NS6detail17trampoline_kernelINS0_14default_configENS1_20scan_config_selectorIN3c107complexIdEEEEZZNS1_9scan_implILNS1_25lookback_scan_determinismE0ELb0ELb0ES3_PKS7_PS7_S7_ZZZN2at6native31launch_logcumsumexp_cuda_kernelERKNSE_10TensorBaseESI_lENKUlvE_clEvENKUlvE1_clEvEUlS7_S7_E_S7_EEDaPvRmT3_T4_T5_mT6_P12ihipStream_tbENKUlT_T0_E_clISt17integral_constantIbLb0EESY_IbLb1EEEEDaSU_SV_EUlSU_E_NS1_11comp_targetILNS1_3genE8ELNS1_11target_archE1030ELNS1_3gpuE2ELNS1_3repE0EEENS1_30default_config_static_selectorELNS0_4arch9wavefront6targetE0EEEvT1_
	.p2align	8
	.type	_ZN7rocprim17ROCPRIM_400000_NS6detail17trampoline_kernelINS0_14default_configENS1_20scan_config_selectorIN3c107complexIdEEEEZZNS1_9scan_implILNS1_25lookback_scan_determinismE0ELb0ELb0ES3_PKS7_PS7_S7_ZZZN2at6native31launch_logcumsumexp_cuda_kernelERKNSE_10TensorBaseESI_lENKUlvE_clEvENKUlvE1_clEvEUlS7_S7_E_S7_EEDaPvRmT3_T4_T5_mT6_P12ihipStream_tbENKUlT_T0_E_clISt17integral_constantIbLb0EESY_IbLb1EEEEDaSU_SV_EUlSU_E_NS1_11comp_targetILNS1_3genE8ELNS1_11target_archE1030ELNS1_3gpuE2ELNS1_3repE0EEENS1_30default_config_static_selectorELNS0_4arch9wavefront6targetE0EEEvT1_,@function
_ZN7rocprim17ROCPRIM_400000_NS6detail17trampoline_kernelINS0_14default_configENS1_20scan_config_selectorIN3c107complexIdEEEEZZNS1_9scan_implILNS1_25lookback_scan_determinismE0ELb0ELb0ES3_PKS7_PS7_S7_ZZZN2at6native31launch_logcumsumexp_cuda_kernelERKNSE_10TensorBaseESI_lENKUlvE_clEvENKUlvE1_clEvEUlS7_S7_E_S7_EEDaPvRmT3_T4_T5_mT6_P12ihipStream_tbENKUlT_T0_E_clISt17integral_constantIbLb0EESY_IbLb1EEEEDaSU_SV_EUlSU_E_NS1_11comp_targetILNS1_3genE8ELNS1_11target_archE1030ELNS1_3gpuE2ELNS1_3repE0EEENS1_30default_config_static_selectorELNS0_4arch9wavefront6targetE0EEEvT1_: ; @_ZN7rocprim17ROCPRIM_400000_NS6detail17trampoline_kernelINS0_14default_configENS1_20scan_config_selectorIN3c107complexIdEEEEZZNS1_9scan_implILNS1_25lookback_scan_determinismE0ELb0ELb0ES3_PKS7_PS7_S7_ZZZN2at6native31launch_logcumsumexp_cuda_kernelERKNSE_10TensorBaseESI_lENKUlvE_clEvENKUlvE1_clEvEUlS7_S7_E_S7_EEDaPvRmT3_T4_T5_mT6_P12ihipStream_tbENKUlT_T0_E_clISt17integral_constantIbLb0EESY_IbLb1EEEEDaSU_SV_EUlSU_E_NS1_11comp_targetILNS1_3genE8ELNS1_11target_archE1030ELNS1_3gpuE2ELNS1_3repE0EEENS1_30default_config_static_selectorELNS0_4arch9wavefront6targetE0EEEvT1_
; %bb.0:
	s_clause 0x1
	s_load_dwordx4 s[36:39], s[4:5], 0x38
	s_load_dwordx2 s[42:43], s[4:5], 0x48
	v_mov_b32_e32 v76, v0
	s_add_u32 s0, s0, s7
	s_addc_u32 s1, s1, 0
	s_mov_b32 s32, 0
	v_cmp_ne_u32_e64 s33, 0, v76
	v_cmp_eq_u32_e64 s34, 0, v76
	s_and_saveexec_b32 s6, s34
	s_cbranch_execz .LBB249_4
; %bb.1:
	s_mov_b32 s8, exec_lo
	s_mov_b32 s7, exec_lo
	v_mbcnt_lo_u32_b32 v0, s8, 0
                                        ; implicit-def: $vgpr1
	v_cmpx_eq_u32_e32 0, v0
	s_cbranch_execz .LBB249_3
; %bb.2:
	s_load_dwordx2 s[10:11], s[4:5], 0x78
	s_bcnt1_i32_b32 s8, s8
	v_mov_b32_e32 v1, 0
	v_mov_b32_e32 v2, s8
	s_waitcnt lgkmcnt(0)
	global_atomic_add v1, v1, v2, s[10:11] glc
.LBB249_3:
	s_or_b32 exec_lo, exec_lo, s7
	s_waitcnt vmcnt(0)
	v_readfirstlane_b32 s7, v1
	v_mov_b32_e32 v1, 0
	v_add_nc_u32_e32 v0, s7, v0
	ds_write_b32 v1, v0
.LBB249_4:
	s_or_b32 exec_lo, exec_lo, s6
	v_mov_b32_e32 v0, 0
	s_clause 0x2
	s_load_dwordx8 s[52:59], s[4:5], 0x0
	s_load_dword s6, s[4:5], 0x50
	s_load_dwordx8 s[44:51], s[4:5], 0x58
	s_waitcnt lgkmcnt(0)
	s_barrier
	buffer_gl0_inv
	ds_read_b32 v0, v0
	s_mov_b32 s5, 0
	v_lshlrev_b32_e32 v86, 4, v76
	v_lshrrev_b32_e32 v87, 1, v76
	v_or_b32_e32 v79, 0x100, v76
	s_waitcnt lgkmcnt(0)
	s_barrier
	buffer_gl0_inv
	s_lshl_b64 s[54:55], s[54:55], 4
	s_add_u32 s7, s52, s54
	s_addc_u32 s8, s53, s55
	s_add_i32 s6, s6, -1
	s_lshl_b32 s9, s6, 9
	v_readfirstlane_b32 s62, v0
	v_cmp_ne_u32_e64 s27, s6, v0
	s_lshl_b32 s4, s62, 9
	s_sub_u32 s60, s58, s9
	s_subb_u32 s61, s59, 0
	s_lshl_b64 s[52:53], s[4:5], 4
	s_mov_b32 s5, -1
	s_add_u32 s6, s7, s52
	s_addc_u32 s7, s8, s53
	s_and_b32 vcc_lo, exec_lo, s27
	s_cbranch_vccz .LBB249_6
; %bb.5:
	v_add_co_u32 v0, s4, s6, v86
	v_add_co_ci_u32_e64 v1, null, s7, 0, s4
	v_lshrrev_b32_e32 v8, 1, v79
	v_add_co_u32 v4, vcc_lo, 0x1000, v0
	v_add_co_ci_u32_e64 v5, null, 0, v1, vcc_lo
	v_and_b32_e32 v9, 0x70, v87
	v_and_b32_e32 v8, 0xf0, v8
	s_clause 0x1
	global_load_dwordx4 v[0:3], v86, s[6:7]
	global_load_dwordx4 v[4:7], v[4:5], off
	s_mov_b32 s5, 0
	v_add_nc_u32_e32 v9, v9, v86
	v_add_nc_u32_e32 v8, v8, v86
	s_waitcnt vmcnt(1)
	ds_write_b128 v9, v[0:3]
	s_waitcnt vmcnt(0)
	ds_write_b128 v8, v[4:7] offset:4096
	s_waitcnt lgkmcnt(0)
	s_barrier
.LBB249_6:
	v_cmp_gt_u32_e64 s4, s60, v76
	s_andn2_b32 vcc_lo, exec_lo, s5
	s_cbranch_vccnz .LBB249_12
; %bb.7:
	v_mov_b32_e32 v0, 0
	global_load_dwordx4 v[0:3], v0, s[6:7]
	s_waitcnt vmcnt(0)
	v_mov_b32_e32 v7, v3
	v_mov_b32_e32 v5, v1
	;; [unrolled: 1-line block ×4, first 2 shown]
	s_and_saveexec_b32 s5, s4
	s_cbranch_execz .LBB249_9
; %bb.8:
	global_load_dwordx4 v[4:7], v86, s[6:7]
.LBB249_9:
	s_or_b32 exec_lo, exec_lo, s5
	s_mov_b32 s4, exec_lo
	v_cmpx_gt_u32_e64 s60, v79
	s_cbranch_execz .LBB249_11
; %bb.10:
	v_lshlrev_b32_e32 v0, 4, v79
	global_load_dwordx4 v[0:3], v0, s[6:7]
.LBB249_11:
	s_or_b32 exec_lo, exec_lo, s4
	v_lshrrev_b32_e32 v8, 1, v79
	v_and_b32_e32 v9, 0x70, v87
	v_and_b32_e32 v8, 0xf0, v8
	v_add_nc_u32_e32 v9, v9, v86
	v_add_nc_u32_e32 v8, v8, v86
	s_waitcnt vmcnt(0)
	ds_write_b128 v9, v[4:7]
	ds_write_b128 v8, v[0:3] offset:4096
	s_waitcnt lgkmcnt(0)
	s_barrier
.LBB249_12:
	v_and_b32_e32 v0, 0xf0, v76
	v_lshlrev_b32_e32 v1, 5, v76
	buffer_gl0_inv
	s_cmp_lg_u32 s62, 0
	v_add_nc_u32_e32 v88, v0, v1
	ds_read_b128 v[40:43], v88
	ds_read_b128 v[44:47], v88 offset:16
	s_waitcnt lgkmcnt(0)
	s_barrier
	buffer_gl0_inv
	s_cbranch_scc0 .LBB249_62
; %bb.13:
	v_mov_b32_e32 v0, v40
	v_mov_b32_e32 v1, v41
	;; [unrolled: 1-line block ×8, first 2 shown]
	s_getpc_b64 s[58:59]
	s_add_u32 s58, s58, _ZZZZN2at6native31launch_logcumsumexp_cuda_kernelERKNS_10TensorBaseES3_lENKUlvE_clEvENKUlvE1_clEvENKUlN3c107complexIdEES8_E_clES8_S8_@rel32@lo+4
	s_addc_u32 s59, s59, _ZZZZN2at6native31launch_logcumsumexp_cuda_kernelERKNS_10TensorBaseES3_lENKUlvE_clEvENKUlvE1_clEvENKUlN3c107complexIdEES8_E_clES8_S8_@rel32@hi+12
	s_swappc_b64 s[30:31], s[58:59]
	v_mov_b32_e32 v56, v0
	v_and_b32_e32 v0, 0x70, v87
	v_mov_b32_e32 v57, v1
	v_mov_b32_e32 v58, v2
	;; [unrolled: 1-line block ×3, first 2 shown]
	v_cmp_gt_u32_e64 s35, 32, v76
	v_lshl_add_u32 v0, v76, 4, v0
	ds_write_b128 v0, v[56:59]
	s_waitcnt lgkmcnt(0)
	s_waitcnt_vscnt null, 0x0
	s_barrier
	buffer_gl0_inv
	s_and_saveexec_b32 s63, s35
	s_cbranch_execz .LBB249_25
; %bb.14:
	v_lshlrev_b32_e32 v0, 2, v76
	v_lshlrev_b32_e32 v1, 7, v76
	v_and_b32_e32 v0, 0x3f0, v0
	v_add_nc_u32_e32 v72, v0, v1
	ds_read_b128 v[60:63], v72
	ds_read_b128 v[4:7], v72 offset:16
	s_waitcnt lgkmcnt(1)
	v_mov_b32_e32 v0, v60
	v_mov_b32_e32 v1, v61
	;; [unrolled: 1-line block ×4, first 2 shown]
	s_swappc_b64 s[30:31], s[58:59]
	ds_read_b128 v[4:7], v72 offset:32
	s_swappc_b64 s[30:31], s[58:59]
	ds_read_b128 v[4:7], v72 offset:48
	;; [unrolled: 2-line block ×6, first 2 shown]
	s_swappc_b64 s[30:31], s[58:59]
	v_mov_b32_e32 v4, v0
	v_mov_b32_e32 v5, v1
	;; [unrolled: 1-line block ×4, first 2 shown]
	v_mbcnt_lo_u32_b32 v73, -1, 0
	v_mov_b32_dpp v0, v4 row_shr:1 row_mask:0xf bank_mask:0xf
	v_mov_b32_dpp v1, v5 row_shr:1 row_mask:0xf bank_mask:0xf
	;; [unrolled: 1-line block ×4, first 2 shown]
	v_and_b32_e32 v74, 15, v73
	s_mov_b32 s58, exec_lo
	v_cmpx_ne_u32_e32 0, v74
	s_cbranch_execz .LBB249_16
; %bb.15:
	s_getpc_b64 s[4:5]
	s_add_u32 s4, s4, _ZZZZN2at6native31launch_logcumsumexp_cuda_kernelERKNS_10TensorBaseES3_lENKUlvE_clEvENKUlvE1_clEvENKUlN3c107complexIdEES8_E_clES8_S8_@rel32@lo+4
	s_addc_u32 s5, s5, _ZZZZN2at6native31launch_logcumsumexp_cuda_kernelERKNS_10TensorBaseES3_lENKUlvE_clEvENKUlvE1_clEvENKUlN3c107complexIdEES8_E_clES8_S8_@rel32@hi+12
	s_swappc_b64 s[30:31], s[4:5]
	v_mov_b32_e32 v4, v0
	v_mov_b32_e32 v5, v1
	v_mov_b32_e32 v6, v2
	v_mov_b32_e32 v7, v3
.LBB249_16:
	s_or_b32 exec_lo, exec_lo, s58
	v_mov_b32_dpp v0, v4 row_shr:2 row_mask:0xf bank_mask:0xf
	v_mov_b32_dpp v1, v5 row_shr:2 row_mask:0xf bank_mask:0xf
	v_mov_b32_dpp v2, v6 row_shr:2 row_mask:0xf bank_mask:0xf
	v_mov_b32_dpp v3, v7 row_shr:2 row_mask:0xf bank_mask:0xf
	s_mov_b32 s58, exec_lo
	v_cmpx_lt_u32_e32 1, v74
	s_cbranch_execz .LBB249_18
; %bb.17:
	s_getpc_b64 s[4:5]
	s_add_u32 s4, s4, _ZZZZN2at6native31launch_logcumsumexp_cuda_kernelERKNS_10TensorBaseES3_lENKUlvE_clEvENKUlvE1_clEvENKUlN3c107complexIdEES8_E_clES8_S8_@rel32@lo+4
	s_addc_u32 s5, s5, _ZZZZN2at6native31launch_logcumsumexp_cuda_kernelERKNS_10TensorBaseES3_lENKUlvE_clEvENKUlvE1_clEvENKUlN3c107complexIdEES8_E_clES8_S8_@rel32@hi+12
	s_swappc_b64 s[30:31], s[4:5]
	v_mov_b32_e32 v4, v0
	v_mov_b32_e32 v5, v1
	v_mov_b32_e32 v6, v2
	v_mov_b32_e32 v7, v3
.LBB249_18:
	s_or_b32 exec_lo, exec_lo, s58
	v_mov_b32_dpp v0, v4 row_shr:4 row_mask:0xf bank_mask:0xf
	v_mov_b32_dpp v1, v5 row_shr:4 row_mask:0xf bank_mask:0xf
	v_mov_b32_dpp v2, v6 row_shr:4 row_mask:0xf bank_mask:0xf
	v_mov_b32_dpp v3, v7 row_shr:4 row_mask:0xf bank_mask:0xf
	s_mov_b32 s58, exec_lo
	v_cmpx_lt_u32_e32 3, v74
	;; [unrolled: 18-line block ×3, first 2 shown]
	s_cbranch_execz .LBB249_22
; %bb.21:
	s_getpc_b64 s[4:5]
	s_add_u32 s4, s4, _ZZZZN2at6native31launch_logcumsumexp_cuda_kernelERKNS_10TensorBaseES3_lENKUlvE_clEvENKUlvE1_clEvENKUlN3c107complexIdEES8_E_clES8_S8_@rel32@lo+4
	s_addc_u32 s5, s5, _ZZZZN2at6native31launch_logcumsumexp_cuda_kernelERKNS_10TensorBaseES3_lENKUlvE_clEvENKUlvE1_clEvENKUlN3c107complexIdEES8_E_clES8_S8_@rel32@hi+12
	s_swappc_b64 s[30:31], s[4:5]
	v_mov_b32_e32 v4, v0
	v_mov_b32_e32 v5, v1
	;; [unrolled: 1-line block ×4, first 2 shown]
.LBB249_22:
	s_or_b32 exec_lo, exec_lo, s58
	ds_swizzle_b32 v0, v4 offset:swizzle(BROADCAST,32,15)
	ds_swizzle_b32 v1, v5 offset:swizzle(BROADCAST,32,15)
	;; [unrolled: 1-line block ×4, first 2 shown]
	v_and_b32_e32 v8, 16, v73
	s_mov_b32 s58, exec_lo
	v_cmpx_ne_u32_e32 0, v8
	s_cbranch_execz .LBB249_24
; %bb.23:
	s_getpc_b64 s[4:5]
	s_add_u32 s4, s4, _ZZZZN2at6native31launch_logcumsumexp_cuda_kernelERKNS_10TensorBaseES3_lENKUlvE_clEvENKUlvE1_clEvENKUlN3c107complexIdEES8_E_clES8_S8_@rel32@lo+4
	s_addc_u32 s5, s5, _ZZZZN2at6native31launch_logcumsumexp_cuda_kernelERKNS_10TensorBaseES3_lENKUlvE_clEvENKUlvE1_clEvENKUlN3c107complexIdEES8_E_clES8_S8_@rel32@hi+12
	s_swappc_b64 s[30:31], s[4:5]
	v_mov_b32_e32 v4, v0
	v_mov_b32_e32 v5, v1
	;; [unrolled: 1-line block ×4, first 2 shown]
.LBB249_24:
	s_or_b32 exec_lo, exec_lo, s58
	s_waitcnt lgkmcnt(3)
	v_add_nc_u32_e32 v0, -1, v73
	s_getpc_b64 s[58:59]
	s_add_u32 s58, s58, _ZZZZN2at6native31launch_logcumsumexp_cuda_kernelERKNS_10TensorBaseES3_lENKUlvE_clEvENKUlvE1_clEvENKUlN3c107complexIdEES8_E_clES8_S8_@rel32@lo+4
	s_addc_u32 s59, s59, _ZZZZN2at6native31launch_logcumsumexp_cuda_kernelERKNS_10TensorBaseES3_lENKUlvE_clEvENKUlvE1_clEvENKUlN3c107complexIdEES8_E_clES8_S8_@rel32@hi+12
	v_cmp_gt_i32_e32 vcc_lo, 0, v0
	v_cndmask_b32_e32 v0, v0, v73, vcc_lo
	s_waitcnt lgkmcnt(0)
	v_lshlrev_b32_e32 v3, 2, v0
	ds_bpermute_b32 v0, v3, v4
	ds_bpermute_b32 v1, v3, v5
	;; [unrolled: 1-line block ×4, first 2 shown]
	v_mov_b32_e32 v4, v60
	v_mov_b32_e32 v5, v61
	;; [unrolled: 1-line block ×4, first 2 shown]
	s_swappc_b64 s[30:31], s[58:59]
	v_cndmask_b32_e64 v3, v3, v59, s34
	v_cndmask_b32_e64 v2, v2, v58, s34
	;; [unrolled: 1-line block ×4, first 2 shown]
	; wave barrier
	ds_write_b128 v72, v[0:3]
	; wave barrier
	ds_read_b128 v[4:7], v72 offset:16
	s_swappc_b64 s[30:31], s[58:59]
	ds_read_b128 v[4:7], v72 offset:32
	ds_write_b128 v72, v[0:3] offset:16
	s_swappc_b64 s[30:31], s[58:59]
	ds_read_b128 v[4:7], v72 offset:48
	ds_write_b128 v72, v[0:3] offset:32
	;; [unrolled: 3-line block ×6, first 2 shown]
	s_swappc_b64 s[30:31], s[58:59]
	ds_write_b128 v72, v[0:3] offset:112
.LBB249_25:
	s_or_b32 exec_lo, exec_lo, s63
	s_waitcnt lgkmcnt(0)
	s_waitcnt_vscnt null, 0x0
	s_barrier
	buffer_gl0_inv
	s_and_saveexec_b32 s4, s33
	s_cbranch_execz .LBB249_27
; %bb.26:
	v_add_nc_u32_e32 v0, -1, v76
	v_lshrrev_b32_e32 v1, 1, v0
	v_and_b32_e32 v1, 0x7ffffff0, v1
	v_lshl_add_u32 v0, v0, 4, v1
	ds_read_b128 v[56:59], v0
.LBB249_27:
	s_or_b32 exec_lo, exec_lo, s4
	s_and_saveexec_b32 s58, s35
	s_cbranch_execz .LBB249_67
; %bb.28:
	v_mov_b32_e32 v1, 0
	v_mbcnt_lo_u32_b32 v89, -1, 0
	s_mov_b32 s5, 0
	ds_read_b128 v[60:63], v1 offset:4192
	v_cmp_eq_u32_e64 s35, 0, v89
	s_and_saveexec_b32 s6, s35
	s_cbranch_execz .LBB249_30
; %bb.29:
	s_add_i32 s4, s62, 32
	v_mov_b32_e32 v0, 1
	s_lshl_b64 s[8:9], s[4:5], 4
	v_mov_b32_e32 v2, s4
	s_add_u32 s4, s36, s8
	s_addc_u32 s5, s37, s9
	s_waitcnt lgkmcnt(0)
	global_store_dwordx4 v1, v[60:63], s[4:5]
	s_waitcnt_vscnt null, 0x0
	buffer_gl1_inv
	buffer_gl0_inv
	global_store_byte v2, v0, s[42:43]
.LBB249_30:
	s_or_b32 exec_lo, exec_lo, s6
	v_xad_u32 v77, v89, -1, s62
	s_mov_b32 s4, exec_lo
	v_add_nc_u32_e32 v0, 32, v77
	global_load_ubyte v90, v0, s[42:43] glc dlc
	s_waitcnt vmcnt(0)
	v_cmpx_eq_u16_e32 0, v90
	s_cbranch_execz .LBB249_34
; %bb.31:
	v_add_co_u32 v2, s5, s42, v0
	v_add_co_ci_u32_e64 v3, null, s43, 0, s5
	s_mov_b32 s5, 0
.LBB249_32:                             ; =>This Inner Loop Header: Depth=1
	global_load_ubyte v90, v[2:3], off glc dlc
	s_waitcnt vmcnt(0)
	v_cmp_ne_u16_e32 vcc_lo, 0, v90
	s_or_b32 s5, vcc_lo, s5
	s_andn2_b32 exec_lo, exec_lo, s5
	s_cbranch_execnz .LBB249_32
; %bb.33:
	s_or_b32 exec_lo, exec_lo, s5
.LBB249_34:
	s_or_b32 exec_lo, exec_lo, s4
	v_cmp_eq_u16_e32 vcc_lo, 1, v90
	v_mov_b32_e32 v3, s36
	v_mov_b32_e32 v2, s37
	v_lshlrev_b64 v[0:1], 4, v[0:1]
	s_waitcnt lgkmcnt(0)
	s_waitcnt_vscnt null, 0x0
	buffer_gl1_inv
	buffer_gl0_inv
	v_lshlrev_b32_e64 v92, v89, -1
	v_cndmask_b32_e32 v3, s38, v3, vcc_lo
	v_cndmask_b32_e32 v2, s39, v2, vcc_lo
	s_mov_b32 s59, exec_lo
	v_add_co_u32 v0, vcc_lo, v3, v0
	v_add_co_ci_u32_e64 v1, null, v2, v1, vcc_lo
	v_cmp_ne_u32_e32 vcc_lo, 31, v89
	global_load_dwordx4 v[4:7], v[0:1], off
	v_add_co_ci_u32_e64 v0, null, 0, v89, vcc_lo
	v_cmp_eq_u16_e32 vcc_lo, 2, v90
	v_lshlrev_b32_e32 v91, 2, v0
	v_and_or_b32 v8, vcc_lo, v92, 0x80000000
	v_ffbl_b32_e32 v72, v8
	s_waitcnt vmcnt(0)
	ds_bpermute_b32 v0, v91, v4
	ds_bpermute_b32 v1, v91, v5
	;; [unrolled: 1-line block ×4, first 2 shown]
	v_cmpx_lt_u32_e64 v89, v72
	s_cbranch_execz .LBB249_36
; %bb.35:
	s_getpc_b64 s[4:5]
	s_add_u32 s4, s4, _ZZZZN2at6native31launch_logcumsumexp_cuda_kernelERKNS_10TensorBaseES3_lENKUlvE_clEvENKUlvE1_clEvENKUlN3c107complexIdEES8_E_clES8_S8_@rel32@lo+4
	s_addc_u32 s5, s5, _ZZZZN2at6native31launch_logcumsumexp_cuda_kernelERKNS_10TensorBaseES3_lENKUlvE_clEvENKUlvE1_clEvENKUlN3c107complexIdEES8_E_clES8_S8_@rel32@hi+12
	s_swappc_b64 s[30:31], s[4:5]
	v_mov_b32_e32 v4, v0
	v_mov_b32_e32 v5, v1
	v_mov_b32_e32 v6, v2
	v_mov_b32_e32 v7, v3
.LBB249_36:
	s_or_b32 exec_lo, exec_lo, s59
	v_cmp_gt_u32_e32 vcc_lo, 30, v89
	v_add_nc_u32_e32 v94, 2, v89
	s_mov_b32 s59, exec_lo
	s_waitcnt lgkmcnt(3)
	v_cndmask_b32_e64 v0, 0, 2, vcc_lo
	v_add_lshl_u32 v93, v0, v89, 2
	ds_bpermute_b32 v0, v93, v4
	s_waitcnt lgkmcnt(3)
	ds_bpermute_b32 v1, v93, v5
	s_waitcnt lgkmcnt(3)
	ds_bpermute_b32 v2, v93, v6
	s_waitcnt lgkmcnt(3)
	ds_bpermute_b32 v3, v93, v7
	v_cmpx_le_u32_e64 v94, v72
	s_cbranch_execz .LBB249_38
; %bb.37:
	s_getpc_b64 s[4:5]
	s_add_u32 s4, s4, _ZZZZN2at6native31launch_logcumsumexp_cuda_kernelERKNS_10TensorBaseES3_lENKUlvE_clEvENKUlvE1_clEvENKUlN3c107complexIdEES8_E_clES8_S8_@rel32@lo+4
	s_addc_u32 s5, s5, _ZZZZN2at6native31launch_logcumsumexp_cuda_kernelERKNS_10TensorBaseES3_lENKUlvE_clEvENKUlvE1_clEvENKUlN3c107complexIdEES8_E_clES8_S8_@rel32@hi+12
	s_swappc_b64 s[30:31], s[4:5]
	v_mov_b32_e32 v4, v0
	v_mov_b32_e32 v5, v1
	v_mov_b32_e32 v6, v2
	v_mov_b32_e32 v7, v3
.LBB249_38:
	s_or_b32 exec_lo, exec_lo, s59
	v_cmp_gt_u32_e32 vcc_lo, 28, v89
	v_add_nc_u32_e32 v96, 4, v89
	s_mov_b32 s59, exec_lo
	s_waitcnt lgkmcnt(3)
	v_cndmask_b32_e64 v0, 0, 4, vcc_lo
	v_add_lshl_u32 v95, v0, v89, 2
	ds_bpermute_b32 v0, v95, v4
	s_waitcnt lgkmcnt(3)
	ds_bpermute_b32 v1, v95, v5
	s_waitcnt lgkmcnt(3)
	ds_bpermute_b32 v2, v95, v6
	s_waitcnt lgkmcnt(3)
	ds_bpermute_b32 v3, v95, v7
	v_cmpx_le_u32_e64 v96, v72
	;; [unrolled: 26-line block ×3, first 2 shown]
	s_cbranch_execz .LBB249_42
; %bb.41:
	s_getpc_b64 s[4:5]
	s_add_u32 s4, s4, _ZZZZN2at6native31launch_logcumsumexp_cuda_kernelERKNS_10TensorBaseES3_lENKUlvE_clEvENKUlvE1_clEvENKUlN3c107complexIdEES8_E_clES8_S8_@rel32@lo+4
	s_addc_u32 s5, s5, _ZZZZN2at6native31launch_logcumsumexp_cuda_kernelERKNS_10TensorBaseES3_lENKUlvE_clEvENKUlvE1_clEvENKUlN3c107complexIdEES8_E_clES8_S8_@rel32@hi+12
	s_swappc_b64 s[30:31], s[4:5]
	v_mov_b32_e32 v4, v0
	v_mov_b32_e32 v5, v1
	;; [unrolled: 1-line block ×4, first 2 shown]
.LBB249_42:
	s_or_b32 exec_lo, exec_lo, s59
	v_lshl_or_b32 v99, v89, 2, 64
	v_add_nc_u32_e32 v100, 16, v89
	s_mov_b32 s59, exec_lo
	s_waitcnt lgkmcnt(3)
	ds_bpermute_b32 v0, v99, v4
	s_waitcnt lgkmcnt(3)
	ds_bpermute_b32 v1, v99, v5
	;; [unrolled: 2-line block ×4, first 2 shown]
	v_cmpx_le_u32_e64 v100, v72
	s_cbranch_execz .LBB249_44
; %bb.43:
	s_getpc_b64 s[4:5]
	s_add_u32 s4, s4, _ZZZZN2at6native31launch_logcumsumexp_cuda_kernelERKNS_10TensorBaseES3_lENKUlvE_clEvENKUlvE1_clEvENKUlN3c107complexIdEES8_E_clES8_S8_@rel32@lo+4
	s_addc_u32 s5, s5, _ZZZZN2at6native31launch_logcumsumexp_cuda_kernelERKNS_10TensorBaseES3_lENKUlvE_clEvENKUlvE1_clEvENKUlN3c107complexIdEES8_E_clES8_S8_@rel32@hi+12
	s_swappc_b64 s[30:31], s[4:5]
	v_mov_b32_e32 v4, v0
	v_mov_b32_e32 v5, v1
	;; [unrolled: 1-line block ×4, first 2 shown]
.LBB249_44:
	s_or_b32 exec_lo, exec_lo, s59
	v_mov_b32_e32 v78, 0
	v_mov_b32_e32 v101, 2
	s_branch .LBB249_47
.LBB249_45:                             ;   in Loop: Header=BB249_47 Depth=1
	s_or_b32 exec_lo, exec_lo, s59
	s_waitcnt lgkmcnt(3)
	v_mov_b32_e32 v0, v4
	s_waitcnt lgkmcnt(2)
	v_mov_b32_e32 v1, v5
	;; [unrolled: 2-line block ×4, first 2 shown]
	v_mov_b32_e32 v4, v72
	v_mov_b32_e32 v5, v73
	;; [unrolled: 1-line block ×4, first 2 shown]
	s_getpc_b64 s[4:5]
	s_add_u32 s4, s4, _ZZZZN2at6native31launch_logcumsumexp_cuda_kernelERKNS_10TensorBaseES3_lENKUlvE_clEvENKUlvE1_clEvENKUlN3c107complexIdEES8_E_clES8_S8_@rel32@lo+4
	s_addc_u32 s5, s5, _ZZZZN2at6native31launch_logcumsumexp_cuda_kernelERKNS_10TensorBaseES3_lENKUlvE_clEvENKUlvE1_clEvENKUlN3c107complexIdEES8_E_clES8_S8_@rel32@hi+12
	v_subrev_nc_u32_e32 v77, 32, v77
	s_swappc_b64 s[30:31], s[4:5]
	v_mov_b32_e32 v4, v0
	v_mov_b32_e32 v5, v1
	;; [unrolled: 1-line block ×4, first 2 shown]
	s_mov_b32 s4, 0
.LBB249_46:                             ;   in Loop: Header=BB249_47 Depth=1
	s_and_b32 vcc_lo, exec_lo, s4
	s_cbranch_vccnz .LBB249_63
.LBB249_47:                             ; =>This Loop Header: Depth=1
                                        ;     Child Loop BB249_50 Depth 2
	v_cmp_ne_u16_sdwa s4, v90, v101 src0_sel:BYTE_0 src1_sel:DWORD
	v_mov_b32_e32 v75, v7
	v_mov_b32_e32 v73, v5
	;; [unrolled: 1-line block ×4, first 2 shown]
	s_cmp_lg_u32 s4, exec_lo
	s_mov_b32 s4, -1
                                        ; implicit-def: $vgpr6_vgpr7
                                        ; implicit-def: $vgpr90
	s_cbranch_scc1 .LBB249_46
; %bb.48:                               ;   in Loop: Header=BB249_47 Depth=1
	global_load_ubyte v90, v77, s[42:43] glc dlc
	s_mov_b32 s4, exec_lo
	s_waitcnt vmcnt(0)
	v_cmpx_eq_u16_e32 0, v90
	s_cbranch_execz .LBB249_52
; %bb.49:                               ;   in Loop: Header=BB249_47 Depth=1
	s_waitcnt lgkmcnt(3)
	v_add_co_u32 v0, s5, s42, v77
	s_waitcnt lgkmcnt(2)
	v_add_co_ci_u32_e64 v1, null, s43, 0, s5
	s_mov_b32 s5, 0
.LBB249_50:                             ;   Parent Loop BB249_47 Depth=1
                                        ; =>  This Inner Loop Header: Depth=2
	global_load_ubyte v90, v[0:1], off glc dlc
	s_waitcnt vmcnt(0)
	v_cmp_ne_u16_e32 vcc_lo, 0, v90
	s_or_b32 s5, vcc_lo, s5
	s_andn2_b32 exec_lo, exec_lo, s5
	s_cbranch_execnz .LBB249_50
; %bb.51:                               ;   in Loop: Header=BB249_47 Depth=1
	s_or_b32 exec_lo, exec_lo, s5
.LBB249_52:                             ;   in Loop: Header=BB249_47 Depth=1
	s_or_b32 exec_lo, exec_lo, s4
	v_cmp_eq_u16_e32 vcc_lo, 1, v90
	s_waitcnt lgkmcnt(0)
	v_mov_b32_e32 v3, s36
	v_mov_b32_e32 v2, s37
	v_lshlrev_b64 v[0:1], 4, v[77:78]
	s_waitcnt_vscnt null, 0x0
	buffer_gl1_inv
	buffer_gl0_inv
	s_mov_b32 s59, exec_lo
	v_cndmask_b32_e32 v3, s38, v3, vcc_lo
	v_cndmask_b32_e32 v2, s39, v2, vcc_lo
	v_add_co_u32 v0, vcc_lo, v3, v0
	v_add_co_ci_u32_e64 v1, null, v2, v1, vcc_lo
	v_cmp_eq_u16_e32 vcc_lo, 2, v90
	global_load_dwordx4 v[4:7], v[0:1], off
	v_and_or_b32 v8, vcc_lo, v92, 0x80000000
	v_ffbl_b32_e32 v102, v8
	s_waitcnt vmcnt(0)
	ds_bpermute_b32 v0, v91, v4
	ds_bpermute_b32 v1, v91, v5
	;; [unrolled: 1-line block ×4, first 2 shown]
	v_cmpx_lt_u32_e64 v89, v102
	s_cbranch_execz .LBB249_54
; %bb.53:                               ;   in Loop: Header=BB249_47 Depth=1
	s_getpc_b64 s[4:5]
	s_add_u32 s4, s4, _ZZZZN2at6native31launch_logcumsumexp_cuda_kernelERKNS_10TensorBaseES3_lENKUlvE_clEvENKUlvE1_clEvENKUlN3c107complexIdEES8_E_clES8_S8_@rel32@lo+4
	s_addc_u32 s5, s5, _ZZZZN2at6native31launch_logcumsumexp_cuda_kernelERKNS_10TensorBaseES3_lENKUlvE_clEvENKUlvE1_clEvENKUlN3c107complexIdEES8_E_clES8_S8_@rel32@hi+12
	s_swappc_b64 s[30:31], s[4:5]
	v_mov_b32_e32 v4, v0
	v_mov_b32_e32 v5, v1
	v_mov_b32_e32 v6, v2
	v_mov_b32_e32 v7, v3
.LBB249_54:                             ;   in Loop: Header=BB249_47 Depth=1
	s_or_b32 exec_lo, exec_lo, s59
	s_waitcnt lgkmcnt(3)
	ds_bpermute_b32 v0, v93, v4
	s_waitcnt lgkmcnt(3)
	ds_bpermute_b32 v1, v93, v5
	s_waitcnt lgkmcnt(3)
	ds_bpermute_b32 v2, v93, v6
	s_waitcnt lgkmcnt(3)
	ds_bpermute_b32 v3, v93, v7
	s_mov_b32 s59, exec_lo
	v_cmpx_le_u32_e64 v94, v102
	s_cbranch_execz .LBB249_56
; %bb.55:                               ;   in Loop: Header=BB249_47 Depth=1
	s_getpc_b64 s[4:5]
	s_add_u32 s4, s4, _ZZZZN2at6native31launch_logcumsumexp_cuda_kernelERKNS_10TensorBaseES3_lENKUlvE_clEvENKUlvE1_clEvENKUlN3c107complexIdEES8_E_clES8_S8_@rel32@lo+4
	s_addc_u32 s5, s5, _ZZZZN2at6native31launch_logcumsumexp_cuda_kernelERKNS_10TensorBaseES3_lENKUlvE_clEvENKUlvE1_clEvENKUlN3c107complexIdEES8_E_clES8_S8_@rel32@hi+12
	s_swappc_b64 s[30:31], s[4:5]
	v_mov_b32_e32 v4, v0
	v_mov_b32_e32 v5, v1
	v_mov_b32_e32 v6, v2
	v_mov_b32_e32 v7, v3
.LBB249_56:                             ;   in Loop: Header=BB249_47 Depth=1
	s_or_b32 exec_lo, exec_lo, s59
	s_waitcnt lgkmcnt(3)
	ds_bpermute_b32 v0, v95, v4
	s_waitcnt lgkmcnt(3)
	ds_bpermute_b32 v1, v95, v5
	s_waitcnt lgkmcnt(3)
	ds_bpermute_b32 v2, v95, v6
	s_waitcnt lgkmcnt(3)
	ds_bpermute_b32 v3, v95, v7
	s_mov_b32 s59, exec_lo
	v_cmpx_le_u32_e64 v96, v102
	;; [unrolled: 22-line block ×4, first 2 shown]
	s_cbranch_execz .LBB249_45
; %bb.61:                               ;   in Loop: Header=BB249_47 Depth=1
	s_getpc_b64 s[4:5]
	s_add_u32 s4, s4, _ZZZZN2at6native31launch_logcumsumexp_cuda_kernelERKNS_10TensorBaseES3_lENKUlvE_clEvENKUlvE1_clEvENKUlN3c107complexIdEES8_E_clES8_S8_@rel32@lo+4
	s_addc_u32 s5, s5, _ZZZZN2at6native31launch_logcumsumexp_cuda_kernelERKNS_10TensorBaseES3_lENKUlvE_clEvENKUlvE1_clEvENKUlN3c107complexIdEES8_E_clES8_S8_@rel32@hi+12
	s_swappc_b64 s[30:31], s[4:5]
	v_mov_b32_e32 v4, v0
	v_mov_b32_e32 v5, v1
	;; [unrolled: 1-line block ×4, first 2 shown]
	s_branch .LBB249_45
.LBB249_62:
                                        ; implicit-def: $vgpr60_vgpr61
                                        ; implicit-def: $vgpr56_vgpr57
	s_cbranch_execnz .LBB249_70
	s_branch .LBB249_89
.LBB249_63:
	s_and_saveexec_b32 s36, s35
	s_cbranch_execz .LBB249_65
; %bb.64:
	s_waitcnt lgkmcnt(3)
	v_mov_b32_e32 v0, v72
	s_waitcnt lgkmcnt(2)
	v_mov_b32_e32 v1, v73
	;; [unrolled: 2-line block ×4, first 2 shown]
	v_mov_b32_e32 v4, v60
	v_mov_b32_e32 v5, v61
	;; [unrolled: 1-line block ×4, first 2 shown]
	s_getpc_b64 s[4:5]
	s_add_u32 s4, s4, _ZZZZN2at6native31launch_logcumsumexp_cuda_kernelERKNS_10TensorBaseES3_lENKUlvE_clEvENKUlvE1_clEvENKUlN3c107complexIdEES8_E_clES8_S8_@rel32@lo+4
	s_addc_u32 s5, s5, _ZZZZN2at6native31launch_logcumsumexp_cuda_kernelERKNS_10TensorBaseES3_lENKUlvE_clEvENKUlvE1_clEvENKUlN3c107complexIdEES8_E_clES8_S8_@rel32@hi+12
	s_swappc_b64 s[30:31], s[4:5]
	s_add_i32 s4, s62, 32
	s_mov_b32 s5, 0
	v_mov_b32_e32 v4, 0
	s_lshl_b64 s[6:7], s[4:5], 4
	v_mov_b32_e32 v5, 2
	v_mov_b32_e32 v6, s4
	s_add_u32 s6, s38, s6
	s_addc_u32 s7, s39, s7
	global_store_dwordx4 v4, v[0:3], s[6:7]
	s_waitcnt_vscnt null, 0x0
	buffer_gl1_inv
	buffer_gl0_inv
	global_store_byte v6, v5, s[42:43]
.LBB249_65:
	s_or_b32 exec_lo, exec_lo, s36
	s_and_b32 exec_lo, exec_lo, s34
	s_cbranch_execz .LBB249_67
; %bb.66:
	s_waitcnt lgkmcnt(3)
	v_mov_b32_e32 v0, 0
	ds_write_b128 v0, v[72:75]
.LBB249_67:
	s_or_b32 exec_lo, exec_lo, s58
	s_waitcnt lgkmcnt(3)
	v_mov_b32_e32 v0, 0
	s_waitcnt lgkmcnt(0)
	s_waitcnt_vscnt null, 0x0
	s_barrier
	buffer_gl0_inv
	v_mov_b32_e32 v6, v42
	ds_read_b128 v[0:3], v0
	v_mov_b32_e32 v4, v40
	v_mov_b32_e32 v7, v43
	;; [unrolled: 1-line block ×3, first 2 shown]
	s_and_saveexec_b32 s35, s33
	s_cbranch_execz .LBB249_69
; %bb.68:
	s_waitcnt lgkmcnt(0)
	v_mov_b32_e32 v63, v3
	v_mov_b32_e32 v62, v2
	;; [unrolled: 1-line block ×12, first 2 shown]
	s_getpc_b64 s[4:5]
	s_add_u32 s4, s4, _ZZZZN2at6native31launch_logcumsumexp_cuda_kernelERKNS_10TensorBaseES3_lENKUlvE_clEvENKUlvE1_clEvENKUlN3c107complexIdEES8_E_clES8_S8_@rel32@lo+4
	s_addc_u32 s5, s5, _ZZZZN2at6native31launch_logcumsumexp_cuda_kernelERKNS_10TensorBaseES3_lENKUlvE_clEvENKUlvE1_clEvENKUlN3c107complexIdEES8_E_clES8_S8_@rel32@hi+12
	s_swappc_b64 s[30:31], s[4:5]
	v_mov_b32_e32 v4, v0
	v_mov_b32_e32 v5, v1
	;; [unrolled: 1-line block ×8, first 2 shown]
.LBB249_69:
	s_or_b32 exec_lo, exec_lo, s35
	s_getpc_b64 s[36:37]
	s_add_u32 s36, s36, _ZZZZN2at6native31launch_logcumsumexp_cuda_kernelERKNS_10TensorBaseES3_lENKUlvE_clEvENKUlvE1_clEvENKUlN3c107complexIdEES8_E_clES8_S8_@rel32@lo+4
	s_addc_u32 s37, s37, _ZZZZN2at6native31launch_logcumsumexp_cuda_kernelERKNS_10TensorBaseES3_lENKUlvE_clEvENKUlvE1_clEvENKUlN3c107complexIdEES8_E_clES8_S8_@rel32@hi+12
	s_swappc_b64 s[30:31], s[36:37]
	v_mov_b32_e32 v4, v44
	v_mov_b32_e32 v5, v45
	;; [unrolled: 1-line block ×8, first 2 shown]
	s_swappc_b64 s[30:31], s[36:37]
	v_mov_b32_e32 v56, v0
	v_mov_b32_e32 v57, v1
	;; [unrolled: 1-line block ×4, first 2 shown]
	s_branch .LBB249_89
.LBB249_70:
	s_cmp_lg_u64 s[48:49], 0
	s_cselect_b32 s4, -1, 0
	s_and_b32 s4, s34, s4
	s_and_saveexec_b32 s35, s4
	s_cbranch_execz .LBB249_72
; %bb.71:
	v_mov_b32_e32 v0, 0
	v_mov_b32_e32 v4, v40
	;; [unrolled: 1-line block ×5, first 2 shown]
	global_load_dwordx4 v[0:3], v0, s[44:45]
	s_getpc_b64 s[4:5]
	s_add_u32 s4, s4, _ZZZZN2at6native31launch_logcumsumexp_cuda_kernelERKNS_10TensorBaseES3_lENKUlvE_clEvENKUlvE1_clEvENKUlN3c107complexIdEES8_E_clES8_S8_@rel32@lo+4
	s_addc_u32 s5, s5, _ZZZZN2at6native31launch_logcumsumexp_cuda_kernelERKNS_10TensorBaseES3_lENKUlvE_clEvENKUlvE1_clEvENKUlN3c107complexIdEES8_E_clES8_S8_@rel32@hi+12
	s_swappc_b64 s[30:31], s[4:5]
	v_mov_b32_e32 v40, v0
	v_mov_b32_e32 v41, v1
	;; [unrolled: 1-line block ×4, first 2 shown]
.LBB249_72:
	s_or_b32 exec_lo, exec_lo, s35
	v_mov_b32_e32 v0, v40
	v_mov_b32_e32 v1, v41
	;; [unrolled: 1-line block ×8, first 2 shown]
	s_getpc_b64 s[36:37]
	s_add_u32 s36, s36, _ZZZZN2at6native31launch_logcumsumexp_cuda_kernelERKNS_10TensorBaseES3_lENKUlvE_clEvENKUlvE1_clEvENKUlN3c107complexIdEES8_E_clES8_S8_@rel32@lo+4
	s_addc_u32 s37, s37, _ZZZZN2at6native31launch_logcumsumexp_cuda_kernelERKNS_10TensorBaseES3_lENKUlvE_clEvENKUlvE1_clEvENKUlN3c107complexIdEES8_E_clES8_S8_@rel32@hi+12
	s_swappc_b64 s[30:31], s[36:37]
	v_mov_b32_e32 v56, v0
	v_and_b32_e32 v0, 0x70, v87
	v_mov_b32_e32 v57, v1
	v_mov_b32_e32 v58, v2
	;; [unrolled: 1-line block ×3, first 2 shown]
	s_mov_b32 s35, exec_lo
	v_lshl_add_u32 v0, v76, 4, v0
	ds_write_b128 v0, v[56:59]
	s_waitcnt lgkmcnt(0)
	s_waitcnt_vscnt null, 0x0
	s_barrier
	buffer_gl0_inv
	v_cmpx_gt_u32_e32 32, v76
	s_cbranch_execz .LBB249_84
; %bb.73:
	v_lshlrev_b32_e32 v0, 2, v76
	v_lshlrev_b32_e32 v1, 7, v76
	v_and_b32_e32 v0, 0x3f0, v0
	v_add_nc_u32_e32 v72, v0, v1
	ds_read_b128 v[60:63], v72
	ds_read_b128 v[4:7], v72 offset:16
	s_waitcnt lgkmcnt(1)
	v_mov_b32_e32 v0, v60
	v_mov_b32_e32 v1, v61
	;; [unrolled: 1-line block ×4, first 2 shown]
	s_swappc_b64 s[30:31], s[36:37]
	ds_read_b128 v[4:7], v72 offset:32
	s_swappc_b64 s[30:31], s[36:37]
	ds_read_b128 v[4:7], v72 offset:48
	;; [unrolled: 2-line block ×6, first 2 shown]
	s_swappc_b64 s[30:31], s[36:37]
	v_mov_b32_e32 v4, v0
	v_mov_b32_e32 v5, v1
	;; [unrolled: 1-line block ×4, first 2 shown]
	v_mbcnt_lo_u32_b32 v73, -1, 0
	v_mov_b32_dpp v0, v4 row_shr:1 row_mask:0xf bank_mask:0xf
	v_mov_b32_dpp v1, v5 row_shr:1 row_mask:0xf bank_mask:0xf
	;; [unrolled: 1-line block ×4, first 2 shown]
	v_and_b32_e32 v74, 15, v73
	s_mov_b32 s36, exec_lo
	v_cmpx_ne_u32_e32 0, v74
	s_cbranch_execz .LBB249_75
; %bb.74:
	s_getpc_b64 s[4:5]
	s_add_u32 s4, s4, _ZZZZN2at6native31launch_logcumsumexp_cuda_kernelERKNS_10TensorBaseES3_lENKUlvE_clEvENKUlvE1_clEvENKUlN3c107complexIdEES8_E_clES8_S8_@rel32@lo+4
	s_addc_u32 s5, s5, _ZZZZN2at6native31launch_logcumsumexp_cuda_kernelERKNS_10TensorBaseES3_lENKUlvE_clEvENKUlvE1_clEvENKUlN3c107complexIdEES8_E_clES8_S8_@rel32@hi+12
	s_swappc_b64 s[30:31], s[4:5]
	v_mov_b32_e32 v4, v0
	v_mov_b32_e32 v5, v1
	v_mov_b32_e32 v6, v2
	v_mov_b32_e32 v7, v3
.LBB249_75:
	s_or_b32 exec_lo, exec_lo, s36
	v_mov_b32_dpp v0, v4 row_shr:2 row_mask:0xf bank_mask:0xf
	v_mov_b32_dpp v1, v5 row_shr:2 row_mask:0xf bank_mask:0xf
	v_mov_b32_dpp v2, v6 row_shr:2 row_mask:0xf bank_mask:0xf
	v_mov_b32_dpp v3, v7 row_shr:2 row_mask:0xf bank_mask:0xf
	s_mov_b32 s36, exec_lo
	v_cmpx_lt_u32_e32 1, v74
	s_cbranch_execz .LBB249_77
; %bb.76:
	s_getpc_b64 s[4:5]
	s_add_u32 s4, s4, _ZZZZN2at6native31launch_logcumsumexp_cuda_kernelERKNS_10TensorBaseES3_lENKUlvE_clEvENKUlvE1_clEvENKUlN3c107complexIdEES8_E_clES8_S8_@rel32@lo+4
	s_addc_u32 s5, s5, _ZZZZN2at6native31launch_logcumsumexp_cuda_kernelERKNS_10TensorBaseES3_lENKUlvE_clEvENKUlvE1_clEvENKUlN3c107complexIdEES8_E_clES8_S8_@rel32@hi+12
	s_swappc_b64 s[30:31], s[4:5]
	v_mov_b32_e32 v4, v0
	v_mov_b32_e32 v5, v1
	v_mov_b32_e32 v6, v2
	v_mov_b32_e32 v7, v3
.LBB249_77:
	s_or_b32 exec_lo, exec_lo, s36
	v_mov_b32_dpp v0, v4 row_shr:4 row_mask:0xf bank_mask:0xf
	v_mov_b32_dpp v1, v5 row_shr:4 row_mask:0xf bank_mask:0xf
	v_mov_b32_dpp v2, v6 row_shr:4 row_mask:0xf bank_mask:0xf
	v_mov_b32_dpp v3, v7 row_shr:4 row_mask:0xf bank_mask:0xf
	s_mov_b32 s36, exec_lo
	v_cmpx_lt_u32_e32 3, v74
	;; [unrolled: 18-line block ×3, first 2 shown]
	s_cbranch_execz .LBB249_81
; %bb.80:
	s_getpc_b64 s[4:5]
	s_add_u32 s4, s4, _ZZZZN2at6native31launch_logcumsumexp_cuda_kernelERKNS_10TensorBaseES3_lENKUlvE_clEvENKUlvE1_clEvENKUlN3c107complexIdEES8_E_clES8_S8_@rel32@lo+4
	s_addc_u32 s5, s5, _ZZZZN2at6native31launch_logcumsumexp_cuda_kernelERKNS_10TensorBaseES3_lENKUlvE_clEvENKUlvE1_clEvENKUlN3c107complexIdEES8_E_clES8_S8_@rel32@hi+12
	s_swappc_b64 s[30:31], s[4:5]
	v_mov_b32_e32 v4, v0
	v_mov_b32_e32 v5, v1
	;; [unrolled: 1-line block ×4, first 2 shown]
.LBB249_81:
	s_or_b32 exec_lo, exec_lo, s36
	ds_swizzle_b32 v0, v4 offset:swizzle(BROADCAST,32,15)
	ds_swizzle_b32 v1, v5 offset:swizzle(BROADCAST,32,15)
	;; [unrolled: 1-line block ×4, first 2 shown]
	v_and_b32_e32 v8, 16, v73
	s_mov_b32 s36, exec_lo
	v_cmpx_ne_u32_e32 0, v8
	s_cbranch_execz .LBB249_83
; %bb.82:
	s_getpc_b64 s[4:5]
	s_add_u32 s4, s4, _ZZZZN2at6native31launch_logcumsumexp_cuda_kernelERKNS_10TensorBaseES3_lENKUlvE_clEvENKUlvE1_clEvENKUlN3c107complexIdEES8_E_clES8_S8_@rel32@lo+4
	s_addc_u32 s5, s5, _ZZZZN2at6native31launch_logcumsumexp_cuda_kernelERKNS_10TensorBaseES3_lENKUlvE_clEvENKUlvE1_clEvENKUlN3c107complexIdEES8_E_clES8_S8_@rel32@hi+12
	s_swappc_b64 s[30:31], s[4:5]
	v_mov_b32_e32 v4, v0
	v_mov_b32_e32 v5, v1
	;; [unrolled: 1-line block ×4, first 2 shown]
.LBB249_83:
	s_or_b32 exec_lo, exec_lo, s36
	s_waitcnt lgkmcnt(3)
	v_add_nc_u32_e32 v0, -1, v73
	s_getpc_b64 s[36:37]
	s_add_u32 s36, s36, _ZZZZN2at6native31launch_logcumsumexp_cuda_kernelERKNS_10TensorBaseES3_lENKUlvE_clEvENKUlvE1_clEvENKUlN3c107complexIdEES8_E_clES8_S8_@rel32@lo+4
	s_addc_u32 s37, s37, _ZZZZN2at6native31launch_logcumsumexp_cuda_kernelERKNS_10TensorBaseES3_lENKUlvE_clEvENKUlvE1_clEvENKUlN3c107complexIdEES8_E_clES8_S8_@rel32@hi+12
	v_cmp_gt_i32_e32 vcc_lo, 0, v0
	v_cndmask_b32_e32 v0, v0, v73, vcc_lo
	s_waitcnt lgkmcnt(0)
	v_lshlrev_b32_e32 v3, 2, v0
	ds_bpermute_b32 v0, v3, v4
	ds_bpermute_b32 v1, v3, v5
	ds_bpermute_b32 v2, v3, v6
	ds_bpermute_b32 v3, v3, v7
	v_mov_b32_e32 v4, v60
	v_mov_b32_e32 v5, v61
	;; [unrolled: 1-line block ×4, first 2 shown]
	s_swappc_b64 s[30:31], s[36:37]
	v_cndmask_b32_e64 v3, v3, v59, s34
	v_cndmask_b32_e64 v2, v2, v58, s34
	;; [unrolled: 1-line block ×4, first 2 shown]
	; wave barrier
	ds_write_b128 v72, v[0:3]
	; wave barrier
	ds_read_b128 v[4:7], v72 offset:16
	s_swappc_b64 s[30:31], s[36:37]
	ds_read_b128 v[4:7], v72 offset:32
	ds_write_b128 v72, v[0:3] offset:16
	s_swappc_b64 s[30:31], s[36:37]
	ds_read_b128 v[4:7], v72 offset:48
	ds_write_b128 v72, v[0:3] offset:32
	;; [unrolled: 3-line block ×6, first 2 shown]
	s_swappc_b64 s[30:31], s[36:37]
	ds_write_b128 v72, v[0:3] offset:112
.LBB249_84:
	s_or_b32 exec_lo, exec_lo, s35
	s_waitcnt lgkmcnt(0)
	s_waitcnt_vscnt null, 0x0
	s_barrier
	buffer_gl0_inv
	s_and_saveexec_b32 s34, s33
	s_cbranch_execz .LBB249_86
; %bb.85:
	v_add_nc_u32_e32 v0, -1, v76
	v_mov_b32_e32 v4, v40
	v_mov_b32_e32 v5, v41
	;; [unrolled: 1-line block ×4, first 2 shown]
	v_lshrrev_b32_e32 v1, 1, v0
	s_getpc_b64 s[36:37]
	s_add_u32 s36, s36, _ZZZZN2at6native31launch_logcumsumexp_cuda_kernelERKNS_10TensorBaseES3_lENKUlvE_clEvENKUlvE1_clEvENKUlN3c107complexIdEES8_E_clES8_S8_@rel32@lo+4
	s_addc_u32 s37, s37, _ZZZZN2at6native31launch_logcumsumexp_cuda_kernelERKNS_10TensorBaseES3_lENKUlvE_clEvENKUlvE1_clEvENKUlN3c107complexIdEES8_E_clES8_S8_@rel32@hi+12
	v_and_b32_e32 v1, 0x7ffffff0, v1
	v_lshl_add_u32 v0, v0, 4, v1
	ds_read_b128 v[0:3], v0
	s_swappc_b64 s[30:31], s[36:37]
	v_mov_b32_e32 v4, v44
	v_mov_b32_e32 v5, v45
	;; [unrolled: 1-line block ×8, first 2 shown]
	;;#ASMSTART
	;;#ASMEND
	s_swappc_b64 s[30:31], s[36:37]
	v_mov_b32_e32 v56, v0
	v_mov_b32_e32 v57, v1
	;; [unrolled: 1-line block ×4, first 2 shown]
.LBB249_86:
	s_or_b32 exec_lo, exec_lo, s34
	s_mov_b32 s4, exec_lo
	v_cmpx_eq_u32_e32 0xff, v76
	s_cbranch_execz .LBB249_88
; %bb.87:
	v_mov_b32_e32 v0, 0
	v_mov_b32_e32 v1, 2
	global_store_dwordx4 v0, v[56:59], s[38:39] offset:512
	s_waitcnt_vscnt null, 0x0
	buffer_gl1_inv
	buffer_gl0_inv
	global_store_byte v0, v1, s[42:43] offset:32
.LBB249_88:
	s_or_b32 exec_lo, exec_lo, s4
	v_mov_b32_e32 v61, v41
	v_mov_b32_e32 v63, v43
	;; [unrolled: 1-line block ×4, first 2 shown]
.LBB249_89:
	s_add_u32 s4, s56, s54
	s_addc_u32 s5, s57, s55
	s_add_u32 s4, s4, s52
	s_addc_u32 s5, s5, s53
	s_and_b32 vcc_lo, exec_lo, s27
	s_mov_b32 s6, -1
	s_waitcnt_vscnt null, 0x0
	s_barrier
	buffer_gl0_inv
	s_cbranch_vccz .LBB249_91
; %bb.90:
	v_lshrrev_b32_e32 v0, 1, v79
	v_and_b32_e32 v1, 0x70, v87
	ds_write_b128 v88, v[60:63]
	ds_write_b128 v88, v[56:59] offset:16
	s_waitcnt lgkmcnt(0)
	s_barrier
	v_and_b32_e32 v0, 0xf0, v0
	v_add_nc_u32_e32 v1, v1, v86
	buffer_gl0_inv
	v_add_co_u32 v8, s6, s4, v86
	v_add_nc_u32_e32 v4, v0, v86
	v_add_co_ci_u32_e64 v9, null, s5, 0, s6
	v_add_co_u32 v8, vcc_lo, 0x1000, v8
	ds_read_b128 v[0:3], v1
	ds_read_b128 v[4:7], v4 offset:4096
	v_add_co_ci_u32_e64 v9, null, 0, v9, vcc_lo
	s_mov_b32 s6, 0
	s_waitcnt lgkmcnt(1)
	global_store_dwordx4 v86, v[0:3], s[4:5]
	s_waitcnt lgkmcnt(0)
	global_store_dwordx4 v[8:9], v[4:7], off
.LBB249_91:
	s_andn2_b32 vcc_lo, exec_lo, s6
	s_cbranch_vccnz .LBB249_95
; %bb.92:
	v_lshrrev_b32_e32 v0, 1, v79
	v_and_b32_e32 v1, 0x70, v87
	ds_write_b128 v88, v[60:63]
	ds_write_b128 v88, v[56:59] offset:16
	s_waitcnt lgkmcnt(0)
	s_waitcnt_vscnt null, 0x0
	s_barrier
	v_and_b32_e32 v0, 0xf0, v0
	v_add_nc_u32_e32 v1, v1, v86
	buffer_gl0_inv
	v_add_co_u32 v8, s4, s4, v86
	v_add_nc_u32_e32 v4, v0, v86
	v_mov_b32_e32 v77, 0
	v_add_co_ci_u32_e64 v9, null, s5, 0, s4
	ds_read_b128 v[0:3], v1
	ds_read_b128 v[4:7], v4 offset:4096
	s_mov_b32 s4, exec_lo
	v_cmpx_gt_u32_e64 s60, v76
	s_cbranch_execnz .LBB249_96
; %bb.93:
	s_or_b32 exec_lo, exec_lo, s4
	s_mov_b32 s4, exec_lo
	v_cmpx_gt_u32_e64 s60, v79
	s_cbranch_execnz .LBB249_97
.LBB249_94:
	s_or_b32 exec_lo, exec_lo, s4
	v_cmp_lt_u64_e64 s4, s[50:51], 2
	s_and_b32 vcc_lo, exec_lo, s4
	s_cbranch_vccz .LBB249_98
.LBB249_95:
	s_endpgm
.LBB249_96:
	s_waitcnt lgkmcnt(1)
	global_store_dwordx4 v[8:9], v[0:3], off
	s_or_b32 exec_lo, exec_lo, s4
	s_mov_b32 s4, exec_lo
	v_cmpx_gt_u32_e64 s60, v79
	s_cbranch_execz .LBB249_94
.LBB249_97:
	v_add_co_u32 v8, vcc_lo, 0x1000, v8
	v_add_co_ci_u32_e64 v9, null, 0, v9, vcc_lo
	s_waitcnt lgkmcnt(0)
	global_store_dwordx4 v[8:9], v[4:7], off
	s_or_b32 exec_lo, exec_lo, s4
	v_cmp_lt_u64_e64 s4, s[50:51], 2
	s_and_b32 vcc_lo, exec_lo, s4
	s_cbranch_vccnz .LBB249_95
.LBB249_98:
	s_add_u32 s4, s60, -1
	s_addc_u32 s5, s61, -1
	s_lshr_b64 s[6:7], s[4:5], 1
	s_mov_b32 s5, exec_lo
	v_cmpx_eq_u64_e64 s[6:7], v[76:77]
	s_cbranch_execz .LBB249_95
; %bb.99:
	s_bitcmp1_b32 s4, 0
	s_cselect_b32 s4, -1, 0
	s_and_b32 vcc_lo, exec_lo, s4
	s_mov_b32 s4, -1
	s_cbranch_vccz .LBB249_101
; %bb.100:
	v_mov_b32_e32 v8, 0
	s_mov_b32 s4, 0
	s_waitcnt lgkmcnt(0)
	global_store_dwordx4 v8, v[4:7], s[46:47]
.LBB249_101:
	s_andn2_b32 vcc_lo, exec_lo, s4
	s_cbranch_vccnz .LBB249_95
; %bb.102:
	s_waitcnt lgkmcnt(0)
	v_mov_b32_e32 v4, 0
	global_store_dwordx4 v4, v[0:3], s[46:47]
	s_endpgm
	.section	.rodata,"a",@progbits
	.p2align	6, 0x0
	.amdhsa_kernel _ZN7rocprim17ROCPRIM_400000_NS6detail17trampoline_kernelINS0_14default_configENS1_20scan_config_selectorIN3c107complexIdEEEEZZNS1_9scan_implILNS1_25lookback_scan_determinismE0ELb0ELb0ES3_PKS7_PS7_S7_ZZZN2at6native31launch_logcumsumexp_cuda_kernelERKNSE_10TensorBaseESI_lENKUlvE_clEvENKUlvE1_clEvEUlS7_S7_E_S7_EEDaPvRmT3_T4_T5_mT6_P12ihipStream_tbENKUlT_T0_E_clISt17integral_constantIbLb0EESY_IbLb1EEEEDaSU_SV_EUlSU_E_NS1_11comp_targetILNS1_3genE8ELNS1_11target_archE1030ELNS1_3gpuE2ELNS1_3repE0EEENS1_30default_config_static_selectorELNS0_4arch9wavefront6targetE0EEEvT1_
		.amdhsa_group_segment_fixed_size 8448
		.amdhsa_private_segment_fixed_size 0
		.amdhsa_kernarg_size 128
		.amdhsa_user_sgpr_count 6
		.amdhsa_user_sgpr_private_segment_buffer 1
		.amdhsa_user_sgpr_dispatch_ptr 0
		.amdhsa_user_sgpr_queue_ptr 0
		.amdhsa_user_sgpr_kernarg_segment_ptr 1
		.amdhsa_user_sgpr_dispatch_id 0
		.amdhsa_user_sgpr_flat_scratch_init 0
		.amdhsa_user_sgpr_private_segment_size 0
		.amdhsa_wavefront_size32 1
		.amdhsa_uses_dynamic_stack 0
		.amdhsa_system_sgpr_private_segment_wavefront_offset 0
		.amdhsa_system_sgpr_workgroup_id_x 1
		.amdhsa_system_sgpr_workgroup_id_y 0
		.amdhsa_system_sgpr_workgroup_id_z 0
		.amdhsa_system_sgpr_workgroup_info 0
		.amdhsa_system_vgpr_workitem_id 0
		.amdhsa_next_free_vgpr 103
		.amdhsa_next_free_sgpr 64
		.amdhsa_reserve_vcc 1
		.amdhsa_reserve_flat_scratch 0
		.amdhsa_float_round_mode_32 0
		.amdhsa_float_round_mode_16_64 0
		.amdhsa_float_denorm_mode_32 3
		.amdhsa_float_denorm_mode_16_64 3
		.amdhsa_dx10_clamp 1
		.amdhsa_ieee_mode 1
		.amdhsa_fp16_overflow 0
		.amdhsa_workgroup_processor_mode 1
		.amdhsa_memory_ordered 1
		.amdhsa_forward_progress 1
		.amdhsa_shared_vgpr_count 0
		.amdhsa_exception_fp_ieee_invalid_op 0
		.amdhsa_exception_fp_denorm_src 0
		.amdhsa_exception_fp_ieee_div_zero 0
		.amdhsa_exception_fp_ieee_overflow 0
		.amdhsa_exception_fp_ieee_underflow 0
		.amdhsa_exception_fp_ieee_inexact 0
		.amdhsa_exception_int_div_zero 0
	.end_amdhsa_kernel
	.section	.text._ZN7rocprim17ROCPRIM_400000_NS6detail17trampoline_kernelINS0_14default_configENS1_20scan_config_selectorIN3c107complexIdEEEEZZNS1_9scan_implILNS1_25lookback_scan_determinismE0ELb0ELb0ES3_PKS7_PS7_S7_ZZZN2at6native31launch_logcumsumexp_cuda_kernelERKNSE_10TensorBaseESI_lENKUlvE_clEvENKUlvE1_clEvEUlS7_S7_E_S7_EEDaPvRmT3_T4_T5_mT6_P12ihipStream_tbENKUlT_T0_E_clISt17integral_constantIbLb0EESY_IbLb1EEEEDaSU_SV_EUlSU_E_NS1_11comp_targetILNS1_3genE8ELNS1_11target_archE1030ELNS1_3gpuE2ELNS1_3repE0EEENS1_30default_config_static_selectorELNS0_4arch9wavefront6targetE0EEEvT1_,"axG",@progbits,_ZN7rocprim17ROCPRIM_400000_NS6detail17trampoline_kernelINS0_14default_configENS1_20scan_config_selectorIN3c107complexIdEEEEZZNS1_9scan_implILNS1_25lookback_scan_determinismE0ELb0ELb0ES3_PKS7_PS7_S7_ZZZN2at6native31launch_logcumsumexp_cuda_kernelERKNSE_10TensorBaseESI_lENKUlvE_clEvENKUlvE1_clEvEUlS7_S7_E_S7_EEDaPvRmT3_T4_T5_mT6_P12ihipStream_tbENKUlT_T0_E_clISt17integral_constantIbLb0EESY_IbLb1EEEEDaSU_SV_EUlSU_E_NS1_11comp_targetILNS1_3genE8ELNS1_11target_archE1030ELNS1_3gpuE2ELNS1_3repE0EEENS1_30default_config_static_selectorELNS0_4arch9wavefront6targetE0EEEvT1_,comdat
.Lfunc_end249:
	.size	_ZN7rocprim17ROCPRIM_400000_NS6detail17trampoline_kernelINS0_14default_configENS1_20scan_config_selectorIN3c107complexIdEEEEZZNS1_9scan_implILNS1_25lookback_scan_determinismE0ELb0ELb0ES3_PKS7_PS7_S7_ZZZN2at6native31launch_logcumsumexp_cuda_kernelERKNSE_10TensorBaseESI_lENKUlvE_clEvENKUlvE1_clEvEUlS7_S7_E_S7_EEDaPvRmT3_T4_T5_mT6_P12ihipStream_tbENKUlT_T0_E_clISt17integral_constantIbLb0EESY_IbLb1EEEEDaSU_SV_EUlSU_E_NS1_11comp_targetILNS1_3genE8ELNS1_11target_archE1030ELNS1_3gpuE2ELNS1_3repE0EEENS1_30default_config_static_selectorELNS0_4arch9wavefront6targetE0EEEvT1_, .Lfunc_end249-_ZN7rocprim17ROCPRIM_400000_NS6detail17trampoline_kernelINS0_14default_configENS1_20scan_config_selectorIN3c107complexIdEEEEZZNS1_9scan_implILNS1_25lookback_scan_determinismE0ELb0ELb0ES3_PKS7_PS7_S7_ZZZN2at6native31launch_logcumsumexp_cuda_kernelERKNSE_10TensorBaseESI_lENKUlvE_clEvENKUlvE1_clEvEUlS7_S7_E_S7_EEDaPvRmT3_T4_T5_mT6_P12ihipStream_tbENKUlT_T0_E_clISt17integral_constantIbLb0EESY_IbLb1EEEEDaSU_SV_EUlSU_E_NS1_11comp_targetILNS1_3genE8ELNS1_11target_archE1030ELNS1_3gpuE2ELNS1_3repE0EEENS1_30default_config_static_selectorELNS0_4arch9wavefront6targetE0EEEvT1_
                                        ; -- End function
	.set _ZN7rocprim17ROCPRIM_400000_NS6detail17trampoline_kernelINS0_14default_configENS1_20scan_config_selectorIN3c107complexIdEEEEZZNS1_9scan_implILNS1_25lookback_scan_determinismE0ELb0ELb0ES3_PKS7_PS7_S7_ZZZN2at6native31launch_logcumsumexp_cuda_kernelERKNSE_10TensorBaseESI_lENKUlvE_clEvENKUlvE1_clEvEUlS7_S7_E_S7_EEDaPvRmT3_T4_T5_mT6_P12ihipStream_tbENKUlT_T0_E_clISt17integral_constantIbLb0EESY_IbLb1EEEEDaSU_SV_EUlSU_E_NS1_11comp_targetILNS1_3genE8ELNS1_11target_archE1030ELNS1_3gpuE2ELNS1_3repE0EEENS1_30default_config_static_selectorELNS0_4arch9wavefront6targetE0EEEvT1_.num_vgpr, max(103, .L_ZZZZN2at6native31launch_logcumsumexp_cuda_kernelERKNS_10TensorBaseES3_lENKUlvE_clEvENKUlvE1_clEvENKUlN3c107complexIdEES8_E_clES8_S8_.num_vgpr)
	.set _ZN7rocprim17ROCPRIM_400000_NS6detail17trampoline_kernelINS0_14default_configENS1_20scan_config_selectorIN3c107complexIdEEEEZZNS1_9scan_implILNS1_25lookback_scan_determinismE0ELb0ELb0ES3_PKS7_PS7_S7_ZZZN2at6native31launch_logcumsumexp_cuda_kernelERKNSE_10TensorBaseESI_lENKUlvE_clEvENKUlvE1_clEvEUlS7_S7_E_S7_EEDaPvRmT3_T4_T5_mT6_P12ihipStream_tbENKUlT_T0_E_clISt17integral_constantIbLb0EESY_IbLb1EEEEDaSU_SV_EUlSU_E_NS1_11comp_targetILNS1_3genE8ELNS1_11target_archE1030ELNS1_3gpuE2ELNS1_3repE0EEENS1_30default_config_static_selectorELNS0_4arch9wavefront6targetE0EEEvT1_.num_agpr, max(0, .L_ZZZZN2at6native31launch_logcumsumexp_cuda_kernelERKNS_10TensorBaseES3_lENKUlvE_clEvENKUlvE1_clEvENKUlN3c107complexIdEES8_E_clES8_S8_.num_agpr)
	.set _ZN7rocprim17ROCPRIM_400000_NS6detail17trampoline_kernelINS0_14default_configENS1_20scan_config_selectorIN3c107complexIdEEEEZZNS1_9scan_implILNS1_25lookback_scan_determinismE0ELb0ELb0ES3_PKS7_PS7_S7_ZZZN2at6native31launch_logcumsumexp_cuda_kernelERKNSE_10TensorBaseESI_lENKUlvE_clEvENKUlvE1_clEvEUlS7_S7_E_S7_EEDaPvRmT3_T4_T5_mT6_P12ihipStream_tbENKUlT_T0_E_clISt17integral_constantIbLb0EESY_IbLb1EEEEDaSU_SV_EUlSU_E_NS1_11comp_targetILNS1_3genE8ELNS1_11target_archE1030ELNS1_3gpuE2ELNS1_3repE0EEENS1_30default_config_static_selectorELNS0_4arch9wavefront6targetE0EEEvT1_.numbered_sgpr, max(64, .L_ZZZZN2at6native31launch_logcumsumexp_cuda_kernelERKNS_10TensorBaseES3_lENKUlvE_clEvENKUlvE1_clEvENKUlN3c107complexIdEES8_E_clES8_S8_.numbered_sgpr)
	.set _ZN7rocprim17ROCPRIM_400000_NS6detail17trampoline_kernelINS0_14default_configENS1_20scan_config_selectorIN3c107complexIdEEEEZZNS1_9scan_implILNS1_25lookback_scan_determinismE0ELb0ELb0ES3_PKS7_PS7_S7_ZZZN2at6native31launch_logcumsumexp_cuda_kernelERKNSE_10TensorBaseESI_lENKUlvE_clEvENKUlvE1_clEvEUlS7_S7_E_S7_EEDaPvRmT3_T4_T5_mT6_P12ihipStream_tbENKUlT_T0_E_clISt17integral_constantIbLb0EESY_IbLb1EEEEDaSU_SV_EUlSU_E_NS1_11comp_targetILNS1_3genE8ELNS1_11target_archE1030ELNS1_3gpuE2ELNS1_3repE0EEENS1_30default_config_static_selectorELNS0_4arch9wavefront6targetE0EEEvT1_.num_named_barrier, max(0, .L_ZZZZN2at6native31launch_logcumsumexp_cuda_kernelERKNS_10TensorBaseES3_lENKUlvE_clEvENKUlvE1_clEvENKUlN3c107complexIdEES8_E_clES8_S8_.num_named_barrier)
	.set _ZN7rocprim17ROCPRIM_400000_NS6detail17trampoline_kernelINS0_14default_configENS1_20scan_config_selectorIN3c107complexIdEEEEZZNS1_9scan_implILNS1_25lookback_scan_determinismE0ELb0ELb0ES3_PKS7_PS7_S7_ZZZN2at6native31launch_logcumsumexp_cuda_kernelERKNSE_10TensorBaseESI_lENKUlvE_clEvENKUlvE1_clEvEUlS7_S7_E_S7_EEDaPvRmT3_T4_T5_mT6_P12ihipStream_tbENKUlT_T0_E_clISt17integral_constantIbLb0EESY_IbLb1EEEEDaSU_SV_EUlSU_E_NS1_11comp_targetILNS1_3genE8ELNS1_11target_archE1030ELNS1_3gpuE2ELNS1_3repE0EEENS1_30default_config_static_selectorELNS0_4arch9wavefront6targetE0EEEvT1_.private_seg_size, 0+max(.L_ZZZZN2at6native31launch_logcumsumexp_cuda_kernelERKNS_10TensorBaseES3_lENKUlvE_clEvENKUlvE1_clEvENKUlN3c107complexIdEES8_E_clES8_S8_.private_seg_size)
	.set _ZN7rocprim17ROCPRIM_400000_NS6detail17trampoline_kernelINS0_14default_configENS1_20scan_config_selectorIN3c107complexIdEEEEZZNS1_9scan_implILNS1_25lookback_scan_determinismE0ELb0ELb0ES3_PKS7_PS7_S7_ZZZN2at6native31launch_logcumsumexp_cuda_kernelERKNSE_10TensorBaseESI_lENKUlvE_clEvENKUlvE1_clEvEUlS7_S7_E_S7_EEDaPvRmT3_T4_T5_mT6_P12ihipStream_tbENKUlT_T0_E_clISt17integral_constantIbLb0EESY_IbLb1EEEEDaSU_SV_EUlSU_E_NS1_11comp_targetILNS1_3genE8ELNS1_11target_archE1030ELNS1_3gpuE2ELNS1_3repE0EEENS1_30default_config_static_selectorELNS0_4arch9wavefront6targetE0EEEvT1_.uses_vcc, or(1, .L_ZZZZN2at6native31launch_logcumsumexp_cuda_kernelERKNS_10TensorBaseES3_lENKUlvE_clEvENKUlvE1_clEvENKUlN3c107complexIdEES8_E_clES8_S8_.uses_vcc)
	.set _ZN7rocprim17ROCPRIM_400000_NS6detail17trampoline_kernelINS0_14default_configENS1_20scan_config_selectorIN3c107complexIdEEEEZZNS1_9scan_implILNS1_25lookback_scan_determinismE0ELb0ELb0ES3_PKS7_PS7_S7_ZZZN2at6native31launch_logcumsumexp_cuda_kernelERKNSE_10TensorBaseESI_lENKUlvE_clEvENKUlvE1_clEvEUlS7_S7_E_S7_EEDaPvRmT3_T4_T5_mT6_P12ihipStream_tbENKUlT_T0_E_clISt17integral_constantIbLb0EESY_IbLb1EEEEDaSU_SV_EUlSU_E_NS1_11comp_targetILNS1_3genE8ELNS1_11target_archE1030ELNS1_3gpuE2ELNS1_3repE0EEENS1_30default_config_static_selectorELNS0_4arch9wavefront6targetE0EEEvT1_.uses_flat_scratch, or(0, .L_ZZZZN2at6native31launch_logcumsumexp_cuda_kernelERKNS_10TensorBaseES3_lENKUlvE_clEvENKUlvE1_clEvENKUlN3c107complexIdEES8_E_clES8_S8_.uses_flat_scratch)
	.set _ZN7rocprim17ROCPRIM_400000_NS6detail17trampoline_kernelINS0_14default_configENS1_20scan_config_selectorIN3c107complexIdEEEEZZNS1_9scan_implILNS1_25lookback_scan_determinismE0ELb0ELb0ES3_PKS7_PS7_S7_ZZZN2at6native31launch_logcumsumexp_cuda_kernelERKNSE_10TensorBaseESI_lENKUlvE_clEvENKUlvE1_clEvEUlS7_S7_E_S7_EEDaPvRmT3_T4_T5_mT6_P12ihipStream_tbENKUlT_T0_E_clISt17integral_constantIbLb0EESY_IbLb1EEEEDaSU_SV_EUlSU_E_NS1_11comp_targetILNS1_3genE8ELNS1_11target_archE1030ELNS1_3gpuE2ELNS1_3repE0EEENS1_30default_config_static_selectorELNS0_4arch9wavefront6targetE0EEEvT1_.has_dyn_sized_stack, or(0, .L_ZZZZN2at6native31launch_logcumsumexp_cuda_kernelERKNS_10TensorBaseES3_lENKUlvE_clEvENKUlvE1_clEvENKUlN3c107complexIdEES8_E_clES8_S8_.has_dyn_sized_stack)
	.set _ZN7rocprim17ROCPRIM_400000_NS6detail17trampoline_kernelINS0_14default_configENS1_20scan_config_selectorIN3c107complexIdEEEEZZNS1_9scan_implILNS1_25lookback_scan_determinismE0ELb0ELb0ES3_PKS7_PS7_S7_ZZZN2at6native31launch_logcumsumexp_cuda_kernelERKNSE_10TensorBaseESI_lENKUlvE_clEvENKUlvE1_clEvEUlS7_S7_E_S7_EEDaPvRmT3_T4_T5_mT6_P12ihipStream_tbENKUlT_T0_E_clISt17integral_constantIbLb0EESY_IbLb1EEEEDaSU_SV_EUlSU_E_NS1_11comp_targetILNS1_3genE8ELNS1_11target_archE1030ELNS1_3gpuE2ELNS1_3repE0EEENS1_30default_config_static_selectorELNS0_4arch9wavefront6targetE0EEEvT1_.has_recursion, or(0, .L_ZZZZN2at6native31launch_logcumsumexp_cuda_kernelERKNS_10TensorBaseES3_lENKUlvE_clEvENKUlvE1_clEvENKUlN3c107complexIdEES8_E_clES8_S8_.has_recursion)
	.set _ZN7rocprim17ROCPRIM_400000_NS6detail17trampoline_kernelINS0_14default_configENS1_20scan_config_selectorIN3c107complexIdEEEEZZNS1_9scan_implILNS1_25lookback_scan_determinismE0ELb0ELb0ES3_PKS7_PS7_S7_ZZZN2at6native31launch_logcumsumexp_cuda_kernelERKNSE_10TensorBaseESI_lENKUlvE_clEvENKUlvE1_clEvEUlS7_S7_E_S7_EEDaPvRmT3_T4_T5_mT6_P12ihipStream_tbENKUlT_T0_E_clISt17integral_constantIbLb0EESY_IbLb1EEEEDaSU_SV_EUlSU_E_NS1_11comp_targetILNS1_3genE8ELNS1_11target_archE1030ELNS1_3gpuE2ELNS1_3repE0EEENS1_30default_config_static_selectorELNS0_4arch9wavefront6targetE0EEEvT1_.has_indirect_call, or(0, .L_ZZZZN2at6native31launch_logcumsumexp_cuda_kernelERKNS_10TensorBaseES3_lENKUlvE_clEvENKUlvE1_clEvENKUlN3c107complexIdEES8_E_clES8_S8_.has_indirect_call)
	.section	.AMDGPU.csdata,"",@progbits
; Kernel info:
; codeLenInByte = 5848
; TotalNumSgprs: 66
; NumVgprs: 103
; ScratchSize: 0
; MemoryBound: 1
; FloatMode: 240
; IeeeMode: 1
; LDSByteSize: 8448 bytes/workgroup (compile time only)
; SGPRBlocks: 0
; VGPRBlocks: 12
; NumSGPRsForWavesPerEU: 66
; NumVGPRsForWavesPerEU: 103
; Occupancy: 9
; WaveLimiterHint : 0
; COMPUTE_PGM_RSRC2:SCRATCH_EN: 0
; COMPUTE_PGM_RSRC2:USER_SGPR: 6
; COMPUTE_PGM_RSRC2:TRAP_HANDLER: 0
; COMPUTE_PGM_RSRC2:TGID_X_EN: 1
; COMPUTE_PGM_RSRC2:TGID_Y_EN: 0
; COMPUTE_PGM_RSRC2:TGID_Z_EN: 0
; COMPUTE_PGM_RSRC2:TIDIG_COMP_CNT: 0
	.section	.text._ZN7rocprim17ROCPRIM_400000_NS6detail17trampoline_kernelINS0_14default_configENS1_20scan_config_selectorIN3c107complexIdEEEEZZNS1_9scan_implILNS1_25lookback_scan_determinismE0ELb0ELb0ES3_PKS7_PS7_S7_ZZZN2at6native31launch_logcumsumexp_cuda_kernelERKNSE_10TensorBaseESI_lENKUlvE_clEvENKUlvE1_clEvEUlS7_S7_E_S7_EEDaPvRmT3_T4_T5_mT6_P12ihipStream_tbENKUlT_T0_E_clISt17integral_constantIbLb0EESY_IbLb1EEEEDaSU_SV_EUlSU_E0_NS1_11comp_targetILNS1_3genE0ELNS1_11target_archE4294967295ELNS1_3gpuE0ELNS1_3repE0EEENS1_30default_config_static_selectorELNS0_4arch9wavefront6targetE0EEEvT1_,"axG",@progbits,_ZN7rocprim17ROCPRIM_400000_NS6detail17trampoline_kernelINS0_14default_configENS1_20scan_config_selectorIN3c107complexIdEEEEZZNS1_9scan_implILNS1_25lookback_scan_determinismE0ELb0ELb0ES3_PKS7_PS7_S7_ZZZN2at6native31launch_logcumsumexp_cuda_kernelERKNSE_10TensorBaseESI_lENKUlvE_clEvENKUlvE1_clEvEUlS7_S7_E_S7_EEDaPvRmT3_T4_T5_mT6_P12ihipStream_tbENKUlT_T0_E_clISt17integral_constantIbLb0EESY_IbLb1EEEEDaSU_SV_EUlSU_E0_NS1_11comp_targetILNS1_3genE0ELNS1_11target_archE4294967295ELNS1_3gpuE0ELNS1_3repE0EEENS1_30default_config_static_selectorELNS0_4arch9wavefront6targetE0EEEvT1_,comdat
	.globl	_ZN7rocprim17ROCPRIM_400000_NS6detail17trampoline_kernelINS0_14default_configENS1_20scan_config_selectorIN3c107complexIdEEEEZZNS1_9scan_implILNS1_25lookback_scan_determinismE0ELb0ELb0ES3_PKS7_PS7_S7_ZZZN2at6native31launch_logcumsumexp_cuda_kernelERKNSE_10TensorBaseESI_lENKUlvE_clEvENKUlvE1_clEvEUlS7_S7_E_S7_EEDaPvRmT3_T4_T5_mT6_P12ihipStream_tbENKUlT_T0_E_clISt17integral_constantIbLb0EESY_IbLb1EEEEDaSU_SV_EUlSU_E0_NS1_11comp_targetILNS1_3genE0ELNS1_11target_archE4294967295ELNS1_3gpuE0ELNS1_3repE0EEENS1_30default_config_static_selectorELNS0_4arch9wavefront6targetE0EEEvT1_ ; -- Begin function _ZN7rocprim17ROCPRIM_400000_NS6detail17trampoline_kernelINS0_14default_configENS1_20scan_config_selectorIN3c107complexIdEEEEZZNS1_9scan_implILNS1_25lookback_scan_determinismE0ELb0ELb0ES3_PKS7_PS7_S7_ZZZN2at6native31launch_logcumsumexp_cuda_kernelERKNSE_10TensorBaseESI_lENKUlvE_clEvENKUlvE1_clEvEUlS7_S7_E_S7_EEDaPvRmT3_T4_T5_mT6_P12ihipStream_tbENKUlT_T0_E_clISt17integral_constantIbLb0EESY_IbLb1EEEEDaSU_SV_EUlSU_E0_NS1_11comp_targetILNS1_3genE0ELNS1_11target_archE4294967295ELNS1_3gpuE0ELNS1_3repE0EEENS1_30default_config_static_selectorELNS0_4arch9wavefront6targetE0EEEvT1_
	.p2align	8
	.type	_ZN7rocprim17ROCPRIM_400000_NS6detail17trampoline_kernelINS0_14default_configENS1_20scan_config_selectorIN3c107complexIdEEEEZZNS1_9scan_implILNS1_25lookback_scan_determinismE0ELb0ELb0ES3_PKS7_PS7_S7_ZZZN2at6native31launch_logcumsumexp_cuda_kernelERKNSE_10TensorBaseESI_lENKUlvE_clEvENKUlvE1_clEvEUlS7_S7_E_S7_EEDaPvRmT3_T4_T5_mT6_P12ihipStream_tbENKUlT_T0_E_clISt17integral_constantIbLb0EESY_IbLb1EEEEDaSU_SV_EUlSU_E0_NS1_11comp_targetILNS1_3genE0ELNS1_11target_archE4294967295ELNS1_3gpuE0ELNS1_3repE0EEENS1_30default_config_static_selectorELNS0_4arch9wavefront6targetE0EEEvT1_,@function
_ZN7rocprim17ROCPRIM_400000_NS6detail17trampoline_kernelINS0_14default_configENS1_20scan_config_selectorIN3c107complexIdEEEEZZNS1_9scan_implILNS1_25lookback_scan_determinismE0ELb0ELb0ES3_PKS7_PS7_S7_ZZZN2at6native31launch_logcumsumexp_cuda_kernelERKNSE_10TensorBaseESI_lENKUlvE_clEvENKUlvE1_clEvEUlS7_S7_E_S7_EEDaPvRmT3_T4_T5_mT6_P12ihipStream_tbENKUlT_T0_E_clISt17integral_constantIbLb0EESY_IbLb1EEEEDaSU_SV_EUlSU_E0_NS1_11comp_targetILNS1_3genE0ELNS1_11target_archE4294967295ELNS1_3gpuE0ELNS1_3repE0EEENS1_30default_config_static_selectorELNS0_4arch9wavefront6targetE0EEEvT1_: ; @_ZN7rocprim17ROCPRIM_400000_NS6detail17trampoline_kernelINS0_14default_configENS1_20scan_config_selectorIN3c107complexIdEEEEZZNS1_9scan_implILNS1_25lookback_scan_determinismE0ELb0ELb0ES3_PKS7_PS7_S7_ZZZN2at6native31launch_logcumsumexp_cuda_kernelERKNSE_10TensorBaseESI_lENKUlvE_clEvENKUlvE1_clEvEUlS7_S7_E_S7_EEDaPvRmT3_T4_T5_mT6_P12ihipStream_tbENKUlT_T0_E_clISt17integral_constantIbLb0EESY_IbLb1EEEEDaSU_SV_EUlSU_E0_NS1_11comp_targetILNS1_3genE0ELNS1_11target_archE4294967295ELNS1_3gpuE0ELNS1_3repE0EEENS1_30default_config_static_selectorELNS0_4arch9wavefront6targetE0EEEvT1_
; %bb.0:
	.section	.rodata,"a",@progbits
	.p2align	6, 0x0
	.amdhsa_kernel _ZN7rocprim17ROCPRIM_400000_NS6detail17trampoline_kernelINS0_14default_configENS1_20scan_config_selectorIN3c107complexIdEEEEZZNS1_9scan_implILNS1_25lookback_scan_determinismE0ELb0ELb0ES3_PKS7_PS7_S7_ZZZN2at6native31launch_logcumsumexp_cuda_kernelERKNSE_10TensorBaseESI_lENKUlvE_clEvENKUlvE1_clEvEUlS7_S7_E_S7_EEDaPvRmT3_T4_T5_mT6_P12ihipStream_tbENKUlT_T0_E_clISt17integral_constantIbLb0EESY_IbLb1EEEEDaSU_SV_EUlSU_E0_NS1_11comp_targetILNS1_3genE0ELNS1_11target_archE4294967295ELNS1_3gpuE0ELNS1_3repE0EEENS1_30default_config_static_selectorELNS0_4arch9wavefront6targetE0EEEvT1_
		.amdhsa_group_segment_fixed_size 0
		.amdhsa_private_segment_fixed_size 0
		.amdhsa_kernarg_size 48
		.amdhsa_user_sgpr_count 6
		.amdhsa_user_sgpr_private_segment_buffer 1
		.amdhsa_user_sgpr_dispatch_ptr 0
		.amdhsa_user_sgpr_queue_ptr 0
		.amdhsa_user_sgpr_kernarg_segment_ptr 1
		.amdhsa_user_sgpr_dispatch_id 0
		.amdhsa_user_sgpr_flat_scratch_init 0
		.amdhsa_user_sgpr_private_segment_size 0
		.amdhsa_wavefront_size32 1
		.amdhsa_uses_dynamic_stack 0
		.amdhsa_system_sgpr_private_segment_wavefront_offset 0
		.amdhsa_system_sgpr_workgroup_id_x 1
		.amdhsa_system_sgpr_workgroup_id_y 0
		.amdhsa_system_sgpr_workgroup_id_z 0
		.amdhsa_system_sgpr_workgroup_info 0
		.amdhsa_system_vgpr_workitem_id 0
		.amdhsa_next_free_vgpr 1
		.amdhsa_next_free_sgpr 1
		.amdhsa_reserve_vcc 0
		.amdhsa_reserve_flat_scratch 0
		.amdhsa_float_round_mode_32 0
		.amdhsa_float_round_mode_16_64 0
		.amdhsa_float_denorm_mode_32 3
		.amdhsa_float_denorm_mode_16_64 3
		.amdhsa_dx10_clamp 1
		.amdhsa_ieee_mode 1
		.amdhsa_fp16_overflow 0
		.amdhsa_workgroup_processor_mode 1
		.amdhsa_memory_ordered 1
		.amdhsa_forward_progress 1
		.amdhsa_shared_vgpr_count 0
		.amdhsa_exception_fp_ieee_invalid_op 0
		.amdhsa_exception_fp_denorm_src 0
		.amdhsa_exception_fp_ieee_div_zero 0
		.amdhsa_exception_fp_ieee_overflow 0
		.amdhsa_exception_fp_ieee_underflow 0
		.amdhsa_exception_fp_ieee_inexact 0
		.amdhsa_exception_int_div_zero 0
	.end_amdhsa_kernel
	.section	.text._ZN7rocprim17ROCPRIM_400000_NS6detail17trampoline_kernelINS0_14default_configENS1_20scan_config_selectorIN3c107complexIdEEEEZZNS1_9scan_implILNS1_25lookback_scan_determinismE0ELb0ELb0ES3_PKS7_PS7_S7_ZZZN2at6native31launch_logcumsumexp_cuda_kernelERKNSE_10TensorBaseESI_lENKUlvE_clEvENKUlvE1_clEvEUlS7_S7_E_S7_EEDaPvRmT3_T4_T5_mT6_P12ihipStream_tbENKUlT_T0_E_clISt17integral_constantIbLb0EESY_IbLb1EEEEDaSU_SV_EUlSU_E0_NS1_11comp_targetILNS1_3genE0ELNS1_11target_archE4294967295ELNS1_3gpuE0ELNS1_3repE0EEENS1_30default_config_static_selectorELNS0_4arch9wavefront6targetE0EEEvT1_,"axG",@progbits,_ZN7rocprim17ROCPRIM_400000_NS6detail17trampoline_kernelINS0_14default_configENS1_20scan_config_selectorIN3c107complexIdEEEEZZNS1_9scan_implILNS1_25lookback_scan_determinismE0ELb0ELb0ES3_PKS7_PS7_S7_ZZZN2at6native31launch_logcumsumexp_cuda_kernelERKNSE_10TensorBaseESI_lENKUlvE_clEvENKUlvE1_clEvEUlS7_S7_E_S7_EEDaPvRmT3_T4_T5_mT6_P12ihipStream_tbENKUlT_T0_E_clISt17integral_constantIbLb0EESY_IbLb1EEEEDaSU_SV_EUlSU_E0_NS1_11comp_targetILNS1_3genE0ELNS1_11target_archE4294967295ELNS1_3gpuE0ELNS1_3repE0EEENS1_30default_config_static_selectorELNS0_4arch9wavefront6targetE0EEEvT1_,comdat
.Lfunc_end250:
	.size	_ZN7rocprim17ROCPRIM_400000_NS6detail17trampoline_kernelINS0_14default_configENS1_20scan_config_selectorIN3c107complexIdEEEEZZNS1_9scan_implILNS1_25lookback_scan_determinismE0ELb0ELb0ES3_PKS7_PS7_S7_ZZZN2at6native31launch_logcumsumexp_cuda_kernelERKNSE_10TensorBaseESI_lENKUlvE_clEvENKUlvE1_clEvEUlS7_S7_E_S7_EEDaPvRmT3_T4_T5_mT6_P12ihipStream_tbENKUlT_T0_E_clISt17integral_constantIbLb0EESY_IbLb1EEEEDaSU_SV_EUlSU_E0_NS1_11comp_targetILNS1_3genE0ELNS1_11target_archE4294967295ELNS1_3gpuE0ELNS1_3repE0EEENS1_30default_config_static_selectorELNS0_4arch9wavefront6targetE0EEEvT1_, .Lfunc_end250-_ZN7rocprim17ROCPRIM_400000_NS6detail17trampoline_kernelINS0_14default_configENS1_20scan_config_selectorIN3c107complexIdEEEEZZNS1_9scan_implILNS1_25lookback_scan_determinismE0ELb0ELb0ES3_PKS7_PS7_S7_ZZZN2at6native31launch_logcumsumexp_cuda_kernelERKNSE_10TensorBaseESI_lENKUlvE_clEvENKUlvE1_clEvEUlS7_S7_E_S7_EEDaPvRmT3_T4_T5_mT6_P12ihipStream_tbENKUlT_T0_E_clISt17integral_constantIbLb0EESY_IbLb1EEEEDaSU_SV_EUlSU_E0_NS1_11comp_targetILNS1_3genE0ELNS1_11target_archE4294967295ELNS1_3gpuE0ELNS1_3repE0EEENS1_30default_config_static_selectorELNS0_4arch9wavefront6targetE0EEEvT1_
                                        ; -- End function
	.set _ZN7rocprim17ROCPRIM_400000_NS6detail17trampoline_kernelINS0_14default_configENS1_20scan_config_selectorIN3c107complexIdEEEEZZNS1_9scan_implILNS1_25lookback_scan_determinismE0ELb0ELb0ES3_PKS7_PS7_S7_ZZZN2at6native31launch_logcumsumexp_cuda_kernelERKNSE_10TensorBaseESI_lENKUlvE_clEvENKUlvE1_clEvEUlS7_S7_E_S7_EEDaPvRmT3_T4_T5_mT6_P12ihipStream_tbENKUlT_T0_E_clISt17integral_constantIbLb0EESY_IbLb1EEEEDaSU_SV_EUlSU_E0_NS1_11comp_targetILNS1_3genE0ELNS1_11target_archE4294967295ELNS1_3gpuE0ELNS1_3repE0EEENS1_30default_config_static_selectorELNS0_4arch9wavefront6targetE0EEEvT1_.num_vgpr, 0
	.set _ZN7rocprim17ROCPRIM_400000_NS6detail17trampoline_kernelINS0_14default_configENS1_20scan_config_selectorIN3c107complexIdEEEEZZNS1_9scan_implILNS1_25lookback_scan_determinismE0ELb0ELb0ES3_PKS7_PS7_S7_ZZZN2at6native31launch_logcumsumexp_cuda_kernelERKNSE_10TensorBaseESI_lENKUlvE_clEvENKUlvE1_clEvEUlS7_S7_E_S7_EEDaPvRmT3_T4_T5_mT6_P12ihipStream_tbENKUlT_T0_E_clISt17integral_constantIbLb0EESY_IbLb1EEEEDaSU_SV_EUlSU_E0_NS1_11comp_targetILNS1_3genE0ELNS1_11target_archE4294967295ELNS1_3gpuE0ELNS1_3repE0EEENS1_30default_config_static_selectorELNS0_4arch9wavefront6targetE0EEEvT1_.num_agpr, 0
	.set _ZN7rocprim17ROCPRIM_400000_NS6detail17trampoline_kernelINS0_14default_configENS1_20scan_config_selectorIN3c107complexIdEEEEZZNS1_9scan_implILNS1_25lookback_scan_determinismE0ELb0ELb0ES3_PKS7_PS7_S7_ZZZN2at6native31launch_logcumsumexp_cuda_kernelERKNSE_10TensorBaseESI_lENKUlvE_clEvENKUlvE1_clEvEUlS7_S7_E_S7_EEDaPvRmT3_T4_T5_mT6_P12ihipStream_tbENKUlT_T0_E_clISt17integral_constantIbLb0EESY_IbLb1EEEEDaSU_SV_EUlSU_E0_NS1_11comp_targetILNS1_3genE0ELNS1_11target_archE4294967295ELNS1_3gpuE0ELNS1_3repE0EEENS1_30default_config_static_selectorELNS0_4arch9wavefront6targetE0EEEvT1_.numbered_sgpr, 0
	.set _ZN7rocprim17ROCPRIM_400000_NS6detail17trampoline_kernelINS0_14default_configENS1_20scan_config_selectorIN3c107complexIdEEEEZZNS1_9scan_implILNS1_25lookback_scan_determinismE0ELb0ELb0ES3_PKS7_PS7_S7_ZZZN2at6native31launch_logcumsumexp_cuda_kernelERKNSE_10TensorBaseESI_lENKUlvE_clEvENKUlvE1_clEvEUlS7_S7_E_S7_EEDaPvRmT3_T4_T5_mT6_P12ihipStream_tbENKUlT_T0_E_clISt17integral_constantIbLb0EESY_IbLb1EEEEDaSU_SV_EUlSU_E0_NS1_11comp_targetILNS1_3genE0ELNS1_11target_archE4294967295ELNS1_3gpuE0ELNS1_3repE0EEENS1_30default_config_static_selectorELNS0_4arch9wavefront6targetE0EEEvT1_.num_named_barrier, 0
	.set _ZN7rocprim17ROCPRIM_400000_NS6detail17trampoline_kernelINS0_14default_configENS1_20scan_config_selectorIN3c107complexIdEEEEZZNS1_9scan_implILNS1_25lookback_scan_determinismE0ELb0ELb0ES3_PKS7_PS7_S7_ZZZN2at6native31launch_logcumsumexp_cuda_kernelERKNSE_10TensorBaseESI_lENKUlvE_clEvENKUlvE1_clEvEUlS7_S7_E_S7_EEDaPvRmT3_T4_T5_mT6_P12ihipStream_tbENKUlT_T0_E_clISt17integral_constantIbLb0EESY_IbLb1EEEEDaSU_SV_EUlSU_E0_NS1_11comp_targetILNS1_3genE0ELNS1_11target_archE4294967295ELNS1_3gpuE0ELNS1_3repE0EEENS1_30default_config_static_selectorELNS0_4arch9wavefront6targetE0EEEvT1_.private_seg_size, 0
	.set _ZN7rocprim17ROCPRIM_400000_NS6detail17trampoline_kernelINS0_14default_configENS1_20scan_config_selectorIN3c107complexIdEEEEZZNS1_9scan_implILNS1_25lookback_scan_determinismE0ELb0ELb0ES3_PKS7_PS7_S7_ZZZN2at6native31launch_logcumsumexp_cuda_kernelERKNSE_10TensorBaseESI_lENKUlvE_clEvENKUlvE1_clEvEUlS7_S7_E_S7_EEDaPvRmT3_T4_T5_mT6_P12ihipStream_tbENKUlT_T0_E_clISt17integral_constantIbLb0EESY_IbLb1EEEEDaSU_SV_EUlSU_E0_NS1_11comp_targetILNS1_3genE0ELNS1_11target_archE4294967295ELNS1_3gpuE0ELNS1_3repE0EEENS1_30default_config_static_selectorELNS0_4arch9wavefront6targetE0EEEvT1_.uses_vcc, 0
	.set _ZN7rocprim17ROCPRIM_400000_NS6detail17trampoline_kernelINS0_14default_configENS1_20scan_config_selectorIN3c107complexIdEEEEZZNS1_9scan_implILNS1_25lookback_scan_determinismE0ELb0ELb0ES3_PKS7_PS7_S7_ZZZN2at6native31launch_logcumsumexp_cuda_kernelERKNSE_10TensorBaseESI_lENKUlvE_clEvENKUlvE1_clEvEUlS7_S7_E_S7_EEDaPvRmT3_T4_T5_mT6_P12ihipStream_tbENKUlT_T0_E_clISt17integral_constantIbLb0EESY_IbLb1EEEEDaSU_SV_EUlSU_E0_NS1_11comp_targetILNS1_3genE0ELNS1_11target_archE4294967295ELNS1_3gpuE0ELNS1_3repE0EEENS1_30default_config_static_selectorELNS0_4arch9wavefront6targetE0EEEvT1_.uses_flat_scratch, 0
	.set _ZN7rocprim17ROCPRIM_400000_NS6detail17trampoline_kernelINS0_14default_configENS1_20scan_config_selectorIN3c107complexIdEEEEZZNS1_9scan_implILNS1_25lookback_scan_determinismE0ELb0ELb0ES3_PKS7_PS7_S7_ZZZN2at6native31launch_logcumsumexp_cuda_kernelERKNSE_10TensorBaseESI_lENKUlvE_clEvENKUlvE1_clEvEUlS7_S7_E_S7_EEDaPvRmT3_T4_T5_mT6_P12ihipStream_tbENKUlT_T0_E_clISt17integral_constantIbLb0EESY_IbLb1EEEEDaSU_SV_EUlSU_E0_NS1_11comp_targetILNS1_3genE0ELNS1_11target_archE4294967295ELNS1_3gpuE0ELNS1_3repE0EEENS1_30default_config_static_selectorELNS0_4arch9wavefront6targetE0EEEvT1_.has_dyn_sized_stack, 0
	.set _ZN7rocprim17ROCPRIM_400000_NS6detail17trampoline_kernelINS0_14default_configENS1_20scan_config_selectorIN3c107complexIdEEEEZZNS1_9scan_implILNS1_25lookback_scan_determinismE0ELb0ELb0ES3_PKS7_PS7_S7_ZZZN2at6native31launch_logcumsumexp_cuda_kernelERKNSE_10TensorBaseESI_lENKUlvE_clEvENKUlvE1_clEvEUlS7_S7_E_S7_EEDaPvRmT3_T4_T5_mT6_P12ihipStream_tbENKUlT_T0_E_clISt17integral_constantIbLb0EESY_IbLb1EEEEDaSU_SV_EUlSU_E0_NS1_11comp_targetILNS1_3genE0ELNS1_11target_archE4294967295ELNS1_3gpuE0ELNS1_3repE0EEENS1_30default_config_static_selectorELNS0_4arch9wavefront6targetE0EEEvT1_.has_recursion, 0
	.set _ZN7rocprim17ROCPRIM_400000_NS6detail17trampoline_kernelINS0_14default_configENS1_20scan_config_selectorIN3c107complexIdEEEEZZNS1_9scan_implILNS1_25lookback_scan_determinismE0ELb0ELb0ES3_PKS7_PS7_S7_ZZZN2at6native31launch_logcumsumexp_cuda_kernelERKNSE_10TensorBaseESI_lENKUlvE_clEvENKUlvE1_clEvEUlS7_S7_E_S7_EEDaPvRmT3_T4_T5_mT6_P12ihipStream_tbENKUlT_T0_E_clISt17integral_constantIbLb0EESY_IbLb1EEEEDaSU_SV_EUlSU_E0_NS1_11comp_targetILNS1_3genE0ELNS1_11target_archE4294967295ELNS1_3gpuE0ELNS1_3repE0EEENS1_30default_config_static_selectorELNS0_4arch9wavefront6targetE0EEEvT1_.has_indirect_call, 0
	.section	.AMDGPU.csdata,"",@progbits
; Kernel info:
; codeLenInByte = 0
; TotalNumSgprs: 0
; NumVgprs: 0
; ScratchSize: 0
; MemoryBound: 0
; FloatMode: 240
; IeeeMode: 1
; LDSByteSize: 0 bytes/workgroup (compile time only)
; SGPRBlocks: 0
; VGPRBlocks: 0
; NumSGPRsForWavesPerEU: 1
; NumVGPRsForWavesPerEU: 1
; Occupancy: 16
; WaveLimiterHint : 0
; COMPUTE_PGM_RSRC2:SCRATCH_EN: 0
; COMPUTE_PGM_RSRC2:USER_SGPR: 6
; COMPUTE_PGM_RSRC2:TRAP_HANDLER: 0
; COMPUTE_PGM_RSRC2:TGID_X_EN: 1
; COMPUTE_PGM_RSRC2:TGID_Y_EN: 0
; COMPUTE_PGM_RSRC2:TGID_Z_EN: 0
; COMPUTE_PGM_RSRC2:TIDIG_COMP_CNT: 0
	.section	.text._ZN7rocprim17ROCPRIM_400000_NS6detail17trampoline_kernelINS0_14default_configENS1_20scan_config_selectorIN3c107complexIdEEEEZZNS1_9scan_implILNS1_25lookback_scan_determinismE0ELb0ELb0ES3_PKS7_PS7_S7_ZZZN2at6native31launch_logcumsumexp_cuda_kernelERKNSE_10TensorBaseESI_lENKUlvE_clEvENKUlvE1_clEvEUlS7_S7_E_S7_EEDaPvRmT3_T4_T5_mT6_P12ihipStream_tbENKUlT_T0_E_clISt17integral_constantIbLb0EESY_IbLb1EEEEDaSU_SV_EUlSU_E0_NS1_11comp_targetILNS1_3genE5ELNS1_11target_archE942ELNS1_3gpuE9ELNS1_3repE0EEENS1_30default_config_static_selectorELNS0_4arch9wavefront6targetE0EEEvT1_,"axG",@progbits,_ZN7rocprim17ROCPRIM_400000_NS6detail17trampoline_kernelINS0_14default_configENS1_20scan_config_selectorIN3c107complexIdEEEEZZNS1_9scan_implILNS1_25lookback_scan_determinismE0ELb0ELb0ES3_PKS7_PS7_S7_ZZZN2at6native31launch_logcumsumexp_cuda_kernelERKNSE_10TensorBaseESI_lENKUlvE_clEvENKUlvE1_clEvEUlS7_S7_E_S7_EEDaPvRmT3_T4_T5_mT6_P12ihipStream_tbENKUlT_T0_E_clISt17integral_constantIbLb0EESY_IbLb1EEEEDaSU_SV_EUlSU_E0_NS1_11comp_targetILNS1_3genE5ELNS1_11target_archE942ELNS1_3gpuE9ELNS1_3repE0EEENS1_30default_config_static_selectorELNS0_4arch9wavefront6targetE0EEEvT1_,comdat
	.globl	_ZN7rocprim17ROCPRIM_400000_NS6detail17trampoline_kernelINS0_14default_configENS1_20scan_config_selectorIN3c107complexIdEEEEZZNS1_9scan_implILNS1_25lookback_scan_determinismE0ELb0ELb0ES3_PKS7_PS7_S7_ZZZN2at6native31launch_logcumsumexp_cuda_kernelERKNSE_10TensorBaseESI_lENKUlvE_clEvENKUlvE1_clEvEUlS7_S7_E_S7_EEDaPvRmT3_T4_T5_mT6_P12ihipStream_tbENKUlT_T0_E_clISt17integral_constantIbLb0EESY_IbLb1EEEEDaSU_SV_EUlSU_E0_NS1_11comp_targetILNS1_3genE5ELNS1_11target_archE942ELNS1_3gpuE9ELNS1_3repE0EEENS1_30default_config_static_selectorELNS0_4arch9wavefront6targetE0EEEvT1_ ; -- Begin function _ZN7rocprim17ROCPRIM_400000_NS6detail17trampoline_kernelINS0_14default_configENS1_20scan_config_selectorIN3c107complexIdEEEEZZNS1_9scan_implILNS1_25lookback_scan_determinismE0ELb0ELb0ES3_PKS7_PS7_S7_ZZZN2at6native31launch_logcumsumexp_cuda_kernelERKNSE_10TensorBaseESI_lENKUlvE_clEvENKUlvE1_clEvEUlS7_S7_E_S7_EEDaPvRmT3_T4_T5_mT6_P12ihipStream_tbENKUlT_T0_E_clISt17integral_constantIbLb0EESY_IbLb1EEEEDaSU_SV_EUlSU_E0_NS1_11comp_targetILNS1_3genE5ELNS1_11target_archE942ELNS1_3gpuE9ELNS1_3repE0EEENS1_30default_config_static_selectorELNS0_4arch9wavefront6targetE0EEEvT1_
	.p2align	8
	.type	_ZN7rocprim17ROCPRIM_400000_NS6detail17trampoline_kernelINS0_14default_configENS1_20scan_config_selectorIN3c107complexIdEEEEZZNS1_9scan_implILNS1_25lookback_scan_determinismE0ELb0ELb0ES3_PKS7_PS7_S7_ZZZN2at6native31launch_logcumsumexp_cuda_kernelERKNSE_10TensorBaseESI_lENKUlvE_clEvENKUlvE1_clEvEUlS7_S7_E_S7_EEDaPvRmT3_T4_T5_mT6_P12ihipStream_tbENKUlT_T0_E_clISt17integral_constantIbLb0EESY_IbLb1EEEEDaSU_SV_EUlSU_E0_NS1_11comp_targetILNS1_3genE5ELNS1_11target_archE942ELNS1_3gpuE9ELNS1_3repE0EEENS1_30default_config_static_selectorELNS0_4arch9wavefront6targetE0EEEvT1_,@function
_ZN7rocprim17ROCPRIM_400000_NS6detail17trampoline_kernelINS0_14default_configENS1_20scan_config_selectorIN3c107complexIdEEEEZZNS1_9scan_implILNS1_25lookback_scan_determinismE0ELb0ELb0ES3_PKS7_PS7_S7_ZZZN2at6native31launch_logcumsumexp_cuda_kernelERKNSE_10TensorBaseESI_lENKUlvE_clEvENKUlvE1_clEvEUlS7_S7_E_S7_EEDaPvRmT3_T4_T5_mT6_P12ihipStream_tbENKUlT_T0_E_clISt17integral_constantIbLb0EESY_IbLb1EEEEDaSU_SV_EUlSU_E0_NS1_11comp_targetILNS1_3genE5ELNS1_11target_archE942ELNS1_3gpuE9ELNS1_3repE0EEENS1_30default_config_static_selectorELNS0_4arch9wavefront6targetE0EEEvT1_: ; @_ZN7rocprim17ROCPRIM_400000_NS6detail17trampoline_kernelINS0_14default_configENS1_20scan_config_selectorIN3c107complexIdEEEEZZNS1_9scan_implILNS1_25lookback_scan_determinismE0ELb0ELb0ES3_PKS7_PS7_S7_ZZZN2at6native31launch_logcumsumexp_cuda_kernelERKNSE_10TensorBaseESI_lENKUlvE_clEvENKUlvE1_clEvEUlS7_S7_E_S7_EEDaPvRmT3_T4_T5_mT6_P12ihipStream_tbENKUlT_T0_E_clISt17integral_constantIbLb0EESY_IbLb1EEEEDaSU_SV_EUlSU_E0_NS1_11comp_targetILNS1_3genE5ELNS1_11target_archE942ELNS1_3gpuE9ELNS1_3repE0EEENS1_30default_config_static_selectorELNS0_4arch9wavefront6targetE0EEEvT1_
; %bb.0:
	.section	.rodata,"a",@progbits
	.p2align	6, 0x0
	.amdhsa_kernel _ZN7rocprim17ROCPRIM_400000_NS6detail17trampoline_kernelINS0_14default_configENS1_20scan_config_selectorIN3c107complexIdEEEEZZNS1_9scan_implILNS1_25lookback_scan_determinismE0ELb0ELb0ES3_PKS7_PS7_S7_ZZZN2at6native31launch_logcumsumexp_cuda_kernelERKNSE_10TensorBaseESI_lENKUlvE_clEvENKUlvE1_clEvEUlS7_S7_E_S7_EEDaPvRmT3_T4_T5_mT6_P12ihipStream_tbENKUlT_T0_E_clISt17integral_constantIbLb0EESY_IbLb1EEEEDaSU_SV_EUlSU_E0_NS1_11comp_targetILNS1_3genE5ELNS1_11target_archE942ELNS1_3gpuE9ELNS1_3repE0EEENS1_30default_config_static_selectorELNS0_4arch9wavefront6targetE0EEEvT1_
		.amdhsa_group_segment_fixed_size 0
		.amdhsa_private_segment_fixed_size 0
		.amdhsa_kernarg_size 48
		.amdhsa_user_sgpr_count 6
		.amdhsa_user_sgpr_private_segment_buffer 1
		.amdhsa_user_sgpr_dispatch_ptr 0
		.amdhsa_user_sgpr_queue_ptr 0
		.amdhsa_user_sgpr_kernarg_segment_ptr 1
		.amdhsa_user_sgpr_dispatch_id 0
		.amdhsa_user_sgpr_flat_scratch_init 0
		.amdhsa_user_sgpr_private_segment_size 0
		.amdhsa_wavefront_size32 1
		.amdhsa_uses_dynamic_stack 0
		.amdhsa_system_sgpr_private_segment_wavefront_offset 0
		.amdhsa_system_sgpr_workgroup_id_x 1
		.amdhsa_system_sgpr_workgroup_id_y 0
		.amdhsa_system_sgpr_workgroup_id_z 0
		.amdhsa_system_sgpr_workgroup_info 0
		.amdhsa_system_vgpr_workitem_id 0
		.amdhsa_next_free_vgpr 1
		.amdhsa_next_free_sgpr 1
		.amdhsa_reserve_vcc 0
		.amdhsa_reserve_flat_scratch 0
		.amdhsa_float_round_mode_32 0
		.amdhsa_float_round_mode_16_64 0
		.amdhsa_float_denorm_mode_32 3
		.amdhsa_float_denorm_mode_16_64 3
		.amdhsa_dx10_clamp 1
		.amdhsa_ieee_mode 1
		.amdhsa_fp16_overflow 0
		.amdhsa_workgroup_processor_mode 1
		.amdhsa_memory_ordered 1
		.amdhsa_forward_progress 1
		.amdhsa_shared_vgpr_count 0
		.amdhsa_exception_fp_ieee_invalid_op 0
		.amdhsa_exception_fp_denorm_src 0
		.amdhsa_exception_fp_ieee_div_zero 0
		.amdhsa_exception_fp_ieee_overflow 0
		.amdhsa_exception_fp_ieee_underflow 0
		.amdhsa_exception_fp_ieee_inexact 0
		.amdhsa_exception_int_div_zero 0
	.end_amdhsa_kernel
	.section	.text._ZN7rocprim17ROCPRIM_400000_NS6detail17trampoline_kernelINS0_14default_configENS1_20scan_config_selectorIN3c107complexIdEEEEZZNS1_9scan_implILNS1_25lookback_scan_determinismE0ELb0ELb0ES3_PKS7_PS7_S7_ZZZN2at6native31launch_logcumsumexp_cuda_kernelERKNSE_10TensorBaseESI_lENKUlvE_clEvENKUlvE1_clEvEUlS7_S7_E_S7_EEDaPvRmT3_T4_T5_mT6_P12ihipStream_tbENKUlT_T0_E_clISt17integral_constantIbLb0EESY_IbLb1EEEEDaSU_SV_EUlSU_E0_NS1_11comp_targetILNS1_3genE5ELNS1_11target_archE942ELNS1_3gpuE9ELNS1_3repE0EEENS1_30default_config_static_selectorELNS0_4arch9wavefront6targetE0EEEvT1_,"axG",@progbits,_ZN7rocprim17ROCPRIM_400000_NS6detail17trampoline_kernelINS0_14default_configENS1_20scan_config_selectorIN3c107complexIdEEEEZZNS1_9scan_implILNS1_25lookback_scan_determinismE0ELb0ELb0ES3_PKS7_PS7_S7_ZZZN2at6native31launch_logcumsumexp_cuda_kernelERKNSE_10TensorBaseESI_lENKUlvE_clEvENKUlvE1_clEvEUlS7_S7_E_S7_EEDaPvRmT3_T4_T5_mT6_P12ihipStream_tbENKUlT_T0_E_clISt17integral_constantIbLb0EESY_IbLb1EEEEDaSU_SV_EUlSU_E0_NS1_11comp_targetILNS1_3genE5ELNS1_11target_archE942ELNS1_3gpuE9ELNS1_3repE0EEENS1_30default_config_static_selectorELNS0_4arch9wavefront6targetE0EEEvT1_,comdat
.Lfunc_end251:
	.size	_ZN7rocprim17ROCPRIM_400000_NS6detail17trampoline_kernelINS0_14default_configENS1_20scan_config_selectorIN3c107complexIdEEEEZZNS1_9scan_implILNS1_25lookback_scan_determinismE0ELb0ELb0ES3_PKS7_PS7_S7_ZZZN2at6native31launch_logcumsumexp_cuda_kernelERKNSE_10TensorBaseESI_lENKUlvE_clEvENKUlvE1_clEvEUlS7_S7_E_S7_EEDaPvRmT3_T4_T5_mT6_P12ihipStream_tbENKUlT_T0_E_clISt17integral_constantIbLb0EESY_IbLb1EEEEDaSU_SV_EUlSU_E0_NS1_11comp_targetILNS1_3genE5ELNS1_11target_archE942ELNS1_3gpuE9ELNS1_3repE0EEENS1_30default_config_static_selectorELNS0_4arch9wavefront6targetE0EEEvT1_, .Lfunc_end251-_ZN7rocprim17ROCPRIM_400000_NS6detail17trampoline_kernelINS0_14default_configENS1_20scan_config_selectorIN3c107complexIdEEEEZZNS1_9scan_implILNS1_25lookback_scan_determinismE0ELb0ELb0ES3_PKS7_PS7_S7_ZZZN2at6native31launch_logcumsumexp_cuda_kernelERKNSE_10TensorBaseESI_lENKUlvE_clEvENKUlvE1_clEvEUlS7_S7_E_S7_EEDaPvRmT3_T4_T5_mT6_P12ihipStream_tbENKUlT_T0_E_clISt17integral_constantIbLb0EESY_IbLb1EEEEDaSU_SV_EUlSU_E0_NS1_11comp_targetILNS1_3genE5ELNS1_11target_archE942ELNS1_3gpuE9ELNS1_3repE0EEENS1_30default_config_static_selectorELNS0_4arch9wavefront6targetE0EEEvT1_
                                        ; -- End function
	.set _ZN7rocprim17ROCPRIM_400000_NS6detail17trampoline_kernelINS0_14default_configENS1_20scan_config_selectorIN3c107complexIdEEEEZZNS1_9scan_implILNS1_25lookback_scan_determinismE0ELb0ELb0ES3_PKS7_PS7_S7_ZZZN2at6native31launch_logcumsumexp_cuda_kernelERKNSE_10TensorBaseESI_lENKUlvE_clEvENKUlvE1_clEvEUlS7_S7_E_S7_EEDaPvRmT3_T4_T5_mT6_P12ihipStream_tbENKUlT_T0_E_clISt17integral_constantIbLb0EESY_IbLb1EEEEDaSU_SV_EUlSU_E0_NS1_11comp_targetILNS1_3genE5ELNS1_11target_archE942ELNS1_3gpuE9ELNS1_3repE0EEENS1_30default_config_static_selectorELNS0_4arch9wavefront6targetE0EEEvT1_.num_vgpr, 0
	.set _ZN7rocprim17ROCPRIM_400000_NS6detail17trampoline_kernelINS0_14default_configENS1_20scan_config_selectorIN3c107complexIdEEEEZZNS1_9scan_implILNS1_25lookback_scan_determinismE0ELb0ELb0ES3_PKS7_PS7_S7_ZZZN2at6native31launch_logcumsumexp_cuda_kernelERKNSE_10TensorBaseESI_lENKUlvE_clEvENKUlvE1_clEvEUlS7_S7_E_S7_EEDaPvRmT3_T4_T5_mT6_P12ihipStream_tbENKUlT_T0_E_clISt17integral_constantIbLb0EESY_IbLb1EEEEDaSU_SV_EUlSU_E0_NS1_11comp_targetILNS1_3genE5ELNS1_11target_archE942ELNS1_3gpuE9ELNS1_3repE0EEENS1_30default_config_static_selectorELNS0_4arch9wavefront6targetE0EEEvT1_.num_agpr, 0
	.set _ZN7rocprim17ROCPRIM_400000_NS6detail17trampoline_kernelINS0_14default_configENS1_20scan_config_selectorIN3c107complexIdEEEEZZNS1_9scan_implILNS1_25lookback_scan_determinismE0ELb0ELb0ES3_PKS7_PS7_S7_ZZZN2at6native31launch_logcumsumexp_cuda_kernelERKNSE_10TensorBaseESI_lENKUlvE_clEvENKUlvE1_clEvEUlS7_S7_E_S7_EEDaPvRmT3_T4_T5_mT6_P12ihipStream_tbENKUlT_T0_E_clISt17integral_constantIbLb0EESY_IbLb1EEEEDaSU_SV_EUlSU_E0_NS1_11comp_targetILNS1_3genE5ELNS1_11target_archE942ELNS1_3gpuE9ELNS1_3repE0EEENS1_30default_config_static_selectorELNS0_4arch9wavefront6targetE0EEEvT1_.numbered_sgpr, 0
	.set _ZN7rocprim17ROCPRIM_400000_NS6detail17trampoline_kernelINS0_14default_configENS1_20scan_config_selectorIN3c107complexIdEEEEZZNS1_9scan_implILNS1_25lookback_scan_determinismE0ELb0ELb0ES3_PKS7_PS7_S7_ZZZN2at6native31launch_logcumsumexp_cuda_kernelERKNSE_10TensorBaseESI_lENKUlvE_clEvENKUlvE1_clEvEUlS7_S7_E_S7_EEDaPvRmT3_T4_T5_mT6_P12ihipStream_tbENKUlT_T0_E_clISt17integral_constantIbLb0EESY_IbLb1EEEEDaSU_SV_EUlSU_E0_NS1_11comp_targetILNS1_3genE5ELNS1_11target_archE942ELNS1_3gpuE9ELNS1_3repE0EEENS1_30default_config_static_selectorELNS0_4arch9wavefront6targetE0EEEvT1_.num_named_barrier, 0
	.set _ZN7rocprim17ROCPRIM_400000_NS6detail17trampoline_kernelINS0_14default_configENS1_20scan_config_selectorIN3c107complexIdEEEEZZNS1_9scan_implILNS1_25lookback_scan_determinismE0ELb0ELb0ES3_PKS7_PS7_S7_ZZZN2at6native31launch_logcumsumexp_cuda_kernelERKNSE_10TensorBaseESI_lENKUlvE_clEvENKUlvE1_clEvEUlS7_S7_E_S7_EEDaPvRmT3_T4_T5_mT6_P12ihipStream_tbENKUlT_T0_E_clISt17integral_constantIbLb0EESY_IbLb1EEEEDaSU_SV_EUlSU_E0_NS1_11comp_targetILNS1_3genE5ELNS1_11target_archE942ELNS1_3gpuE9ELNS1_3repE0EEENS1_30default_config_static_selectorELNS0_4arch9wavefront6targetE0EEEvT1_.private_seg_size, 0
	.set _ZN7rocprim17ROCPRIM_400000_NS6detail17trampoline_kernelINS0_14default_configENS1_20scan_config_selectorIN3c107complexIdEEEEZZNS1_9scan_implILNS1_25lookback_scan_determinismE0ELb0ELb0ES3_PKS7_PS7_S7_ZZZN2at6native31launch_logcumsumexp_cuda_kernelERKNSE_10TensorBaseESI_lENKUlvE_clEvENKUlvE1_clEvEUlS7_S7_E_S7_EEDaPvRmT3_T4_T5_mT6_P12ihipStream_tbENKUlT_T0_E_clISt17integral_constantIbLb0EESY_IbLb1EEEEDaSU_SV_EUlSU_E0_NS1_11comp_targetILNS1_3genE5ELNS1_11target_archE942ELNS1_3gpuE9ELNS1_3repE0EEENS1_30default_config_static_selectorELNS0_4arch9wavefront6targetE0EEEvT1_.uses_vcc, 0
	.set _ZN7rocprim17ROCPRIM_400000_NS6detail17trampoline_kernelINS0_14default_configENS1_20scan_config_selectorIN3c107complexIdEEEEZZNS1_9scan_implILNS1_25lookback_scan_determinismE0ELb0ELb0ES3_PKS7_PS7_S7_ZZZN2at6native31launch_logcumsumexp_cuda_kernelERKNSE_10TensorBaseESI_lENKUlvE_clEvENKUlvE1_clEvEUlS7_S7_E_S7_EEDaPvRmT3_T4_T5_mT6_P12ihipStream_tbENKUlT_T0_E_clISt17integral_constantIbLb0EESY_IbLb1EEEEDaSU_SV_EUlSU_E0_NS1_11comp_targetILNS1_3genE5ELNS1_11target_archE942ELNS1_3gpuE9ELNS1_3repE0EEENS1_30default_config_static_selectorELNS0_4arch9wavefront6targetE0EEEvT1_.uses_flat_scratch, 0
	.set _ZN7rocprim17ROCPRIM_400000_NS6detail17trampoline_kernelINS0_14default_configENS1_20scan_config_selectorIN3c107complexIdEEEEZZNS1_9scan_implILNS1_25lookback_scan_determinismE0ELb0ELb0ES3_PKS7_PS7_S7_ZZZN2at6native31launch_logcumsumexp_cuda_kernelERKNSE_10TensorBaseESI_lENKUlvE_clEvENKUlvE1_clEvEUlS7_S7_E_S7_EEDaPvRmT3_T4_T5_mT6_P12ihipStream_tbENKUlT_T0_E_clISt17integral_constantIbLb0EESY_IbLb1EEEEDaSU_SV_EUlSU_E0_NS1_11comp_targetILNS1_3genE5ELNS1_11target_archE942ELNS1_3gpuE9ELNS1_3repE0EEENS1_30default_config_static_selectorELNS0_4arch9wavefront6targetE0EEEvT1_.has_dyn_sized_stack, 0
	.set _ZN7rocprim17ROCPRIM_400000_NS6detail17trampoline_kernelINS0_14default_configENS1_20scan_config_selectorIN3c107complexIdEEEEZZNS1_9scan_implILNS1_25lookback_scan_determinismE0ELb0ELb0ES3_PKS7_PS7_S7_ZZZN2at6native31launch_logcumsumexp_cuda_kernelERKNSE_10TensorBaseESI_lENKUlvE_clEvENKUlvE1_clEvEUlS7_S7_E_S7_EEDaPvRmT3_T4_T5_mT6_P12ihipStream_tbENKUlT_T0_E_clISt17integral_constantIbLb0EESY_IbLb1EEEEDaSU_SV_EUlSU_E0_NS1_11comp_targetILNS1_3genE5ELNS1_11target_archE942ELNS1_3gpuE9ELNS1_3repE0EEENS1_30default_config_static_selectorELNS0_4arch9wavefront6targetE0EEEvT1_.has_recursion, 0
	.set _ZN7rocprim17ROCPRIM_400000_NS6detail17trampoline_kernelINS0_14default_configENS1_20scan_config_selectorIN3c107complexIdEEEEZZNS1_9scan_implILNS1_25lookback_scan_determinismE0ELb0ELb0ES3_PKS7_PS7_S7_ZZZN2at6native31launch_logcumsumexp_cuda_kernelERKNSE_10TensorBaseESI_lENKUlvE_clEvENKUlvE1_clEvEUlS7_S7_E_S7_EEDaPvRmT3_T4_T5_mT6_P12ihipStream_tbENKUlT_T0_E_clISt17integral_constantIbLb0EESY_IbLb1EEEEDaSU_SV_EUlSU_E0_NS1_11comp_targetILNS1_3genE5ELNS1_11target_archE942ELNS1_3gpuE9ELNS1_3repE0EEENS1_30default_config_static_selectorELNS0_4arch9wavefront6targetE0EEEvT1_.has_indirect_call, 0
	.section	.AMDGPU.csdata,"",@progbits
; Kernel info:
; codeLenInByte = 0
; TotalNumSgprs: 0
; NumVgprs: 0
; ScratchSize: 0
; MemoryBound: 0
; FloatMode: 240
; IeeeMode: 1
; LDSByteSize: 0 bytes/workgroup (compile time only)
; SGPRBlocks: 0
; VGPRBlocks: 0
; NumSGPRsForWavesPerEU: 1
; NumVGPRsForWavesPerEU: 1
; Occupancy: 16
; WaveLimiterHint : 0
; COMPUTE_PGM_RSRC2:SCRATCH_EN: 0
; COMPUTE_PGM_RSRC2:USER_SGPR: 6
; COMPUTE_PGM_RSRC2:TRAP_HANDLER: 0
; COMPUTE_PGM_RSRC2:TGID_X_EN: 1
; COMPUTE_PGM_RSRC2:TGID_Y_EN: 0
; COMPUTE_PGM_RSRC2:TGID_Z_EN: 0
; COMPUTE_PGM_RSRC2:TIDIG_COMP_CNT: 0
	.section	.text._ZN7rocprim17ROCPRIM_400000_NS6detail17trampoline_kernelINS0_14default_configENS1_20scan_config_selectorIN3c107complexIdEEEEZZNS1_9scan_implILNS1_25lookback_scan_determinismE0ELb0ELb0ES3_PKS7_PS7_S7_ZZZN2at6native31launch_logcumsumexp_cuda_kernelERKNSE_10TensorBaseESI_lENKUlvE_clEvENKUlvE1_clEvEUlS7_S7_E_S7_EEDaPvRmT3_T4_T5_mT6_P12ihipStream_tbENKUlT_T0_E_clISt17integral_constantIbLb0EESY_IbLb1EEEEDaSU_SV_EUlSU_E0_NS1_11comp_targetILNS1_3genE4ELNS1_11target_archE910ELNS1_3gpuE8ELNS1_3repE0EEENS1_30default_config_static_selectorELNS0_4arch9wavefront6targetE0EEEvT1_,"axG",@progbits,_ZN7rocprim17ROCPRIM_400000_NS6detail17trampoline_kernelINS0_14default_configENS1_20scan_config_selectorIN3c107complexIdEEEEZZNS1_9scan_implILNS1_25lookback_scan_determinismE0ELb0ELb0ES3_PKS7_PS7_S7_ZZZN2at6native31launch_logcumsumexp_cuda_kernelERKNSE_10TensorBaseESI_lENKUlvE_clEvENKUlvE1_clEvEUlS7_S7_E_S7_EEDaPvRmT3_T4_T5_mT6_P12ihipStream_tbENKUlT_T0_E_clISt17integral_constantIbLb0EESY_IbLb1EEEEDaSU_SV_EUlSU_E0_NS1_11comp_targetILNS1_3genE4ELNS1_11target_archE910ELNS1_3gpuE8ELNS1_3repE0EEENS1_30default_config_static_selectorELNS0_4arch9wavefront6targetE0EEEvT1_,comdat
	.globl	_ZN7rocprim17ROCPRIM_400000_NS6detail17trampoline_kernelINS0_14default_configENS1_20scan_config_selectorIN3c107complexIdEEEEZZNS1_9scan_implILNS1_25lookback_scan_determinismE0ELb0ELb0ES3_PKS7_PS7_S7_ZZZN2at6native31launch_logcumsumexp_cuda_kernelERKNSE_10TensorBaseESI_lENKUlvE_clEvENKUlvE1_clEvEUlS7_S7_E_S7_EEDaPvRmT3_T4_T5_mT6_P12ihipStream_tbENKUlT_T0_E_clISt17integral_constantIbLb0EESY_IbLb1EEEEDaSU_SV_EUlSU_E0_NS1_11comp_targetILNS1_3genE4ELNS1_11target_archE910ELNS1_3gpuE8ELNS1_3repE0EEENS1_30default_config_static_selectorELNS0_4arch9wavefront6targetE0EEEvT1_ ; -- Begin function _ZN7rocprim17ROCPRIM_400000_NS6detail17trampoline_kernelINS0_14default_configENS1_20scan_config_selectorIN3c107complexIdEEEEZZNS1_9scan_implILNS1_25lookback_scan_determinismE0ELb0ELb0ES3_PKS7_PS7_S7_ZZZN2at6native31launch_logcumsumexp_cuda_kernelERKNSE_10TensorBaseESI_lENKUlvE_clEvENKUlvE1_clEvEUlS7_S7_E_S7_EEDaPvRmT3_T4_T5_mT6_P12ihipStream_tbENKUlT_T0_E_clISt17integral_constantIbLb0EESY_IbLb1EEEEDaSU_SV_EUlSU_E0_NS1_11comp_targetILNS1_3genE4ELNS1_11target_archE910ELNS1_3gpuE8ELNS1_3repE0EEENS1_30default_config_static_selectorELNS0_4arch9wavefront6targetE0EEEvT1_
	.p2align	8
	.type	_ZN7rocprim17ROCPRIM_400000_NS6detail17trampoline_kernelINS0_14default_configENS1_20scan_config_selectorIN3c107complexIdEEEEZZNS1_9scan_implILNS1_25lookback_scan_determinismE0ELb0ELb0ES3_PKS7_PS7_S7_ZZZN2at6native31launch_logcumsumexp_cuda_kernelERKNSE_10TensorBaseESI_lENKUlvE_clEvENKUlvE1_clEvEUlS7_S7_E_S7_EEDaPvRmT3_T4_T5_mT6_P12ihipStream_tbENKUlT_T0_E_clISt17integral_constantIbLb0EESY_IbLb1EEEEDaSU_SV_EUlSU_E0_NS1_11comp_targetILNS1_3genE4ELNS1_11target_archE910ELNS1_3gpuE8ELNS1_3repE0EEENS1_30default_config_static_selectorELNS0_4arch9wavefront6targetE0EEEvT1_,@function
_ZN7rocprim17ROCPRIM_400000_NS6detail17trampoline_kernelINS0_14default_configENS1_20scan_config_selectorIN3c107complexIdEEEEZZNS1_9scan_implILNS1_25lookback_scan_determinismE0ELb0ELb0ES3_PKS7_PS7_S7_ZZZN2at6native31launch_logcumsumexp_cuda_kernelERKNSE_10TensorBaseESI_lENKUlvE_clEvENKUlvE1_clEvEUlS7_S7_E_S7_EEDaPvRmT3_T4_T5_mT6_P12ihipStream_tbENKUlT_T0_E_clISt17integral_constantIbLb0EESY_IbLb1EEEEDaSU_SV_EUlSU_E0_NS1_11comp_targetILNS1_3genE4ELNS1_11target_archE910ELNS1_3gpuE8ELNS1_3repE0EEENS1_30default_config_static_selectorELNS0_4arch9wavefront6targetE0EEEvT1_: ; @_ZN7rocprim17ROCPRIM_400000_NS6detail17trampoline_kernelINS0_14default_configENS1_20scan_config_selectorIN3c107complexIdEEEEZZNS1_9scan_implILNS1_25lookback_scan_determinismE0ELb0ELb0ES3_PKS7_PS7_S7_ZZZN2at6native31launch_logcumsumexp_cuda_kernelERKNSE_10TensorBaseESI_lENKUlvE_clEvENKUlvE1_clEvEUlS7_S7_E_S7_EEDaPvRmT3_T4_T5_mT6_P12ihipStream_tbENKUlT_T0_E_clISt17integral_constantIbLb0EESY_IbLb1EEEEDaSU_SV_EUlSU_E0_NS1_11comp_targetILNS1_3genE4ELNS1_11target_archE910ELNS1_3gpuE8ELNS1_3repE0EEENS1_30default_config_static_selectorELNS0_4arch9wavefront6targetE0EEEvT1_
; %bb.0:
	.section	.rodata,"a",@progbits
	.p2align	6, 0x0
	.amdhsa_kernel _ZN7rocprim17ROCPRIM_400000_NS6detail17trampoline_kernelINS0_14default_configENS1_20scan_config_selectorIN3c107complexIdEEEEZZNS1_9scan_implILNS1_25lookback_scan_determinismE0ELb0ELb0ES3_PKS7_PS7_S7_ZZZN2at6native31launch_logcumsumexp_cuda_kernelERKNSE_10TensorBaseESI_lENKUlvE_clEvENKUlvE1_clEvEUlS7_S7_E_S7_EEDaPvRmT3_T4_T5_mT6_P12ihipStream_tbENKUlT_T0_E_clISt17integral_constantIbLb0EESY_IbLb1EEEEDaSU_SV_EUlSU_E0_NS1_11comp_targetILNS1_3genE4ELNS1_11target_archE910ELNS1_3gpuE8ELNS1_3repE0EEENS1_30default_config_static_selectorELNS0_4arch9wavefront6targetE0EEEvT1_
		.amdhsa_group_segment_fixed_size 0
		.amdhsa_private_segment_fixed_size 0
		.amdhsa_kernarg_size 48
		.amdhsa_user_sgpr_count 6
		.amdhsa_user_sgpr_private_segment_buffer 1
		.amdhsa_user_sgpr_dispatch_ptr 0
		.amdhsa_user_sgpr_queue_ptr 0
		.amdhsa_user_sgpr_kernarg_segment_ptr 1
		.amdhsa_user_sgpr_dispatch_id 0
		.amdhsa_user_sgpr_flat_scratch_init 0
		.amdhsa_user_sgpr_private_segment_size 0
		.amdhsa_wavefront_size32 1
		.amdhsa_uses_dynamic_stack 0
		.amdhsa_system_sgpr_private_segment_wavefront_offset 0
		.amdhsa_system_sgpr_workgroup_id_x 1
		.amdhsa_system_sgpr_workgroup_id_y 0
		.amdhsa_system_sgpr_workgroup_id_z 0
		.amdhsa_system_sgpr_workgroup_info 0
		.amdhsa_system_vgpr_workitem_id 0
		.amdhsa_next_free_vgpr 1
		.amdhsa_next_free_sgpr 1
		.amdhsa_reserve_vcc 0
		.amdhsa_reserve_flat_scratch 0
		.amdhsa_float_round_mode_32 0
		.amdhsa_float_round_mode_16_64 0
		.amdhsa_float_denorm_mode_32 3
		.amdhsa_float_denorm_mode_16_64 3
		.amdhsa_dx10_clamp 1
		.amdhsa_ieee_mode 1
		.amdhsa_fp16_overflow 0
		.amdhsa_workgroup_processor_mode 1
		.amdhsa_memory_ordered 1
		.amdhsa_forward_progress 1
		.amdhsa_shared_vgpr_count 0
		.amdhsa_exception_fp_ieee_invalid_op 0
		.amdhsa_exception_fp_denorm_src 0
		.amdhsa_exception_fp_ieee_div_zero 0
		.amdhsa_exception_fp_ieee_overflow 0
		.amdhsa_exception_fp_ieee_underflow 0
		.amdhsa_exception_fp_ieee_inexact 0
		.amdhsa_exception_int_div_zero 0
	.end_amdhsa_kernel
	.section	.text._ZN7rocprim17ROCPRIM_400000_NS6detail17trampoline_kernelINS0_14default_configENS1_20scan_config_selectorIN3c107complexIdEEEEZZNS1_9scan_implILNS1_25lookback_scan_determinismE0ELb0ELb0ES3_PKS7_PS7_S7_ZZZN2at6native31launch_logcumsumexp_cuda_kernelERKNSE_10TensorBaseESI_lENKUlvE_clEvENKUlvE1_clEvEUlS7_S7_E_S7_EEDaPvRmT3_T4_T5_mT6_P12ihipStream_tbENKUlT_T0_E_clISt17integral_constantIbLb0EESY_IbLb1EEEEDaSU_SV_EUlSU_E0_NS1_11comp_targetILNS1_3genE4ELNS1_11target_archE910ELNS1_3gpuE8ELNS1_3repE0EEENS1_30default_config_static_selectorELNS0_4arch9wavefront6targetE0EEEvT1_,"axG",@progbits,_ZN7rocprim17ROCPRIM_400000_NS6detail17trampoline_kernelINS0_14default_configENS1_20scan_config_selectorIN3c107complexIdEEEEZZNS1_9scan_implILNS1_25lookback_scan_determinismE0ELb0ELb0ES3_PKS7_PS7_S7_ZZZN2at6native31launch_logcumsumexp_cuda_kernelERKNSE_10TensorBaseESI_lENKUlvE_clEvENKUlvE1_clEvEUlS7_S7_E_S7_EEDaPvRmT3_T4_T5_mT6_P12ihipStream_tbENKUlT_T0_E_clISt17integral_constantIbLb0EESY_IbLb1EEEEDaSU_SV_EUlSU_E0_NS1_11comp_targetILNS1_3genE4ELNS1_11target_archE910ELNS1_3gpuE8ELNS1_3repE0EEENS1_30default_config_static_selectorELNS0_4arch9wavefront6targetE0EEEvT1_,comdat
.Lfunc_end252:
	.size	_ZN7rocprim17ROCPRIM_400000_NS6detail17trampoline_kernelINS0_14default_configENS1_20scan_config_selectorIN3c107complexIdEEEEZZNS1_9scan_implILNS1_25lookback_scan_determinismE0ELb0ELb0ES3_PKS7_PS7_S7_ZZZN2at6native31launch_logcumsumexp_cuda_kernelERKNSE_10TensorBaseESI_lENKUlvE_clEvENKUlvE1_clEvEUlS7_S7_E_S7_EEDaPvRmT3_T4_T5_mT6_P12ihipStream_tbENKUlT_T0_E_clISt17integral_constantIbLb0EESY_IbLb1EEEEDaSU_SV_EUlSU_E0_NS1_11comp_targetILNS1_3genE4ELNS1_11target_archE910ELNS1_3gpuE8ELNS1_3repE0EEENS1_30default_config_static_selectorELNS0_4arch9wavefront6targetE0EEEvT1_, .Lfunc_end252-_ZN7rocprim17ROCPRIM_400000_NS6detail17trampoline_kernelINS0_14default_configENS1_20scan_config_selectorIN3c107complexIdEEEEZZNS1_9scan_implILNS1_25lookback_scan_determinismE0ELb0ELb0ES3_PKS7_PS7_S7_ZZZN2at6native31launch_logcumsumexp_cuda_kernelERKNSE_10TensorBaseESI_lENKUlvE_clEvENKUlvE1_clEvEUlS7_S7_E_S7_EEDaPvRmT3_T4_T5_mT6_P12ihipStream_tbENKUlT_T0_E_clISt17integral_constantIbLb0EESY_IbLb1EEEEDaSU_SV_EUlSU_E0_NS1_11comp_targetILNS1_3genE4ELNS1_11target_archE910ELNS1_3gpuE8ELNS1_3repE0EEENS1_30default_config_static_selectorELNS0_4arch9wavefront6targetE0EEEvT1_
                                        ; -- End function
	.set _ZN7rocprim17ROCPRIM_400000_NS6detail17trampoline_kernelINS0_14default_configENS1_20scan_config_selectorIN3c107complexIdEEEEZZNS1_9scan_implILNS1_25lookback_scan_determinismE0ELb0ELb0ES3_PKS7_PS7_S7_ZZZN2at6native31launch_logcumsumexp_cuda_kernelERKNSE_10TensorBaseESI_lENKUlvE_clEvENKUlvE1_clEvEUlS7_S7_E_S7_EEDaPvRmT3_T4_T5_mT6_P12ihipStream_tbENKUlT_T0_E_clISt17integral_constantIbLb0EESY_IbLb1EEEEDaSU_SV_EUlSU_E0_NS1_11comp_targetILNS1_3genE4ELNS1_11target_archE910ELNS1_3gpuE8ELNS1_3repE0EEENS1_30default_config_static_selectorELNS0_4arch9wavefront6targetE0EEEvT1_.num_vgpr, 0
	.set _ZN7rocprim17ROCPRIM_400000_NS6detail17trampoline_kernelINS0_14default_configENS1_20scan_config_selectorIN3c107complexIdEEEEZZNS1_9scan_implILNS1_25lookback_scan_determinismE0ELb0ELb0ES3_PKS7_PS7_S7_ZZZN2at6native31launch_logcumsumexp_cuda_kernelERKNSE_10TensorBaseESI_lENKUlvE_clEvENKUlvE1_clEvEUlS7_S7_E_S7_EEDaPvRmT3_T4_T5_mT6_P12ihipStream_tbENKUlT_T0_E_clISt17integral_constantIbLb0EESY_IbLb1EEEEDaSU_SV_EUlSU_E0_NS1_11comp_targetILNS1_3genE4ELNS1_11target_archE910ELNS1_3gpuE8ELNS1_3repE0EEENS1_30default_config_static_selectorELNS0_4arch9wavefront6targetE0EEEvT1_.num_agpr, 0
	.set _ZN7rocprim17ROCPRIM_400000_NS6detail17trampoline_kernelINS0_14default_configENS1_20scan_config_selectorIN3c107complexIdEEEEZZNS1_9scan_implILNS1_25lookback_scan_determinismE0ELb0ELb0ES3_PKS7_PS7_S7_ZZZN2at6native31launch_logcumsumexp_cuda_kernelERKNSE_10TensorBaseESI_lENKUlvE_clEvENKUlvE1_clEvEUlS7_S7_E_S7_EEDaPvRmT3_T4_T5_mT6_P12ihipStream_tbENKUlT_T0_E_clISt17integral_constantIbLb0EESY_IbLb1EEEEDaSU_SV_EUlSU_E0_NS1_11comp_targetILNS1_3genE4ELNS1_11target_archE910ELNS1_3gpuE8ELNS1_3repE0EEENS1_30default_config_static_selectorELNS0_4arch9wavefront6targetE0EEEvT1_.numbered_sgpr, 0
	.set _ZN7rocprim17ROCPRIM_400000_NS6detail17trampoline_kernelINS0_14default_configENS1_20scan_config_selectorIN3c107complexIdEEEEZZNS1_9scan_implILNS1_25lookback_scan_determinismE0ELb0ELb0ES3_PKS7_PS7_S7_ZZZN2at6native31launch_logcumsumexp_cuda_kernelERKNSE_10TensorBaseESI_lENKUlvE_clEvENKUlvE1_clEvEUlS7_S7_E_S7_EEDaPvRmT3_T4_T5_mT6_P12ihipStream_tbENKUlT_T0_E_clISt17integral_constantIbLb0EESY_IbLb1EEEEDaSU_SV_EUlSU_E0_NS1_11comp_targetILNS1_3genE4ELNS1_11target_archE910ELNS1_3gpuE8ELNS1_3repE0EEENS1_30default_config_static_selectorELNS0_4arch9wavefront6targetE0EEEvT1_.num_named_barrier, 0
	.set _ZN7rocprim17ROCPRIM_400000_NS6detail17trampoline_kernelINS0_14default_configENS1_20scan_config_selectorIN3c107complexIdEEEEZZNS1_9scan_implILNS1_25lookback_scan_determinismE0ELb0ELb0ES3_PKS7_PS7_S7_ZZZN2at6native31launch_logcumsumexp_cuda_kernelERKNSE_10TensorBaseESI_lENKUlvE_clEvENKUlvE1_clEvEUlS7_S7_E_S7_EEDaPvRmT3_T4_T5_mT6_P12ihipStream_tbENKUlT_T0_E_clISt17integral_constantIbLb0EESY_IbLb1EEEEDaSU_SV_EUlSU_E0_NS1_11comp_targetILNS1_3genE4ELNS1_11target_archE910ELNS1_3gpuE8ELNS1_3repE0EEENS1_30default_config_static_selectorELNS0_4arch9wavefront6targetE0EEEvT1_.private_seg_size, 0
	.set _ZN7rocprim17ROCPRIM_400000_NS6detail17trampoline_kernelINS0_14default_configENS1_20scan_config_selectorIN3c107complexIdEEEEZZNS1_9scan_implILNS1_25lookback_scan_determinismE0ELb0ELb0ES3_PKS7_PS7_S7_ZZZN2at6native31launch_logcumsumexp_cuda_kernelERKNSE_10TensorBaseESI_lENKUlvE_clEvENKUlvE1_clEvEUlS7_S7_E_S7_EEDaPvRmT3_T4_T5_mT6_P12ihipStream_tbENKUlT_T0_E_clISt17integral_constantIbLb0EESY_IbLb1EEEEDaSU_SV_EUlSU_E0_NS1_11comp_targetILNS1_3genE4ELNS1_11target_archE910ELNS1_3gpuE8ELNS1_3repE0EEENS1_30default_config_static_selectorELNS0_4arch9wavefront6targetE0EEEvT1_.uses_vcc, 0
	.set _ZN7rocprim17ROCPRIM_400000_NS6detail17trampoline_kernelINS0_14default_configENS1_20scan_config_selectorIN3c107complexIdEEEEZZNS1_9scan_implILNS1_25lookback_scan_determinismE0ELb0ELb0ES3_PKS7_PS7_S7_ZZZN2at6native31launch_logcumsumexp_cuda_kernelERKNSE_10TensorBaseESI_lENKUlvE_clEvENKUlvE1_clEvEUlS7_S7_E_S7_EEDaPvRmT3_T4_T5_mT6_P12ihipStream_tbENKUlT_T0_E_clISt17integral_constantIbLb0EESY_IbLb1EEEEDaSU_SV_EUlSU_E0_NS1_11comp_targetILNS1_3genE4ELNS1_11target_archE910ELNS1_3gpuE8ELNS1_3repE0EEENS1_30default_config_static_selectorELNS0_4arch9wavefront6targetE0EEEvT1_.uses_flat_scratch, 0
	.set _ZN7rocprim17ROCPRIM_400000_NS6detail17trampoline_kernelINS0_14default_configENS1_20scan_config_selectorIN3c107complexIdEEEEZZNS1_9scan_implILNS1_25lookback_scan_determinismE0ELb0ELb0ES3_PKS7_PS7_S7_ZZZN2at6native31launch_logcumsumexp_cuda_kernelERKNSE_10TensorBaseESI_lENKUlvE_clEvENKUlvE1_clEvEUlS7_S7_E_S7_EEDaPvRmT3_T4_T5_mT6_P12ihipStream_tbENKUlT_T0_E_clISt17integral_constantIbLb0EESY_IbLb1EEEEDaSU_SV_EUlSU_E0_NS1_11comp_targetILNS1_3genE4ELNS1_11target_archE910ELNS1_3gpuE8ELNS1_3repE0EEENS1_30default_config_static_selectorELNS0_4arch9wavefront6targetE0EEEvT1_.has_dyn_sized_stack, 0
	.set _ZN7rocprim17ROCPRIM_400000_NS6detail17trampoline_kernelINS0_14default_configENS1_20scan_config_selectorIN3c107complexIdEEEEZZNS1_9scan_implILNS1_25lookback_scan_determinismE0ELb0ELb0ES3_PKS7_PS7_S7_ZZZN2at6native31launch_logcumsumexp_cuda_kernelERKNSE_10TensorBaseESI_lENKUlvE_clEvENKUlvE1_clEvEUlS7_S7_E_S7_EEDaPvRmT3_T4_T5_mT6_P12ihipStream_tbENKUlT_T0_E_clISt17integral_constantIbLb0EESY_IbLb1EEEEDaSU_SV_EUlSU_E0_NS1_11comp_targetILNS1_3genE4ELNS1_11target_archE910ELNS1_3gpuE8ELNS1_3repE0EEENS1_30default_config_static_selectorELNS0_4arch9wavefront6targetE0EEEvT1_.has_recursion, 0
	.set _ZN7rocprim17ROCPRIM_400000_NS6detail17trampoline_kernelINS0_14default_configENS1_20scan_config_selectorIN3c107complexIdEEEEZZNS1_9scan_implILNS1_25lookback_scan_determinismE0ELb0ELb0ES3_PKS7_PS7_S7_ZZZN2at6native31launch_logcumsumexp_cuda_kernelERKNSE_10TensorBaseESI_lENKUlvE_clEvENKUlvE1_clEvEUlS7_S7_E_S7_EEDaPvRmT3_T4_T5_mT6_P12ihipStream_tbENKUlT_T0_E_clISt17integral_constantIbLb0EESY_IbLb1EEEEDaSU_SV_EUlSU_E0_NS1_11comp_targetILNS1_3genE4ELNS1_11target_archE910ELNS1_3gpuE8ELNS1_3repE0EEENS1_30default_config_static_selectorELNS0_4arch9wavefront6targetE0EEEvT1_.has_indirect_call, 0
	.section	.AMDGPU.csdata,"",@progbits
; Kernel info:
; codeLenInByte = 0
; TotalNumSgprs: 0
; NumVgprs: 0
; ScratchSize: 0
; MemoryBound: 0
; FloatMode: 240
; IeeeMode: 1
; LDSByteSize: 0 bytes/workgroup (compile time only)
; SGPRBlocks: 0
; VGPRBlocks: 0
; NumSGPRsForWavesPerEU: 1
; NumVGPRsForWavesPerEU: 1
; Occupancy: 16
; WaveLimiterHint : 0
; COMPUTE_PGM_RSRC2:SCRATCH_EN: 0
; COMPUTE_PGM_RSRC2:USER_SGPR: 6
; COMPUTE_PGM_RSRC2:TRAP_HANDLER: 0
; COMPUTE_PGM_RSRC2:TGID_X_EN: 1
; COMPUTE_PGM_RSRC2:TGID_Y_EN: 0
; COMPUTE_PGM_RSRC2:TGID_Z_EN: 0
; COMPUTE_PGM_RSRC2:TIDIG_COMP_CNT: 0
	.section	.text._ZN7rocprim17ROCPRIM_400000_NS6detail17trampoline_kernelINS0_14default_configENS1_20scan_config_selectorIN3c107complexIdEEEEZZNS1_9scan_implILNS1_25lookback_scan_determinismE0ELb0ELb0ES3_PKS7_PS7_S7_ZZZN2at6native31launch_logcumsumexp_cuda_kernelERKNSE_10TensorBaseESI_lENKUlvE_clEvENKUlvE1_clEvEUlS7_S7_E_S7_EEDaPvRmT3_T4_T5_mT6_P12ihipStream_tbENKUlT_T0_E_clISt17integral_constantIbLb0EESY_IbLb1EEEEDaSU_SV_EUlSU_E0_NS1_11comp_targetILNS1_3genE3ELNS1_11target_archE908ELNS1_3gpuE7ELNS1_3repE0EEENS1_30default_config_static_selectorELNS0_4arch9wavefront6targetE0EEEvT1_,"axG",@progbits,_ZN7rocprim17ROCPRIM_400000_NS6detail17trampoline_kernelINS0_14default_configENS1_20scan_config_selectorIN3c107complexIdEEEEZZNS1_9scan_implILNS1_25lookback_scan_determinismE0ELb0ELb0ES3_PKS7_PS7_S7_ZZZN2at6native31launch_logcumsumexp_cuda_kernelERKNSE_10TensorBaseESI_lENKUlvE_clEvENKUlvE1_clEvEUlS7_S7_E_S7_EEDaPvRmT3_T4_T5_mT6_P12ihipStream_tbENKUlT_T0_E_clISt17integral_constantIbLb0EESY_IbLb1EEEEDaSU_SV_EUlSU_E0_NS1_11comp_targetILNS1_3genE3ELNS1_11target_archE908ELNS1_3gpuE7ELNS1_3repE0EEENS1_30default_config_static_selectorELNS0_4arch9wavefront6targetE0EEEvT1_,comdat
	.globl	_ZN7rocprim17ROCPRIM_400000_NS6detail17trampoline_kernelINS0_14default_configENS1_20scan_config_selectorIN3c107complexIdEEEEZZNS1_9scan_implILNS1_25lookback_scan_determinismE0ELb0ELb0ES3_PKS7_PS7_S7_ZZZN2at6native31launch_logcumsumexp_cuda_kernelERKNSE_10TensorBaseESI_lENKUlvE_clEvENKUlvE1_clEvEUlS7_S7_E_S7_EEDaPvRmT3_T4_T5_mT6_P12ihipStream_tbENKUlT_T0_E_clISt17integral_constantIbLb0EESY_IbLb1EEEEDaSU_SV_EUlSU_E0_NS1_11comp_targetILNS1_3genE3ELNS1_11target_archE908ELNS1_3gpuE7ELNS1_3repE0EEENS1_30default_config_static_selectorELNS0_4arch9wavefront6targetE0EEEvT1_ ; -- Begin function _ZN7rocprim17ROCPRIM_400000_NS6detail17trampoline_kernelINS0_14default_configENS1_20scan_config_selectorIN3c107complexIdEEEEZZNS1_9scan_implILNS1_25lookback_scan_determinismE0ELb0ELb0ES3_PKS7_PS7_S7_ZZZN2at6native31launch_logcumsumexp_cuda_kernelERKNSE_10TensorBaseESI_lENKUlvE_clEvENKUlvE1_clEvEUlS7_S7_E_S7_EEDaPvRmT3_T4_T5_mT6_P12ihipStream_tbENKUlT_T0_E_clISt17integral_constantIbLb0EESY_IbLb1EEEEDaSU_SV_EUlSU_E0_NS1_11comp_targetILNS1_3genE3ELNS1_11target_archE908ELNS1_3gpuE7ELNS1_3repE0EEENS1_30default_config_static_selectorELNS0_4arch9wavefront6targetE0EEEvT1_
	.p2align	8
	.type	_ZN7rocprim17ROCPRIM_400000_NS6detail17trampoline_kernelINS0_14default_configENS1_20scan_config_selectorIN3c107complexIdEEEEZZNS1_9scan_implILNS1_25lookback_scan_determinismE0ELb0ELb0ES3_PKS7_PS7_S7_ZZZN2at6native31launch_logcumsumexp_cuda_kernelERKNSE_10TensorBaseESI_lENKUlvE_clEvENKUlvE1_clEvEUlS7_S7_E_S7_EEDaPvRmT3_T4_T5_mT6_P12ihipStream_tbENKUlT_T0_E_clISt17integral_constantIbLb0EESY_IbLb1EEEEDaSU_SV_EUlSU_E0_NS1_11comp_targetILNS1_3genE3ELNS1_11target_archE908ELNS1_3gpuE7ELNS1_3repE0EEENS1_30default_config_static_selectorELNS0_4arch9wavefront6targetE0EEEvT1_,@function
_ZN7rocprim17ROCPRIM_400000_NS6detail17trampoline_kernelINS0_14default_configENS1_20scan_config_selectorIN3c107complexIdEEEEZZNS1_9scan_implILNS1_25lookback_scan_determinismE0ELb0ELb0ES3_PKS7_PS7_S7_ZZZN2at6native31launch_logcumsumexp_cuda_kernelERKNSE_10TensorBaseESI_lENKUlvE_clEvENKUlvE1_clEvEUlS7_S7_E_S7_EEDaPvRmT3_T4_T5_mT6_P12ihipStream_tbENKUlT_T0_E_clISt17integral_constantIbLb0EESY_IbLb1EEEEDaSU_SV_EUlSU_E0_NS1_11comp_targetILNS1_3genE3ELNS1_11target_archE908ELNS1_3gpuE7ELNS1_3repE0EEENS1_30default_config_static_selectorELNS0_4arch9wavefront6targetE0EEEvT1_: ; @_ZN7rocprim17ROCPRIM_400000_NS6detail17trampoline_kernelINS0_14default_configENS1_20scan_config_selectorIN3c107complexIdEEEEZZNS1_9scan_implILNS1_25lookback_scan_determinismE0ELb0ELb0ES3_PKS7_PS7_S7_ZZZN2at6native31launch_logcumsumexp_cuda_kernelERKNSE_10TensorBaseESI_lENKUlvE_clEvENKUlvE1_clEvEUlS7_S7_E_S7_EEDaPvRmT3_T4_T5_mT6_P12ihipStream_tbENKUlT_T0_E_clISt17integral_constantIbLb0EESY_IbLb1EEEEDaSU_SV_EUlSU_E0_NS1_11comp_targetILNS1_3genE3ELNS1_11target_archE908ELNS1_3gpuE7ELNS1_3repE0EEENS1_30default_config_static_selectorELNS0_4arch9wavefront6targetE0EEEvT1_
; %bb.0:
	.section	.rodata,"a",@progbits
	.p2align	6, 0x0
	.amdhsa_kernel _ZN7rocprim17ROCPRIM_400000_NS6detail17trampoline_kernelINS0_14default_configENS1_20scan_config_selectorIN3c107complexIdEEEEZZNS1_9scan_implILNS1_25lookback_scan_determinismE0ELb0ELb0ES3_PKS7_PS7_S7_ZZZN2at6native31launch_logcumsumexp_cuda_kernelERKNSE_10TensorBaseESI_lENKUlvE_clEvENKUlvE1_clEvEUlS7_S7_E_S7_EEDaPvRmT3_T4_T5_mT6_P12ihipStream_tbENKUlT_T0_E_clISt17integral_constantIbLb0EESY_IbLb1EEEEDaSU_SV_EUlSU_E0_NS1_11comp_targetILNS1_3genE3ELNS1_11target_archE908ELNS1_3gpuE7ELNS1_3repE0EEENS1_30default_config_static_selectorELNS0_4arch9wavefront6targetE0EEEvT1_
		.amdhsa_group_segment_fixed_size 0
		.amdhsa_private_segment_fixed_size 0
		.amdhsa_kernarg_size 48
		.amdhsa_user_sgpr_count 6
		.amdhsa_user_sgpr_private_segment_buffer 1
		.amdhsa_user_sgpr_dispatch_ptr 0
		.amdhsa_user_sgpr_queue_ptr 0
		.amdhsa_user_sgpr_kernarg_segment_ptr 1
		.amdhsa_user_sgpr_dispatch_id 0
		.amdhsa_user_sgpr_flat_scratch_init 0
		.amdhsa_user_sgpr_private_segment_size 0
		.amdhsa_wavefront_size32 1
		.amdhsa_uses_dynamic_stack 0
		.amdhsa_system_sgpr_private_segment_wavefront_offset 0
		.amdhsa_system_sgpr_workgroup_id_x 1
		.amdhsa_system_sgpr_workgroup_id_y 0
		.amdhsa_system_sgpr_workgroup_id_z 0
		.amdhsa_system_sgpr_workgroup_info 0
		.amdhsa_system_vgpr_workitem_id 0
		.amdhsa_next_free_vgpr 1
		.amdhsa_next_free_sgpr 1
		.amdhsa_reserve_vcc 0
		.amdhsa_reserve_flat_scratch 0
		.amdhsa_float_round_mode_32 0
		.amdhsa_float_round_mode_16_64 0
		.amdhsa_float_denorm_mode_32 3
		.amdhsa_float_denorm_mode_16_64 3
		.amdhsa_dx10_clamp 1
		.amdhsa_ieee_mode 1
		.amdhsa_fp16_overflow 0
		.amdhsa_workgroup_processor_mode 1
		.amdhsa_memory_ordered 1
		.amdhsa_forward_progress 1
		.amdhsa_shared_vgpr_count 0
		.amdhsa_exception_fp_ieee_invalid_op 0
		.amdhsa_exception_fp_denorm_src 0
		.amdhsa_exception_fp_ieee_div_zero 0
		.amdhsa_exception_fp_ieee_overflow 0
		.amdhsa_exception_fp_ieee_underflow 0
		.amdhsa_exception_fp_ieee_inexact 0
		.amdhsa_exception_int_div_zero 0
	.end_amdhsa_kernel
	.section	.text._ZN7rocprim17ROCPRIM_400000_NS6detail17trampoline_kernelINS0_14default_configENS1_20scan_config_selectorIN3c107complexIdEEEEZZNS1_9scan_implILNS1_25lookback_scan_determinismE0ELb0ELb0ES3_PKS7_PS7_S7_ZZZN2at6native31launch_logcumsumexp_cuda_kernelERKNSE_10TensorBaseESI_lENKUlvE_clEvENKUlvE1_clEvEUlS7_S7_E_S7_EEDaPvRmT3_T4_T5_mT6_P12ihipStream_tbENKUlT_T0_E_clISt17integral_constantIbLb0EESY_IbLb1EEEEDaSU_SV_EUlSU_E0_NS1_11comp_targetILNS1_3genE3ELNS1_11target_archE908ELNS1_3gpuE7ELNS1_3repE0EEENS1_30default_config_static_selectorELNS0_4arch9wavefront6targetE0EEEvT1_,"axG",@progbits,_ZN7rocprim17ROCPRIM_400000_NS6detail17trampoline_kernelINS0_14default_configENS1_20scan_config_selectorIN3c107complexIdEEEEZZNS1_9scan_implILNS1_25lookback_scan_determinismE0ELb0ELb0ES3_PKS7_PS7_S7_ZZZN2at6native31launch_logcumsumexp_cuda_kernelERKNSE_10TensorBaseESI_lENKUlvE_clEvENKUlvE1_clEvEUlS7_S7_E_S7_EEDaPvRmT3_T4_T5_mT6_P12ihipStream_tbENKUlT_T0_E_clISt17integral_constantIbLb0EESY_IbLb1EEEEDaSU_SV_EUlSU_E0_NS1_11comp_targetILNS1_3genE3ELNS1_11target_archE908ELNS1_3gpuE7ELNS1_3repE0EEENS1_30default_config_static_selectorELNS0_4arch9wavefront6targetE0EEEvT1_,comdat
.Lfunc_end253:
	.size	_ZN7rocprim17ROCPRIM_400000_NS6detail17trampoline_kernelINS0_14default_configENS1_20scan_config_selectorIN3c107complexIdEEEEZZNS1_9scan_implILNS1_25lookback_scan_determinismE0ELb0ELb0ES3_PKS7_PS7_S7_ZZZN2at6native31launch_logcumsumexp_cuda_kernelERKNSE_10TensorBaseESI_lENKUlvE_clEvENKUlvE1_clEvEUlS7_S7_E_S7_EEDaPvRmT3_T4_T5_mT6_P12ihipStream_tbENKUlT_T0_E_clISt17integral_constantIbLb0EESY_IbLb1EEEEDaSU_SV_EUlSU_E0_NS1_11comp_targetILNS1_3genE3ELNS1_11target_archE908ELNS1_3gpuE7ELNS1_3repE0EEENS1_30default_config_static_selectorELNS0_4arch9wavefront6targetE0EEEvT1_, .Lfunc_end253-_ZN7rocprim17ROCPRIM_400000_NS6detail17trampoline_kernelINS0_14default_configENS1_20scan_config_selectorIN3c107complexIdEEEEZZNS1_9scan_implILNS1_25lookback_scan_determinismE0ELb0ELb0ES3_PKS7_PS7_S7_ZZZN2at6native31launch_logcumsumexp_cuda_kernelERKNSE_10TensorBaseESI_lENKUlvE_clEvENKUlvE1_clEvEUlS7_S7_E_S7_EEDaPvRmT3_T4_T5_mT6_P12ihipStream_tbENKUlT_T0_E_clISt17integral_constantIbLb0EESY_IbLb1EEEEDaSU_SV_EUlSU_E0_NS1_11comp_targetILNS1_3genE3ELNS1_11target_archE908ELNS1_3gpuE7ELNS1_3repE0EEENS1_30default_config_static_selectorELNS0_4arch9wavefront6targetE0EEEvT1_
                                        ; -- End function
	.set _ZN7rocprim17ROCPRIM_400000_NS6detail17trampoline_kernelINS0_14default_configENS1_20scan_config_selectorIN3c107complexIdEEEEZZNS1_9scan_implILNS1_25lookback_scan_determinismE0ELb0ELb0ES3_PKS7_PS7_S7_ZZZN2at6native31launch_logcumsumexp_cuda_kernelERKNSE_10TensorBaseESI_lENKUlvE_clEvENKUlvE1_clEvEUlS7_S7_E_S7_EEDaPvRmT3_T4_T5_mT6_P12ihipStream_tbENKUlT_T0_E_clISt17integral_constantIbLb0EESY_IbLb1EEEEDaSU_SV_EUlSU_E0_NS1_11comp_targetILNS1_3genE3ELNS1_11target_archE908ELNS1_3gpuE7ELNS1_3repE0EEENS1_30default_config_static_selectorELNS0_4arch9wavefront6targetE0EEEvT1_.num_vgpr, 0
	.set _ZN7rocprim17ROCPRIM_400000_NS6detail17trampoline_kernelINS0_14default_configENS1_20scan_config_selectorIN3c107complexIdEEEEZZNS1_9scan_implILNS1_25lookback_scan_determinismE0ELb0ELb0ES3_PKS7_PS7_S7_ZZZN2at6native31launch_logcumsumexp_cuda_kernelERKNSE_10TensorBaseESI_lENKUlvE_clEvENKUlvE1_clEvEUlS7_S7_E_S7_EEDaPvRmT3_T4_T5_mT6_P12ihipStream_tbENKUlT_T0_E_clISt17integral_constantIbLb0EESY_IbLb1EEEEDaSU_SV_EUlSU_E0_NS1_11comp_targetILNS1_3genE3ELNS1_11target_archE908ELNS1_3gpuE7ELNS1_3repE0EEENS1_30default_config_static_selectorELNS0_4arch9wavefront6targetE0EEEvT1_.num_agpr, 0
	.set _ZN7rocprim17ROCPRIM_400000_NS6detail17trampoline_kernelINS0_14default_configENS1_20scan_config_selectorIN3c107complexIdEEEEZZNS1_9scan_implILNS1_25lookback_scan_determinismE0ELb0ELb0ES3_PKS7_PS7_S7_ZZZN2at6native31launch_logcumsumexp_cuda_kernelERKNSE_10TensorBaseESI_lENKUlvE_clEvENKUlvE1_clEvEUlS7_S7_E_S7_EEDaPvRmT3_T4_T5_mT6_P12ihipStream_tbENKUlT_T0_E_clISt17integral_constantIbLb0EESY_IbLb1EEEEDaSU_SV_EUlSU_E0_NS1_11comp_targetILNS1_3genE3ELNS1_11target_archE908ELNS1_3gpuE7ELNS1_3repE0EEENS1_30default_config_static_selectorELNS0_4arch9wavefront6targetE0EEEvT1_.numbered_sgpr, 0
	.set _ZN7rocprim17ROCPRIM_400000_NS6detail17trampoline_kernelINS0_14default_configENS1_20scan_config_selectorIN3c107complexIdEEEEZZNS1_9scan_implILNS1_25lookback_scan_determinismE0ELb0ELb0ES3_PKS7_PS7_S7_ZZZN2at6native31launch_logcumsumexp_cuda_kernelERKNSE_10TensorBaseESI_lENKUlvE_clEvENKUlvE1_clEvEUlS7_S7_E_S7_EEDaPvRmT3_T4_T5_mT6_P12ihipStream_tbENKUlT_T0_E_clISt17integral_constantIbLb0EESY_IbLb1EEEEDaSU_SV_EUlSU_E0_NS1_11comp_targetILNS1_3genE3ELNS1_11target_archE908ELNS1_3gpuE7ELNS1_3repE0EEENS1_30default_config_static_selectorELNS0_4arch9wavefront6targetE0EEEvT1_.num_named_barrier, 0
	.set _ZN7rocprim17ROCPRIM_400000_NS6detail17trampoline_kernelINS0_14default_configENS1_20scan_config_selectorIN3c107complexIdEEEEZZNS1_9scan_implILNS1_25lookback_scan_determinismE0ELb0ELb0ES3_PKS7_PS7_S7_ZZZN2at6native31launch_logcumsumexp_cuda_kernelERKNSE_10TensorBaseESI_lENKUlvE_clEvENKUlvE1_clEvEUlS7_S7_E_S7_EEDaPvRmT3_T4_T5_mT6_P12ihipStream_tbENKUlT_T0_E_clISt17integral_constantIbLb0EESY_IbLb1EEEEDaSU_SV_EUlSU_E0_NS1_11comp_targetILNS1_3genE3ELNS1_11target_archE908ELNS1_3gpuE7ELNS1_3repE0EEENS1_30default_config_static_selectorELNS0_4arch9wavefront6targetE0EEEvT1_.private_seg_size, 0
	.set _ZN7rocprim17ROCPRIM_400000_NS6detail17trampoline_kernelINS0_14default_configENS1_20scan_config_selectorIN3c107complexIdEEEEZZNS1_9scan_implILNS1_25lookback_scan_determinismE0ELb0ELb0ES3_PKS7_PS7_S7_ZZZN2at6native31launch_logcumsumexp_cuda_kernelERKNSE_10TensorBaseESI_lENKUlvE_clEvENKUlvE1_clEvEUlS7_S7_E_S7_EEDaPvRmT3_T4_T5_mT6_P12ihipStream_tbENKUlT_T0_E_clISt17integral_constantIbLb0EESY_IbLb1EEEEDaSU_SV_EUlSU_E0_NS1_11comp_targetILNS1_3genE3ELNS1_11target_archE908ELNS1_3gpuE7ELNS1_3repE0EEENS1_30default_config_static_selectorELNS0_4arch9wavefront6targetE0EEEvT1_.uses_vcc, 0
	.set _ZN7rocprim17ROCPRIM_400000_NS6detail17trampoline_kernelINS0_14default_configENS1_20scan_config_selectorIN3c107complexIdEEEEZZNS1_9scan_implILNS1_25lookback_scan_determinismE0ELb0ELb0ES3_PKS7_PS7_S7_ZZZN2at6native31launch_logcumsumexp_cuda_kernelERKNSE_10TensorBaseESI_lENKUlvE_clEvENKUlvE1_clEvEUlS7_S7_E_S7_EEDaPvRmT3_T4_T5_mT6_P12ihipStream_tbENKUlT_T0_E_clISt17integral_constantIbLb0EESY_IbLb1EEEEDaSU_SV_EUlSU_E0_NS1_11comp_targetILNS1_3genE3ELNS1_11target_archE908ELNS1_3gpuE7ELNS1_3repE0EEENS1_30default_config_static_selectorELNS0_4arch9wavefront6targetE0EEEvT1_.uses_flat_scratch, 0
	.set _ZN7rocprim17ROCPRIM_400000_NS6detail17trampoline_kernelINS0_14default_configENS1_20scan_config_selectorIN3c107complexIdEEEEZZNS1_9scan_implILNS1_25lookback_scan_determinismE0ELb0ELb0ES3_PKS7_PS7_S7_ZZZN2at6native31launch_logcumsumexp_cuda_kernelERKNSE_10TensorBaseESI_lENKUlvE_clEvENKUlvE1_clEvEUlS7_S7_E_S7_EEDaPvRmT3_T4_T5_mT6_P12ihipStream_tbENKUlT_T0_E_clISt17integral_constantIbLb0EESY_IbLb1EEEEDaSU_SV_EUlSU_E0_NS1_11comp_targetILNS1_3genE3ELNS1_11target_archE908ELNS1_3gpuE7ELNS1_3repE0EEENS1_30default_config_static_selectorELNS0_4arch9wavefront6targetE0EEEvT1_.has_dyn_sized_stack, 0
	.set _ZN7rocprim17ROCPRIM_400000_NS6detail17trampoline_kernelINS0_14default_configENS1_20scan_config_selectorIN3c107complexIdEEEEZZNS1_9scan_implILNS1_25lookback_scan_determinismE0ELb0ELb0ES3_PKS7_PS7_S7_ZZZN2at6native31launch_logcumsumexp_cuda_kernelERKNSE_10TensorBaseESI_lENKUlvE_clEvENKUlvE1_clEvEUlS7_S7_E_S7_EEDaPvRmT3_T4_T5_mT6_P12ihipStream_tbENKUlT_T0_E_clISt17integral_constantIbLb0EESY_IbLb1EEEEDaSU_SV_EUlSU_E0_NS1_11comp_targetILNS1_3genE3ELNS1_11target_archE908ELNS1_3gpuE7ELNS1_3repE0EEENS1_30default_config_static_selectorELNS0_4arch9wavefront6targetE0EEEvT1_.has_recursion, 0
	.set _ZN7rocprim17ROCPRIM_400000_NS6detail17trampoline_kernelINS0_14default_configENS1_20scan_config_selectorIN3c107complexIdEEEEZZNS1_9scan_implILNS1_25lookback_scan_determinismE0ELb0ELb0ES3_PKS7_PS7_S7_ZZZN2at6native31launch_logcumsumexp_cuda_kernelERKNSE_10TensorBaseESI_lENKUlvE_clEvENKUlvE1_clEvEUlS7_S7_E_S7_EEDaPvRmT3_T4_T5_mT6_P12ihipStream_tbENKUlT_T0_E_clISt17integral_constantIbLb0EESY_IbLb1EEEEDaSU_SV_EUlSU_E0_NS1_11comp_targetILNS1_3genE3ELNS1_11target_archE908ELNS1_3gpuE7ELNS1_3repE0EEENS1_30default_config_static_selectorELNS0_4arch9wavefront6targetE0EEEvT1_.has_indirect_call, 0
	.section	.AMDGPU.csdata,"",@progbits
; Kernel info:
; codeLenInByte = 0
; TotalNumSgprs: 0
; NumVgprs: 0
; ScratchSize: 0
; MemoryBound: 0
; FloatMode: 240
; IeeeMode: 1
; LDSByteSize: 0 bytes/workgroup (compile time only)
; SGPRBlocks: 0
; VGPRBlocks: 0
; NumSGPRsForWavesPerEU: 1
; NumVGPRsForWavesPerEU: 1
; Occupancy: 16
; WaveLimiterHint : 0
; COMPUTE_PGM_RSRC2:SCRATCH_EN: 0
; COMPUTE_PGM_RSRC2:USER_SGPR: 6
; COMPUTE_PGM_RSRC2:TRAP_HANDLER: 0
; COMPUTE_PGM_RSRC2:TGID_X_EN: 1
; COMPUTE_PGM_RSRC2:TGID_Y_EN: 0
; COMPUTE_PGM_RSRC2:TGID_Z_EN: 0
; COMPUTE_PGM_RSRC2:TIDIG_COMP_CNT: 0
	.section	.text._ZN7rocprim17ROCPRIM_400000_NS6detail17trampoline_kernelINS0_14default_configENS1_20scan_config_selectorIN3c107complexIdEEEEZZNS1_9scan_implILNS1_25lookback_scan_determinismE0ELb0ELb0ES3_PKS7_PS7_S7_ZZZN2at6native31launch_logcumsumexp_cuda_kernelERKNSE_10TensorBaseESI_lENKUlvE_clEvENKUlvE1_clEvEUlS7_S7_E_S7_EEDaPvRmT3_T4_T5_mT6_P12ihipStream_tbENKUlT_T0_E_clISt17integral_constantIbLb0EESY_IbLb1EEEEDaSU_SV_EUlSU_E0_NS1_11comp_targetILNS1_3genE2ELNS1_11target_archE906ELNS1_3gpuE6ELNS1_3repE0EEENS1_30default_config_static_selectorELNS0_4arch9wavefront6targetE0EEEvT1_,"axG",@progbits,_ZN7rocprim17ROCPRIM_400000_NS6detail17trampoline_kernelINS0_14default_configENS1_20scan_config_selectorIN3c107complexIdEEEEZZNS1_9scan_implILNS1_25lookback_scan_determinismE0ELb0ELb0ES3_PKS7_PS7_S7_ZZZN2at6native31launch_logcumsumexp_cuda_kernelERKNSE_10TensorBaseESI_lENKUlvE_clEvENKUlvE1_clEvEUlS7_S7_E_S7_EEDaPvRmT3_T4_T5_mT6_P12ihipStream_tbENKUlT_T0_E_clISt17integral_constantIbLb0EESY_IbLb1EEEEDaSU_SV_EUlSU_E0_NS1_11comp_targetILNS1_3genE2ELNS1_11target_archE906ELNS1_3gpuE6ELNS1_3repE0EEENS1_30default_config_static_selectorELNS0_4arch9wavefront6targetE0EEEvT1_,comdat
	.globl	_ZN7rocprim17ROCPRIM_400000_NS6detail17trampoline_kernelINS0_14default_configENS1_20scan_config_selectorIN3c107complexIdEEEEZZNS1_9scan_implILNS1_25lookback_scan_determinismE0ELb0ELb0ES3_PKS7_PS7_S7_ZZZN2at6native31launch_logcumsumexp_cuda_kernelERKNSE_10TensorBaseESI_lENKUlvE_clEvENKUlvE1_clEvEUlS7_S7_E_S7_EEDaPvRmT3_T4_T5_mT6_P12ihipStream_tbENKUlT_T0_E_clISt17integral_constantIbLb0EESY_IbLb1EEEEDaSU_SV_EUlSU_E0_NS1_11comp_targetILNS1_3genE2ELNS1_11target_archE906ELNS1_3gpuE6ELNS1_3repE0EEENS1_30default_config_static_selectorELNS0_4arch9wavefront6targetE0EEEvT1_ ; -- Begin function _ZN7rocprim17ROCPRIM_400000_NS6detail17trampoline_kernelINS0_14default_configENS1_20scan_config_selectorIN3c107complexIdEEEEZZNS1_9scan_implILNS1_25lookback_scan_determinismE0ELb0ELb0ES3_PKS7_PS7_S7_ZZZN2at6native31launch_logcumsumexp_cuda_kernelERKNSE_10TensorBaseESI_lENKUlvE_clEvENKUlvE1_clEvEUlS7_S7_E_S7_EEDaPvRmT3_T4_T5_mT6_P12ihipStream_tbENKUlT_T0_E_clISt17integral_constantIbLb0EESY_IbLb1EEEEDaSU_SV_EUlSU_E0_NS1_11comp_targetILNS1_3genE2ELNS1_11target_archE906ELNS1_3gpuE6ELNS1_3repE0EEENS1_30default_config_static_selectorELNS0_4arch9wavefront6targetE0EEEvT1_
	.p2align	8
	.type	_ZN7rocprim17ROCPRIM_400000_NS6detail17trampoline_kernelINS0_14default_configENS1_20scan_config_selectorIN3c107complexIdEEEEZZNS1_9scan_implILNS1_25lookback_scan_determinismE0ELb0ELb0ES3_PKS7_PS7_S7_ZZZN2at6native31launch_logcumsumexp_cuda_kernelERKNSE_10TensorBaseESI_lENKUlvE_clEvENKUlvE1_clEvEUlS7_S7_E_S7_EEDaPvRmT3_T4_T5_mT6_P12ihipStream_tbENKUlT_T0_E_clISt17integral_constantIbLb0EESY_IbLb1EEEEDaSU_SV_EUlSU_E0_NS1_11comp_targetILNS1_3genE2ELNS1_11target_archE906ELNS1_3gpuE6ELNS1_3repE0EEENS1_30default_config_static_selectorELNS0_4arch9wavefront6targetE0EEEvT1_,@function
_ZN7rocprim17ROCPRIM_400000_NS6detail17trampoline_kernelINS0_14default_configENS1_20scan_config_selectorIN3c107complexIdEEEEZZNS1_9scan_implILNS1_25lookback_scan_determinismE0ELb0ELb0ES3_PKS7_PS7_S7_ZZZN2at6native31launch_logcumsumexp_cuda_kernelERKNSE_10TensorBaseESI_lENKUlvE_clEvENKUlvE1_clEvEUlS7_S7_E_S7_EEDaPvRmT3_T4_T5_mT6_P12ihipStream_tbENKUlT_T0_E_clISt17integral_constantIbLb0EESY_IbLb1EEEEDaSU_SV_EUlSU_E0_NS1_11comp_targetILNS1_3genE2ELNS1_11target_archE906ELNS1_3gpuE6ELNS1_3repE0EEENS1_30default_config_static_selectorELNS0_4arch9wavefront6targetE0EEEvT1_: ; @_ZN7rocprim17ROCPRIM_400000_NS6detail17trampoline_kernelINS0_14default_configENS1_20scan_config_selectorIN3c107complexIdEEEEZZNS1_9scan_implILNS1_25lookback_scan_determinismE0ELb0ELb0ES3_PKS7_PS7_S7_ZZZN2at6native31launch_logcumsumexp_cuda_kernelERKNSE_10TensorBaseESI_lENKUlvE_clEvENKUlvE1_clEvEUlS7_S7_E_S7_EEDaPvRmT3_T4_T5_mT6_P12ihipStream_tbENKUlT_T0_E_clISt17integral_constantIbLb0EESY_IbLb1EEEEDaSU_SV_EUlSU_E0_NS1_11comp_targetILNS1_3genE2ELNS1_11target_archE906ELNS1_3gpuE6ELNS1_3repE0EEENS1_30default_config_static_selectorELNS0_4arch9wavefront6targetE0EEEvT1_
; %bb.0:
	.section	.rodata,"a",@progbits
	.p2align	6, 0x0
	.amdhsa_kernel _ZN7rocprim17ROCPRIM_400000_NS6detail17trampoline_kernelINS0_14default_configENS1_20scan_config_selectorIN3c107complexIdEEEEZZNS1_9scan_implILNS1_25lookback_scan_determinismE0ELb0ELb0ES3_PKS7_PS7_S7_ZZZN2at6native31launch_logcumsumexp_cuda_kernelERKNSE_10TensorBaseESI_lENKUlvE_clEvENKUlvE1_clEvEUlS7_S7_E_S7_EEDaPvRmT3_T4_T5_mT6_P12ihipStream_tbENKUlT_T0_E_clISt17integral_constantIbLb0EESY_IbLb1EEEEDaSU_SV_EUlSU_E0_NS1_11comp_targetILNS1_3genE2ELNS1_11target_archE906ELNS1_3gpuE6ELNS1_3repE0EEENS1_30default_config_static_selectorELNS0_4arch9wavefront6targetE0EEEvT1_
		.amdhsa_group_segment_fixed_size 0
		.amdhsa_private_segment_fixed_size 0
		.amdhsa_kernarg_size 48
		.amdhsa_user_sgpr_count 6
		.amdhsa_user_sgpr_private_segment_buffer 1
		.amdhsa_user_sgpr_dispatch_ptr 0
		.amdhsa_user_sgpr_queue_ptr 0
		.amdhsa_user_sgpr_kernarg_segment_ptr 1
		.amdhsa_user_sgpr_dispatch_id 0
		.amdhsa_user_sgpr_flat_scratch_init 0
		.amdhsa_user_sgpr_private_segment_size 0
		.amdhsa_wavefront_size32 1
		.amdhsa_uses_dynamic_stack 0
		.amdhsa_system_sgpr_private_segment_wavefront_offset 0
		.amdhsa_system_sgpr_workgroup_id_x 1
		.amdhsa_system_sgpr_workgroup_id_y 0
		.amdhsa_system_sgpr_workgroup_id_z 0
		.amdhsa_system_sgpr_workgroup_info 0
		.amdhsa_system_vgpr_workitem_id 0
		.amdhsa_next_free_vgpr 1
		.amdhsa_next_free_sgpr 1
		.amdhsa_reserve_vcc 0
		.amdhsa_reserve_flat_scratch 0
		.amdhsa_float_round_mode_32 0
		.amdhsa_float_round_mode_16_64 0
		.amdhsa_float_denorm_mode_32 3
		.amdhsa_float_denorm_mode_16_64 3
		.amdhsa_dx10_clamp 1
		.amdhsa_ieee_mode 1
		.amdhsa_fp16_overflow 0
		.amdhsa_workgroup_processor_mode 1
		.amdhsa_memory_ordered 1
		.amdhsa_forward_progress 1
		.amdhsa_shared_vgpr_count 0
		.amdhsa_exception_fp_ieee_invalid_op 0
		.amdhsa_exception_fp_denorm_src 0
		.amdhsa_exception_fp_ieee_div_zero 0
		.amdhsa_exception_fp_ieee_overflow 0
		.amdhsa_exception_fp_ieee_underflow 0
		.amdhsa_exception_fp_ieee_inexact 0
		.amdhsa_exception_int_div_zero 0
	.end_amdhsa_kernel
	.section	.text._ZN7rocprim17ROCPRIM_400000_NS6detail17trampoline_kernelINS0_14default_configENS1_20scan_config_selectorIN3c107complexIdEEEEZZNS1_9scan_implILNS1_25lookback_scan_determinismE0ELb0ELb0ES3_PKS7_PS7_S7_ZZZN2at6native31launch_logcumsumexp_cuda_kernelERKNSE_10TensorBaseESI_lENKUlvE_clEvENKUlvE1_clEvEUlS7_S7_E_S7_EEDaPvRmT3_T4_T5_mT6_P12ihipStream_tbENKUlT_T0_E_clISt17integral_constantIbLb0EESY_IbLb1EEEEDaSU_SV_EUlSU_E0_NS1_11comp_targetILNS1_3genE2ELNS1_11target_archE906ELNS1_3gpuE6ELNS1_3repE0EEENS1_30default_config_static_selectorELNS0_4arch9wavefront6targetE0EEEvT1_,"axG",@progbits,_ZN7rocprim17ROCPRIM_400000_NS6detail17trampoline_kernelINS0_14default_configENS1_20scan_config_selectorIN3c107complexIdEEEEZZNS1_9scan_implILNS1_25lookback_scan_determinismE0ELb0ELb0ES3_PKS7_PS7_S7_ZZZN2at6native31launch_logcumsumexp_cuda_kernelERKNSE_10TensorBaseESI_lENKUlvE_clEvENKUlvE1_clEvEUlS7_S7_E_S7_EEDaPvRmT3_T4_T5_mT6_P12ihipStream_tbENKUlT_T0_E_clISt17integral_constantIbLb0EESY_IbLb1EEEEDaSU_SV_EUlSU_E0_NS1_11comp_targetILNS1_3genE2ELNS1_11target_archE906ELNS1_3gpuE6ELNS1_3repE0EEENS1_30default_config_static_selectorELNS0_4arch9wavefront6targetE0EEEvT1_,comdat
.Lfunc_end254:
	.size	_ZN7rocprim17ROCPRIM_400000_NS6detail17trampoline_kernelINS0_14default_configENS1_20scan_config_selectorIN3c107complexIdEEEEZZNS1_9scan_implILNS1_25lookback_scan_determinismE0ELb0ELb0ES3_PKS7_PS7_S7_ZZZN2at6native31launch_logcumsumexp_cuda_kernelERKNSE_10TensorBaseESI_lENKUlvE_clEvENKUlvE1_clEvEUlS7_S7_E_S7_EEDaPvRmT3_T4_T5_mT6_P12ihipStream_tbENKUlT_T0_E_clISt17integral_constantIbLb0EESY_IbLb1EEEEDaSU_SV_EUlSU_E0_NS1_11comp_targetILNS1_3genE2ELNS1_11target_archE906ELNS1_3gpuE6ELNS1_3repE0EEENS1_30default_config_static_selectorELNS0_4arch9wavefront6targetE0EEEvT1_, .Lfunc_end254-_ZN7rocprim17ROCPRIM_400000_NS6detail17trampoline_kernelINS0_14default_configENS1_20scan_config_selectorIN3c107complexIdEEEEZZNS1_9scan_implILNS1_25lookback_scan_determinismE0ELb0ELb0ES3_PKS7_PS7_S7_ZZZN2at6native31launch_logcumsumexp_cuda_kernelERKNSE_10TensorBaseESI_lENKUlvE_clEvENKUlvE1_clEvEUlS7_S7_E_S7_EEDaPvRmT3_T4_T5_mT6_P12ihipStream_tbENKUlT_T0_E_clISt17integral_constantIbLb0EESY_IbLb1EEEEDaSU_SV_EUlSU_E0_NS1_11comp_targetILNS1_3genE2ELNS1_11target_archE906ELNS1_3gpuE6ELNS1_3repE0EEENS1_30default_config_static_selectorELNS0_4arch9wavefront6targetE0EEEvT1_
                                        ; -- End function
	.set _ZN7rocprim17ROCPRIM_400000_NS6detail17trampoline_kernelINS0_14default_configENS1_20scan_config_selectorIN3c107complexIdEEEEZZNS1_9scan_implILNS1_25lookback_scan_determinismE0ELb0ELb0ES3_PKS7_PS7_S7_ZZZN2at6native31launch_logcumsumexp_cuda_kernelERKNSE_10TensorBaseESI_lENKUlvE_clEvENKUlvE1_clEvEUlS7_S7_E_S7_EEDaPvRmT3_T4_T5_mT6_P12ihipStream_tbENKUlT_T0_E_clISt17integral_constantIbLb0EESY_IbLb1EEEEDaSU_SV_EUlSU_E0_NS1_11comp_targetILNS1_3genE2ELNS1_11target_archE906ELNS1_3gpuE6ELNS1_3repE0EEENS1_30default_config_static_selectorELNS0_4arch9wavefront6targetE0EEEvT1_.num_vgpr, 0
	.set _ZN7rocprim17ROCPRIM_400000_NS6detail17trampoline_kernelINS0_14default_configENS1_20scan_config_selectorIN3c107complexIdEEEEZZNS1_9scan_implILNS1_25lookback_scan_determinismE0ELb0ELb0ES3_PKS7_PS7_S7_ZZZN2at6native31launch_logcumsumexp_cuda_kernelERKNSE_10TensorBaseESI_lENKUlvE_clEvENKUlvE1_clEvEUlS7_S7_E_S7_EEDaPvRmT3_T4_T5_mT6_P12ihipStream_tbENKUlT_T0_E_clISt17integral_constantIbLb0EESY_IbLb1EEEEDaSU_SV_EUlSU_E0_NS1_11comp_targetILNS1_3genE2ELNS1_11target_archE906ELNS1_3gpuE6ELNS1_3repE0EEENS1_30default_config_static_selectorELNS0_4arch9wavefront6targetE0EEEvT1_.num_agpr, 0
	.set _ZN7rocprim17ROCPRIM_400000_NS6detail17trampoline_kernelINS0_14default_configENS1_20scan_config_selectorIN3c107complexIdEEEEZZNS1_9scan_implILNS1_25lookback_scan_determinismE0ELb0ELb0ES3_PKS7_PS7_S7_ZZZN2at6native31launch_logcumsumexp_cuda_kernelERKNSE_10TensorBaseESI_lENKUlvE_clEvENKUlvE1_clEvEUlS7_S7_E_S7_EEDaPvRmT3_T4_T5_mT6_P12ihipStream_tbENKUlT_T0_E_clISt17integral_constantIbLb0EESY_IbLb1EEEEDaSU_SV_EUlSU_E0_NS1_11comp_targetILNS1_3genE2ELNS1_11target_archE906ELNS1_3gpuE6ELNS1_3repE0EEENS1_30default_config_static_selectorELNS0_4arch9wavefront6targetE0EEEvT1_.numbered_sgpr, 0
	.set _ZN7rocprim17ROCPRIM_400000_NS6detail17trampoline_kernelINS0_14default_configENS1_20scan_config_selectorIN3c107complexIdEEEEZZNS1_9scan_implILNS1_25lookback_scan_determinismE0ELb0ELb0ES3_PKS7_PS7_S7_ZZZN2at6native31launch_logcumsumexp_cuda_kernelERKNSE_10TensorBaseESI_lENKUlvE_clEvENKUlvE1_clEvEUlS7_S7_E_S7_EEDaPvRmT3_T4_T5_mT6_P12ihipStream_tbENKUlT_T0_E_clISt17integral_constantIbLb0EESY_IbLb1EEEEDaSU_SV_EUlSU_E0_NS1_11comp_targetILNS1_3genE2ELNS1_11target_archE906ELNS1_3gpuE6ELNS1_3repE0EEENS1_30default_config_static_selectorELNS0_4arch9wavefront6targetE0EEEvT1_.num_named_barrier, 0
	.set _ZN7rocprim17ROCPRIM_400000_NS6detail17trampoline_kernelINS0_14default_configENS1_20scan_config_selectorIN3c107complexIdEEEEZZNS1_9scan_implILNS1_25lookback_scan_determinismE0ELb0ELb0ES3_PKS7_PS7_S7_ZZZN2at6native31launch_logcumsumexp_cuda_kernelERKNSE_10TensorBaseESI_lENKUlvE_clEvENKUlvE1_clEvEUlS7_S7_E_S7_EEDaPvRmT3_T4_T5_mT6_P12ihipStream_tbENKUlT_T0_E_clISt17integral_constantIbLb0EESY_IbLb1EEEEDaSU_SV_EUlSU_E0_NS1_11comp_targetILNS1_3genE2ELNS1_11target_archE906ELNS1_3gpuE6ELNS1_3repE0EEENS1_30default_config_static_selectorELNS0_4arch9wavefront6targetE0EEEvT1_.private_seg_size, 0
	.set _ZN7rocprim17ROCPRIM_400000_NS6detail17trampoline_kernelINS0_14default_configENS1_20scan_config_selectorIN3c107complexIdEEEEZZNS1_9scan_implILNS1_25lookback_scan_determinismE0ELb0ELb0ES3_PKS7_PS7_S7_ZZZN2at6native31launch_logcumsumexp_cuda_kernelERKNSE_10TensorBaseESI_lENKUlvE_clEvENKUlvE1_clEvEUlS7_S7_E_S7_EEDaPvRmT3_T4_T5_mT6_P12ihipStream_tbENKUlT_T0_E_clISt17integral_constantIbLb0EESY_IbLb1EEEEDaSU_SV_EUlSU_E0_NS1_11comp_targetILNS1_3genE2ELNS1_11target_archE906ELNS1_3gpuE6ELNS1_3repE0EEENS1_30default_config_static_selectorELNS0_4arch9wavefront6targetE0EEEvT1_.uses_vcc, 0
	.set _ZN7rocprim17ROCPRIM_400000_NS6detail17trampoline_kernelINS0_14default_configENS1_20scan_config_selectorIN3c107complexIdEEEEZZNS1_9scan_implILNS1_25lookback_scan_determinismE0ELb0ELb0ES3_PKS7_PS7_S7_ZZZN2at6native31launch_logcumsumexp_cuda_kernelERKNSE_10TensorBaseESI_lENKUlvE_clEvENKUlvE1_clEvEUlS7_S7_E_S7_EEDaPvRmT3_T4_T5_mT6_P12ihipStream_tbENKUlT_T0_E_clISt17integral_constantIbLb0EESY_IbLb1EEEEDaSU_SV_EUlSU_E0_NS1_11comp_targetILNS1_3genE2ELNS1_11target_archE906ELNS1_3gpuE6ELNS1_3repE0EEENS1_30default_config_static_selectorELNS0_4arch9wavefront6targetE0EEEvT1_.uses_flat_scratch, 0
	.set _ZN7rocprim17ROCPRIM_400000_NS6detail17trampoline_kernelINS0_14default_configENS1_20scan_config_selectorIN3c107complexIdEEEEZZNS1_9scan_implILNS1_25lookback_scan_determinismE0ELb0ELb0ES3_PKS7_PS7_S7_ZZZN2at6native31launch_logcumsumexp_cuda_kernelERKNSE_10TensorBaseESI_lENKUlvE_clEvENKUlvE1_clEvEUlS7_S7_E_S7_EEDaPvRmT3_T4_T5_mT6_P12ihipStream_tbENKUlT_T0_E_clISt17integral_constantIbLb0EESY_IbLb1EEEEDaSU_SV_EUlSU_E0_NS1_11comp_targetILNS1_3genE2ELNS1_11target_archE906ELNS1_3gpuE6ELNS1_3repE0EEENS1_30default_config_static_selectorELNS0_4arch9wavefront6targetE0EEEvT1_.has_dyn_sized_stack, 0
	.set _ZN7rocprim17ROCPRIM_400000_NS6detail17trampoline_kernelINS0_14default_configENS1_20scan_config_selectorIN3c107complexIdEEEEZZNS1_9scan_implILNS1_25lookback_scan_determinismE0ELb0ELb0ES3_PKS7_PS7_S7_ZZZN2at6native31launch_logcumsumexp_cuda_kernelERKNSE_10TensorBaseESI_lENKUlvE_clEvENKUlvE1_clEvEUlS7_S7_E_S7_EEDaPvRmT3_T4_T5_mT6_P12ihipStream_tbENKUlT_T0_E_clISt17integral_constantIbLb0EESY_IbLb1EEEEDaSU_SV_EUlSU_E0_NS1_11comp_targetILNS1_3genE2ELNS1_11target_archE906ELNS1_3gpuE6ELNS1_3repE0EEENS1_30default_config_static_selectorELNS0_4arch9wavefront6targetE0EEEvT1_.has_recursion, 0
	.set _ZN7rocprim17ROCPRIM_400000_NS6detail17trampoline_kernelINS0_14default_configENS1_20scan_config_selectorIN3c107complexIdEEEEZZNS1_9scan_implILNS1_25lookback_scan_determinismE0ELb0ELb0ES3_PKS7_PS7_S7_ZZZN2at6native31launch_logcumsumexp_cuda_kernelERKNSE_10TensorBaseESI_lENKUlvE_clEvENKUlvE1_clEvEUlS7_S7_E_S7_EEDaPvRmT3_T4_T5_mT6_P12ihipStream_tbENKUlT_T0_E_clISt17integral_constantIbLb0EESY_IbLb1EEEEDaSU_SV_EUlSU_E0_NS1_11comp_targetILNS1_3genE2ELNS1_11target_archE906ELNS1_3gpuE6ELNS1_3repE0EEENS1_30default_config_static_selectorELNS0_4arch9wavefront6targetE0EEEvT1_.has_indirect_call, 0
	.section	.AMDGPU.csdata,"",@progbits
; Kernel info:
; codeLenInByte = 0
; TotalNumSgprs: 0
; NumVgprs: 0
; ScratchSize: 0
; MemoryBound: 0
; FloatMode: 240
; IeeeMode: 1
; LDSByteSize: 0 bytes/workgroup (compile time only)
; SGPRBlocks: 0
; VGPRBlocks: 0
; NumSGPRsForWavesPerEU: 1
; NumVGPRsForWavesPerEU: 1
; Occupancy: 16
; WaveLimiterHint : 0
; COMPUTE_PGM_RSRC2:SCRATCH_EN: 0
; COMPUTE_PGM_RSRC2:USER_SGPR: 6
; COMPUTE_PGM_RSRC2:TRAP_HANDLER: 0
; COMPUTE_PGM_RSRC2:TGID_X_EN: 1
; COMPUTE_PGM_RSRC2:TGID_Y_EN: 0
; COMPUTE_PGM_RSRC2:TGID_Z_EN: 0
; COMPUTE_PGM_RSRC2:TIDIG_COMP_CNT: 0
	.section	.text._ZN7rocprim17ROCPRIM_400000_NS6detail17trampoline_kernelINS0_14default_configENS1_20scan_config_selectorIN3c107complexIdEEEEZZNS1_9scan_implILNS1_25lookback_scan_determinismE0ELb0ELb0ES3_PKS7_PS7_S7_ZZZN2at6native31launch_logcumsumexp_cuda_kernelERKNSE_10TensorBaseESI_lENKUlvE_clEvENKUlvE1_clEvEUlS7_S7_E_S7_EEDaPvRmT3_T4_T5_mT6_P12ihipStream_tbENKUlT_T0_E_clISt17integral_constantIbLb0EESY_IbLb1EEEEDaSU_SV_EUlSU_E0_NS1_11comp_targetILNS1_3genE10ELNS1_11target_archE1201ELNS1_3gpuE5ELNS1_3repE0EEENS1_30default_config_static_selectorELNS0_4arch9wavefront6targetE0EEEvT1_,"axG",@progbits,_ZN7rocprim17ROCPRIM_400000_NS6detail17trampoline_kernelINS0_14default_configENS1_20scan_config_selectorIN3c107complexIdEEEEZZNS1_9scan_implILNS1_25lookback_scan_determinismE0ELb0ELb0ES3_PKS7_PS7_S7_ZZZN2at6native31launch_logcumsumexp_cuda_kernelERKNSE_10TensorBaseESI_lENKUlvE_clEvENKUlvE1_clEvEUlS7_S7_E_S7_EEDaPvRmT3_T4_T5_mT6_P12ihipStream_tbENKUlT_T0_E_clISt17integral_constantIbLb0EESY_IbLb1EEEEDaSU_SV_EUlSU_E0_NS1_11comp_targetILNS1_3genE10ELNS1_11target_archE1201ELNS1_3gpuE5ELNS1_3repE0EEENS1_30default_config_static_selectorELNS0_4arch9wavefront6targetE0EEEvT1_,comdat
	.globl	_ZN7rocprim17ROCPRIM_400000_NS6detail17trampoline_kernelINS0_14default_configENS1_20scan_config_selectorIN3c107complexIdEEEEZZNS1_9scan_implILNS1_25lookback_scan_determinismE0ELb0ELb0ES3_PKS7_PS7_S7_ZZZN2at6native31launch_logcumsumexp_cuda_kernelERKNSE_10TensorBaseESI_lENKUlvE_clEvENKUlvE1_clEvEUlS7_S7_E_S7_EEDaPvRmT3_T4_T5_mT6_P12ihipStream_tbENKUlT_T0_E_clISt17integral_constantIbLb0EESY_IbLb1EEEEDaSU_SV_EUlSU_E0_NS1_11comp_targetILNS1_3genE10ELNS1_11target_archE1201ELNS1_3gpuE5ELNS1_3repE0EEENS1_30default_config_static_selectorELNS0_4arch9wavefront6targetE0EEEvT1_ ; -- Begin function _ZN7rocprim17ROCPRIM_400000_NS6detail17trampoline_kernelINS0_14default_configENS1_20scan_config_selectorIN3c107complexIdEEEEZZNS1_9scan_implILNS1_25lookback_scan_determinismE0ELb0ELb0ES3_PKS7_PS7_S7_ZZZN2at6native31launch_logcumsumexp_cuda_kernelERKNSE_10TensorBaseESI_lENKUlvE_clEvENKUlvE1_clEvEUlS7_S7_E_S7_EEDaPvRmT3_T4_T5_mT6_P12ihipStream_tbENKUlT_T0_E_clISt17integral_constantIbLb0EESY_IbLb1EEEEDaSU_SV_EUlSU_E0_NS1_11comp_targetILNS1_3genE10ELNS1_11target_archE1201ELNS1_3gpuE5ELNS1_3repE0EEENS1_30default_config_static_selectorELNS0_4arch9wavefront6targetE0EEEvT1_
	.p2align	8
	.type	_ZN7rocprim17ROCPRIM_400000_NS6detail17trampoline_kernelINS0_14default_configENS1_20scan_config_selectorIN3c107complexIdEEEEZZNS1_9scan_implILNS1_25lookback_scan_determinismE0ELb0ELb0ES3_PKS7_PS7_S7_ZZZN2at6native31launch_logcumsumexp_cuda_kernelERKNSE_10TensorBaseESI_lENKUlvE_clEvENKUlvE1_clEvEUlS7_S7_E_S7_EEDaPvRmT3_T4_T5_mT6_P12ihipStream_tbENKUlT_T0_E_clISt17integral_constantIbLb0EESY_IbLb1EEEEDaSU_SV_EUlSU_E0_NS1_11comp_targetILNS1_3genE10ELNS1_11target_archE1201ELNS1_3gpuE5ELNS1_3repE0EEENS1_30default_config_static_selectorELNS0_4arch9wavefront6targetE0EEEvT1_,@function
_ZN7rocprim17ROCPRIM_400000_NS6detail17trampoline_kernelINS0_14default_configENS1_20scan_config_selectorIN3c107complexIdEEEEZZNS1_9scan_implILNS1_25lookback_scan_determinismE0ELb0ELb0ES3_PKS7_PS7_S7_ZZZN2at6native31launch_logcumsumexp_cuda_kernelERKNSE_10TensorBaseESI_lENKUlvE_clEvENKUlvE1_clEvEUlS7_S7_E_S7_EEDaPvRmT3_T4_T5_mT6_P12ihipStream_tbENKUlT_T0_E_clISt17integral_constantIbLb0EESY_IbLb1EEEEDaSU_SV_EUlSU_E0_NS1_11comp_targetILNS1_3genE10ELNS1_11target_archE1201ELNS1_3gpuE5ELNS1_3repE0EEENS1_30default_config_static_selectorELNS0_4arch9wavefront6targetE0EEEvT1_: ; @_ZN7rocprim17ROCPRIM_400000_NS6detail17trampoline_kernelINS0_14default_configENS1_20scan_config_selectorIN3c107complexIdEEEEZZNS1_9scan_implILNS1_25lookback_scan_determinismE0ELb0ELb0ES3_PKS7_PS7_S7_ZZZN2at6native31launch_logcumsumexp_cuda_kernelERKNSE_10TensorBaseESI_lENKUlvE_clEvENKUlvE1_clEvEUlS7_S7_E_S7_EEDaPvRmT3_T4_T5_mT6_P12ihipStream_tbENKUlT_T0_E_clISt17integral_constantIbLb0EESY_IbLb1EEEEDaSU_SV_EUlSU_E0_NS1_11comp_targetILNS1_3genE10ELNS1_11target_archE1201ELNS1_3gpuE5ELNS1_3repE0EEENS1_30default_config_static_selectorELNS0_4arch9wavefront6targetE0EEEvT1_
; %bb.0:
	.section	.rodata,"a",@progbits
	.p2align	6, 0x0
	.amdhsa_kernel _ZN7rocprim17ROCPRIM_400000_NS6detail17trampoline_kernelINS0_14default_configENS1_20scan_config_selectorIN3c107complexIdEEEEZZNS1_9scan_implILNS1_25lookback_scan_determinismE0ELb0ELb0ES3_PKS7_PS7_S7_ZZZN2at6native31launch_logcumsumexp_cuda_kernelERKNSE_10TensorBaseESI_lENKUlvE_clEvENKUlvE1_clEvEUlS7_S7_E_S7_EEDaPvRmT3_T4_T5_mT6_P12ihipStream_tbENKUlT_T0_E_clISt17integral_constantIbLb0EESY_IbLb1EEEEDaSU_SV_EUlSU_E0_NS1_11comp_targetILNS1_3genE10ELNS1_11target_archE1201ELNS1_3gpuE5ELNS1_3repE0EEENS1_30default_config_static_selectorELNS0_4arch9wavefront6targetE0EEEvT1_
		.amdhsa_group_segment_fixed_size 0
		.amdhsa_private_segment_fixed_size 0
		.amdhsa_kernarg_size 48
		.amdhsa_user_sgpr_count 6
		.amdhsa_user_sgpr_private_segment_buffer 1
		.amdhsa_user_sgpr_dispatch_ptr 0
		.amdhsa_user_sgpr_queue_ptr 0
		.amdhsa_user_sgpr_kernarg_segment_ptr 1
		.amdhsa_user_sgpr_dispatch_id 0
		.amdhsa_user_sgpr_flat_scratch_init 0
		.amdhsa_user_sgpr_private_segment_size 0
		.amdhsa_wavefront_size32 1
		.amdhsa_uses_dynamic_stack 0
		.amdhsa_system_sgpr_private_segment_wavefront_offset 0
		.amdhsa_system_sgpr_workgroup_id_x 1
		.amdhsa_system_sgpr_workgroup_id_y 0
		.amdhsa_system_sgpr_workgroup_id_z 0
		.amdhsa_system_sgpr_workgroup_info 0
		.amdhsa_system_vgpr_workitem_id 0
		.amdhsa_next_free_vgpr 1
		.amdhsa_next_free_sgpr 1
		.amdhsa_reserve_vcc 0
		.amdhsa_reserve_flat_scratch 0
		.amdhsa_float_round_mode_32 0
		.amdhsa_float_round_mode_16_64 0
		.amdhsa_float_denorm_mode_32 3
		.amdhsa_float_denorm_mode_16_64 3
		.amdhsa_dx10_clamp 1
		.amdhsa_ieee_mode 1
		.amdhsa_fp16_overflow 0
		.amdhsa_workgroup_processor_mode 1
		.amdhsa_memory_ordered 1
		.amdhsa_forward_progress 1
		.amdhsa_shared_vgpr_count 0
		.amdhsa_exception_fp_ieee_invalid_op 0
		.amdhsa_exception_fp_denorm_src 0
		.amdhsa_exception_fp_ieee_div_zero 0
		.amdhsa_exception_fp_ieee_overflow 0
		.amdhsa_exception_fp_ieee_underflow 0
		.amdhsa_exception_fp_ieee_inexact 0
		.amdhsa_exception_int_div_zero 0
	.end_amdhsa_kernel
	.section	.text._ZN7rocprim17ROCPRIM_400000_NS6detail17trampoline_kernelINS0_14default_configENS1_20scan_config_selectorIN3c107complexIdEEEEZZNS1_9scan_implILNS1_25lookback_scan_determinismE0ELb0ELb0ES3_PKS7_PS7_S7_ZZZN2at6native31launch_logcumsumexp_cuda_kernelERKNSE_10TensorBaseESI_lENKUlvE_clEvENKUlvE1_clEvEUlS7_S7_E_S7_EEDaPvRmT3_T4_T5_mT6_P12ihipStream_tbENKUlT_T0_E_clISt17integral_constantIbLb0EESY_IbLb1EEEEDaSU_SV_EUlSU_E0_NS1_11comp_targetILNS1_3genE10ELNS1_11target_archE1201ELNS1_3gpuE5ELNS1_3repE0EEENS1_30default_config_static_selectorELNS0_4arch9wavefront6targetE0EEEvT1_,"axG",@progbits,_ZN7rocprim17ROCPRIM_400000_NS6detail17trampoline_kernelINS0_14default_configENS1_20scan_config_selectorIN3c107complexIdEEEEZZNS1_9scan_implILNS1_25lookback_scan_determinismE0ELb0ELb0ES3_PKS7_PS7_S7_ZZZN2at6native31launch_logcumsumexp_cuda_kernelERKNSE_10TensorBaseESI_lENKUlvE_clEvENKUlvE1_clEvEUlS7_S7_E_S7_EEDaPvRmT3_T4_T5_mT6_P12ihipStream_tbENKUlT_T0_E_clISt17integral_constantIbLb0EESY_IbLb1EEEEDaSU_SV_EUlSU_E0_NS1_11comp_targetILNS1_3genE10ELNS1_11target_archE1201ELNS1_3gpuE5ELNS1_3repE0EEENS1_30default_config_static_selectorELNS0_4arch9wavefront6targetE0EEEvT1_,comdat
.Lfunc_end255:
	.size	_ZN7rocprim17ROCPRIM_400000_NS6detail17trampoline_kernelINS0_14default_configENS1_20scan_config_selectorIN3c107complexIdEEEEZZNS1_9scan_implILNS1_25lookback_scan_determinismE0ELb0ELb0ES3_PKS7_PS7_S7_ZZZN2at6native31launch_logcumsumexp_cuda_kernelERKNSE_10TensorBaseESI_lENKUlvE_clEvENKUlvE1_clEvEUlS7_S7_E_S7_EEDaPvRmT3_T4_T5_mT6_P12ihipStream_tbENKUlT_T0_E_clISt17integral_constantIbLb0EESY_IbLb1EEEEDaSU_SV_EUlSU_E0_NS1_11comp_targetILNS1_3genE10ELNS1_11target_archE1201ELNS1_3gpuE5ELNS1_3repE0EEENS1_30default_config_static_selectorELNS0_4arch9wavefront6targetE0EEEvT1_, .Lfunc_end255-_ZN7rocprim17ROCPRIM_400000_NS6detail17trampoline_kernelINS0_14default_configENS1_20scan_config_selectorIN3c107complexIdEEEEZZNS1_9scan_implILNS1_25lookback_scan_determinismE0ELb0ELb0ES3_PKS7_PS7_S7_ZZZN2at6native31launch_logcumsumexp_cuda_kernelERKNSE_10TensorBaseESI_lENKUlvE_clEvENKUlvE1_clEvEUlS7_S7_E_S7_EEDaPvRmT3_T4_T5_mT6_P12ihipStream_tbENKUlT_T0_E_clISt17integral_constantIbLb0EESY_IbLb1EEEEDaSU_SV_EUlSU_E0_NS1_11comp_targetILNS1_3genE10ELNS1_11target_archE1201ELNS1_3gpuE5ELNS1_3repE0EEENS1_30default_config_static_selectorELNS0_4arch9wavefront6targetE0EEEvT1_
                                        ; -- End function
	.set _ZN7rocprim17ROCPRIM_400000_NS6detail17trampoline_kernelINS0_14default_configENS1_20scan_config_selectorIN3c107complexIdEEEEZZNS1_9scan_implILNS1_25lookback_scan_determinismE0ELb0ELb0ES3_PKS7_PS7_S7_ZZZN2at6native31launch_logcumsumexp_cuda_kernelERKNSE_10TensorBaseESI_lENKUlvE_clEvENKUlvE1_clEvEUlS7_S7_E_S7_EEDaPvRmT3_T4_T5_mT6_P12ihipStream_tbENKUlT_T0_E_clISt17integral_constantIbLb0EESY_IbLb1EEEEDaSU_SV_EUlSU_E0_NS1_11comp_targetILNS1_3genE10ELNS1_11target_archE1201ELNS1_3gpuE5ELNS1_3repE0EEENS1_30default_config_static_selectorELNS0_4arch9wavefront6targetE0EEEvT1_.num_vgpr, 0
	.set _ZN7rocprim17ROCPRIM_400000_NS6detail17trampoline_kernelINS0_14default_configENS1_20scan_config_selectorIN3c107complexIdEEEEZZNS1_9scan_implILNS1_25lookback_scan_determinismE0ELb0ELb0ES3_PKS7_PS7_S7_ZZZN2at6native31launch_logcumsumexp_cuda_kernelERKNSE_10TensorBaseESI_lENKUlvE_clEvENKUlvE1_clEvEUlS7_S7_E_S7_EEDaPvRmT3_T4_T5_mT6_P12ihipStream_tbENKUlT_T0_E_clISt17integral_constantIbLb0EESY_IbLb1EEEEDaSU_SV_EUlSU_E0_NS1_11comp_targetILNS1_3genE10ELNS1_11target_archE1201ELNS1_3gpuE5ELNS1_3repE0EEENS1_30default_config_static_selectorELNS0_4arch9wavefront6targetE0EEEvT1_.num_agpr, 0
	.set _ZN7rocprim17ROCPRIM_400000_NS6detail17trampoline_kernelINS0_14default_configENS1_20scan_config_selectorIN3c107complexIdEEEEZZNS1_9scan_implILNS1_25lookback_scan_determinismE0ELb0ELb0ES3_PKS7_PS7_S7_ZZZN2at6native31launch_logcumsumexp_cuda_kernelERKNSE_10TensorBaseESI_lENKUlvE_clEvENKUlvE1_clEvEUlS7_S7_E_S7_EEDaPvRmT3_T4_T5_mT6_P12ihipStream_tbENKUlT_T0_E_clISt17integral_constantIbLb0EESY_IbLb1EEEEDaSU_SV_EUlSU_E0_NS1_11comp_targetILNS1_3genE10ELNS1_11target_archE1201ELNS1_3gpuE5ELNS1_3repE0EEENS1_30default_config_static_selectorELNS0_4arch9wavefront6targetE0EEEvT1_.numbered_sgpr, 0
	.set _ZN7rocprim17ROCPRIM_400000_NS6detail17trampoline_kernelINS0_14default_configENS1_20scan_config_selectorIN3c107complexIdEEEEZZNS1_9scan_implILNS1_25lookback_scan_determinismE0ELb0ELb0ES3_PKS7_PS7_S7_ZZZN2at6native31launch_logcumsumexp_cuda_kernelERKNSE_10TensorBaseESI_lENKUlvE_clEvENKUlvE1_clEvEUlS7_S7_E_S7_EEDaPvRmT3_T4_T5_mT6_P12ihipStream_tbENKUlT_T0_E_clISt17integral_constantIbLb0EESY_IbLb1EEEEDaSU_SV_EUlSU_E0_NS1_11comp_targetILNS1_3genE10ELNS1_11target_archE1201ELNS1_3gpuE5ELNS1_3repE0EEENS1_30default_config_static_selectorELNS0_4arch9wavefront6targetE0EEEvT1_.num_named_barrier, 0
	.set _ZN7rocprim17ROCPRIM_400000_NS6detail17trampoline_kernelINS0_14default_configENS1_20scan_config_selectorIN3c107complexIdEEEEZZNS1_9scan_implILNS1_25lookback_scan_determinismE0ELb0ELb0ES3_PKS7_PS7_S7_ZZZN2at6native31launch_logcumsumexp_cuda_kernelERKNSE_10TensorBaseESI_lENKUlvE_clEvENKUlvE1_clEvEUlS7_S7_E_S7_EEDaPvRmT3_T4_T5_mT6_P12ihipStream_tbENKUlT_T0_E_clISt17integral_constantIbLb0EESY_IbLb1EEEEDaSU_SV_EUlSU_E0_NS1_11comp_targetILNS1_3genE10ELNS1_11target_archE1201ELNS1_3gpuE5ELNS1_3repE0EEENS1_30default_config_static_selectorELNS0_4arch9wavefront6targetE0EEEvT1_.private_seg_size, 0
	.set _ZN7rocprim17ROCPRIM_400000_NS6detail17trampoline_kernelINS0_14default_configENS1_20scan_config_selectorIN3c107complexIdEEEEZZNS1_9scan_implILNS1_25lookback_scan_determinismE0ELb0ELb0ES3_PKS7_PS7_S7_ZZZN2at6native31launch_logcumsumexp_cuda_kernelERKNSE_10TensorBaseESI_lENKUlvE_clEvENKUlvE1_clEvEUlS7_S7_E_S7_EEDaPvRmT3_T4_T5_mT6_P12ihipStream_tbENKUlT_T0_E_clISt17integral_constantIbLb0EESY_IbLb1EEEEDaSU_SV_EUlSU_E0_NS1_11comp_targetILNS1_3genE10ELNS1_11target_archE1201ELNS1_3gpuE5ELNS1_3repE0EEENS1_30default_config_static_selectorELNS0_4arch9wavefront6targetE0EEEvT1_.uses_vcc, 0
	.set _ZN7rocprim17ROCPRIM_400000_NS6detail17trampoline_kernelINS0_14default_configENS1_20scan_config_selectorIN3c107complexIdEEEEZZNS1_9scan_implILNS1_25lookback_scan_determinismE0ELb0ELb0ES3_PKS7_PS7_S7_ZZZN2at6native31launch_logcumsumexp_cuda_kernelERKNSE_10TensorBaseESI_lENKUlvE_clEvENKUlvE1_clEvEUlS7_S7_E_S7_EEDaPvRmT3_T4_T5_mT6_P12ihipStream_tbENKUlT_T0_E_clISt17integral_constantIbLb0EESY_IbLb1EEEEDaSU_SV_EUlSU_E0_NS1_11comp_targetILNS1_3genE10ELNS1_11target_archE1201ELNS1_3gpuE5ELNS1_3repE0EEENS1_30default_config_static_selectorELNS0_4arch9wavefront6targetE0EEEvT1_.uses_flat_scratch, 0
	.set _ZN7rocprim17ROCPRIM_400000_NS6detail17trampoline_kernelINS0_14default_configENS1_20scan_config_selectorIN3c107complexIdEEEEZZNS1_9scan_implILNS1_25lookback_scan_determinismE0ELb0ELb0ES3_PKS7_PS7_S7_ZZZN2at6native31launch_logcumsumexp_cuda_kernelERKNSE_10TensorBaseESI_lENKUlvE_clEvENKUlvE1_clEvEUlS7_S7_E_S7_EEDaPvRmT3_T4_T5_mT6_P12ihipStream_tbENKUlT_T0_E_clISt17integral_constantIbLb0EESY_IbLb1EEEEDaSU_SV_EUlSU_E0_NS1_11comp_targetILNS1_3genE10ELNS1_11target_archE1201ELNS1_3gpuE5ELNS1_3repE0EEENS1_30default_config_static_selectorELNS0_4arch9wavefront6targetE0EEEvT1_.has_dyn_sized_stack, 0
	.set _ZN7rocprim17ROCPRIM_400000_NS6detail17trampoline_kernelINS0_14default_configENS1_20scan_config_selectorIN3c107complexIdEEEEZZNS1_9scan_implILNS1_25lookback_scan_determinismE0ELb0ELb0ES3_PKS7_PS7_S7_ZZZN2at6native31launch_logcumsumexp_cuda_kernelERKNSE_10TensorBaseESI_lENKUlvE_clEvENKUlvE1_clEvEUlS7_S7_E_S7_EEDaPvRmT3_T4_T5_mT6_P12ihipStream_tbENKUlT_T0_E_clISt17integral_constantIbLb0EESY_IbLb1EEEEDaSU_SV_EUlSU_E0_NS1_11comp_targetILNS1_3genE10ELNS1_11target_archE1201ELNS1_3gpuE5ELNS1_3repE0EEENS1_30default_config_static_selectorELNS0_4arch9wavefront6targetE0EEEvT1_.has_recursion, 0
	.set _ZN7rocprim17ROCPRIM_400000_NS6detail17trampoline_kernelINS0_14default_configENS1_20scan_config_selectorIN3c107complexIdEEEEZZNS1_9scan_implILNS1_25lookback_scan_determinismE0ELb0ELb0ES3_PKS7_PS7_S7_ZZZN2at6native31launch_logcumsumexp_cuda_kernelERKNSE_10TensorBaseESI_lENKUlvE_clEvENKUlvE1_clEvEUlS7_S7_E_S7_EEDaPvRmT3_T4_T5_mT6_P12ihipStream_tbENKUlT_T0_E_clISt17integral_constantIbLb0EESY_IbLb1EEEEDaSU_SV_EUlSU_E0_NS1_11comp_targetILNS1_3genE10ELNS1_11target_archE1201ELNS1_3gpuE5ELNS1_3repE0EEENS1_30default_config_static_selectorELNS0_4arch9wavefront6targetE0EEEvT1_.has_indirect_call, 0
	.section	.AMDGPU.csdata,"",@progbits
; Kernel info:
; codeLenInByte = 0
; TotalNumSgprs: 0
; NumVgprs: 0
; ScratchSize: 0
; MemoryBound: 0
; FloatMode: 240
; IeeeMode: 1
; LDSByteSize: 0 bytes/workgroup (compile time only)
; SGPRBlocks: 0
; VGPRBlocks: 0
; NumSGPRsForWavesPerEU: 1
; NumVGPRsForWavesPerEU: 1
; Occupancy: 16
; WaveLimiterHint : 0
; COMPUTE_PGM_RSRC2:SCRATCH_EN: 0
; COMPUTE_PGM_RSRC2:USER_SGPR: 6
; COMPUTE_PGM_RSRC2:TRAP_HANDLER: 0
; COMPUTE_PGM_RSRC2:TGID_X_EN: 1
; COMPUTE_PGM_RSRC2:TGID_Y_EN: 0
; COMPUTE_PGM_RSRC2:TGID_Z_EN: 0
; COMPUTE_PGM_RSRC2:TIDIG_COMP_CNT: 0
	.section	.text._ZN7rocprim17ROCPRIM_400000_NS6detail17trampoline_kernelINS0_14default_configENS1_20scan_config_selectorIN3c107complexIdEEEEZZNS1_9scan_implILNS1_25lookback_scan_determinismE0ELb0ELb0ES3_PKS7_PS7_S7_ZZZN2at6native31launch_logcumsumexp_cuda_kernelERKNSE_10TensorBaseESI_lENKUlvE_clEvENKUlvE1_clEvEUlS7_S7_E_S7_EEDaPvRmT3_T4_T5_mT6_P12ihipStream_tbENKUlT_T0_E_clISt17integral_constantIbLb0EESY_IbLb1EEEEDaSU_SV_EUlSU_E0_NS1_11comp_targetILNS1_3genE10ELNS1_11target_archE1200ELNS1_3gpuE4ELNS1_3repE0EEENS1_30default_config_static_selectorELNS0_4arch9wavefront6targetE0EEEvT1_,"axG",@progbits,_ZN7rocprim17ROCPRIM_400000_NS6detail17trampoline_kernelINS0_14default_configENS1_20scan_config_selectorIN3c107complexIdEEEEZZNS1_9scan_implILNS1_25lookback_scan_determinismE0ELb0ELb0ES3_PKS7_PS7_S7_ZZZN2at6native31launch_logcumsumexp_cuda_kernelERKNSE_10TensorBaseESI_lENKUlvE_clEvENKUlvE1_clEvEUlS7_S7_E_S7_EEDaPvRmT3_T4_T5_mT6_P12ihipStream_tbENKUlT_T0_E_clISt17integral_constantIbLb0EESY_IbLb1EEEEDaSU_SV_EUlSU_E0_NS1_11comp_targetILNS1_3genE10ELNS1_11target_archE1200ELNS1_3gpuE4ELNS1_3repE0EEENS1_30default_config_static_selectorELNS0_4arch9wavefront6targetE0EEEvT1_,comdat
	.globl	_ZN7rocprim17ROCPRIM_400000_NS6detail17trampoline_kernelINS0_14default_configENS1_20scan_config_selectorIN3c107complexIdEEEEZZNS1_9scan_implILNS1_25lookback_scan_determinismE0ELb0ELb0ES3_PKS7_PS7_S7_ZZZN2at6native31launch_logcumsumexp_cuda_kernelERKNSE_10TensorBaseESI_lENKUlvE_clEvENKUlvE1_clEvEUlS7_S7_E_S7_EEDaPvRmT3_T4_T5_mT6_P12ihipStream_tbENKUlT_T0_E_clISt17integral_constantIbLb0EESY_IbLb1EEEEDaSU_SV_EUlSU_E0_NS1_11comp_targetILNS1_3genE10ELNS1_11target_archE1200ELNS1_3gpuE4ELNS1_3repE0EEENS1_30default_config_static_selectorELNS0_4arch9wavefront6targetE0EEEvT1_ ; -- Begin function _ZN7rocprim17ROCPRIM_400000_NS6detail17trampoline_kernelINS0_14default_configENS1_20scan_config_selectorIN3c107complexIdEEEEZZNS1_9scan_implILNS1_25lookback_scan_determinismE0ELb0ELb0ES3_PKS7_PS7_S7_ZZZN2at6native31launch_logcumsumexp_cuda_kernelERKNSE_10TensorBaseESI_lENKUlvE_clEvENKUlvE1_clEvEUlS7_S7_E_S7_EEDaPvRmT3_T4_T5_mT6_P12ihipStream_tbENKUlT_T0_E_clISt17integral_constantIbLb0EESY_IbLb1EEEEDaSU_SV_EUlSU_E0_NS1_11comp_targetILNS1_3genE10ELNS1_11target_archE1200ELNS1_3gpuE4ELNS1_3repE0EEENS1_30default_config_static_selectorELNS0_4arch9wavefront6targetE0EEEvT1_
	.p2align	8
	.type	_ZN7rocprim17ROCPRIM_400000_NS6detail17trampoline_kernelINS0_14default_configENS1_20scan_config_selectorIN3c107complexIdEEEEZZNS1_9scan_implILNS1_25lookback_scan_determinismE0ELb0ELb0ES3_PKS7_PS7_S7_ZZZN2at6native31launch_logcumsumexp_cuda_kernelERKNSE_10TensorBaseESI_lENKUlvE_clEvENKUlvE1_clEvEUlS7_S7_E_S7_EEDaPvRmT3_T4_T5_mT6_P12ihipStream_tbENKUlT_T0_E_clISt17integral_constantIbLb0EESY_IbLb1EEEEDaSU_SV_EUlSU_E0_NS1_11comp_targetILNS1_3genE10ELNS1_11target_archE1200ELNS1_3gpuE4ELNS1_3repE0EEENS1_30default_config_static_selectorELNS0_4arch9wavefront6targetE0EEEvT1_,@function
_ZN7rocprim17ROCPRIM_400000_NS6detail17trampoline_kernelINS0_14default_configENS1_20scan_config_selectorIN3c107complexIdEEEEZZNS1_9scan_implILNS1_25lookback_scan_determinismE0ELb0ELb0ES3_PKS7_PS7_S7_ZZZN2at6native31launch_logcumsumexp_cuda_kernelERKNSE_10TensorBaseESI_lENKUlvE_clEvENKUlvE1_clEvEUlS7_S7_E_S7_EEDaPvRmT3_T4_T5_mT6_P12ihipStream_tbENKUlT_T0_E_clISt17integral_constantIbLb0EESY_IbLb1EEEEDaSU_SV_EUlSU_E0_NS1_11comp_targetILNS1_3genE10ELNS1_11target_archE1200ELNS1_3gpuE4ELNS1_3repE0EEENS1_30default_config_static_selectorELNS0_4arch9wavefront6targetE0EEEvT1_: ; @_ZN7rocprim17ROCPRIM_400000_NS6detail17trampoline_kernelINS0_14default_configENS1_20scan_config_selectorIN3c107complexIdEEEEZZNS1_9scan_implILNS1_25lookback_scan_determinismE0ELb0ELb0ES3_PKS7_PS7_S7_ZZZN2at6native31launch_logcumsumexp_cuda_kernelERKNSE_10TensorBaseESI_lENKUlvE_clEvENKUlvE1_clEvEUlS7_S7_E_S7_EEDaPvRmT3_T4_T5_mT6_P12ihipStream_tbENKUlT_T0_E_clISt17integral_constantIbLb0EESY_IbLb1EEEEDaSU_SV_EUlSU_E0_NS1_11comp_targetILNS1_3genE10ELNS1_11target_archE1200ELNS1_3gpuE4ELNS1_3repE0EEENS1_30default_config_static_selectorELNS0_4arch9wavefront6targetE0EEEvT1_
; %bb.0:
	.section	.rodata,"a",@progbits
	.p2align	6, 0x0
	.amdhsa_kernel _ZN7rocprim17ROCPRIM_400000_NS6detail17trampoline_kernelINS0_14default_configENS1_20scan_config_selectorIN3c107complexIdEEEEZZNS1_9scan_implILNS1_25lookback_scan_determinismE0ELb0ELb0ES3_PKS7_PS7_S7_ZZZN2at6native31launch_logcumsumexp_cuda_kernelERKNSE_10TensorBaseESI_lENKUlvE_clEvENKUlvE1_clEvEUlS7_S7_E_S7_EEDaPvRmT3_T4_T5_mT6_P12ihipStream_tbENKUlT_T0_E_clISt17integral_constantIbLb0EESY_IbLb1EEEEDaSU_SV_EUlSU_E0_NS1_11comp_targetILNS1_3genE10ELNS1_11target_archE1200ELNS1_3gpuE4ELNS1_3repE0EEENS1_30default_config_static_selectorELNS0_4arch9wavefront6targetE0EEEvT1_
		.amdhsa_group_segment_fixed_size 0
		.amdhsa_private_segment_fixed_size 0
		.amdhsa_kernarg_size 48
		.amdhsa_user_sgpr_count 6
		.amdhsa_user_sgpr_private_segment_buffer 1
		.amdhsa_user_sgpr_dispatch_ptr 0
		.amdhsa_user_sgpr_queue_ptr 0
		.amdhsa_user_sgpr_kernarg_segment_ptr 1
		.amdhsa_user_sgpr_dispatch_id 0
		.amdhsa_user_sgpr_flat_scratch_init 0
		.amdhsa_user_sgpr_private_segment_size 0
		.amdhsa_wavefront_size32 1
		.amdhsa_uses_dynamic_stack 0
		.amdhsa_system_sgpr_private_segment_wavefront_offset 0
		.amdhsa_system_sgpr_workgroup_id_x 1
		.amdhsa_system_sgpr_workgroup_id_y 0
		.amdhsa_system_sgpr_workgroup_id_z 0
		.amdhsa_system_sgpr_workgroup_info 0
		.amdhsa_system_vgpr_workitem_id 0
		.amdhsa_next_free_vgpr 1
		.amdhsa_next_free_sgpr 1
		.amdhsa_reserve_vcc 0
		.amdhsa_reserve_flat_scratch 0
		.amdhsa_float_round_mode_32 0
		.amdhsa_float_round_mode_16_64 0
		.amdhsa_float_denorm_mode_32 3
		.amdhsa_float_denorm_mode_16_64 3
		.amdhsa_dx10_clamp 1
		.amdhsa_ieee_mode 1
		.amdhsa_fp16_overflow 0
		.amdhsa_workgroup_processor_mode 1
		.amdhsa_memory_ordered 1
		.amdhsa_forward_progress 1
		.amdhsa_shared_vgpr_count 0
		.amdhsa_exception_fp_ieee_invalid_op 0
		.amdhsa_exception_fp_denorm_src 0
		.amdhsa_exception_fp_ieee_div_zero 0
		.amdhsa_exception_fp_ieee_overflow 0
		.amdhsa_exception_fp_ieee_underflow 0
		.amdhsa_exception_fp_ieee_inexact 0
		.amdhsa_exception_int_div_zero 0
	.end_amdhsa_kernel
	.section	.text._ZN7rocprim17ROCPRIM_400000_NS6detail17trampoline_kernelINS0_14default_configENS1_20scan_config_selectorIN3c107complexIdEEEEZZNS1_9scan_implILNS1_25lookback_scan_determinismE0ELb0ELb0ES3_PKS7_PS7_S7_ZZZN2at6native31launch_logcumsumexp_cuda_kernelERKNSE_10TensorBaseESI_lENKUlvE_clEvENKUlvE1_clEvEUlS7_S7_E_S7_EEDaPvRmT3_T4_T5_mT6_P12ihipStream_tbENKUlT_T0_E_clISt17integral_constantIbLb0EESY_IbLb1EEEEDaSU_SV_EUlSU_E0_NS1_11comp_targetILNS1_3genE10ELNS1_11target_archE1200ELNS1_3gpuE4ELNS1_3repE0EEENS1_30default_config_static_selectorELNS0_4arch9wavefront6targetE0EEEvT1_,"axG",@progbits,_ZN7rocprim17ROCPRIM_400000_NS6detail17trampoline_kernelINS0_14default_configENS1_20scan_config_selectorIN3c107complexIdEEEEZZNS1_9scan_implILNS1_25lookback_scan_determinismE0ELb0ELb0ES3_PKS7_PS7_S7_ZZZN2at6native31launch_logcumsumexp_cuda_kernelERKNSE_10TensorBaseESI_lENKUlvE_clEvENKUlvE1_clEvEUlS7_S7_E_S7_EEDaPvRmT3_T4_T5_mT6_P12ihipStream_tbENKUlT_T0_E_clISt17integral_constantIbLb0EESY_IbLb1EEEEDaSU_SV_EUlSU_E0_NS1_11comp_targetILNS1_3genE10ELNS1_11target_archE1200ELNS1_3gpuE4ELNS1_3repE0EEENS1_30default_config_static_selectorELNS0_4arch9wavefront6targetE0EEEvT1_,comdat
.Lfunc_end256:
	.size	_ZN7rocprim17ROCPRIM_400000_NS6detail17trampoline_kernelINS0_14default_configENS1_20scan_config_selectorIN3c107complexIdEEEEZZNS1_9scan_implILNS1_25lookback_scan_determinismE0ELb0ELb0ES3_PKS7_PS7_S7_ZZZN2at6native31launch_logcumsumexp_cuda_kernelERKNSE_10TensorBaseESI_lENKUlvE_clEvENKUlvE1_clEvEUlS7_S7_E_S7_EEDaPvRmT3_T4_T5_mT6_P12ihipStream_tbENKUlT_T0_E_clISt17integral_constantIbLb0EESY_IbLb1EEEEDaSU_SV_EUlSU_E0_NS1_11comp_targetILNS1_3genE10ELNS1_11target_archE1200ELNS1_3gpuE4ELNS1_3repE0EEENS1_30default_config_static_selectorELNS0_4arch9wavefront6targetE0EEEvT1_, .Lfunc_end256-_ZN7rocprim17ROCPRIM_400000_NS6detail17trampoline_kernelINS0_14default_configENS1_20scan_config_selectorIN3c107complexIdEEEEZZNS1_9scan_implILNS1_25lookback_scan_determinismE0ELb0ELb0ES3_PKS7_PS7_S7_ZZZN2at6native31launch_logcumsumexp_cuda_kernelERKNSE_10TensorBaseESI_lENKUlvE_clEvENKUlvE1_clEvEUlS7_S7_E_S7_EEDaPvRmT3_T4_T5_mT6_P12ihipStream_tbENKUlT_T0_E_clISt17integral_constantIbLb0EESY_IbLb1EEEEDaSU_SV_EUlSU_E0_NS1_11comp_targetILNS1_3genE10ELNS1_11target_archE1200ELNS1_3gpuE4ELNS1_3repE0EEENS1_30default_config_static_selectorELNS0_4arch9wavefront6targetE0EEEvT1_
                                        ; -- End function
	.set _ZN7rocprim17ROCPRIM_400000_NS6detail17trampoline_kernelINS0_14default_configENS1_20scan_config_selectorIN3c107complexIdEEEEZZNS1_9scan_implILNS1_25lookback_scan_determinismE0ELb0ELb0ES3_PKS7_PS7_S7_ZZZN2at6native31launch_logcumsumexp_cuda_kernelERKNSE_10TensorBaseESI_lENKUlvE_clEvENKUlvE1_clEvEUlS7_S7_E_S7_EEDaPvRmT3_T4_T5_mT6_P12ihipStream_tbENKUlT_T0_E_clISt17integral_constantIbLb0EESY_IbLb1EEEEDaSU_SV_EUlSU_E0_NS1_11comp_targetILNS1_3genE10ELNS1_11target_archE1200ELNS1_3gpuE4ELNS1_3repE0EEENS1_30default_config_static_selectorELNS0_4arch9wavefront6targetE0EEEvT1_.num_vgpr, 0
	.set _ZN7rocprim17ROCPRIM_400000_NS6detail17trampoline_kernelINS0_14default_configENS1_20scan_config_selectorIN3c107complexIdEEEEZZNS1_9scan_implILNS1_25lookback_scan_determinismE0ELb0ELb0ES3_PKS7_PS7_S7_ZZZN2at6native31launch_logcumsumexp_cuda_kernelERKNSE_10TensorBaseESI_lENKUlvE_clEvENKUlvE1_clEvEUlS7_S7_E_S7_EEDaPvRmT3_T4_T5_mT6_P12ihipStream_tbENKUlT_T0_E_clISt17integral_constantIbLb0EESY_IbLb1EEEEDaSU_SV_EUlSU_E0_NS1_11comp_targetILNS1_3genE10ELNS1_11target_archE1200ELNS1_3gpuE4ELNS1_3repE0EEENS1_30default_config_static_selectorELNS0_4arch9wavefront6targetE0EEEvT1_.num_agpr, 0
	.set _ZN7rocprim17ROCPRIM_400000_NS6detail17trampoline_kernelINS0_14default_configENS1_20scan_config_selectorIN3c107complexIdEEEEZZNS1_9scan_implILNS1_25lookback_scan_determinismE0ELb0ELb0ES3_PKS7_PS7_S7_ZZZN2at6native31launch_logcumsumexp_cuda_kernelERKNSE_10TensorBaseESI_lENKUlvE_clEvENKUlvE1_clEvEUlS7_S7_E_S7_EEDaPvRmT3_T4_T5_mT6_P12ihipStream_tbENKUlT_T0_E_clISt17integral_constantIbLb0EESY_IbLb1EEEEDaSU_SV_EUlSU_E0_NS1_11comp_targetILNS1_3genE10ELNS1_11target_archE1200ELNS1_3gpuE4ELNS1_3repE0EEENS1_30default_config_static_selectorELNS0_4arch9wavefront6targetE0EEEvT1_.numbered_sgpr, 0
	.set _ZN7rocprim17ROCPRIM_400000_NS6detail17trampoline_kernelINS0_14default_configENS1_20scan_config_selectorIN3c107complexIdEEEEZZNS1_9scan_implILNS1_25lookback_scan_determinismE0ELb0ELb0ES3_PKS7_PS7_S7_ZZZN2at6native31launch_logcumsumexp_cuda_kernelERKNSE_10TensorBaseESI_lENKUlvE_clEvENKUlvE1_clEvEUlS7_S7_E_S7_EEDaPvRmT3_T4_T5_mT6_P12ihipStream_tbENKUlT_T0_E_clISt17integral_constantIbLb0EESY_IbLb1EEEEDaSU_SV_EUlSU_E0_NS1_11comp_targetILNS1_3genE10ELNS1_11target_archE1200ELNS1_3gpuE4ELNS1_3repE0EEENS1_30default_config_static_selectorELNS0_4arch9wavefront6targetE0EEEvT1_.num_named_barrier, 0
	.set _ZN7rocprim17ROCPRIM_400000_NS6detail17trampoline_kernelINS0_14default_configENS1_20scan_config_selectorIN3c107complexIdEEEEZZNS1_9scan_implILNS1_25lookback_scan_determinismE0ELb0ELb0ES3_PKS7_PS7_S7_ZZZN2at6native31launch_logcumsumexp_cuda_kernelERKNSE_10TensorBaseESI_lENKUlvE_clEvENKUlvE1_clEvEUlS7_S7_E_S7_EEDaPvRmT3_T4_T5_mT6_P12ihipStream_tbENKUlT_T0_E_clISt17integral_constantIbLb0EESY_IbLb1EEEEDaSU_SV_EUlSU_E0_NS1_11comp_targetILNS1_3genE10ELNS1_11target_archE1200ELNS1_3gpuE4ELNS1_3repE0EEENS1_30default_config_static_selectorELNS0_4arch9wavefront6targetE0EEEvT1_.private_seg_size, 0
	.set _ZN7rocprim17ROCPRIM_400000_NS6detail17trampoline_kernelINS0_14default_configENS1_20scan_config_selectorIN3c107complexIdEEEEZZNS1_9scan_implILNS1_25lookback_scan_determinismE0ELb0ELb0ES3_PKS7_PS7_S7_ZZZN2at6native31launch_logcumsumexp_cuda_kernelERKNSE_10TensorBaseESI_lENKUlvE_clEvENKUlvE1_clEvEUlS7_S7_E_S7_EEDaPvRmT3_T4_T5_mT6_P12ihipStream_tbENKUlT_T0_E_clISt17integral_constantIbLb0EESY_IbLb1EEEEDaSU_SV_EUlSU_E0_NS1_11comp_targetILNS1_3genE10ELNS1_11target_archE1200ELNS1_3gpuE4ELNS1_3repE0EEENS1_30default_config_static_selectorELNS0_4arch9wavefront6targetE0EEEvT1_.uses_vcc, 0
	.set _ZN7rocprim17ROCPRIM_400000_NS6detail17trampoline_kernelINS0_14default_configENS1_20scan_config_selectorIN3c107complexIdEEEEZZNS1_9scan_implILNS1_25lookback_scan_determinismE0ELb0ELb0ES3_PKS7_PS7_S7_ZZZN2at6native31launch_logcumsumexp_cuda_kernelERKNSE_10TensorBaseESI_lENKUlvE_clEvENKUlvE1_clEvEUlS7_S7_E_S7_EEDaPvRmT3_T4_T5_mT6_P12ihipStream_tbENKUlT_T0_E_clISt17integral_constantIbLb0EESY_IbLb1EEEEDaSU_SV_EUlSU_E0_NS1_11comp_targetILNS1_3genE10ELNS1_11target_archE1200ELNS1_3gpuE4ELNS1_3repE0EEENS1_30default_config_static_selectorELNS0_4arch9wavefront6targetE0EEEvT1_.uses_flat_scratch, 0
	.set _ZN7rocprim17ROCPRIM_400000_NS6detail17trampoline_kernelINS0_14default_configENS1_20scan_config_selectorIN3c107complexIdEEEEZZNS1_9scan_implILNS1_25lookback_scan_determinismE0ELb0ELb0ES3_PKS7_PS7_S7_ZZZN2at6native31launch_logcumsumexp_cuda_kernelERKNSE_10TensorBaseESI_lENKUlvE_clEvENKUlvE1_clEvEUlS7_S7_E_S7_EEDaPvRmT3_T4_T5_mT6_P12ihipStream_tbENKUlT_T0_E_clISt17integral_constantIbLb0EESY_IbLb1EEEEDaSU_SV_EUlSU_E0_NS1_11comp_targetILNS1_3genE10ELNS1_11target_archE1200ELNS1_3gpuE4ELNS1_3repE0EEENS1_30default_config_static_selectorELNS0_4arch9wavefront6targetE0EEEvT1_.has_dyn_sized_stack, 0
	.set _ZN7rocprim17ROCPRIM_400000_NS6detail17trampoline_kernelINS0_14default_configENS1_20scan_config_selectorIN3c107complexIdEEEEZZNS1_9scan_implILNS1_25lookback_scan_determinismE0ELb0ELb0ES3_PKS7_PS7_S7_ZZZN2at6native31launch_logcumsumexp_cuda_kernelERKNSE_10TensorBaseESI_lENKUlvE_clEvENKUlvE1_clEvEUlS7_S7_E_S7_EEDaPvRmT3_T4_T5_mT6_P12ihipStream_tbENKUlT_T0_E_clISt17integral_constantIbLb0EESY_IbLb1EEEEDaSU_SV_EUlSU_E0_NS1_11comp_targetILNS1_3genE10ELNS1_11target_archE1200ELNS1_3gpuE4ELNS1_3repE0EEENS1_30default_config_static_selectorELNS0_4arch9wavefront6targetE0EEEvT1_.has_recursion, 0
	.set _ZN7rocprim17ROCPRIM_400000_NS6detail17trampoline_kernelINS0_14default_configENS1_20scan_config_selectorIN3c107complexIdEEEEZZNS1_9scan_implILNS1_25lookback_scan_determinismE0ELb0ELb0ES3_PKS7_PS7_S7_ZZZN2at6native31launch_logcumsumexp_cuda_kernelERKNSE_10TensorBaseESI_lENKUlvE_clEvENKUlvE1_clEvEUlS7_S7_E_S7_EEDaPvRmT3_T4_T5_mT6_P12ihipStream_tbENKUlT_T0_E_clISt17integral_constantIbLb0EESY_IbLb1EEEEDaSU_SV_EUlSU_E0_NS1_11comp_targetILNS1_3genE10ELNS1_11target_archE1200ELNS1_3gpuE4ELNS1_3repE0EEENS1_30default_config_static_selectorELNS0_4arch9wavefront6targetE0EEEvT1_.has_indirect_call, 0
	.section	.AMDGPU.csdata,"",@progbits
; Kernel info:
; codeLenInByte = 0
; TotalNumSgprs: 0
; NumVgprs: 0
; ScratchSize: 0
; MemoryBound: 0
; FloatMode: 240
; IeeeMode: 1
; LDSByteSize: 0 bytes/workgroup (compile time only)
; SGPRBlocks: 0
; VGPRBlocks: 0
; NumSGPRsForWavesPerEU: 1
; NumVGPRsForWavesPerEU: 1
; Occupancy: 16
; WaveLimiterHint : 0
; COMPUTE_PGM_RSRC2:SCRATCH_EN: 0
; COMPUTE_PGM_RSRC2:USER_SGPR: 6
; COMPUTE_PGM_RSRC2:TRAP_HANDLER: 0
; COMPUTE_PGM_RSRC2:TGID_X_EN: 1
; COMPUTE_PGM_RSRC2:TGID_Y_EN: 0
; COMPUTE_PGM_RSRC2:TGID_Z_EN: 0
; COMPUTE_PGM_RSRC2:TIDIG_COMP_CNT: 0
	.section	.text._ZN7rocprim17ROCPRIM_400000_NS6detail17trampoline_kernelINS0_14default_configENS1_20scan_config_selectorIN3c107complexIdEEEEZZNS1_9scan_implILNS1_25lookback_scan_determinismE0ELb0ELb0ES3_PKS7_PS7_S7_ZZZN2at6native31launch_logcumsumexp_cuda_kernelERKNSE_10TensorBaseESI_lENKUlvE_clEvENKUlvE1_clEvEUlS7_S7_E_S7_EEDaPvRmT3_T4_T5_mT6_P12ihipStream_tbENKUlT_T0_E_clISt17integral_constantIbLb0EESY_IbLb1EEEEDaSU_SV_EUlSU_E0_NS1_11comp_targetILNS1_3genE9ELNS1_11target_archE1100ELNS1_3gpuE3ELNS1_3repE0EEENS1_30default_config_static_selectorELNS0_4arch9wavefront6targetE0EEEvT1_,"axG",@progbits,_ZN7rocprim17ROCPRIM_400000_NS6detail17trampoline_kernelINS0_14default_configENS1_20scan_config_selectorIN3c107complexIdEEEEZZNS1_9scan_implILNS1_25lookback_scan_determinismE0ELb0ELb0ES3_PKS7_PS7_S7_ZZZN2at6native31launch_logcumsumexp_cuda_kernelERKNSE_10TensorBaseESI_lENKUlvE_clEvENKUlvE1_clEvEUlS7_S7_E_S7_EEDaPvRmT3_T4_T5_mT6_P12ihipStream_tbENKUlT_T0_E_clISt17integral_constantIbLb0EESY_IbLb1EEEEDaSU_SV_EUlSU_E0_NS1_11comp_targetILNS1_3genE9ELNS1_11target_archE1100ELNS1_3gpuE3ELNS1_3repE0EEENS1_30default_config_static_selectorELNS0_4arch9wavefront6targetE0EEEvT1_,comdat
	.globl	_ZN7rocprim17ROCPRIM_400000_NS6detail17trampoline_kernelINS0_14default_configENS1_20scan_config_selectorIN3c107complexIdEEEEZZNS1_9scan_implILNS1_25lookback_scan_determinismE0ELb0ELb0ES3_PKS7_PS7_S7_ZZZN2at6native31launch_logcumsumexp_cuda_kernelERKNSE_10TensorBaseESI_lENKUlvE_clEvENKUlvE1_clEvEUlS7_S7_E_S7_EEDaPvRmT3_T4_T5_mT6_P12ihipStream_tbENKUlT_T0_E_clISt17integral_constantIbLb0EESY_IbLb1EEEEDaSU_SV_EUlSU_E0_NS1_11comp_targetILNS1_3genE9ELNS1_11target_archE1100ELNS1_3gpuE3ELNS1_3repE0EEENS1_30default_config_static_selectorELNS0_4arch9wavefront6targetE0EEEvT1_ ; -- Begin function _ZN7rocprim17ROCPRIM_400000_NS6detail17trampoline_kernelINS0_14default_configENS1_20scan_config_selectorIN3c107complexIdEEEEZZNS1_9scan_implILNS1_25lookback_scan_determinismE0ELb0ELb0ES3_PKS7_PS7_S7_ZZZN2at6native31launch_logcumsumexp_cuda_kernelERKNSE_10TensorBaseESI_lENKUlvE_clEvENKUlvE1_clEvEUlS7_S7_E_S7_EEDaPvRmT3_T4_T5_mT6_P12ihipStream_tbENKUlT_T0_E_clISt17integral_constantIbLb0EESY_IbLb1EEEEDaSU_SV_EUlSU_E0_NS1_11comp_targetILNS1_3genE9ELNS1_11target_archE1100ELNS1_3gpuE3ELNS1_3repE0EEENS1_30default_config_static_selectorELNS0_4arch9wavefront6targetE0EEEvT1_
	.p2align	8
	.type	_ZN7rocprim17ROCPRIM_400000_NS6detail17trampoline_kernelINS0_14default_configENS1_20scan_config_selectorIN3c107complexIdEEEEZZNS1_9scan_implILNS1_25lookback_scan_determinismE0ELb0ELb0ES3_PKS7_PS7_S7_ZZZN2at6native31launch_logcumsumexp_cuda_kernelERKNSE_10TensorBaseESI_lENKUlvE_clEvENKUlvE1_clEvEUlS7_S7_E_S7_EEDaPvRmT3_T4_T5_mT6_P12ihipStream_tbENKUlT_T0_E_clISt17integral_constantIbLb0EESY_IbLb1EEEEDaSU_SV_EUlSU_E0_NS1_11comp_targetILNS1_3genE9ELNS1_11target_archE1100ELNS1_3gpuE3ELNS1_3repE0EEENS1_30default_config_static_selectorELNS0_4arch9wavefront6targetE0EEEvT1_,@function
_ZN7rocprim17ROCPRIM_400000_NS6detail17trampoline_kernelINS0_14default_configENS1_20scan_config_selectorIN3c107complexIdEEEEZZNS1_9scan_implILNS1_25lookback_scan_determinismE0ELb0ELb0ES3_PKS7_PS7_S7_ZZZN2at6native31launch_logcumsumexp_cuda_kernelERKNSE_10TensorBaseESI_lENKUlvE_clEvENKUlvE1_clEvEUlS7_S7_E_S7_EEDaPvRmT3_T4_T5_mT6_P12ihipStream_tbENKUlT_T0_E_clISt17integral_constantIbLb0EESY_IbLb1EEEEDaSU_SV_EUlSU_E0_NS1_11comp_targetILNS1_3genE9ELNS1_11target_archE1100ELNS1_3gpuE3ELNS1_3repE0EEENS1_30default_config_static_selectorELNS0_4arch9wavefront6targetE0EEEvT1_: ; @_ZN7rocprim17ROCPRIM_400000_NS6detail17trampoline_kernelINS0_14default_configENS1_20scan_config_selectorIN3c107complexIdEEEEZZNS1_9scan_implILNS1_25lookback_scan_determinismE0ELb0ELb0ES3_PKS7_PS7_S7_ZZZN2at6native31launch_logcumsumexp_cuda_kernelERKNSE_10TensorBaseESI_lENKUlvE_clEvENKUlvE1_clEvEUlS7_S7_E_S7_EEDaPvRmT3_T4_T5_mT6_P12ihipStream_tbENKUlT_T0_E_clISt17integral_constantIbLb0EESY_IbLb1EEEEDaSU_SV_EUlSU_E0_NS1_11comp_targetILNS1_3genE9ELNS1_11target_archE1100ELNS1_3gpuE3ELNS1_3repE0EEENS1_30default_config_static_selectorELNS0_4arch9wavefront6targetE0EEEvT1_
; %bb.0:
	.section	.rodata,"a",@progbits
	.p2align	6, 0x0
	.amdhsa_kernel _ZN7rocprim17ROCPRIM_400000_NS6detail17trampoline_kernelINS0_14default_configENS1_20scan_config_selectorIN3c107complexIdEEEEZZNS1_9scan_implILNS1_25lookback_scan_determinismE0ELb0ELb0ES3_PKS7_PS7_S7_ZZZN2at6native31launch_logcumsumexp_cuda_kernelERKNSE_10TensorBaseESI_lENKUlvE_clEvENKUlvE1_clEvEUlS7_S7_E_S7_EEDaPvRmT3_T4_T5_mT6_P12ihipStream_tbENKUlT_T0_E_clISt17integral_constantIbLb0EESY_IbLb1EEEEDaSU_SV_EUlSU_E0_NS1_11comp_targetILNS1_3genE9ELNS1_11target_archE1100ELNS1_3gpuE3ELNS1_3repE0EEENS1_30default_config_static_selectorELNS0_4arch9wavefront6targetE0EEEvT1_
		.amdhsa_group_segment_fixed_size 0
		.amdhsa_private_segment_fixed_size 0
		.amdhsa_kernarg_size 48
		.amdhsa_user_sgpr_count 6
		.amdhsa_user_sgpr_private_segment_buffer 1
		.amdhsa_user_sgpr_dispatch_ptr 0
		.amdhsa_user_sgpr_queue_ptr 0
		.amdhsa_user_sgpr_kernarg_segment_ptr 1
		.amdhsa_user_sgpr_dispatch_id 0
		.amdhsa_user_sgpr_flat_scratch_init 0
		.amdhsa_user_sgpr_private_segment_size 0
		.amdhsa_wavefront_size32 1
		.amdhsa_uses_dynamic_stack 0
		.amdhsa_system_sgpr_private_segment_wavefront_offset 0
		.amdhsa_system_sgpr_workgroup_id_x 1
		.amdhsa_system_sgpr_workgroup_id_y 0
		.amdhsa_system_sgpr_workgroup_id_z 0
		.amdhsa_system_sgpr_workgroup_info 0
		.amdhsa_system_vgpr_workitem_id 0
		.amdhsa_next_free_vgpr 1
		.amdhsa_next_free_sgpr 1
		.amdhsa_reserve_vcc 0
		.amdhsa_reserve_flat_scratch 0
		.amdhsa_float_round_mode_32 0
		.amdhsa_float_round_mode_16_64 0
		.amdhsa_float_denorm_mode_32 3
		.amdhsa_float_denorm_mode_16_64 3
		.amdhsa_dx10_clamp 1
		.amdhsa_ieee_mode 1
		.amdhsa_fp16_overflow 0
		.amdhsa_workgroup_processor_mode 1
		.amdhsa_memory_ordered 1
		.amdhsa_forward_progress 1
		.amdhsa_shared_vgpr_count 0
		.amdhsa_exception_fp_ieee_invalid_op 0
		.amdhsa_exception_fp_denorm_src 0
		.amdhsa_exception_fp_ieee_div_zero 0
		.amdhsa_exception_fp_ieee_overflow 0
		.amdhsa_exception_fp_ieee_underflow 0
		.amdhsa_exception_fp_ieee_inexact 0
		.amdhsa_exception_int_div_zero 0
	.end_amdhsa_kernel
	.section	.text._ZN7rocprim17ROCPRIM_400000_NS6detail17trampoline_kernelINS0_14default_configENS1_20scan_config_selectorIN3c107complexIdEEEEZZNS1_9scan_implILNS1_25lookback_scan_determinismE0ELb0ELb0ES3_PKS7_PS7_S7_ZZZN2at6native31launch_logcumsumexp_cuda_kernelERKNSE_10TensorBaseESI_lENKUlvE_clEvENKUlvE1_clEvEUlS7_S7_E_S7_EEDaPvRmT3_T4_T5_mT6_P12ihipStream_tbENKUlT_T0_E_clISt17integral_constantIbLb0EESY_IbLb1EEEEDaSU_SV_EUlSU_E0_NS1_11comp_targetILNS1_3genE9ELNS1_11target_archE1100ELNS1_3gpuE3ELNS1_3repE0EEENS1_30default_config_static_selectorELNS0_4arch9wavefront6targetE0EEEvT1_,"axG",@progbits,_ZN7rocprim17ROCPRIM_400000_NS6detail17trampoline_kernelINS0_14default_configENS1_20scan_config_selectorIN3c107complexIdEEEEZZNS1_9scan_implILNS1_25lookback_scan_determinismE0ELb0ELb0ES3_PKS7_PS7_S7_ZZZN2at6native31launch_logcumsumexp_cuda_kernelERKNSE_10TensorBaseESI_lENKUlvE_clEvENKUlvE1_clEvEUlS7_S7_E_S7_EEDaPvRmT3_T4_T5_mT6_P12ihipStream_tbENKUlT_T0_E_clISt17integral_constantIbLb0EESY_IbLb1EEEEDaSU_SV_EUlSU_E0_NS1_11comp_targetILNS1_3genE9ELNS1_11target_archE1100ELNS1_3gpuE3ELNS1_3repE0EEENS1_30default_config_static_selectorELNS0_4arch9wavefront6targetE0EEEvT1_,comdat
.Lfunc_end257:
	.size	_ZN7rocprim17ROCPRIM_400000_NS6detail17trampoline_kernelINS0_14default_configENS1_20scan_config_selectorIN3c107complexIdEEEEZZNS1_9scan_implILNS1_25lookback_scan_determinismE0ELb0ELb0ES3_PKS7_PS7_S7_ZZZN2at6native31launch_logcumsumexp_cuda_kernelERKNSE_10TensorBaseESI_lENKUlvE_clEvENKUlvE1_clEvEUlS7_S7_E_S7_EEDaPvRmT3_T4_T5_mT6_P12ihipStream_tbENKUlT_T0_E_clISt17integral_constantIbLb0EESY_IbLb1EEEEDaSU_SV_EUlSU_E0_NS1_11comp_targetILNS1_3genE9ELNS1_11target_archE1100ELNS1_3gpuE3ELNS1_3repE0EEENS1_30default_config_static_selectorELNS0_4arch9wavefront6targetE0EEEvT1_, .Lfunc_end257-_ZN7rocprim17ROCPRIM_400000_NS6detail17trampoline_kernelINS0_14default_configENS1_20scan_config_selectorIN3c107complexIdEEEEZZNS1_9scan_implILNS1_25lookback_scan_determinismE0ELb0ELb0ES3_PKS7_PS7_S7_ZZZN2at6native31launch_logcumsumexp_cuda_kernelERKNSE_10TensorBaseESI_lENKUlvE_clEvENKUlvE1_clEvEUlS7_S7_E_S7_EEDaPvRmT3_T4_T5_mT6_P12ihipStream_tbENKUlT_T0_E_clISt17integral_constantIbLb0EESY_IbLb1EEEEDaSU_SV_EUlSU_E0_NS1_11comp_targetILNS1_3genE9ELNS1_11target_archE1100ELNS1_3gpuE3ELNS1_3repE0EEENS1_30default_config_static_selectorELNS0_4arch9wavefront6targetE0EEEvT1_
                                        ; -- End function
	.set _ZN7rocprim17ROCPRIM_400000_NS6detail17trampoline_kernelINS0_14default_configENS1_20scan_config_selectorIN3c107complexIdEEEEZZNS1_9scan_implILNS1_25lookback_scan_determinismE0ELb0ELb0ES3_PKS7_PS7_S7_ZZZN2at6native31launch_logcumsumexp_cuda_kernelERKNSE_10TensorBaseESI_lENKUlvE_clEvENKUlvE1_clEvEUlS7_S7_E_S7_EEDaPvRmT3_T4_T5_mT6_P12ihipStream_tbENKUlT_T0_E_clISt17integral_constantIbLb0EESY_IbLb1EEEEDaSU_SV_EUlSU_E0_NS1_11comp_targetILNS1_3genE9ELNS1_11target_archE1100ELNS1_3gpuE3ELNS1_3repE0EEENS1_30default_config_static_selectorELNS0_4arch9wavefront6targetE0EEEvT1_.num_vgpr, 0
	.set _ZN7rocprim17ROCPRIM_400000_NS6detail17trampoline_kernelINS0_14default_configENS1_20scan_config_selectorIN3c107complexIdEEEEZZNS1_9scan_implILNS1_25lookback_scan_determinismE0ELb0ELb0ES3_PKS7_PS7_S7_ZZZN2at6native31launch_logcumsumexp_cuda_kernelERKNSE_10TensorBaseESI_lENKUlvE_clEvENKUlvE1_clEvEUlS7_S7_E_S7_EEDaPvRmT3_T4_T5_mT6_P12ihipStream_tbENKUlT_T0_E_clISt17integral_constantIbLb0EESY_IbLb1EEEEDaSU_SV_EUlSU_E0_NS1_11comp_targetILNS1_3genE9ELNS1_11target_archE1100ELNS1_3gpuE3ELNS1_3repE0EEENS1_30default_config_static_selectorELNS0_4arch9wavefront6targetE0EEEvT1_.num_agpr, 0
	.set _ZN7rocprim17ROCPRIM_400000_NS6detail17trampoline_kernelINS0_14default_configENS1_20scan_config_selectorIN3c107complexIdEEEEZZNS1_9scan_implILNS1_25lookback_scan_determinismE0ELb0ELb0ES3_PKS7_PS7_S7_ZZZN2at6native31launch_logcumsumexp_cuda_kernelERKNSE_10TensorBaseESI_lENKUlvE_clEvENKUlvE1_clEvEUlS7_S7_E_S7_EEDaPvRmT3_T4_T5_mT6_P12ihipStream_tbENKUlT_T0_E_clISt17integral_constantIbLb0EESY_IbLb1EEEEDaSU_SV_EUlSU_E0_NS1_11comp_targetILNS1_3genE9ELNS1_11target_archE1100ELNS1_3gpuE3ELNS1_3repE0EEENS1_30default_config_static_selectorELNS0_4arch9wavefront6targetE0EEEvT1_.numbered_sgpr, 0
	.set _ZN7rocprim17ROCPRIM_400000_NS6detail17trampoline_kernelINS0_14default_configENS1_20scan_config_selectorIN3c107complexIdEEEEZZNS1_9scan_implILNS1_25lookback_scan_determinismE0ELb0ELb0ES3_PKS7_PS7_S7_ZZZN2at6native31launch_logcumsumexp_cuda_kernelERKNSE_10TensorBaseESI_lENKUlvE_clEvENKUlvE1_clEvEUlS7_S7_E_S7_EEDaPvRmT3_T4_T5_mT6_P12ihipStream_tbENKUlT_T0_E_clISt17integral_constantIbLb0EESY_IbLb1EEEEDaSU_SV_EUlSU_E0_NS1_11comp_targetILNS1_3genE9ELNS1_11target_archE1100ELNS1_3gpuE3ELNS1_3repE0EEENS1_30default_config_static_selectorELNS0_4arch9wavefront6targetE0EEEvT1_.num_named_barrier, 0
	.set _ZN7rocprim17ROCPRIM_400000_NS6detail17trampoline_kernelINS0_14default_configENS1_20scan_config_selectorIN3c107complexIdEEEEZZNS1_9scan_implILNS1_25lookback_scan_determinismE0ELb0ELb0ES3_PKS7_PS7_S7_ZZZN2at6native31launch_logcumsumexp_cuda_kernelERKNSE_10TensorBaseESI_lENKUlvE_clEvENKUlvE1_clEvEUlS7_S7_E_S7_EEDaPvRmT3_T4_T5_mT6_P12ihipStream_tbENKUlT_T0_E_clISt17integral_constantIbLb0EESY_IbLb1EEEEDaSU_SV_EUlSU_E0_NS1_11comp_targetILNS1_3genE9ELNS1_11target_archE1100ELNS1_3gpuE3ELNS1_3repE0EEENS1_30default_config_static_selectorELNS0_4arch9wavefront6targetE0EEEvT1_.private_seg_size, 0
	.set _ZN7rocprim17ROCPRIM_400000_NS6detail17trampoline_kernelINS0_14default_configENS1_20scan_config_selectorIN3c107complexIdEEEEZZNS1_9scan_implILNS1_25lookback_scan_determinismE0ELb0ELb0ES3_PKS7_PS7_S7_ZZZN2at6native31launch_logcumsumexp_cuda_kernelERKNSE_10TensorBaseESI_lENKUlvE_clEvENKUlvE1_clEvEUlS7_S7_E_S7_EEDaPvRmT3_T4_T5_mT6_P12ihipStream_tbENKUlT_T0_E_clISt17integral_constantIbLb0EESY_IbLb1EEEEDaSU_SV_EUlSU_E0_NS1_11comp_targetILNS1_3genE9ELNS1_11target_archE1100ELNS1_3gpuE3ELNS1_3repE0EEENS1_30default_config_static_selectorELNS0_4arch9wavefront6targetE0EEEvT1_.uses_vcc, 0
	.set _ZN7rocprim17ROCPRIM_400000_NS6detail17trampoline_kernelINS0_14default_configENS1_20scan_config_selectorIN3c107complexIdEEEEZZNS1_9scan_implILNS1_25lookback_scan_determinismE0ELb0ELb0ES3_PKS7_PS7_S7_ZZZN2at6native31launch_logcumsumexp_cuda_kernelERKNSE_10TensorBaseESI_lENKUlvE_clEvENKUlvE1_clEvEUlS7_S7_E_S7_EEDaPvRmT3_T4_T5_mT6_P12ihipStream_tbENKUlT_T0_E_clISt17integral_constantIbLb0EESY_IbLb1EEEEDaSU_SV_EUlSU_E0_NS1_11comp_targetILNS1_3genE9ELNS1_11target_archE1100ELNS1_3gpuE3ELNS1_3repE0EEENS1_30default_config_static_selectorELNS0_4arch9wavefront6targetE0EEEvT1_.uses_flat_scratch, 0
	.set _ZN7rocprim17ROCPRIM_400000_NS6detail17trampoline_kernelINS0_14default_configENS1_20scan_config_selectorIN3c107complexIdEEEEZZNS1_9scan_implILNS1_25lookback_scan_determinismE0ELb0ELb0ES3_PKS7_PS7_S7_ZZZN2at6native31launch_logcumsumexp_cuda_kernelERKNSE_10TensorBaseESI_lENKUlvE_clEvENKUlvE1_clEvEUlS7_S7_E_S7_EEDaPvRmT3_T4_T5_mT6_P12ihipStream_tbENKUlT_T0_E_clISt17integral_constantIbLb0EESY_IbLb1EEEEDaSU_SV_EUlSU_E0_NS1_11comp_targetILNS1_3genE9ELNS1_11target_archE1100ELNS1_3gpuE3ELNS1_3repE0EEENS1_30default_config_static_selectorELNS0_4arch9wavefront6targetE0EEEvT1_.has_dyn_sized_stack, 0
	.set _ZN7rocprim17ROCPRIM_400000_NS6detail17trampoline_kernelINS0_14default_configENS1_20scan_config_selectorIN3c107complexIdEEEEZZNS1_9scan_implILNS1_25lookback_scan_determinismE0ELb0ELb0ES3_PKS7_PS7_S7_ZZZN2at6native31launch_logcumsumexp_cuda_kernelERKNSE_10TensorBaseESI_lENKUlvE_clEvENKUlvE1_clEvEUlS7_S7_E_S7_EEDaPvRmT3_T4_T5_mT6_P12ihipStream_tbENKUlT_T0_E_clISt17integral_constantIbLb0EESY_IbLb1EEEEDaSU_SV_EUlSU_E0_NS1_11comp_targetILNS1_3genE9ELNS1_11target_archE1100ELNS1_3gpuE3ELNS1_3repE0EEENS1_30default_config_static_selectorELNS0_4arch9wavefront6targetE0EEEvT1_.has_recursion, 0
	.set _ZN7rocprim17ROCPRIM_400000_NS6detail17trampoline_kernelINS0_14default_configENS1_20scan_config_selectorIN3c107complexIdEEEEZZNS1_9scan_implILNS1_25lookback_scan_determinismE0ELb0ELb0ES3_PKS7_PS7_S7_ZZZN2at6native31launch_logcumsumexp_cuda_kernelERKNSE_10TensorBaseESI_lENKUlvE_clEvENKUlvE1_clEvEUlS7_S7_E_S7_EEDaPvRmT3_T4_T5_mT6_P12ihipStream_tbENKUlT_T0_E_clISt17integral_constantIbLb0EESY_IbLb1EEEEDaSU_SV_EUlSU_E0_NS1_11comp_targetILNS1_3genE9ELNS1_11target_archE1100ELNS1_3gpuE3ELNS1_3repE0EEENS1_30default_config_static_selectorELNS0_4arch9wavefront6targetE0EEEvT1_.has_indirect_call, 0
	.section	.AMDGPU.csdata,"",@progbits
; Kernel info:
; codeLenInByte = 0
; TotalNumSgprs: 0
; NumVgprs: 0
; ScratchSize: 0
; MemoryBound: 0
; FloatMode: 240
; IeeeMode: 1
; LDSByteSize: 0 bytes/workgroup (compile time only)
; SGPRBlocks: 0
; VGPRBlocks: 0
; NumSGPRsForWavesPerEU: 1
; NumVGPRsForWavesPerEU: 1
; Occupancy: 16
; WaveLimiterHint : 0
; COMPUTE_PGM_RSRC2:SCRATCH_EN: 0
; COMPUTE_PGM_RSRC2:USER_SGPR: 6
; COMPUTE_PGM_RSRC2:TRAP_HANDLER: 0
; COMPUTE_PGM_RSRC2:TGID_X_EN: 1
; COMPUTE_PGM_RSRC2:TGID_Y_EN: 0
; COMPUTE_PGM_RSRC2:TGID_Z_EN: 0
; COMPUTE_PGM_RSRC2:TIDIG_COMP_CNT: 0
	.section	.text._ZN7rocprim17ROCPRIM_400000_NS6detail17trampoline_kernelINS0_14default_configENS1_20scan_config_selectorIN3c107complexIdEEEEZZNS1_9scan_implILNS1_25lookback_scan_determinismE0ELb0ELb0ES3_PKS7_PS7_S7_ZZZN2at6native31launch_logcumsumexp_cuda_kernelERKNSE_10TensorBaseESI_lENKUlvE_clEvENKUlvE1_clEvEUlS7_S7_E_S7_EEDaPvRmT3_T4_T5_mT6_P12ihipStream_tbENKUlT_T0_E_clISt17integral_constantIbLb0EESY_IbLb1EEEEDaSU_SV_EUlSU_E0_NS1_11comp_targetILNS1_3genE8ELNS1_11target_archE1030ELNS1_3gpuE2ELNS1_3repE0EEENS1_30default_config_static_selectorELNS0_4arch9wavefront6targetE0EEEvT1_,"axG",@progbits,_ZN7rocprim17ROCPRIM_400000_NS6detail17trampoline_kernelINS0_14default_configENS1_20scan_config_selectorIN3c107complexIdEEEEZZNS1_9scan_implILNS1_25lookback_scan_determinismE0ELb0ELb0ES3_PKS7_PS7_S7_ZZZN2at6native31launch_logcumsumexp_cuda_kernelERKNSE_10TensorBaseESI_lENKUlvE_clEvENKUlvE1_clEvEUlS7_S7_E_S7_EEDaPvRmT3_T4_T5_mT6_P12ihipStream_tbENKUlT_T0_E_clISt17integral_constantIbLb0EESY_IbLb1EEEEDaSU_SV_EUlSU_E0_NS1_11comp_targetILNS1_3genE8ELNS1_11target_archE1030ELNS1_3gpuE2ELNS1_3repE0EEENS1_30default_config_static_selectorELNS0_4arch9wavefront6targetE0EEEvT1_,comdat
	.globl	_ZN7rocprim17ROCPRIM_400000_NS6detail17trampoline_kernelINS0_14default_configENS1_20scan_config_selectorIN3c107complexIdEEEEZZNS1_9scan_implILNS1_25lookback_scan_determinismE0ELb0ELb0ES3_PKS7_PS7_S7_ZZZN2at6native31launch_logcumsumexp_cuda_kernelERKNSE_10TensorBaseESI_lENKUlvE_clEvENKUlvE1_clEvEUlS7_S7_E_S7_EEDaPvRmT3_T4_T5_mT6_P12ihipStream_tbENKUlT_T0_E_clISt17integral_constantIbLb0EESY_IbLb1EEEEDaSU_SV_EUlSU_E0_NS1_11comp_targetILNS1_3genE8ELNS1_11target_archE1030ELNS1_3gpuE2ELNS1_3repE0EEENS1_30default_config_static_selectorELNS0_4arch9wavefront6targetE0EEEvT1_ ; -- Begin function _ZN7rocprim17ROCPRIM_400000_NS6detail17trampoline_kernelINS0_14default_configENS1_20scan_config_selectorIN3c107complexIdEEEEZZNS1_9scan_implILNS1_25lookback_scan_determinismE0ELb0ELb0ES3_PKS7_PS7_S7_ZZZN2at6native31launch_logcumsumexp_cuda_kernelERKNSE_10TensorBaseESI_lENKUlvE_clEvENKUlvE1_clEvEUlS7_S7_E_S7_EEDaPvRmT3_T4_T5_mT6_P12ihipStream_tbENKUlT_T0_E_clISt17integral_constantIbLb0EESY_IbLb1EEEEDaSU_SV_EUlSU_E0_NS1_11comp_targetILNS1_3genE8ELNS1_11target_archE1030ELNS1_3gpuE2ELNS1_3repE0EEENS1_30default_config_static_selectorELNS0_4arch9wavefront6targetE0EEEvT1_
	.p2align	8
	.type	_ZN7rocprim17ROCPRIM_400000_NS6detail17trampoline_kernelINS0_14default_configENS1_20scan_config_selectorIN3c107complexIdEEEEZZNS1_9scan_implILNS1_25lookback_scan_determinismE0ELb0ELb0ES3_PKS7_PS7_S7_ZZZN2at6native31launch_logcumsumexp_cuda_kernelERKNSE_10TensorBaseESI_lENKUlvE_clEvENKUlvE1_clEvEUlS7_S7_E_S7_EEDaPvRmT3_T4_T5_mT6_P12ihipStream_tbENKUlT_T0_E_clISt17integral_constantIbLb0EESY_IbLb1EEEEDaSU_SV_EUlSU_E0_NS1_11comp_targetILNS1_3genE8ELNS1_11target_archE1030ELNS1_3gpuE2ELNS1_3repE0EEENS1_30default_config_static_selectorELNS0_4arch9wavefront6targetE0EEEvT1_,@function
_ZN7rocprim17ROCPRIM_400000_NS6detail17trampoline_kernelINS0_14default_configENS1_20scan_config_selectorIN3c107complexIdEEEEZZNS1_9scan_implILNS1_25lookback_scan_determinismE0ELb0ELb0ES3_PKS7_PS7_S7_ZZZN2at6native31launch_logcumsumexp_cuda_kernelERKNSE_10TensorBaseESI_lENKUlvE_clEvENKUlvE1_clEvEUlS7_S7_E_S7_EEDaPvRmT3_T4_T5_mT6_P12ihipStream_tbENKUlT_T0_E_clISt17integral_constantIbLb0EESY_IbLb1EEEEDaSU_SV_EUlSU_E0_NS1_11comp_targetILNS1_3genE8ELNS1_11target_archE1030ELNS1_3gpuE2ELNS1_3repE0EEENS1_30default_config_static_selectorELNS0_4arch9wavefront6targetE0EEEvT1_: ; @_ZN7rocprim17ROCPRIM_400000_NS6detail17trampoline_kernelINS0_14default_configENS1_20scan_config_selectorIN3c107complexIdEEEEZZNS1_9scan_implILNS1_25lookback_scan_determinismE0ELb0ELb0ES3_PKS7_PS7_S7_ZZZN2at6native31launch_logcumsumexp_cuda_kernelERKNSE_10TensorBaseESI_lENKUlvE_clEvENKUlvE1_clEvEUlS7_S7_E_S7_EEDaPvRmT3_T4_T5_mT6_P12ihipStream_tbENKUlT_T0_E_clISt17integral_constantIbLb0EESY_IbLb1EEEEDaSU_SV_EUlSU_E0_NS1_11comp_targetILNS1_3genE8ELNS1_11target_archE1030ELNS1_3gpuE2ELNS1_3repE0EEENS1_30default_config_static_selectorELNS0_4arch9wavefront6targetE0EEEvT1_
; %bb.0:
	s_load_dwordx4 s[8:11], s[4:5], 0x0
	v_mov_b32_e32 v72, v0
	s_add_u32 s0, s0, s7
	s_addc_u32 s1, s1, 0
	s_mov_b32 s32, 0
	v_lshlrev_b32_e32 v73, 4, v72
	s_waitcnt lgkmcnt(0)
	s_load_dwordx4 s[12:15], s[8:9], 0x0
	v_cmp_gt_u32_e64 s27, s10, v72
	s_waitcnt lgkmcnt(0)
	v_mov_b32_e32 v2, s14
	v_mov_b32_e32 v0, s12
	;; [unrolled: 1-line block ×4, first 2 shown]
	s_and_saveexec_b32 s6, s27
	s_cbranch_execz .LBB258_2
; %bb.1:
	global_load_dwordx4 v[0:3], v73, s[8:9]
.LBB258_2:
	s_or_b32 exec_lo, exec_lo, s6
	v_or_b32_e32 v8, 0x100, v72
	v_mov_b32_e32 v6, s14
	v_mov_b32_e32 v4, s12
	;; [unrolled: 1-line block ×4, first 2 shown]
	v_cmp_gt_u32_e64 s33, s10, v8
	s_and_saveexec_b32 s6, s33
	s_cbranch_execz .LBB258_4
; %bb.3:
	v_lshlrev_b32_e32 v4, 4, v8
	global_load_dwordx4 v[4:7], v4, s[8:9]
.LBB258_4:
	s_or_b32 exec_lo, exec_lo, s6
	v_lshrrev_b32_e32 v9, 1, v72
	v_lshrrev_b32_e32 v8, 1, v8
	v_and_b32_e32 v10, 0xf0, v72
	v_lshlrev_b32_e32 v11, 5, v72
	s_load_dwordx2 s[34:35], s[4:5], 0x28
	v_and_b32_e32 v9, 0x70, v9
	v_and_b32_e32 v8, 0xf0, v8
	s_getpc_b64 s[36:37]
	s_add_u32 s36, s36, _ZZZZN2at6native31launch_logcumsumexp_cuda_kernelERKNS_10TensorBaseES3_lENKUlvE_clEvENKUlvE1_clEvENKUlN3c107complexIdEES8_E_clES8_S8_@rel32@lo+4
	s_addc_u32 s37, s37, _ZZZZN2at6native31launch_logcumsumexp_cuda_kernelERKNS_10TensorBaseES3_lENKUlvE_clEvENKUlvE1_clEvENKUlN3c107complexIdEES8_E_clES8_S8_@rel32@hi+12
	v_add_nc_u32_e32 v76, v10, v11
	v_add_nc_u32_e32 v74, v9, v73
	;; [unrolled: 1-line block ×3, first 2 shown]
	s_waitcnt vmcnt(0)
	ds_write_b128 v74, v[0:3]
	ds_write_b128 v75, v[4:7] offset:4096
	s_waitcnt lgkmcnt(0)
	s_barrier
	buffer_gl0_inv
	ds_read_b128 v[40:43], v76
	ds_read_b128 v[44:47], v76 offset:16
	s_waitcnt lgkmcnt(0)
	s_barrier
	buffer_gl0_inv
	v_mov_b32_e32 v0, v40
	v_mov_b32_e32 v1, v41
	;; [unrolled: 1-line block ×8, first 2 shown]
	s_swappc_b64 s[30:31], s[36:37]
	v_mov_b32_e32 v56, v0
	v_mov_b32_e32 v57, v1
	;; [unrolled: 1-line block ×4, first 2 shown]
	s_mov_b32 s38, exec_lo
	ds_write_b128 v74, v[56:59]
	s_waitcnt lgkmcnt(0)
	s_waitcnt_vscnt null, 0x0
	s_barrier
	buffer_gl0_inv
	v_cmpx_gt_u32_e32 32, v72
	s_cbranch_execz .LBB258_16
; %bb.5:
	v_lshlrev_b32_e32 v0, 2, v72
	v_lshlrev_b32_e32 v1, 7, v72
	v_and_b32_e32 v0, 0x3f0, v0
	v_add_nc_u32_e32 v77, v0, v1
	ds_read_b128 v[60:63], v77
	ds_read_b128 v[4:7], v77 offset:16
	s_waitcnt lgkmcnt(1)
	v_mov_b32_e32 v0, v60
	v_mov_b32_e32 v1, v61
	;; [unrolled: 1-line block ×4, first 2 shown]
	s_swappc_b64 s[30:31], s[36:37]
	ds_read_b128 v[4:7], v77 offset:32
	s_swappc_b64 s[30:31], s[36:37]
	ds_read_b128 v[4:7], v77 offset:48
	;; [unrolled: 2-line block ×6, first 2 shown]
	s_swappc_b64 s[30:31], s[36:37]
	v_mov_b32_e32 v4, v0
	v_mov_b32_e32 v5, v1
	;; [unrolled: 1-line block ×4, first 2 shown]
	v_mbcnt_lo_u32_b32 v78, -1, 0
	v_mov_b32_dpp v0, v4 row_shr:1 row_mask:0xf bank_mask:0xf
	v_mov_b32_dpp v1, v5 row_shr:1 row_mask:0xf bank_mask:0xf
	;; [unrolled: 1-line block ×4, first 2 shown]
	v_and_b32_e32 v79, 15, v78
	s_mov_b32 s36, exec_lo
	v_cmpx_ne_u32_e32 0, v79
	s_cbranch_execz .LBB258_7
; %bb.6:
	s_getpc_b64 s[4:5]
	s_add_u32 s4, s4, _ZZZZN2at6native31launch_logcumsumexp_cuda_kernelERKNS_10TensorBaseES3_lENKUlvE_clEvENKUlvE1_clEvENKUlN3c107complexIdEES8_E_clES8_S8_@rel32@lo+4
	s_addc_u32 s5, s5, _ZZZZN2at6native31launch_logcumsumexp_cuda_kernelERKNS_10TensorBaseES3_lENKUlvE_clEvENKUlvE1_clEvENKUlN3c107complexIdEES8_E_clES8_S8_@rel32@hi+12
	s_swappc_b64 s[30:31], s[4:5]
	v_mov_b32_e32 v4, v0
	v_mov_b32_e32 v5, v1
	v_mov_b32_e32 v6, v2
	v_mov_b32_e32 v7, v3
.LBB258_7:
	s_or_b32 exec_lo, exec_lo, s36
	v_mov_b32_dpp v0, v4 row_shr:2 row_mask:0xf bank_mask:0xf
	v_mov_b32_dpp v1, v5 row_shr:2 row_mask:0xf bank_mask:0xf
	v_mov_b32_dpp v2, v6 row_shr:2 row_mask:0xf bank_mask:0xf
	v_mov_b32_dpp v3, v7 row_shr:2 row_mask:0xf bank_mask:0xf
	s_mov_b32 s36, exec_lo
	v_cmpx_lt_u32_e32 1, v79
	s_cbranch_execz .LBB258_9
; %bb.8:
	s_getpc_b64 s[4:5]
	s_add_u32 s4, s4, _ZZZZN2at6native31launch_logcumsumexp_cuda_kernelERKNS_10TensorBaseES3_lENKUlvE_clEvENKUlvE1_clEvENKUlN3c107complexIdEES8_E_clES8_S8_@rel32@lo+4
	s_addc_u32 s5, s5, _ZZZZN2at6native31launch_logcumsumexp_cuda_kernelERKNS_10TensorBaseES3_lENKUlvE_clEvENKUlvE1_clEvENKUlN3c107complexIdEES8_E_clES8_S8_@rel32@hi+12
	s_swappc_b64 s[30:31], s[4:5]
	v_mov_b32_e32 v4, v0
	v_mov_b32_e32 v5, v1
	v_mov_b32_e32 v6, v2
	v_mov_b32_e32 v7, v3
.LBB258_9:
	s_or_b32 exec_lo, exec_lo, s36
	v_mov_b32_dpp v0, v4 row_shr:4 row_mask:0xf bank_mask:0xf
	v_mov_b32_dpp v1, v5 row_shr:4 row_mask:0xf bank_mask:0xf
	v_mov_b32_dpp v2, v6 row_shr:4 row_mask:0xf bank_mask:0xf
	v_mov_b32_dpp v3, v7 row_shr:4 row_mask:0xf bank_mask:0xf
	s_mov_b32 s36, exec_lo
	v_cmpx_lt_u32_e32 3, v79
	;; [unrolled: 18-line block ×3, first 2 shown]
	s_cbranch_execz .LBB258_13
; %bb.12:
	s_getpc_b64 s[4:5]
	s_add_u32 s4, s4, _ZZZZN2at6native31launch_logcumsumexp_cuda_kernelERKNS_10TensorBaseES3_lENKUlvE_clEvENKUlvE1_clEvENKUlN3c107complexIdEES8_E_clES8_S8_@rel32@lo+4
	s_addc_u32 s5, s5, _ZZZZN2at6native31launch_logcumsumexp_cuda_kernelERKNS_10TensorBaseES3_lENKUlvE_clEvENKUlvE1_clEvENKUlN3c107complexIdEES8_E_clES8_S8_@rel32@hi+12
	s_swappc_b64 s[30:31], s[4:5]
	v_mov_b32_e32 v4, v0
	v_mov_b32_e32 v5, v1
	;; [unrolled: 1-line block ×4, first 2 shown]
.LBB258_13:
	s_or_b32 exec_lo, exec_lo, s36
	ds_swizzle_b32 v0, v4 offset:swizzle(BROADCAST,32,15)
	ds_swizzle_b32 v1, v5 offset:swizzle(BROADCAST,32,15)
	;; [unrolled: 1-line block ×4, first 2 shown]
	v_and_b32_e32 v8, 16, v78
	s_mov_b32 s36, exec_lo
	v_cmpx_ne_u32_e32 0, v8
	s_cbranch_execz .LBB258_15
; %bb.14:
	s_getpc_b64 s[4:5]
	s_add_u32 s4, s4, _ZZZZN2at6native31launch_logcumsumexp_cuda_kernelERKNS_10TensorBaseES3_lENKUlvE_clEvENKUlvE1_clEvENKUlN3c107complexIdEES8_E_clES8_S8_@rel32@lo+4
	s_addc_u32 s5, s5, _ZZZZN2at6native31launch_logcumsumexp_cuda_kernelERKNS_10TensorBaseES3_lENKUlvE_clEvENKUlvE1_clEvENKUlN3c107complexIdEES8_E_clES8_S8_@rel32@hi+12
	s_swappc_b64 s[30:31], s[4:5]
	v_mov_b32_e32 v4, v0
	v_mov_b32_e32 v5, v1
	;; [unrolled: 1-line block ×4, first 2 shown]
.LBB258_15:
	s_or_b32 exec_lo, exec_lo, s36
	s_waitcnt lgkmcnt(3)
	v_add_nc_u32_e32 v0, -1, v78
	s_getpc_b64 s[36:37]
	s_add_u32 s36, s36, _ZZZZN2at6native31launch_logcumsumexp_cuda_kernelERKNS_10TensorBaseES3_lENKUlvE_clEvENKUlvE1_clEvENKUlN3c107complexIdEES8_E_clES8_S8_@rel32@lo+4
	s_addc_u32 s37, s37, _ZZZZN2at6native31launch_logcumsumexp_cuda_kernelERKNS_10TensorBaseES3_lENKUlvE_clEvENKUlvE1_clEvENKUlN3c107complexIdEES8_E_clES8_S8_@rel32@hi+12
	v_cmp_gt_i32_e32 vcc_lo, 0, v0
	v_cndmask_b32_e32 v0, v0, v78, vcc_lo
	s_waitcnt lgkmcnt(0)
	v_lshlrev_b32_e32 v3, 2, v0
	ds_bpermute_b32 v0, v3, v4
	ds_bpermute_b32 v1, v3, v5
	;; [unrolled: 1-line block ×4, first 2 shown]
	v_mov_b32_e32 v4, v60
	v_mov_b32_e32 v5, v61
	;; [unrolled: 1-line block ×4, first 2 shown]
	s_swappc_b64 s[30:31], s[36:37]
	v_cmp_eq_u32_e32 vcc_lo, 0, v72
	; wave barrier
	v_cndmask_b32_e32 v3, v3, v59, vcc_lo
	v_cndmask_b32_e32 v2, v2, v58, vcc_lo
	;; [unrolled: 1-line block ×4, first 2 shown]
	ds_write_b128 v77, v[0:3]
	; wave barrier
	ds_read_b128 v[4:7], v77 offset:16
	s_swappc_b64 s[30:31], s[36:37]
	ds_read_b128 v[4:7], v77 offset:32
	ds_write_b128 v77, v[0:3] offset:16
	s_swappc_b64 s[30:31], s[36:37]
	ds_read_b128 v[4:7], v77 offset:48
	ds_write_b128 v77, v[0:3] offset:32
	;; [unrolled: 3-line block ×6, first 2 shown]
	s_swappc_b64 s[30:31], s[36:37]
	ds_write_b128 v77, v[0:3] offset:112
.LBB258_16:
	s_or_b32 exec_lo, exec_lo, s38
	s_mov_b32 s36, exec_lo
	s_waitcnt lgkmcnt(0)
	s_waitcnt_vscnt null, 0x0
	s_barrier
	buffer_gl0_inv
	v_cmpx_ne_u32_e32 0, v72
	s_cbranch_execz .LBB258_18
; %bb.17:
	v_add_nc_u32_e32 v0, -1, v72
	v_mov_b32_e32 v4, v40
	v_mov_b32_e32 v5, v41
	;; [unrolled: 1-line block ×4, first 2 shown]
	v_lshrrev_b32_e32 v1, 1, v0
	s_getpc_b64 s[38:39]
	s_add_u32 s38, s38, _ZZZZN2at6native31launch_logcumsumexp_cuda_kernelERKNS_10TensorBaseES3_lENKUlvE_clEvENKUlvE1_clEvENKUlN3c107complexIdEES8_E_clES8_S8_@rel32@lo+4
	s_addc_u32 s39, s39, _ZZZZN2at6native31launch_logcumsumexp_cuda_kernelERKNS_10TensorBaseES3_lENKUlvE_clEvENKUlvE1_clEvENKUlN3c107complexIdEES8_E_clES8_S8_@rel32@hi+12
	v_and_b32_e32 v1, 0x7ffffff0, v1
	v_lshl_add_u32 v0, v0, 4, v1
	ds_read_b128 v[0:3], v0
	s_swappc_b64 s[30:31], s[38:39]
	v_mov_b32_e32 v4, v44
	v_mov_b32_e32 v5, v45
	;; [unrolled: 1-line block ×8, first 2 shown]
	;;#ASMSTART
	;;#ASMEND
	s_swappc_b64 s[30:31], s[38:39]
	v_mov_b32_e32 v56, v0
	v_mov_b32_e32 v57, v1
	;; [unrolled: 1-line block ×4, first 2 shown]
.LBB258_18:
	s_or_b32 exec_lo, exec_lo, s36
	s_waitcnt_vscnt null, 0x0
	s_barrier
	buffer_gl0_inv
	ds_write_b128 v76, v[40:43]
	ds_write_b128 v76, v[56:59] offset:16
	s_waitcnt lgkmcnt(0)
	s_barrier
	buffer_gl0_inv
	ds_read_b128 v[0:3], v75 offset:4096
	v_add_co_u32 v4, s4, s34, v73
	v_add_co_ci_u32_e64 v5, null, s35, 0, s4
	s_and_saveexec_b32 s4, s27
	s_cbranch_execnz .LBB258_21
; %bb.19:
	s_or_b32 exec_lo, exec_lo, s4
	s_and_saveexec_b32 s4, s33
	s_cbranch_execnz .LBB258_22
.LBB258_20:
	s_endpgm
.LBB258_21:
	ds_read_b128 v[6:9], v74
	s_waitcnt lgkmcnt(0)
	global_store_dwordx4 v[4:5], v[6:9], off
	s_or_b32 exec_lo, exec_lo, s4
	s_and_saveexec_b32 s4, s33
	s_cbranch_execz .LBB258_20
.LBB258_22:
	v_add_co_u32 v4, vcc_lo, 0x1000, v4
	v_add_co_ci_u32_e64 v5, null, 0, v5, vcc_lo
	s_waitcnt lgkmcnt(0)
	global_store_dwordx4 v[4:5], v[0:3], off
	s_endpgm
	.section	.rodata,"a",@progbits
	.p2align	6, 0x0
	.amdhsa_kernel _ZN7rocprim17ROCPRIM_400000_NS6detail17trampoline_kernelINS0_14default_configENS1_20scan_config_selectorIN3c107complexIdEEEEZZNS1_9scan_implILNS1_25lookback_scan_determinismE0ELb0ELb0ES3_PKS7_PS7_S7_ZZZN2at6native31launch_logcumsumexp_cuda_kernelERKNSE_10TensorBaseESI_lENKUlvE_clEvENKUlvE1_clEvEUlS7_S7_E_S7_EEDaPvRmT3_T4_T5_mT6_P12ihipStream_tbENKUlT_T0_E_clISt17integral_constantIbLb0EESY_IbLb1EEEEDaSU_SV_EUlSU_E0_NS1_11comp_targetILNS1_3genE8ELNS1_11target_archE1030ELNS1_3gpuE2ELNS1_3repE0EEENS1_30default_config_static_selectorELNS0_4arch9wavefront6targetE0EEEvT1_
		.amdhsa_group_segment_fixed_size 8448
		.amdhsa_private_segment_fixed_size 0
		.amdhsa_kernarg_size 48
		.amdhsa_user_sgpr_count 6
		.amdhsa_user_sgpr_private_segment_buffer 1
		.amdhsa_user_sgpr_dispatch_ptr 0
		.amdhsa_user_sgpr_queue_ptr 0
		.amdhsa_user_sgpr_kernarg_segment_ptr 1
		.amdhsa_user_sgpr_dispatch_id 0
		.amdhsa_user_sgpr_flat_scratch_init 0
		.amdhsa_user_sgpr_private_segment_size 0
		.amdhsa_wavefront_size32 1
		.amdhsa_uses_dynamic_stack 0
		.amdhsa_system_sgpr_private_segment_wavefront_offset 0
		.amdhsa_system_sgpr_workgroup_id_x 1
		.amdhsa_system_sgpr_workgroup_id_y 0
		.amdhsa_system_sgpr_workgroup_id_z 0
		.amdhsa_system_sgpr_workgroup_info 0
		.amdhsa_system_vgpr_workitem_id 0
		.amdhsa_next_free_vgpr 86
		.amdhsa_next_free_sgpr 42
		.amdhsa_reserve_vcc 1
		.amdhsa_reserve_flat_scratch 0
		.amdhsa_float_round_mode_32 0
		.amdhsa_float_round_mode_16_64 0
		.amdhsa_float_denorm_mode_32 3
		.amdhsa_float_denorm_mode_16_64 3
		.amdhsa_dx10_clamp 1
		.amdhsa_ieee_mode 1
		.amdhsa_fp16_overflow 0
		.amdhsa_workgroup_processor_mode 1
		.amdhsa_memory_ordered 1
		.amdhsa_forward_progress 1
		.amdhsa_shared_vgpr_count 0
		.amdhsa_exception_fp_ieee_invalid_op 0
		.amdhsa_exception_fp_denorm_src 0
		.amdhsa_exception_fp_ieee_div_zero 0
		.amdhsa_exception_fp_ieee_overflow 0
		.amdhsa_exception_fp_ieee_underflow 0
		.amdhsa_exception_fp_ieee_inexact 0
		.amdhsa_exception_int_div_zero 0
	.end_amdhsa_kernel
	.section	.text._ZN7rocprim17ROCPRIM_400000_NS6detail17trampoline_kernelINS0_14default_configENS1_20scan_config_selectorIN3c107complexIdEEEEZZNS1_9scan_implILNS1_25lookback_scan_determinismE0ELb0ELb0ES3_PKS7_PS7_S7_ZZZN2at6native31launch_logcumsumexp_cuda_kernelERKNSE_10TensorBaseESI_lENKUlvE_clEvENKUlvE1_clEvEUlS7_S7_E_S7_EEDaPvRmT3_T4_T5_mT6_P12ihipStream_tbENKUlT_T0_E_clISt17integral_constantIbLb0EESY_IbLb1EEEEDaSU_SV_EUlSU_E0_NS1_11comp_targetILNS1_3genE8ELNS1_11target_archE1030ELNS1_3gpuE2ELNS1_3repE0EEENS1_30default_config_static_selectorELNS0_4arch9wavefront6targetE0EEEvT1_,"axG",@progbits,_ZN7rocprim17ROCPRIM_400000_NS6detail17trampoline_kernelINS0_14default_configENS1_20scan_config_selectorIN3c107complexIdEEEEZZNS1_9scan_implILNS1_25lookback_scan_determinismE0ELb0ELb0ES3_PKS7_PS7_S7_ZZZN2at6native31launch_logcumsumexp_cuda_kernelERKNSE_10TensorBaseESI_lENKUlvE_clEvENKUlvE1_clEvEUlS7_S7_E_S7_EEDaPvRmT3_T4_T5_mT6_P12ihipStream_tbENKUlT_T0_E_clISt17integral_constantIbLb0EESY_IbLb1EEEEDaSU_SV_EUlSU_E0_NS1_11comp_targetILNS1_3genE8ELNS1_11target_archE1030ELNS1_3gpuE2ELNS1_3repE0EEENS1_30default_config_static_selectorELNS0_4arch9wavefront6targetE0EEEvT1_,comdat
.Lfunc_end258:
	.size	_ZN7rocprim17ROCPRIM_400000_NS6detail17trampoline_kernelINS0_14default_configENS1_20scan_config_selectorIN3c107complexIdEEEEZZNS1_9scan_implILNS1_25lookback_scan_determinismE0ELb0ELb0ES3_PKS7_PS7_S7_ZZZN2at6native31launch_logcumsumexp_cuda_kernelERKNSE_10TensorBaseESI_lENKUlvE_clEvENKUlvE1_clEvEUlS7_S7_E_S7_EEDaPvRmT3_T4_T5_mT6_P12ihipStream_tbENKUlT_T0_E_clISt17integral_constantIbLb0EESY_IbLb1EEEEDaSU_SV_EUlSU_E0_NS1_11comp_targetILNS1_3genE8ELNS1_11target_archE1030ELNS1_3gpuE2ELNS1_3repE0EEENS1_30default_config_static_selectorELNS0_4arch9wavefront6targetE0EEEvT1_, .Lfunc_end258-_ZN7rocprim17ROCPRIM_400000_NS6detail17trampoline_kernelINS0_14default_configENS1_20scan_config_selectorIN3c107complexIdEEEEZZNS1_9scan_implILNS1_25lookback_scan_determinismE0ELb0ELb0ES3_PKS7_PS7_S7_ZZZN2at6native31launch_logcumsumexp_cuda_kernelERKNSE_10TensorBaseESI_lENKUlvE_clEvENKUlvE1_clEvEUlS7_S7_E_S7_EEDaPvRmT3_T4_T5_mT6_P12ihipStream_tbENKUlT_T0_E_clISt17integral_constantIbLb0EESY_IbLb1EEEEDaSU_SV_EUlSU_E0_NS1_11comp_targetILNS1_3genE8ELNS1_11target_archE1030ELNS1_3gpuE2ELNS1_3repE0EEENS1_30default_config_static_selectorELNS0_4arch9wavefront6targetE0EEEvT1_
                                        ; -- End function
	.set _ZN7rocprim17ROCPRIM_400000_NS6detail17trampoline_kernelINS0_14default_configENS1_20scan_config_selectorIN3c107complexIdEEEEZZNS1_9scan_implILNS1_25lookback_scan_determinismE0ELb0ELb0ES3_PKS7_PS7_S7_ZZZN2at6native31launch_logcumsumexp_cuda_kernelERKNSE_10TensorBaseESI_lENKUlvE_clEvENKUlvE1_clEvEUlS7_S7_E_S7_EEDaPvRmT3_T4_T5_mT6_P12ihipStream_tbENKUlT_T0_E_clISt17integral_constantIbLb0EESY_IbLb1EEEEDaSU_SV_EUlSU_E0_NS1_11comp_targetILNS1_3genE8ELNS1_11target_archE1030ELNS1_3gpuE2ELNS1_3repE0EEENS1_30default_config_static_selectorELNS0_4arch9wavefront6targetE0EEEvT1_.num_vgpr, max(80, .L_ZZZZN2at6native31launch_logcumsumexp_cuda_kernelERKNS_10TensorBaseES3_lENKUlvE_clEvENKUlvE1_clEvENKUlN3c107complexIdEES8_E_clES8_S8_.num_vgpr)
	.set _ZN7rocprim17ROCPRIM_400000_NS6detail17trampoline_kernelINS0_14default_configENS1_20scan_config_selectorIN3c107complexIdEEEEZZNS1_9scan_implILNS1_25lookback_scan_determinismE0ELb0ELb0ES3_PKS7_PS7_S7_ZZZN2at6native31launch_logcumsumexp_cuda_kernelERKNSE_10TensorBaseESI_lENKUlvE_clEvENKUlvE1_clEvEUlS7_S7_E_S7_EEDaPvRmT3_T4_T5_mT6_P12ihipStream_tbENKUlT_T0_E_clISt17integral_constantIbLb0EESY_IbLb1EEEEDaSU_SV_EUlSU_E0_NS1_11comp_targetILNS1_3genE8ELNS1_11target_archE1030ELNS1_3gpuE2ELNS1_3repE0EEENS1_30default_config_static_selectorELNS0_4arch9wavefront6targetE0EEEvT1_.num_agpr, max(0, .L_ZZZZN2at6native31launch_logcumsumexp_cuda_kernelERKNS_10TensorBaseES3_lENKUlvE_clEvENKUlvE1_clEvENKUlN3c107complexIdEES8_E_clES8_S8_.num_agpr)
	.set _ZN7rocprim17ROCPRIM_400000_NS6detail17trampoline_kernelINS0_14default_configENS1_20scan_config_selectorIN3c107complexIdEEEEZZNS1_9scan_implILNS1_25lookback_scan_determinismE0ELb0ELb0ES3_PKS7_PS7_S7_ZZZN2at6native31launch_logcumsumexp_cuda_kernelERKNSE_10TensorBaseESI_lENKUlvE_clEvENKUlvE1_clEvEUlS7_S7_E_S7_EEDaPvRmT3_T4_T5_mT6_P12ihipStream_tbENKUlT_T0_E_clISt17integral_constantIbLb0EESY_IbLb1EEEEDaSU_SV_EUlSU_E0_NS1_11comp_targetILNS1_3genE8ELNS1_11target_archE1030ELNS1_3gpuE2ELNS1_3repE0EEENS1_30default_config_static_selectorELNS0_4arch9wavefront6targetE0EEEvT1_.numbered_sgpr, max(40, .L_ZZZZN2at6native31launch_logcumsumexp_cuda_kernelERKNS_10TensorBaseES3_lENKUlvE_clEvENKUlvE1_clEvENKUlN3c107complexIdEES8_E_clES8_S8_.numbered_sgpr)
	.set _ZN7rocprim17ROCPRIM_400000_NS6detail17trampoline_kernelINS0_14default_configENS1_20scan_config_selectorIN3c107complexIdEEEEZZNS1_9scan_implILNS1_25lookback_scan_determinismE0ELb0ELb0ES3_PKS7_PS7_S7_ZZZN2at6native31launch_logcumsumexp_cuda_kernelERKNSE_10TensorBaseESI_lENKUlvE_clEvENKUlvE1_clEvEUlS7_S7_E_S7_EEDaPvRmT3_T4_T5_mT6_P12ihipStream_tbENKUlT_T0_E_clISt17integral_constantIbLb0EESY_IbLb1EEEEDaSU_SV_EUlSU_E0_NS1_11comp_targetILNS1_3genE8ELNS1_11target_archE1030ELNS1_3gpuE2ELNS1_3repE0EEENS1_30default_config_static_selectorELNS0_4arch9wavefront6targetE0EEEvT1_.num_named_barrier, max(0, .L_ZZZZN2at6native31launch_logcumsumexp_cuda_kernelERKNS_10TensorBaseES3_lENKUlvE_clEvENKUlvE1_clEvENKUlN3c107complexIdEES8_E_clES8_S8_.num_named_barrier)
	.set _ZN7rocprim17ROCPRIM_400000_NS6detail17trampoline_kernelINS0_14default_configENS1_20scan_config_selectorIN3c107complexIdEEEEZZNS1_9scan_implILNS1_25lookback_scan_determinismE0ELb0ELb0ES3_PKS7_PS7_S7_ZZZN2at6native31launch_logcumsumexp_cuda_kernelERKNSE_10TensorBaseESI_lENKUlvE_clEvENKUlvE1_clEvEUlS7_S7_E_S7_EEDaPvRmT3_T4_T5_mT6_P12ihipStream_tbENKUlT_T0_E_clISt17integral_constantIbLb0EESY_IbLb1EEEEDaSU_SV_EUlSU_E0_NS1_11comp_targetILNS1_3genE8ELNS1_11target_archE1030ELNS1_3gpuE2ELNS1_3repE0EEENS1_30default_config_static_selectorELNS0_4arch9wavefront6targetE0EEEvT1_.private_seg_size, 0+max(.L_ZZZZN2at6native31launch_logcumsumexp_cuda_kernelERKNS_10TensorBaseES3_lENKUlvE_clEvENKUlvE1_clEvENKUlN3c107complexIdEES8_E_clES8_S8_.private_seg_size)
	.set _ZN7rocprim17ROCPRIM_400000_NS6detail17trampoline_kernelINS0_14default_configENS1_20scan_config_selectorIN3c107complexIdEEEEZZNS1_9scan_implILNS1_25lookback_scan_determinismE0ELb0ELb0ES3_PKS7_PS7_S7_ZZZN2at6native31launch_logcumsumexp_cuda_kernelERKNSE_10TensorBaseESI_lENKUlvE_clEvENKUlvE1_clEvEUlS7_S7_E_S7_EEDaPvRmT3_T4_T5_mT6_P12ihipStream_tbENKUlT_T0_E_clISt17integral_constantIbLb0EESY_IbLb1EEEEDaSU_SV_EUlSU_E0_NS1_11comp_targetILNS1_3genE8ELNS1_11target_archE1030ELNS1_3gpuE2ELNS1_3repE0EEENS1_30default_config_static_selectorELNS0_4arch9wavefront6targetE0EEEvT1_.uses_vcc, or(1, .L_ZZZZN2at6native31launch_logcumsumexp_cuda_kernelERKNS_10TensorBaseES3_lENKUlvE_clEvENKUlvE1_clEvENKUlN3c107complexIdEES8_E_clES8_S8_.uses_vcc)
	.set _ZN7rocprim17ROCPRIM_400000_NS6detail17trampoline_kernelINS0_14default_configENS1_20scan_config_selectorIN3c107complexIdEEEEZZNS1_9scan_implILNS1_25lookback_scan_determinismE0ELb0ELb0ES3_PKS7_PS7_S7_ZZZN2at6native31launch_logcumsumexp_cuda_kernelERKNSE_10TensorBaseESI_lENKUlvE_clEvENKUlvE1_clEvEUlS7_S7_E_S7_EEDaPvRmT3_T4_T5_mT6_P12ihipStream_tbENKUlT_T0_E_clISt17integral_constantIbLb0EESY_IbLb1EEEEDaSU_SV_EUlSU_E0_NS1_11comp_targetILNS1_3genE8ELNS1_11target_archE1030ELNS1_3gpuE2ELNS1_3repE0EEENS1_30default_config_static_selectorELNS0_4arch9wavefront6targetE0EEEvT1_.uses_flat_scratch, or(0, .L_ZZZZN2at6native31launch_logcumsumexp_cuda_kernelERKNS_10TensorBaseES3_lENKUlvE_clEvENKUlvE1_clEvENKUlN3c107complexIdEES8_E_clES8_S8_.uses_flat_scratch)
	.set _ZN7rocprim17ROCPRIM_400000_NS6detail17trampoline_kernelINS0_14default_configENS1_20scan_config_selectorIN3c107complexIdEEEEZZNS1_9scan_implILNS1_25lookback_scan_determinismE0ELb0ELb0ES3_PKS7_PS7_S7_ZZZN2at6native31launch_logcumsumexp_cuda_kernelERKNSE_10TensorBaseESI_lENKUlvE_clEvENKUlvE1_clEvEUlS7_S7_E_S7_EEDaPvRmT3_T4_T5_mT6_P12ihipStream_tbENKUlT_T0_E_clISt17integral_constantIbLb0EESY_IbLb1EEEEDaSU_SV_EUlSU_E0_NS1_11comp_targetILNS1_3genE8ELNS1_11target_archE1030ELNS1_3gpuE2ELNS1_3repE0EEENS1_30default_config_static_selectorELNS0_4arch9wavefront6targetE0EEEvT1_.has_dyn_sized_stack, or(0, .L_ZZZZN2at6native31launch_logcumsumexp_cuda_kernelERKNS_10TensorBaseES3_lENKUlvE_clEvENKUlvE1_clEvENKUlN3c107complexIdEES8_E_clES8_S8_.has_dyn_sized_stack)
	.set _ZN7rocprim17ROCPRIM_400000_NS6detail17trampoline_kernelINS0_14default_configENS1_20scan_config_selectorIN3c107complexIdEEEEZZNS1_9scan_implILNS1_25lookback_scan_determinismE0ELb0ELb0ES3_PKS7_PS7_S7_ZZZN2at6native31launch_logcumsumexp_cuda_kernelERKNSE_10TensorBaseESI_lENKUlvE_clEvENKUlvE1_clEvEUlS7_S7_E_S7_EEDaPvRmT3_T4_T5_mT6_P12ihipStream_tbENKUlT_T0_E_clISt17integral_constantIbLb0EESY_IbLb1EEEEDaSU_SV_EUlSU_E0_NS1_11comp_targetILNS1_3genE8ELNS1_11target_archE1030ELNS1_3gpuE2ELNS1_3repE0EEENS1_30default_config_static_selectorELNS0_4arch9wavefront6targetE0EEEvT1_.has_recursion, or(0, .L_ZZZZN2at6native31launch_logcumsumexp_cuda_kernelERKNS_10TensorBaseES3_lENKUlvE_clEvENKUlvE1_clEvENKUlN3c107complexIdEES8_E_clES8_S8_.has_recursion)
	.set _ZN7rocprim17ROCPRIM_400000_NS6detail17trampoline_kernelINS0_14default_configENS1_20scan_config_selectorIN3c107complexIdEEEEZZNS1_9scan_implILNS1_25lookback_scan_determinismE0ELb0ELb0ES3_PKS7_PS7_S7_ZZZN2at6native31launch_logcumsumexp_cuda_kernelERKNSE_10TensorBaseESI_lENKUlvE_clEvENKUlvE1_clEvEUlS7_S7_E_S7_EEDaPvRmT3_T4_T5_mT6_P12ihipStream_tbENKUlT_T0_E_clISt17integral_constantIbLb0EESY_IbLb1EEEEDaSU_SV_EUlSU_E0_NS1_11comp_targetILNS1_3genE8ELNS1_11target_archE1030ELNS1_3gpuE2ELNS1_3repE0EEENS1_30default_config_static_selectorELNS0_4arch9wavefront6targetE0EEEvT1_.has_indirect_call, or(0, .L_ZZZZN2at6native31launch_logcumsumexp_cuda_kernelERKNS_10TensorBaseES3_lENKUlvE_clEvENKUlvE1_clEvENKUlN3c107complexIdEES8_E_clES8_S8_.has_indirect_call)
	.section	.AMDGPU.csdata,"",@progbits
; Kernel info:
; codeLenInByte = 1576
; TotalNumSgprs: 44
; NumVgprs: 86
; ScratchSize: 0
; MemoryBound: 1
; FloatMode: 240
; IeeeMode: 1
; LDSByteSize: 8448 bytes/workgroup (compile time only)
; SGPRBlocks: 0
; VGPRBlocks: 10
; NumSGPRsForWavesPerEU: 44
; NumVGPRsForWavesPerEU: 86
; Occupancy: 10
; WaveLimiterHint : 0
; COMPUTE_PGM_RSRC2:SCRATCH_EN: 0
; COMPUTE_PGM_RSRC2:USER_SGPR: 6
; COMPUTE_PGM_RSRC2:TRAP_HANDLER: 0
; COMPUTE_PGM_RSRC2:TGID_X_EN: 1
; COMPUTE_PGM_RSRC2:TGID_Y_EN: 0
; COMPUTE_PGM_RSRC2:TGID_Z_EN: 0
; COMPUTE_PGM_RSRC2:TIDIG_COMP_CNT: 0
	.section	.text._ZN2at6native32tensor_kernel_scan_innermost_dimIN3c107complexIdEEZZZNS0_31launch_logcumsumexp_cuda_kernelERKNS_10TensorBaseES7_lENKUlvE_clEvENKUlvE1_clEvEUlS4_S4_E_EEvPT_PKSB_jjjSB_T0_,"axG",@progbits,_ZN2at6native32tensor_kernel_scan_innermost_dimIN3c107complexIdEEZZZNS0_31launch_logcumsumexp_cuda_kernelERKNS_10TensorBaseES7_lENKUlvE_clEvENKUlvE1_clEvEUlS4_S4_E_EEvPT_PKSB_jjjSB_T0_,comdat
	.globl	_ZN2at6native32tensor_kernel_scan_innermost_dimIN3c107complexIdEEZZZNS0_31launch_logcumsumexp_cuda_kernelERKNS_10TensorBaseES7_lENKUlvE_clEvENKUlvE1_clEvEUlS4_S4_E_EEvPT_PKSB_jjjSB_T0_ ; -- Begin function _ZN2at6native32tensor_kernel_scan_innermost_dimIN3c107complexIdEEZZZNS0_31launch_logcumsumexp_cuda_kernelERKNS_10TensorBaseES7_lENKUlvE_clEvENKUlvE1_clEvEUlS4_S4_E_EEvPT_PKSB_jjjSB_T0_
	.p2align	8
	.type	_ZN2at6native32tensor_kernel_scan_innermost_dimIN3c107complexIdEEZZZNS0_31launch_logcumsumexp_cuda_kernelERKNS_10TensorBaseES7_lENKUlvE_clEvENKUlvE1_clEvEUlS4_S4_E_EEvPT_PKSB_jjjSB_T0_,@function
_ZN2at6native32tensor_kernel_scan_innermost_dimIN3c107complexIdEEZZZNS0_31launch_logcumsumexp_cuda_kernelERKNS_10TensorBaseES7_lENKUlvE_clEvENKUlvE1_clEvEUlS4_S4_E_EEvPT_PKSB_jjjSB_T0_: ; @_ZN2at6native32tensor_kernel_scan_innermost_dimIN3c107complexIdEEZZZNS0_31launch_logcumsumexp_cuda_kernelERKNS_10TensorBaseES7_lENKUlvE_clEvENKUlvE1_clEvEUlS4_S4_E_EEvPT_PKSB_jjjSB_T0_
; %bb.0:
	s_clause 0x1
	s_load_dwordx8 s[44:51], s[4:5], 0x0
	s_load_dwordx4 s[52:55], s[4:5], 0x20
	v_mov_b32_e32 v42, v1
	s_add_u32 s0, s0, s7
	s_addc_u32 s1, s1, 0
	v_mov_b32_e32 v40, v0
	s_mov_b64 s[34:35], s[4:5]
	s_mov_b32 s27, s6
	s_mov_b32 s32, 0
	s_waitcnt lgkmcnt(0)
	s_lshl_b32 s38, 2, s50
	s_mul_hi_u32 s4, s48, s49
	v_mul_lo_u32 v0, s38, v42
	s_cmp_lg_u32 s4, 0
	s_mov_b32 s4, -1
	v_lshl_add_u32 v47, v0, 4, 0
	s_cbranch_scc1 .LBB259_30
; %bb.1:
	s_load_dword s6, s[34:35], 0x44
	s_add_u32 s4, s34, 56
	s_addc_u32 s5, s35, 0
	s_waitcnt lgkmcnt(0)
	s_lshr_b32 s6, s6, 16
	s_mul_i32 s39, s27, s6
	s_cmp_ge_u32 s39, s48
	s_cbranch_scc1 .LBB259_29
; %bb.2:
	s_load_dword s51, s[4:5], 0x0
	s_lshl_b32 s42, 1, s50
	v_lshl_add_u32 v41, v40, 4, v47
	s_cmp_lg_u32 s49, 0
	v_cmp_eq_u32_e64 s33, 0, v40
	s_cselect_b32 s43, -1, 0
	s_lshl_b32 s4, s38, 4
	v_mov_b32_e32 v44, 0
	v_lshl_add_u32 v56, s42, 4, v41
	v_add3_u32 v57, v47, s4, -16
	s_add_i32 s56, s50, 1
	s_waitcnt lgkmcnt(0)
	s_mul_i32 s51, s51, s6
	s_branch .LBB259_4
.LBB259_3:                              ;   in Loop: Header=BB259_4 Depth=1
	s_add_i32 s39, s39, s51
	s_cmp_ge_u32 s39, s48
	s_cbranch_scc1 .LBB259_29
.LBB259_4:                              ; =>This Loop Header: Depth=1
                                        ;     Child Loop BB259_7 Depth 2
                                        ;       Child Loop BB259_18 Depth 3
	s_andn2_b32 vcc_lo, exec_lo, s43
	s_cbranch_vccnz .LBB259_3
; %bb.5:                                ;   in Loop: Header=BB259_4 Depth=1
	v_add_nc_u32_e32 v2, s39, v42
	v_mov_b32_e32 v6, s54
	v_mov_b32_e32 v4, s52
	v_mov_b32_e32 v7, s55
	v_mov_b32_e32 v5, s53
	v_mul_lo_u32 v43, v2, s49
	v_cmp_gt_u32_e64 s36, s48, v2
	v_cmp_le_u32_e64 s37, s48, v2
	s_mov_b32 s57, 0
	v_lshlrev_b64 v[0:1], 4, v[43:44]
	v_add_co_u32 v58, vcc_lo, s46, v0
	v_add_co_ci_u32_e64 v59, null, s47, v1, vcc_lo
	v_add_co_u32 v60, vcc_lo, s44, v0
	v_add_co_ci_u32_e64 v61, null, s45, v1, vcc_lo
	s_branch .LBB259_7
.LBB259_6:                              ;   in Loop: Header=BB259_7 Depth=2
	s_or_b32 exec_lo, exec_lo, s4
	ds_read_b128 v[4:7], v57
	s_add_i32 s57, s57, s38
	s_waitcnt lgkmcnt(0)
	s_waitcnt_vscnt null, 0x0
	s_cmp_ge_u32 s57, s49
	s_barrier
	buffer_gl0_inv
	s_cbranch_scc1 .LBB259_3
.LBB259_7:                              ;   Parent Loop BB259_4 Depth=1
                                        ; =>  This Loop Header: Depth=2
                                        ;       Child Loop BB259_18 Depth 3
	v_add_nc_u32_e32 v43, s57, v40
	v_add_nc_u32_e32 v45, s42, v43
	s_and_saveexec_b32 s58, s36
	s_cbranch_execz .LBB259_16
; %bb.8:                                ;   in Loop: Header=BB259_7 Depth=2
	s_mov_b32 s4, exec_lo
	v_cmpx_le_u32_e64 s49, v43
	s_xor_b32 s4, exec_lo, s4
	s_cbranch_execz .LBB259_10
; %bb.9:                                ;   in Loop: Header=BB259_7 Depth=2
	v_mov_b32_e32 v0, s52
	v_mov_b32_e32 v1, s53
	v_mov_b32_e32 v2, s54
	v_mov_b32_e32 v3, s55
	ds_write_b128 v41, v[0:3]
.LBB259_10:                             ;   in Loop: Header=BB259_7 Depth=2
	s_andn2_saveexec_b32 s4, s4
	s_cbranch_execz .LBB259_12
; %bb.11:                               ;   in Loop: Header=BB259_7 Depth=2
	v_lshlrev_b64 v[0:1], 4, v[43:44]
	v_add_co_u32 v0, vcc_lo, v58, v0
	v_add_co_ci_u32_e64 v1, null, v59, v1, vcc_lo
	global_load_dwordx4 v[0:3], v[0:1], off
	s_waitcnt vmcnt(0)
	ds_write_b128 v41, v[0:3]
.LBB259_12:                             ;   in Loop: Header=BB259_7 Depth=2
	s_or_b32 exec_lo, exec_lo, s4
	s_mov_b32 s4, exec_lo
	v_cmpx_le_u32_e64 s49, v45
	s_xor_b32 s4, exec_lo, s4
	s_cbranch_execnz .LBB259_27
; %bb.13:                               ;   in Loop: Header=BB259_7 Depth=2
	s_andn2_saveexec_b32 s4, s4
	s_cbranch_execnz .LBB259_28
.LBB259_14:                             ;   in Loop: Header=BB259_7 Depth=2
	s_or_b32 exec_lo, exec_lo, s4
	s_and_b32 exec_lo, exec_lo, s33
	s_cbranch_execz .LBB259_16
.LBB259_15:                             ;   in Loop: Header=BB259_7 Depth=2
	ds_read_b128 v[0:3], v47
	s_getpc_b64 s[4:5]
	s_add_u32 s4, s4, _ZZZZN2at6native31launch_logcumsumexp_cuda_kernelERKNS_10TensorBaseES3_lENKUlvE_clEvENKUlvE1_clEvENKUlN3c107complexIdEES8_E_clES8_S8_@rel32@lo+4
	s_addc_u32 s5, s5, _ZZZZN2at6native31launch_logcumsumexp_cuda_kernelERKNS_10TensorBaseES3_lENKUlvE_clEvENKUlvE1_clEvENKUlN3c107complexIdEES8_E_clES8_S8_@rel32@hi+12
	s_swappc_b64 s[30:31], s[4:5]
	ds_write_b128 v47, v[0:3]
.LBB259_16:                             ;   in Loop: Header=BB259_7 Depth=2
	s_or_b32 exec_lo, exec_lo, s58
	v_mov_b32_e32 v4, 0
	s_mov_b32 s58, 0
	s_waitcnt lgkmcnt(0)
	s_waitcnt_vscnt null, 0x0
	s_barrier
	buffer_gl0_inv
	s_inst_prefetch 0x1
	s_branch .LBB259_18
	.p2align	6
.LBB259_17:                             ;   in Loop: Header=BB259_18 Depth=3
	s_or_b32 exec_lo, exec_lo, s59
	v_cmp_eq_u32_e32 vcc_lo, s56, v4
	s_waitcnt lgkmcnt(0)
	s_waitcnt_vscnt null, 0x0
	s_barrier
	buffer_gl0_inv
	s_or_b32 s58, vcc_lo, s58
	s_andn2_b32 exec_lo, exec_lo, s58
	s_cbranch_execz .LBB259_22
.LBB259_18:                             ;   Parent Loop BB259_4 Depth=1
                                        ;     Parent Loop BB259_7 Depth=2
                                        ; =>    This Inner Loop Header: Depth=3
	v_add_nc_u32_e32 v46, 1, v4
	s_and_saveexec_b32 s4, s37
	s_xor_b32 s4, exec_lo, s4
; %bb.19:                               ;   in Loop: Header=BB259_18 Depth=3
	v_add_nc_u32_e32 v4, 1, v4
                                        ; implicit-def: $vgpr46
; %bb.20:                               ;   in Loop: Header=BB259_18 Depth=3
	s_andn2_saveexec_b32 s59, s4
	s_cbranch_execz .LBB259_17
; %bb.21:                               ;   in Loop: Header=BB259_18 Depth=3
	v_lshlrev_b32_e64 v0, v4, 1
	v_lshrrev_b32_e32 v1, v4, v40
	v_bfm_b32 v2, v4, 0
	s_getpc_b64 s[4:5]
	s_add_u32 s4, s4, _ZZZZN2at6native31launch_logcumsumexp_cuda_kernelERKNS_10TensorBaseES3_lENKUlvE_clEvENKUlvE1_clEvENKUlN3c107complexIdEES8_E_clES8_S8_@rel32@lo+4
	s_addc_u32 s5, s5, _ZZZZN2at6native31launch_logcumsumexp_cuda_kernelERKNS_10TensorBaseES3_lENKUlvE_clEvENKUlvE1_clEvENKUlN3c107complexIdEES8_E_clES8_S8_@rel32@hi+12
	v_lshl_or_b32 v0, v1, v46, v0
	v_and_b32_e32 v1, v2, v40
	v_lshl_add_u32 v0, v0, 4, v47
	v_lshl_add_u32 v62, v1, 4, v0
	v_add_nc_u32_e32 v4, -16, v0
	ds_read_b128 v[0:3], v62
	ds_read_b128 v[4:7], v4
	s_swappc_b64 s[30:31], s[4:5]
	v_mov_b32_e32 v4, v46
	ds_write_b128 v62, v[0:3]
	s_branch .LBB259_17
.LBB259_22:                             ;   in Loop: Header=BB259_7 Depth=2
	s_inst_prefetch 0x2
	s_or_b32 exec_lo, exec_lo, s58
	s_and_saveexec_b32 s4, s36
	s_cbranch_execz .LBB259_6
; %bb.23:                               ;   in Loop: Header=BB259_7 Depth=2
	s_mov_b32 s5, exec_lo
	v_cmpx_gt_u32_e64 s49, v43
	s_cbranch_execz .LBB259_25
; %bb.24:                               ;   in Loop: Header=BB259_7 Depth=2
	ds_read_b128 v[0:3], v41
	v_lshlrev_b64 v[4:5], 4, v[43:44]
	v_add_co_u32 v4, vcc_lo, v60, v4
	v_add_co_ci_u32_e64 v5, null, v61, v5, vcc_lo
	s_waitcnt lgkmcnt(0)
	global_store_dwordx4 v[4:5], v[0:3], off
.LBB259_25:                             ;   in Loop: Header=BB259_7 Depth=2
	s_or_b32 exec_lo, exec_lo, s5
	v_cmp_gt_u32_e32 vcc_lo, s49, v45
	s_and_b32 exec_lo, exec_lo, vcc_lo
	s_cbranch_execz .LBB259_6
; %bb.26:                               ;   in Loop: Header=BB259_7 Depth=2
	ds_read_b128 v[0:3], v56
	v_mov_b32_e32 v46, v44
	v_lshlrev_b64 v[4:5], 4, v[45:46]
	v_add_co_u32 v4, vcc_lo, v60, v4
	v_add_co_ci_u32_e64 v5, null, v61, v5, vcc_lo
	s_waitcnt lgkmcnt(0)
	global_store_dwordx4 v[4:5], v[0:3], off
	s_branch .LBB259_6
.LBB259_27:                             ;   in Loop: Header=BB259_7 Depth=2
	v_mov_b32_e32 v0, s52
	v_mov_b32_e32 v1, s53
	v_mov_b32_e32 v2, s54
	v_mov_b32_e32 v3, s55
	ds_write_b128 v56, v[0:3]
	s_andn2_saveexec_b32 s4, s4
	s_cbranch_execz .LBB259_14
.LBB259_28:                             ;   in Loop: Header=BB259_7 Depth=2
	v_mov_b32_e32 v46, v44
	v_lshlrev_b64 v[0:1], 4, v[45:46]
	v_add_co_u32 v0, vcc_lo, v58, v0
	v_add_co_ci_u32_e64 v1, null, v59, v1, vcc_lo
	global_load_dwordx4 v[0:3], v[0:1], off
	s_waitcnt vmcnt(0)
	ds_write_b128 v56, v[0:3]
	s_or_b32 exec_lo, exec_lo, s4
	s_and_b32 exec_lo, exec_lo, s33
	s_cbranch_execnz .LBB259_15
	s_branch .LBB259_16
.LBB259_29:
	s_mov_b32 s4, 0
.LBB259_30:
	s_andn2_b32 vcc_lo, exec_lo, s4
	s_cbranch_vccnz .LBB259_61
; %bb.31:
	s_load_dword s6, s[34:35], 0x44
	s_add_u32 s4, s34, 56
	s_addc_u32 s5, s35, 0
	s_mov_b32 s37, 0
	s_mov_b32 s36, s48
	s_waitcnt lgkmcnt(0)
	s_lshr_b32 s6, s6, 16
	s_mul_hi_u32 s39, s6, s27
	s_mul_i32 s38, s6, s27
	v_cmp_ge_u64_e64 s7, s[38:39], s[36:37]
	s_and_b32 vcc_lo, exec_lo, s7
	s_cbranch_vccnz .LBB259_61
; %bb.32:
	s_load_dword s4, s[4:5], 0x0
	s_lshl_b32 s42, 1, s50
	s_and_b32 s5, 0xffff, s6
	s_ashr_i32 s43, s42, 31
	s_cmp_lg_u32 s49, 0
	v_lshl_add_u32 v56, v40, 4, v47
	s_cselect_b32 s35, -1, 0
	s_lshl_b64 s[56:57], s[42:43], 1
	v_mov_b32_e32 v41, 0
	s_lshl_b32 s6, s56, 4
	v_cmp_eq_u32_e64 s27, 0, v40
	v_lshl_add_u32 v57, s42, 4, v56
	v_add3_u32 v58, v47, s6, -16
	s_mov_b32 s48, s49
	s_mov_b32 s49, s37
	s_add_i32 s59, s50, 1
	s_waitcnt lgkmcnt(0)
	s_mul_i32 s58, s4, s5
	s_branch .LBB259_34
.LBB259_33:                             ;   in Loop: Header=BB259_34 Depth=1
	s_add_u32 s38, s38, s58
	s_addc_u32 s39, s39, 0
	v_cmp_ge_u64_e64 s4, s[38:39], s[36:37]
	s_and_b32 vcc_lo, exec_lo, s4
	s_cbranch_vccnz .LBB259_61
.LBB259_34:                             ; =>This Loop Header: Depth=1
                                        ;     Child Loop BB259_37 Depth 2
                                        ;       Child Loop BB259_49 Depth 3
	s_andn2_b32 vcc_lo, exec_lo, s35
	s_cbranch_vccnz .LBB259_33
; %bb.35:                               ;   in Loop: Header=BB259_34 Depth=1
	v_add_co_u32 v0, s4, s38, v42
	v_add_co_ci_u32_e64 v1, null, s39, 0, s4
	v_mov_b32_e32 v6, s54
	v_mad_u64_u32 v[2:3], null, v0, s48, 0
	v_cmp_gt_u64_e64 s33, s[36:37], v[0:1]
	v_cmp_le_u64_e64 s34, s[36:37], v[0:1]
	v_mov_b32_e32 v7, s55
	s_mov_b64 s[50:51], 0
	v_mad_u64_u32 v[3:4], null, v1, s48, v[3:4]
	v_mov_b32_e32 v4, s52
	v_mov_b32_e32 v5, s53
	v_lshlrev_b64 v[2:3], 4, v[2:3]
	v_add_co_u32 v59, vcc_lo, s46, v2
	v_add_co_ci_u32_e64 v60, null, s47, v3, vcc_lo
	v_add_co_u32 v61, vcc_lo, s44, v2
	v_add_co_ci_u32_e64 v62, null, s45, v3, vcc_lo
	s_branch .LBB259_37
.LBB259_36:                             ;   in Loop: Header=BB259_37 Depth=2
	s_or_b32 exec_lo, exec_lo, s4
	ds_read_b128 v[4:7], v58
	s_add_u32 s50, s50, s56
	s_addc_u32 s51, s51, s57
	s_waitcnt lgkmcnt(0)
	s_waitcnt_vscnt null, 0x0
	v_cmp_ge_u64_e64 s4, s[50:51], s[48:49]
	s_barrier
	buffer_gl0_inv
	s_and_b32 vcc_lo, exec_lo, s4
	s_cbranch_vccnz .LBB259_33
.LBB259_37:                             ;   Parent Loop BB259_34 Depth=1
                                        ; =>  This Loop Header: Depth=2
                                        ;       Child Loop BB259_49 Depth 3
	v_add_co_u32 v45, s4, s50, v40
	v_add_co_ci_u32_e64 v46, null, s51, 0, s4
	v_add_co_u32 v43, vcc_lo, v45, s42
	v_add_co_ci_u32_e64 v44, null, s43, v46, vcc_lo
	s_and_saveexec_b32 s60, s33
	s_cbranch_execz .LBB259_46
; %bb.38:                               ;   in Loop: Header=BB259_37 Depth=2
	s_mov_b32 s4, exec_lo
	v_cmpx_le_u64_e64 s[48:49], v[45:46]
	s_xor_b32 s4, exec_lo, s4
	s_cbranch_execz .LBB259_40
; %bb.39:                               ;   in Loop: Header=BB259_37 Depth=2
	v_mov_b32_e32 v0, s52
	v_mov_b32_e32 v1, s53
	;; [unrolled: 1-line block ×4, first 2 shown]
	ds_write_b128 v56, v[0:3]
.LBB259_40:                             ;   in Loop: Header=BB259_37 Depth=2
	s_andn2_saveexec_b32 s4, s4
	s_cbranch_execz .LBB259_42
; %bb.41:                               ;   in Loop: Header=BB259_37 Depth=2
	v_lshlrev_b64 v[0:1], 4, v[45:46]
	v_add_co_u32 v0, vcc_lo, v59, v0
	v_add_co_ci_u32_e64 v1, null, v60, v1, vcc_lo
	global_load_dwordx4 v[0:3], v[0:1], off
	s_waitcnt vmcnt(0)
	ds_write_b128 v56, v[0:3]
.LBB259_42:                             ;   in Loop: Header=BB259_37 Depth=2
	s_or_b32 exec_lo, exec_lo, s4
	s_mov_b32 s4, exec_lo
	v_cmpx_le_u64_e64 s[48:49], v[43:44]
	s_xor_b32 s4, exec_lo, s4
	s_cbranch_execnz .LBB259_59
; %bb.43:                               ;   in Loop: Header=BB259_37 Depth=2
	s_andn2_saveexec_b32 s4, s4
	s_cbranch_execnz .LBB259_60
.LBB259_44:                             ;   in Loop: Header=BB259_37 Depth=2
	s_or_b32 exec_lo, exec_lo, s4
	s_and_b32 exec_lo, exec_lo, s27
	s_cbranch_execz .LBB259_46
.LBB259_45:                             ;   in Loop: Header=BB259_37 Depth=2
	ds_read_b128 v[0:3], v47
	s_getpc_b64 s[4:5]
	s_add_u32 s4, s4, _ZZZZN2at6native31launch_logcumsumexp_cuda_kernelERKNS_10TensorBaseES3_lENKUlvE_clEvENKUlvE1_clEvENKUlN3c107complexIdEES8_E_clES8_S8_@rel32@lo+4
	s_addc_u32 s5, s5, _ZZZZN2at6native31launch_logcumsumexp_cuda_kernelERKNS_10TensorBaseES3_lENKUlvE_clEvENKUlvE1_clEvENKUlN3c107complexIdEES8_E_clES8_S8_@rel32@hi+12
	s_swappc_b64 s[30:31], s[4:5]
	ds_write_b128 v47, v[0:3]
.LBB259_46:                             ;   in Loop: Header=BB259_37 Depth=2
	s_or_b32 exec_lo, exec_lo, s60
	v_mov_b32_e32 v3, 0
	s_mov_b32 s60, 0
	s_waitcnt lgkmcnt(0)
	s_waitcnt_vscnt null, 0x0
	s_barrier
	buffer_gl0_inv
	s_branch .LBB259_49
.LBB259_47:                             ;   in Loop: Header=BB259_49 Depth=3
	s_or_b32 exec_lo, exec_lo, s4
	v_lshrrev_b32_e32 v2, v3, v40
	s_getpc_b64 s[4:5]
	s_add_u32 s4, s4, _ZZZZN2at6native31launch_logcumsumexp_cuda_kernelERKNS_10TensorBaseES3_lENKUlvE_clEvENKUlvE1_clEvENKUlN3c107complexIdEES8_E_clES8_S8_@rel32@lo+4
	s_addc_u32 s5, s5, _ZZZZN2at6native31launch_logcumsumexp_cuda_kernelERKNS_10TensorBaseES3_lENKUlvE_clEvENKUlvE1_clEvENKUlN3c107complexIdEES8_E_clES8_S8_@rel32@hi+12
	v_lshl_or_b32 v0, v2, v63, v0
	v_lshl_add_u32 v0, v0, 4, v47
	v_lshl_add_u32 v72, v1, 4, v0
	v_add_nc_u32_e32 v4, -16, v0
	ds_read_b128 v[0:3], v72
	ds_read_b128 v[4:7], v4
	s_swappc_b64 s[30:31], s[4:5]
	ds_write_b128 v72, v[0:3]
.LBB259_48:                             ;   in Loop: Header=BB259_49 Depth=3
	s_or_b32 exec_lo, exec_lo, s61
	v_cmp_eq_u32_e32 vcc_lo, s59, v63
	v_mov_b32_e32 v3, v63
	s_waitcnt lgkmcnt(0)
	s_waitcnt_vscnt null, 0x0
	s_barrier
	buffer_gl0_inv
	s_or_b32 s60, vcc_lo, s60
	s_andn2_b32 exec_lo, exec_lo, s60
	s_cbranch_execz .LBB259_54
.LBB259_49:                             ;   Parent Loop BB259_34 Depth=1
                                        ;     Parent Loop BB259_37 Depth=2
                                        ; =>    This Inner Loop Header: Depth=3
	v_add_nc_u32_e32 v63, 1, v3
	s_and_saveexec_b32 s4, s34
	s_xor_b32 s4, exec_lo, s4
; %bb.50:                               ;   in Loop: Header=BB259_49 Depth=3
	v_add_nc_u32_e32 v63, 1, v3
                                        ; implicit-def: $vgpr3
; %bb.51:                               ;   in Loop: Header=BB259_49 Depth=3
	s_andn2_saveexec_b32 s61, s4
	s_cbranch_execz .LBB259_48
; %bb.52:                               ;   in Loop: Header=BB259_49 Depth=3
	v_lshlrev_b32_e64 v0, v3, 1
	v_ashrrev_i32_e32 v1, 31, v0
	v_cmp_ge_u64_e32 vcc_lo, v[40:41], v[0:1]
	v_mov_b32_e32 v1, v40
	v_mov_b32_e32 v2, v41
	s_and_saveexec_b32 s4, vcc_lo
	s_cbranch_execz .LBB259_47
; %bb.53:                               ;   in Loop: Header=BB259_49 Depth=3
	v_cvt_f32_u32_e32 v1, v0
	v_sub_nc_u32_e32 v2, 0, v0
	v_rcp_iflag_f32_e32 v1, v1
	v_mul_f32_e32 v1, 0x4f7ffffe, v1
	v_cvt_u32_f32_e32 v1, v1
	v_mul_lo_u32 v2, v2, v1
	v_mul_hi_u32 v2, v1, v2
	v_add_nc_u32_e32 v1, v1, v2
	v_mul_hi_u32 v1, v40, v1
	v_mul_lo_u32 v1, v1, v0
	v_sub_nc_u32_e32 v1, v40, v1
	v_sub_nc_u32_e32 v2, v1, v0
	v_cmp_ge_u32_e32 vcc_lo, v1, v0
	v_cndmask_b32_e32 v1, v1, v2, vcc_lo
	v_sub_nc_u32_e32 v2, v1, v0
	v_cmp_ge_u32_e32 vcc_lo, v1, v0
	v_cndmask_b32_e32 v1, v1, v2, vcc_lo
	s_branch .LBB259_47
.LBB259_54:                             ;   in Loop: Header=BB259_37 Depth=2
	s_or_b32 exec_lo, exec_lo, s60
	s_and_saveexec_b32 s4, s33
	s_cbranch_execz .LBB259_36
; %bb.55:                               ;   in Loop: Header=BB259_37 Depth=2
	s_mov_b32 s5, exec_lo
	v_cmpx_gt_u64_e64 s[48:49], v[45:46]
	s_cbranch_execz .LBB259_57
; %bb.56:                               ;   in Loop: Header=BB259_37 Depth=2
	ds_read_b128 v[0:3], v56
	v_lshlrev_b64 v[4:5], 4, v[45:46]
	v_add_co_u32 v4, vcc_lo, v61, v4
	v_add_co_ci_u32_e64 v5, null, v62, v5, vcc_lo
	s_waitcnt lgkmcnt(0)
	global_store_dwordx4 v[4:5], v[0:3], off
.LBB259_57:                             ;   in Loop: Header=BB259_37 Depth=2
	s_or_b32 exec_lo, exec_lo, s5
	v_cmp_gt_u64_e32 vcc_lo, s[48:49], v[43:44]
	s_and_b32 exec_lo, exec_lo, vcc_lo
	s_cbranch_execz .LBB259_36
; %bb.58:                               ;   in Loop: Header=BB259_37 Depth=2
	ds_read_b128 v[0:3], v57
	v_lshlrev_b64 v[4:5], 4, v[43:44]
	v_add_co_u32 v4, vcc_lo, v61, v4
	v_add_co_ci_u32_e64 v5, null, v62, v5, vcc_lo
	s_waitcnt lgkmcnt(0)
	global_store_dwordx4 v[4:5], v[0:3], off
	s_branch .LBB259_36
.LBB259_59:                             ;   in Loop: Header=BB259_37 Depth=2
	v_mov_b32_e32 v0, s52
	v_mov_b32_e32 v1, s53
	;; [unrolled: 1-line block ×4, first 2 shown]
	ds_write_b128 v57, v[0:3]
	s_andn2_saveexec_b32 s4, s4
	s_cbranch_execz .LBB259_44
.LBB259_60:                             ;   in Loop: Header=BB259_37 Depth=2
	v_lshlrev_b64 v[0:1], 4, v[43:44]
	v_add_co_u32 v0, vcc_lo, v59, v0
	v_add_co_ci_u32_e64 v1, null, v60, v1, vcc_lo
	global_load_dwordx4 v[0:3], v[0:1], off
	s_waitcnt vmcnt(0)
	ds_write_b128 v57, v[0:3]
	s_or_b32 exec_lo, exec_lo, s4
	s_and_b32 exec_lo, exec_lo, s27
	s_cbranch_execnz .LBB259_45
	s_branch .LBB259_46
.LBB259_61:
	s_endpgm
	.section	.rodata,"a",@progbits
	.p2align	6, 0x0
	.amdhsa_kernel _ZN2at6native32tensor_kernel_scan_innermost_dimIN3c107complexIdEEZZZNS0_31launch_logcumsumexp_cuda_kernelERKNS_10TensorBaseES7_lENKUlvE_clEvENKUlvE1_clEvEUlS4_S4_E_EEvPT_PKSB_jjjSB_T0_
		.amdhsa_group_segment_fixed_size 0
		.amdhsa_private_segment_fixed_size 0
		.amdhsa_kernarg_size 312
		.amdhsa_user_sgpr_count 6
		.amdhsa_user_sgpr_private_segment_buffer 1
		.amdhsa_user_sgpr_dispatch_ptr 0
		.amdhsa_user_sgpr_queue_ptr 0
		.amdhsa_user_sgpr_kernarg_segment_ptr 1
		.amdhsa_user_sgpr_dispatch_id 0
		.amdhsa_user_sgpr_flat_scratch_init 0
		.amdhsa_user_sgpr_private_segment_size 0
		.amdhsa_wavefront_size32 1
		.amdhsa_uses_dynamic_stack 0
		.amdhsa_system_sgpr_private_segment_wavefront_offset 0
		.amdhsa_system_sgpr_workgroup_id_x 1
		.amdhsa_system_sgpr_workgroup_id_y 0
		.amdhsa_system_sgpr_workgroup_id_z 0
		.amdhsa_system_sgpr_workgroup_info 0
		.amdhsa_system_vgpr_workitem_id 1
		.amdhsa_next_free_vgpr 86
		.amdhsa_next_free_sgpr 62
		.amdhsa_reserve_vcc 1
		.amdhsa_reserve_flat_scratch 0
		.amdhsa_float_round_mode_32 0
		.amdhsa_float_round_mode_16_64 0
		.amdhsa_float_denorm_mode_32 3
		.amdhsa_float_denorm_mode_16_64 3
		.amdhsa_dx10_clamp 1
		.amdhsa_ieee_mode 1
		.amdhsa_fp16_overflow 0
		.amdhsa_workgroup_processor_mode 1
		.amdhsa_memory_ordered 1
		.amdhsa_forward_progress 1
		.amdhsa_shared_vgpr_count 0
		.amdhsa_exception_fp_ieee_invalid_op 0
		.amdhsa_exception_fp_denorm_src 0
		.amdhsa_exception_fp_ieee_div_zero 0
		.amdhsa_exception_fp_ieee_overflow 0
		.amdhsa_exception_fp_ieee_underflow 0
		.amdhsa_exception_fp_ieee_inexact 0
		.amdhsa_exception_int_div_zero 0
	.end_amdhsa_kernel
	.section	.text._ZN2at6native32tensor_kernel_scan_innermost_dimIN3c107complexIdEEZZZNS0_31launch_logcumsumexp_cuda_kernelERKNS_10TensorBaseES7_lENKUlvE_clEvENKUlvE1_clEvEUlS4_S4_E_EEvPT_PKSB_jjjSB_T0_,"axG",@progbits,_ZN2at6native32tensor_kernel_scan_innermost_dimIN3c107complexIdEEZZZNS0_31launch_logcumsumexp_cuda_kernelERKNS_10TensorBaseES7_lENKUlvE_clEvENKUlvE1_clEvEUlS4_S4_E_EEvPT_PKSB_jjjSB_T0_,comdat
.Lfunc_end259:
	.size	_ZN2at6native32tensor_kernel_scan_innermost_dimIN3c107complexIdEEZZZNS0_31launch_logcumsumexp_cuda_kernelERKNS_10TensorBaseES7_lENKUlvE_clEvENKUlvE1_clEvEUlS4_S4_E_EEvPT_PKSB_jjjSB_T0_, .Lfunc_end259-_ZN2at6native32tensor_kernel_scan_innermost_dimIN3c107complexIdEEZZZNS0_31launch_logcumsumexp_cuda_kernelERKNS_10TensorBaseES7_lENKUlvE_clEvENKUlvE1_clEvEUlS4_S4_E_EEvPT_PKSB_jjjSB_T0_
                                        ; -- End function
	.set _ZN2at6native32tensor_kernel_scan_innermost_dimIN3c107complexIdEEZZZNS0_31launch_logcumsumexp_cuda_kernelERKNS_10TensorBaseES7_lENKUlvE_clEvENKUlvE1_clEvEUlS4_S4_E_EEvPT_PKSB_jjjSB_T0_.num_vgpr, max(73, .L_ZZZZN2at6native31launch_logcumsumexp_cuda_kernelERKNS_10TensorBaseES3_lENKUlvE_clEvENKUlvE1_clEvENKUlN3c107complexIdEES8_E_clES8_S8_.num_vgpr)
	.set _ZN2at6native32tensor_kernel_scan_innermost_dimIN3c107complexIdEEZZZNS0_31launch_logcumsumexp_cuda_kernelERKNS_10TensorBaseES7_lENKUlvE_clEvENKUlvE1_clEvEUlS4_S4_E_EEvPT_PKSB_jjjSB_T0_.num_agpr, max(0, .L_ZZZZN2at6native31launch_logcumsumexp_cuda_kernelERKNS_10TensorBaseES3_lENKUlvE_clEvENKUlvE1_clEvENKUlN3c107complexIdEES8_E_clES8_S8_.num_agpr)
	.set _ZN2at6native32tensor_kernel_scan_innermost_dimIN3c107complexIdEEZZZNS0_31launch_logcumsumexp_cuda_kernelERKNS_10TensorBaseES7_lENKUlvE_clEvENKUlvE1_clEvEUlS4_S4_E_EEvPT_PKSB_jjjSB_T0_.numbered_sgpr, max(62, .L_ZZZZN2at6native31launch_logcumsumexp_cuda_kernelERKNS_10TensorBaseES3_lENKUlvE_clEvENKUlvE1_clEvENKUlN3c107complexIdEES8_E_clES8_S8_.numbered_sgpr)
	.set _ZN2at6native32tensor_kernel_scan_innermost_dimIN3c107complexIdEEZZZNS0_31launch_logcumsumexp_cuda_kernelERKNS_10TensorBaseES7_lENKUlvE_clEvENKUlvE1_clEvEUlS4_S4_E_EEvPT_PKSB_jjjSB_T0_.num_named_barrier, max(0, .L_ZZZZN2at6native31launch_logcumsumexp_cuda_kernelERKNS_10TensorBaseES3_lENKUlvE_clEvENKUlvE1_clEvENKUlN3c107complexIdEES8_E_clES8_S8_.num_named_barrier)
	.set _ZN2at6native32tensor_kernel_scan_innermost_dimIN3c107complexIdEEZZZNS0_31launch_logcumsumexp_cuda_kernelERKNS_10TensorBaseES7_lENKUlvE_clEvENKUlvE1_clEvEUlS4_S4_E_EEvPT_PKSB_jjjSB_T0_.private_seg_size, 0+max(.L_ZZZZN2at6native31launch_logcumsumexp_cuda_kernelERKNS_10TensorBaseES3_lENKUlvE_clEvENKUlvE1_clEvENKUlN3c107complexIdEES8_E_clES8_S8_.private_seg_size)
	.set _ZN2at6native32tensor_kernel_scan_innermost_dimIN3c107complexIdEEZZZNS0_31launch_logcumsumexp_cuda_kernelERKNS_10TensorBaseES7_lENKUlvE_clEvENKUlvE1_clEvEUlS4_S4_E_EEvPT_PKSB_jjjSB_T0_.uses_vcc, or(1, .L_ZZZZN2at6native31launch_logcumsumexp_cuda_kernelERKNS_10TensorBaseES3_lENKUlvE_clEvENKUlvE1_clEvENKUlN3c107complexIdEES8_E_clES8_S8_.uses_vcc)
	.set _ZN2at6native32tensor_kernel_scan_innermost_dimIN3c107complexIdEEZZZNS0_31launch_logcumsumexp_cuda_kernelERKNS_10TensorBaseES7_lENKUlvE_clEvENKUlvE1_clEvEUlS4_S4_E_EEvPT_PKSB_jjjSB_T0_.uses_flat_scratch, or(0, .L_ZZZZN2at6native31launch_logcumsumexp_cuda_kernelERKNS_10TensorBaseES3_lENKUlvE_clEvENKUlvE1_clEvENKUlN3c107complexIdEES8_E_clES8_S8_.uses_flat_scratch)
	.set _ZN2at6native32tensor_kernel_scan_innermost_dimIN3c107complexIdEEZZZNS0_31launch_logcumsumexp_cuda_kernelERKNS_10TensorBaseES7_lENKUlvE_clEvENKUlvE1_clEvEUlS4_S4_E_EEvPT_PKSB_jjjSB_T0_.has_dyn_sized_stack, or(0, .L_ZZZZN2at6native31launch_logcumsumexp_cuda_kernelERKNS_10TensorBaseES3_lENKUlvE_clEvENKUlvE1_clEvENKUlN3c107complexIdEES8_E_clES8_S8_.has_dyn_sized_stack)
	.set _ZN2at6native32tensor_kernel_scan_innermost_dimIN3c107complexIdEEZZZNS0_31launch_logcumsumexp_cuda_kernelERKNS_10TensorBaseES7_lENKUlvE_clEvENKUlvE1_clEvEUlS4_S4_E_EEvPT_PKSB_jjjSB_T0_.has_recursion, or(0, .L_ZZZZN2at6native31launch_logcumsumexp_cuda_kernelERKNS_10TensorBaseES3_lENKUlvE_clEvENKUlvE1_clEvENKUlN3c107complexIdEES8_E_clES8_S8_.has_recursion)
	.set _ZN2at6native32tensor_kernel_scan_innermost_dimIN3c107complexIdEEZZZNS0_31launch_logcumsumexp_cuda_kernelERKNS_10TensorBaseES7_lENKUlvE_clEvENKUlvE1_clEvEUlS4_S4_E_EEvPT_PKSB_jjjSB_T0_.has_indirect_call, or(0, .L_ZZZZN2at6native31launch_logcumsumexp_cuda_kernelERKNS_10TensorBaseES3_lENKUlvE_clEvENKUlvE1_clEvENKUlN3c107complexIdEES8_E_clES8_S8_.has_indirect_call)
	.section	.AMDGPU.csdata,"",@progbits
; Kernel info:
; codeLenInByte = 2184
; TotalNumSgprs: 64
; NumVgprs: 86
; ScratchSize: 0
; MemoryBound: 0
; FloatMode: 240
; IeeeMode: 1
; LDSByteSize: 0 bytes/workgroup (compile time only)
; SGPRBlocks: 0
; VGPRBlocks: 10
; NumSGPRsForWavesPerEU: 64
; NumVGPRsForWavesPerEU: 86
; Occupancy: 10
; WaveLimiterHint : 0
; COMPUTE_PGM_RSRC2:SCRATCH_EN: 0
; COMPUTE_PGM_RSRC2:USER_SGPR: 6
; COMPUTE_PGM_RSRC2:TRAP_HANDLER: 0
; COMPUTE_PGM_RSRC2:TGID_X_EN: 1
; COMPUTE_PGM_RSRC2:TGID_Y_EN: 0
; COMPUTE_PGM_RSRC2:TGID_Z_EN: 0
; COMPUTE_PGM_RSRC2:TIDIG_COMP_CNT: 1
	.section	.text._ZN2at6native28tensor_kernel_scan_outer_dimIN3c107complexIdEEjZZZNS0_31launch_logcumsumexp_cuda_kernelERKNS_10TensorBaseES7_lENKUlvE_clEvENKUlvE1_clEvEUlS4_S4_E_EEvPT_PKSB_jjjSB_T1_,"axG",@progbits,_ZN2at6native28tensor_kernel_scan_outer_dimIN3c107complexIdEEjZZZNS0_31launch_logcumsumexp_cuda_kernelERKNS_10TensorBaseES7_lENKUlvE_clEvENKUlvE1_clEvEUlS4_S4_E_EEvPT_PKSB_jjjSB_T1_,comdat
	.globl	_ZN2at6native28tensor_kernel_scan_outer_dimIN3c107complexIdEEjZZZNS0_31launch_logcumsumexp_cuda_kernelERKNS_10TensorBaseES7_lENKUlvE_clEvENKUlvE1_clEvEUlS4_S4_E_EEvPT_PKSB_jjjSB_T1_ ; -- Begin function _ZN2at6native28tensor_kernel_scan_outer_dimIN3c107complexIdEEjZZZNS0_31launch_logcumsumexp_cuda_kernelERKNS_10TensorBaseES7_lENKUlvE_clEvENKUlvE1_clEvEUlS4_S4_E_EEvPT_PKSB_jjjSB_T1_
	.p2align	8
	.type	_ZN2at6native28tensor_kernel_scan_outer_dimIN3c107complexIdEEjZZZNS0_31launch_logcumsumexp_cuda_kernelERKNS_10TensorBaseES7_lENKUlvE_clEvENKUlvE1_clEvEUlS4_S4_E_EEvPT_PKSB_jjjSB_T1_,@function
_ZN2at6native28tensor_kernel_scan_outer_dimIN3c107complexIdEEjZZZNS0_31launch_logcumsumexp_cuda_kernelERKNS_10TensorBaseES7_lENKUlvE_clEvENKUlvE1_clEvEUlS4_S4_E_EEvPT_PKSB_jjjSB_T1_: ; @_ZN2at6native28tensor_kernel_scan_outer_dimIN3c107complexIdEEjZZZNS0_31launch_logcumsumexp_cuda_kernelERKNS_10TensorBaseES7_lENKUlvE_clEvENKUlvE1_clEvEUlS4_S4_E_EEvPT_PKSB_jjjSB_T1_
; %bb.0:
	s_load_dwordx4 s[36:39], s[4:5], 0x10
	s_add_u32 s0, s0, s8
	s_addc_u32 s1, s1, 0
	s_mov_b32 s32, 0
	s_waitcnt lgkmcnt(0)
	s_cmp_ge_u32 s6, s36
	s_cbranch_scc1 .LBB260_9
; %bb.1:
	s_mov_b32 s27, s6
	s_clause 0x3
	s_load_dword s6, s[4:5], 0x44
	s_load_dword s39, s[4:5], 0x38
	s_load_dwordx4 s[44:47], s[4:5], 0x0
	s_load_dwordx4 s[48:51], s[4:5], 0x20
	s_add_u32 s34, s4, 56
	s_addc_u32 s35, s5, 0
	s_mul_i32 s4, s27, s38
	v_mov_b32_e32 v42, 0
	s_mov_b32 s43, 0
	s_mov_b32 s42, s37
	s_mul_i32 s4, s4, s37
	s_waitcnt lgkmcnt(0)
	s_and_b32 s56, s6, 0xffff
	s_cmp_lg_u32 s38, 0
	v_mad_u64_u32 v[40:41], null, s7, s56, v[0:1]
	s_mul_i32 s58, s39, s38
	s_cselect_b32 s57, -1, 0
	s_mul_i32 s58, s58, s37
	s_lshl_b64 s[52:53], s[42:43], 4
	s_mov_b32 s42, s4
	v_cmp_gt_u32_e64 s33, s37, v40
	s_branch .LBB260_3
.LBB260_2:                              ;   in Loop: Header=BB260_3 Depth=1
	s_inst_prefetch 0x2
	s_or_b32 exec_lo, exec_lo, s59
	s_add_i32 s27, s39, s27
	s_add_i32 s42, s42, s58
	s_cmp_ge_u32 s27, s36
	s_cbranch_scc1 .LBB260_9
.LBB260_3:                              ; =>This Loop Header: Depth=1
                                        ;     Child Loop BB260_6 Depth 2
                                        ;       Child Loop BB260_8 Depth 3
	s_and_saveexec_b32 s59, s33
	s_cbranch_execz .LBB260_2
; %bb.4:                                ;   in Loop: Header=BB260_3 Depth=1
	s_load_dword s60, s[34:35], 0x4
	v_mov_b32_e32 v41, v40
	s_lshl_b64 s[54:55], s[42:43], 4
	s_mov_b32 s61, 0
	s_waitcnt lgkmcnt(0)
	s_mul_i32 s60, s60, s56
	s_inst_prefetch 0x1
	s_branch .LBB260_6
	.p2align	6
.LBB260_5:                              ;   in Loop: Header=BB260_6 Depth=2
	v_add_nc_u32_e32 v41, s60, v41
	v_cmp_le_u32_e32 vcc_lo, s37, v41
	s_or_b32 s61, vcc_lo, s61
	s_andn2_b32 exec_lo, exec_lo, s61
	s_cbranch_execz .LBB260_2
.LBB260_6:                              ;   Parent Loop BB260_3 Depth=1
                                        ; =>  This Loop Header: Depth=2
                                        ;       Child Loop BB260_8 Depth 3
	s_andn2_b32 vcc_lo, exec_lo, s57
	s_cbranch_vccnz .LBB260_5
; %bb.7:                                ;   in Loop: Header=BB260_6 Depth=2
	v_lshlrev_b64 v[0:1], 4, v[41:42]
	v_mov_b32_e32 v2, s50
	v_mov_b32_e32 v3, s51
	s_mov_b32 s62, s38
	v_add_co_u32 v43, vcc_lo, s54, v0
	v_add_co_ci_u32_e64 v44, null, s55, v1, vcc_lo
	v_mov_b32_e32 v0, s48
	v_mov_b32_e32 v1, s49
	.p2align	6
.LBB260_8:                              ;   Parent Loop BB260_3 Depth=1
                                        ;     Parent Loop BB260_6 Depth=2
                                        ; =>    This Inner Loop Header: Depth=3
	v_add_co_u32 v4, vcc_lo, s46, v43
	v_add_co_ci_u32_e64 v5, null, s47, v44, vcc_lo
	v_add_co_u32 v45, vcc_lo, s44, v43
	s_getpc_b64 s[4:5]
	s_add_u32 s4, s4, _ZZZZN2at6native31launch_logcumsumexp_cuda_kernelERKNS_10TensorBaseES3_lENKUlvE_clEvENKUlvE1_clEvENKUlN3c107complexIdEES8_E_clES8_S8_@rel32@lo+4
	s_addc_u32 s5, s5, _ZZZZN2at6native31launch_logcumsumexp_cuda_kernelERKNS_10TensorBaseES3_lENKUlvE_clEvENKUlvE1_clEvENKUlN3c107complexIdEES8_E_clES8_S8_@rel32@hi+12
	global_load_dwordx4 v[4:7], v[4:5], off
	v_add_co_ci_u32_e64 v46, null, s45, v44, vcc_lo
	s_swappc_b64 s[30:31], s[4:5]
	v_add_co_u32 v43, vcc_lo, v43, s52
	v_add_co_ci_u32_e64 v44, null, s53, v44, vcc_lo
	s_add_i32 s62, s62, -1
	global_store_dwordx4 v[45:46], v[0:3], off
	s_cmp_eq_u32 s62, 0
	s_cbranch_scc0 .LBB260_8
	s_branch .LBB260_5
.LBB260_9:
	s_endpgm
	.section	.rodata,"a",@progbits
	.p2align	6, 0x0
	.amdhsa_kernel _ZN2at6native28tensor_kernel_scan_outer_dimIN3c107complexIdEEjZZZNS0_31launch_logcumsumexp_cuda_kernelERKNS_10TensorBaseES7_lENKUlvE_clEvENKUlvE1_clEvEUlS4_S4_E_EEvPT_PKSB_jjjSB_T1_
		.amdhsa_group_segment_fixed_size 0
		.amdhsa_private_segment_fixed_size 0
		.amdhsa_kernarg_size 312
		.amdhsa_user_sgpr_count 6
		.amdhsa_user_sgpr_private_segment_buffer 1
		.amdhsa_user_sgpr_dispatch_ptr 0
		.amdhsa_user_sgpr_queue_ptr 0
		.amdhsa_user_sgpr_kernarg_segment_ptr 1
		.amdhsa_user_sgpr_dispatch_id 0
		.amdhsa_user_sgpr_flat_scratch_init 0
		.amdhsa_user_sgpr_private_segment_size 0
		.amdhsa_wavefront_size32 1
		.amdhsa_uses_dynamic_stack 0
		.amdhsa_system_sgpr_private_segment_wavefront_offset 0
		.amdhsa_system_sgpr_workgroup_id_x 1
		.amdhsa_system_sgpr_workgroup_id_y 1
		.amdhsa_system_sgpr_workgroup_id_z 0
		.amdhsa_system_sgpr_workgroup_info 0
		.amdhsa_system_vgpr_workitem_id 0
		.amdhsa_next_free_vgpr 86
		.amdhsa_next_free_sgpr 63
		.amdhsa_reserve_vcc 1
		.amdhsa_reserve_flat_scratch 0
		.amdhsa_float_round_mode_32 0
		.amdhsa_float_round_mode_16_64 0
		.amdhsa_float_denorm_mode_32 3
		.amdhsa_float_denorm_mode_16_64 3
		.amdhsa_dx10_clamp 1
		.amdhsa_ieee_mode 1
		.amdhsa_fp16_overflow 0
		.amdhsa_workgroup_processor_mode 1
		.amdhsa_memory_ordered 1
		.amdhsa_forward_progress 1
		.amdhsa_shared_vgpr_count 0
		.amdhsa_exception_fp_ieee_invalid_op 0
		.amdhsa_exception_fp_denorm_src 0
		.amdhsa_exception_fp_ieee_div_zero 0
		.amdhsa_exception_fp_ieee_overflow 0
		.amdhsa_exception_fp_ieee_underflow 0
		.amdhsa_exception_fp_ieee_inexact 0
		.amdhsa_exception_int_div_zero 0
	.end_amdhsa_kernel
	.section	.text._ZN2at6native28tensor_kernel_scan_outer_dimIN3c107complexIdEEjZZZNS0_31launch_logcumsumexp_cuda_kernelERKNS_10TensorBaseES7_lENKUlvE_clEvENKUlvE1_clEvEUlS4_S4_E_EEvPT_PKSB_jjjSB_T1_,"axG",@progbits,_ZN2at6native28tensor_kernel_scan_outer_dimIN3c107complexIdEEjZZZNS0_31launch_logcumsumexp_cuda_kernelERKNS_10TensorBaseES7_lENKUlvE_clEvENKUlvE1_clEvEUlS4_S4_E_EEvPT_PKSB_jjjSB_T1_,comdat
.Lfunc_end260:
	.size	_ZN2at6native28tensor_kernel_scan_outer_dimIN3c107complexIdEEjZZZNS0_31launch_logcumsumexp_cuda_kernelERKNS_10TensorBaseES7_lENKUlvE_clEvENKUlvE1_clEvEUlS4_S4_E_EEvPT_PKSB_jjjSB_T1_, .Lfunc_end260-_ZN2at6native28tensor_kernel_scan_outer_dimIN3c107complexIdEEjZZZNS0_31launch_logcumsumexp_cuda_kernelERKNS_10TensorBaseES7_lENKUlvE_clEvENKUlvE1_clEvEUlS4_S4_E_EEvPT_PKSB_jjjSB_T1_
                                        ; -- End function
	.set _ZN2at6native28tensor_kernel_scan_outer_dimIN3c107complexIdEEjZZZNS0_31launch_logcumsumexp_cuda_kernelERKNS_10TensorBaseES7_lENKUlvE_clEvENKUlvE1_clEvEUlS4_S4_E_EEvPT_PKSB_jjjSB_T1_.num_vgpr, max(47, .L_ZZZZN2at6native31launch_logcumsumexp_cuda_kernelERKNS_10TensorBaseES3_lENKUlvE_clEvENKUlvE1_clEvENKUlN3c107complexIdEES8_E_clES8_S8_.num_vgpr)
	.set _ZN2at6native28tensor_kernel_scan_outer_dimIN3c107complexIdEEjZZZNS0_31launch_logcumsumexp_cuda_kernelERKNS_10TensorBaseES7_lENKUlvE_clEvENKUlvE1_clEvEUlS4_S4_E_EEvPT_PKSB_jjjSB_T1_.num_agpr, max(0, .L_ZZZZN2at6native31launch_logcumsumexp_cuda_kernelERKNS_10TensorBaseES3_lENKUlvE_clEvENKUlvE1_clEvENKUlN3c107complexIdEES8_E_clES8_S8_.num_agpr)
	.set _ZN2at6native28tensor_kernel_scan_outer_dimIN3c107complexIdEEjZZZNS0_31launch_logcumsumexp_cuda_kernelERKNS_10TensorBaseES7_lENKUlvE_clEvENKUlvE1_clEvEUlS4_S4_E_EEvPT_PKSB_jjjSB_T1_.numbered_sgpr, max(63, .L_ZZZZN2at6native31launch_logcumsumexp_cuda_kernelERKNS_10TensorBaseES3_lENKUlvE_clEvENKUlvE1_clEvENKUlN3c107complexIdEES8_E_clES8_S8_.numbered_sgpr)
	.set _ZN2at6native28tensor_kernel_scan_outer_dimIN3c107complexIdEEjZZZNS0_31launch_logcumsumexp_cuda_kernelERKNS_10TensorBaseES7_lENKUlvE_clEvENKUlvE1_clEvEUlS4_S4_E_EEvPT_PKSB_jjjSB_T1_.num_named_barrier, max(0, .L_ZZZZN2at6native31launch_logcumsumexp_cuda_kernelERKNS_10TensorBaseES3_lENKUlvE_clEvENKUlvE1_clEvENKUlN3c107complexIdEES8_E_clES8_S8_.num_named_barrier)
	.set _ZN2at6native28tensor_kernel_scan_outer_dimIN3c107complexIdEEjZZZNS0_31launch_logcumsumexp_cuda_kernelERKNS_10TensorBaseES7_lENKUlvE_clEvENKUlvE1_clEvEUlS4_S4_E_EEvPT_PKSB_jjjSB_T1_.private_seg_size, 0+max(.L_ZZZZN2at6native31launch_logcumsumexp_cuda_kernelERKNS_10TensorBaseES3_lENKUlvE_clEvENKUlvE1_clEvENKUlN3c107complexIdEES8_E_clES8_S8_.private_seg_size)
	.set _ZN2at6native28tensor_kernel_scan_outer_dimIN3c107complexIdEEjZZZNS0_31launch_logcumsumexp_cuda_kernelERKNS_10TensorBaseES7_lENKUlvE_clEvENKUlvE1_clEvEUlS4_S4_E_EEvPT_PKSB_jjjSB_T1_.uses_vcc, or(1, .L_ZZZZN2at6native31launch_logcumsumexp_cuda_kernelERKNS_10TensorBaseES3_lENKUlvE_clEvENKUlvE1_clEvENKUlN3c107complexIdEES8_E_clES8_S8_.uses_vcc)
	.set _ZN2at6native28tensor_kernel_scan_outer_dimIN3c107complexIdEEjZZZNS0_31launch_logcumsumexp_cuda_kernelERKNS_10TensorBaseES7_lENKUlvE_clEvENKUlvE1_clEvEUlS4_S4_E_EEvPT_PKSB_jjjSB_T1_.uses_flat_scratch, or(0, .L_ZZZZN2at6native31launch_logcumsumexp_cuda_kernelERKNS_10TensorBaseES3_lENKUlvE_clEvENKUlvE1_clEvENKUlN3c107complexIdEES8_E_clES8_S8_.uses_flat_scratch)
	.set _ZN2at6native28tensor_kernel_scan_outer_dimIN3c107complexIdEEjZZZNS0_31launch_logcumsumexp_cuda_kernelERKNS_10TensorBaseES7_lENKUlvE_clEvENKUlvE1_clEvEUlS4_S4_E_EEvPT_PKSB_jjjSB_T1_.has_dyn_sized_stack, or(0, .L_ZZZZN2at6native31launch_logcumsumexp_cuda_kernelERKNS_10TensorBaseES3_lENKUlvE_clEvENKUlvE1_clEvENKUlN3c107complexIdEES8_E_clES8_S8_.has_dyn_sized_stack)
	.set _ZN2at6native28tensor_kernel_scan_outer_dimIN3c107complexIdEEjZZZNS0_31launch_logcumsumexp_cuda_kernelERKNS_10TensorBaseES7_lENKUlvE_clEvENKUlvE1_clEvEUlS4_S4_E_EEvPT_PKSB_jjjSB_T1_.has_recursion, or(0, .L_ZZZZN2at6native31launch_logcumsumexp_cuda_kernelERKNS_10TensorBaseES3_lENKUlvE_clEvENKUlvE1_clEvENKUlN3c107complexIdEES8_E_clES8_S8_.has_recursion)
	.set _ZN2at6native28tensor_kernel_scan_outer_dimIN3c107complexIdEEjZZZNS0_31launch_logcumsumexp_cuda_kernelERKNS_10TensorBaseES7_lENKUlvE_clEvENKUlvE1_clEvEUlS4_S4_E_EEvPT_PKSB_jjjSB_T1_.has_indirect_call, or(0, .L_ZZZZN2at6native31launch_logcumsumexp_cuda_kernelERKNS_10TensorBaseES3_lENKUlvE_clEvENKUlvE1_clEvENKUlN3c107complexIdEES8_E_clES8_S8_.has_indirect_call)
	.section	.AMDGPU.csdata,"",@progbits
; Kernel info:
; codeLenInByte = 492
; TotalNumSgprs: 65
; NumVgprs: 86
; ScratchSize: 0
; MemoryBound: 0
; FloatMode: 240
; IeeeMode: 1
; LDSByteSize: 0 bytes/workgroup (compile time only)
; SGPRBlocks: 0
; VGPRBlocks: 10
; NumSGPRsForWavesPerEU: 65
; NumVGPRsForWavesPerEU: 86
; Occupancy: 10
; WaveLimiterHint : 0
; COMPUTE_PGM_RSRC2:SCRATCH_EN: 0
; COMPUTE_PGM_RSRC2:USER_SGPR: 6
; COMPUTE_PGM_RSRC2:TRAP_HANDLER: 0
; COMPUTE_PGM_RSRC2:TGID_X_EN: 1
; COMPUTE_PGM_RSRC2:TGID_Y_EN: 1
; COMPUTE_PGM_RSRC2:TGID_Z_EN: 0
; COMPUTE_PGM_RSRC2:TIDIG_COMP_CNT: 0
	.section	.text._ZN2at6native28tensor_kernel_scan_outer_dimIN3c107complexIdEEmZZZNS0_31launch_logcumsumexp_cuda_kernelERKNS_10TensorBaseES7_lENKUlvE_clEvENKUlvE1_clEvEUlS4_S4_E_EEvPT_PKSB_jjjSB_T1_,"axG",@progbits,_ZN2at6native28tensor_kernel_scan_outer_dimIN3c107complexIdEEmZZZNS0_31launch_logcumsumexp_cuda_kernelERKNS_10TensorBaseES7_lENKUlvE_clEvENKUlvE1_clEvEUlS4_S4_E_EEvPT_PKSB_jjjSB_T1_,comdat
	.globl	_ZN2at6native28tensor_kernel_scan_outer_dimIN3c107complexIdEEmZZZNS0_31launch_logcumsumexp_cuda_kernelERKNS_10TensorBaseES7_lENKUlvE_clEvENKUlvE1_clEvEUlS4_S4_E_EEvPT_PKSB_jjjSB_T1_ ; -- Begin function _ZN2at6native28tensor_kernel_scan_outer_dimIN3c107complexIdEEmZZZNS0_31launch_logcumsumexp_cuda_kernelERKNS_10TensorBaseES7_lENKUlvE_clEvENKUlvE1_clEvEUlS4_S4_E_EEvPT_PKSB_jjjSB_T1_
	.p2align	8
	.type	_ZN2at6native28tensor_kernel_scan_outer_dimIN3c107complexIdEEmZZZNS0_31launch_logcumsumexp_cuda_kernelERKNS_10TensorBaseES7_lENKUlvE_clEvENKUlvE1_clEvEUlS4_S4_E_EEvPT_PKSB_jjjSB_T1_,@function
_ZN2at6native28tensor_kernel_scan_outer_dimIN3c107complexIdEEmZZZNS0_31launch_logcumsumexp_cuda_kernelERKNS_10TensorBaseES7_lENKUlvE_clEvENKUlvE1_clEvEUlS4_S4_E_EEvPT_PKSB_jjjSB_T1_: ; @_ZN2at6native28tensor_kernel_scan_outer_dimIN3c107complexIdEEmZZZNS0_31launch_logcumsumexp_cuda_kernelERKNS_10TensorBaseES7_lENKUlvE_clEvENKUlvE1_clEvEUlS4_S4_E_EEvPT_PKSB_jjjSB_T1_
; %bb.0:
	s_load_dwordx4 s[36:39], s[4:5], 0x10
	s_add_u32 s0, s0, s8
	s_addc_u32 s1, s1, 0
	s_mov_b32 s32, 0
	s_waitcnt lgkmcnt(0)
	s_cmp_ge_u32 s6, s36
	s_cbranch_scc1 .LBB261_9
; %bb.1:
	s_mov_b32 s27, s6
	s_clause 0x3
	s_load_dword s6, s[4:5], 0x44
	s_load_dword s39, s[4:5], 0x38
	s_load_dwordx4 s[44:47], s[4:5], 0x0
	s_load_dwordx4 s[48:51], s[4:5], 0x20
	s_add_u32 s34, s4, 56
	s_addc_u32 s35, s5, 0
	v_mov_b32_e32 v42, 0
	s_mov_b32 s5, 0
	s_mov_b32 s4, s37
	s_waitcnt lgkmcnt(0)
	s_and_b32 s54, s6, 0xffff
	s_cmp_lg_u32 s38, 0
	v_mad_u64_u32 v[40:41], null, s7, s54, v[0:1]
	s_mul_hi_u32 s7, s38, s37
	s_mul_i32 s6, s38, s37
	s_cselect_b32 s55, -1, 0
	s_lshl_b64 s[42:43], s[6:7], 4
	s_lshl_b64 s[52:53], s[4:5], 4
	v_cmp_gt_u32_e64 s33, s37, v40
	s_branch .LBB261_3
.LBB261_2:                              ;   in Loop: Header=BB261_3 Depth=1
	s_inst_prefetch 0x2
	s_or_b32 exec_lo, exec_lo, s56
	s_add_i32 s27, s27, s39
	s_cmp_ge_u32 s27, s36
	s_cbranch_scc1 .LBB261_9
.LBB261_3:                              ; =>This Loop Header: Depth=1
                                        ;     Child Loop BB261_6 Depth 2
                                        ;       Child Loop BB261_8 Depth 3
	s_and_saveexec_b32 s56, s33
	s_cbranch_execz .LBB261_2
; %bb.4:                                ;   in Loop: Header=BB261_3 Depth=1
	s_load_dword s59, s[34:35], 0x4
	v_mov_b32_e32 v41, v40
	s_mul_i32 s4, s43, s27
	s_mul_hi_u32 s5, s42, s27
	s_mul_i32 s57, s42, s27
	s_add_i32 s58, s5, s4
	s_mov_b32 s60, 0
	s_waitcnt lgkmcnt(0)
	s_mul_i32 s59, s59, s54
	s_inst_prefetch 0x1
	s_branch .LBB261_6
	.p2align	6
.LBB261_5:                              ;   in Loop: Header=BB261_6 Depth=2
	v_add_nc_u32_e32 v41, s59, v41
	v_cmp_le_u32_e32 vcc_lo, s37, v41
	s_or_b32 s60, vcc_lo, s60
	s_andn2_b32 exec_lo, exec_lo, s60
	s_cbranch_execz .LBB261_2
.LBB261_6:                              ;   Parent Loop BB261_3 Depth=1
                                        ; =>  This Loop Header: Depth=2
                                        ;       Child Loop BB261_8 Depth 3
	s_andn2_b32 vcc_lo, exec_lo, s55
	s_cbranch_vccnz .LBB261_5
; %bb.7:                                ;   in Loop: Header=BB261_6 Depth=2
	v_lshlrev_b64 v[0:1], 4, v[41:42]
	v_mov_b32_e32 v2, s50
	v_mov_b32_e32 v3, s51
	s_mov_b32 s61, s38
	v_add_co_u32 v43, vcc_lo, s57, v0
	v_add_co_ci_u32_e64 v44, null, s58, v1, vcc_lo
	v_mov_b32_e32 v0, s48
	v_mov_b32_e32 v1, s49
	.p2align	6
.LBB261_8:                              ;   Parent Loop BB261_3 Depth=1
                                        ;     Parent Loop BB261_6 Depth=2
                                        ; =>    This Inner Loop Header: Depth=3
	v_add_co_u32 v4, vcc_lo, s46, v43
	v_add_co_ci_u32_e64 v5, null, s47, v44, vcc_lo
	v_add_co_u32 v45, vcc_lo, s44, v43
	s_getpc_b64 s[4:5]
	s_add_u32 s4, s4, _ZZZZN2at6native31launch_logcumsumexp_cuda_kernelERKNS_10TensorBaseES3_lENKUlvE_clEvENKUlvE1_clEvENKUlN3c107complexIdEES8_E_clES8_S8_@rel32@lo+4
	s_addc_u32 s5, s5, _ZZZZN2at6native31launch_logcumsumexp_cuda_kernelERKNS_10TensorBaseES3_lENKUlvE_clEvENKUlvE1_clEvENKUlN3c107complexIdEES8_E_clES8_S8_@rel32@hi+12
	global_load_dwordx4 v[4:7], v[4:5], off
	v_add_co_ci_u32_e64 v46, null, s45, v44, vcc_lo
	s_swappc_b64 s[30:31], s[4:5]
	v_add_co_u32 v43, vcc_lo, v43, s52
	v_add_co_ci_u32_e64 v44, null, s53, v44, vcc_lo
	s_add_i32 s61, s61, -1
	global_store_dwordx4 v[45:46], v[0:3], off
	s_cmp_eq_u32 s61, 0
	s_cbranch_scc0 .LBB261_8
	s_branch .LBB261_5
.LBB261_9:
	s_endpgm
	.section	.rodata,"a",@progbits
	.p2align	6, 0x0
	.amdhsa_kernel _ZN2at6native28tensor_kernel_scan_outer_dimIN3c107complexIdEEmZZZNS0_31launch_logcumsumexp_cuda_kernelERKNS_10TensorBaseES7_lENKUlvE_clEvENKUlvE1_clEvEUlS4_S4_E_EEvPT_PKSB_jjjSB_T1_
		.amdhsa_group_segment_fixed_size 0
		.amdhsa_private_segment_fixed_size 0
		.amdhsa_kernarg_size 312
		.amdhsa_user_sgpr_count 6
		.amdhsa_user_sgpr_private_segment_buffer 1
		.amdhsa_user_sgpr_dispatch_ptr 0
		.amdhsa_user_sgpr_queue_ptr 0
		.amdhsa_user_sgpr_kernarg_segment_ptr 1
		.amdhsa_user_sgpr_dispatch_id 0
		.amdhsa_user_sgpr_flat_scratch_init 0
		.amdhsa_user_sgpr_private_segment_size 0
		.amdhsa_wavefront_size32 1
		.amdhsa_uses_dynamic_stack 0
		.amdhsa_system_sgpr_private_segment_wavefront_offset 0
		.amdhsa_system_sgpr_workgroup_id_x 1
		.amdhsa_system_sgpr_workgroup_id_y 1
		.amdhsa_system_sgpr_workgroup_id_z 0
		.amdhsa_system_sgpr_workgroup_info 0
		.amdhsa_system_vgpr_workitem_id 0
		.amdhsa_next_free_vgpr 86
		.amdhsa_next_free_sgpr 62
		.amdhsa_reserve_vcc 1
		.amdhsa_reserve_flat_scratch 0
		.amdhsa_float_round_mode_32 0
		.amdhsa_float_round_mode_16_64 0
		.amdhsa_float_denorm_mode_32 3
		.amdhsa_float_denorm_mode_16_64 3
		.amdhsa_dx10_clamp 1
		.amdhsa_ieee_mode 1
		.amdhsa_fp16_overflow 0
		.amdhsa_workgroup_processor_mode 1
		.amdhsa_memory_ordered 1
		.amdhsa_forward_progress 1
		.amdhsa_shared_vgpr_count 0
		.amdhsa_exception_fp_ieee_invalid_op 0
		.amdhsa_exception_fp_denorm_src 0
		.amdhsa_exception_fp_ieee_div_zero 0
		.amdhsa_exception_fp_ieee_overflow 0
		.amdhsa_exception_fp_ieee_underflow 0
		.amdhsa_exception_fp_ieee_inexact 0
		.amdhsa_exception_int_div_zero 0
	.end_amdhsa_kernel
	.section	.text._ZN2at6native28tensor_kernel_scan_outer_dimIN3c107complexIdEEmZZZNS0_31launch_logcumsumexp_cuda_kernelERKNS_10TensorBaseES7_lENKUlvE_clEvENKUlvE1_clEvEUlS4_S4_E_EEvPT_PKSB_jjjSB_T1_,"axG",@progbits,_ZN2at6native28tensor_kernel_scan_outer_dimIN3c107complexIdEEmZZZNS0_31launch_logcumsumexp_cuda_kernelERKNS_10TensorBaseES7_lENKUlvE_clEvENKUlvE1_clEvEUlS4_S4_E_EEvPT_PKSB_jjjSB_T1_,comdat
.Lfunc_end261:
	.size	_ZN2at6native28tensor_kernel_scan_outer_dimIN3c107complexIdEEmZZZNS0_31launch_logcumsumexp_cuda_kernelERKNS_10TensorBaseES7_lENKUlvE_clEvENKUlvE1_clEvEUlS4_S4_E_EEvPT_PKSB_jjjSB_T1_, .Lfunc_end261-_ZN2at6native28tensor_kernel_scan_outer_dimIN3c107complexIdEEmZZZNS0_31launch_logcumsumexp_cuda_kernelERKNS_10TensorBaseES7_lENKUlvE_clEvENKUlvE1_clEvEUlS4_S4_E_EEvPT_PKSB_jjjSB_T1_
                                        ; -- End function
	.set _ZN2at6native28tensor_kernel_scan_outer_dimIN3c107complexIdEEmZZZNS0_31launch_logcumsumexp_cuda_kernelERKNS_10TensorBaseES7_lENKUlvE_clEvENKUlvE1_clEvEUlS4_S4_E_EEvPT_PKSB_jjjSB_T1_.num_vgpr, max(47, .L_ZZZZN2at6native31launch_logcumsumexp_cuda_kernelERKNS_10TensorBaseES3_lENKUlvE_clEvENKUlvE1_clEvENKUlN3c107complexIdEES8_E_clES8_S8_.num_vgpr)
	.set _ZN2at6native28tensor_kernel_scan_outer_dimIN3c107complexIdEEmZZZNS0_31launch_logcumsumexp_cuda_kernelERKNS_10TensorBaseES7_lENKUlvE_clEvENKUlvE1_clEvEUlS4_S4_E_EEvPT_PKSB_jjjSB_T1_.num_agpr, max(0, .L_ZZZZN2at6native31launch_logcumsumexp_cuda_kernelERKNS_10TensorBaseES3_lENKUlvE_clEvENKUlvE1_clEvENKUlN3c107complexIdEES8_E_clES8_S8_.num_agpr)
	.set _ZN2at6native28tensor_kernel_scan_outer_dimIN3c107complexIdEEmZZZNS0_31launch_logcumsumexp_cuda_kernelERKNS_10TensorBaseES7_lENKUlvE_clEvENKUlvE1_clEvEUlS4_S4_E_EEvPT_PKSB_jjjSB_T1_.numbered_sgpr, max(62, .L_ZZZZN2at6native31launch_logcumsumexp_cuda_kernelERKNS_10TensorBaseES3_lENKUlvE_clEvENKUlvE1_clEvENKUlN3c107complexIdEES8_E_clES8_S8_.numbered_sgpr)
	.set _ZN2at6native28tensor_kernel_scan_outer_dimIN3c107complexIdEEmZZZNS0_31launch_logcumsumexp_cuda_kernelERKNS_10TensorBaseES7_lENKUlvE_clEvENKUlvE1_clEvEUlS4_S4_E_EEvPT_PKSB_jjjSB_T1_.num_named_barrier, max(0, .L_ZZZZN2at6native31launch_logcumsumexp_cuda_kernelERKNS_10TensorBaseES3_lENKUlvE_clEvENKUlvE1_clEvENKUlN3c107complexIdEES8_E_clES8_S8_.num_named_barrier)
	.set _ZN2at6native28tensor_kernel_scan_outer_dimIN3c107complexIdEEmZZZNS0_31launch_logcumsumexp_cuda_kernelERKNS_10TensorBaseES7_lENKUlvE_clEvENKUlvE1_clEvEUlS4_S4_E_EEvPT_PKSB_jjjSB_T1_.private_seg_size, 0+max(.L_ZZZZN2at6native31launch_logcumsumexp_cuda_kernelERKNS_10TensorBaseES3_lENKUlvE_clEvENKUlvE1_clEvENKUlN3c107complexIdEES8_E_clES8_S8_.private_seg_size)
	.set _ZN2at6native28tensor_kernel_scan_outer_dimIN3c107complexIdEEmZZZNS0_31launch_logcumsumexp_cuda_kernelERKNS_10TensorBaseES7_lENKUlvE_clEvENKUlvE1_clEvEUlS4_S4_E_EEvPT_PKSB_jjjSB_T1_.uses_vcc, or(1, .L_ZZZZN2at6native31launch_logcumsumexp_cuda_kernelERKNS_10TensorBaseES3_lENKUlvE_clEvENKUlvE1_clEvENKUlN3c107complexIdEES8_E_clES8_S8_.uses_vcc)
	.set _ZN2at6native28tensor_kernel_scan_outer_dimIN3c107complexIdEEmZZZNS0_31launch_logcumsumexp_cuda_kernelERKNS_10TensorBaseES7_lENKUlvE_clEvENKUlvE1_clEvEUlS4_S4_E_EEvPT_PKSB_jjjSB_T1_.uses_flat_scratch, or(0, .L_ZZZZN2at6native31launch_logcumsumexp_cuda_kernelERKNS_10TensorBaseES3_lENKUlvE_clEvENKUlvE1_clEvENKUlN3c107complexIdEES8_E_clES8_S8_.uses_flat_scratch)
	.set _ZN2at6native28tensor_kernel_scan_outer_dimIN3c107complexIdEEmZZZNS0_31launch_logcumsumexp_cuda_kernelERKNS_10TensorBaseES7_lENKUlvE_clEvENKUlvE1_clEvEUlS4_S4_E_EEvPT_PKSB_jjjSB_T1_.has_dyn_sized_stack, or(0, .L_ZZZZN2at6native31launch_logcumsumexp_cuda_kernelERKNS_10TensorBaseES3_lENKUlvE_clEvENKUlvE1_clEvENKUlN3c107complexIdEES8_E_clES8_S8_.has_dyn_sized_stack)
	.set _ZN2at6native28tensor_kernel_scan_outer_dimIN3c107complexIdEEmZZZNS0_31launch_logcumsumexp_cuda_kernelERKNS_10TensorBaseES7_lENKUlvE_clEvENKUlvE1_clEvEUlS4_S4_E_EEvPT_PKSB_jjjSB_T1_.has_recursion, or(0, .L_ZZZZN2at6native31launch_logcumsumexp_cuda_kernelERKNS_10TensorBaseES3_lENKUlvE_clEvENKUlvE1_clEvENKUlN3c107complexIdEES8_E_clES8_S8_.has_recursion)
	.set _ZN2at6native28tensor_kernel_scan_outer_dimIN3c107complexIdEEmZZZNS0_31launch_logcumsumexp_cuda_kernelERKNS_10TensorBaseES7_lENKUlvE_clEvENKUlvE1_clEvEUlS4_S4_E_EEvPT_PKSB_jjjSB_T1_.has_indirect_call, or(0, .L_ZZZZN2at6native31launch_logcumsumexp_cuda_kernelERKNS_10TensorBaseES3_lENKUlvE_clEvENKUlvE1_clEvENKUlN3c107complexIdEES8_E_clES8_S8_.has_indirect_call)
	.section	.AMDGPU.csdata,"",@progbits
; Kernel info:
; codeLenInByte = 492
; TotalNumSgprs: 64
; NumVgprs: 86
; ScratchSize: 0
; MemoryBound: 0
; FloatMode: 240
; IeeeMode: 1
; LDSByteSize: 0 bytes/workgroup (compile time only)
; SGPRBlocks: 0
; VGPRBlocks: 10
; NumSGPRsForWavesPerEU: 64
; NumVGPRsForWavesPerEU: 86
; Occupancy: 10
; WaveLimiterHint : 0
; COMPUTE_PGM_RSRC2:SCRATCH_EN: 0
; COMPUTE_PGM_RSRC2:USER_SGPR: 6
; COMPUTE_PGM_RSRC2:TRAP_HANDLER: 0
; COMPUTE_PGM_RSRC2:TGID_X_EN: 1
; COMPUTE_PGM_RSRC2:TGID_Y_EN: 1
; COMPUTE_PGM_RSRC2:TGID_Z_EN: 0
; COMPUTE_PGM_RSRC2:TIDIG_COMP_CNT: 0
	.section	.text._ZN7rocprim17ROCPRIM_400000_NS6detail31init_lookback_scan_state_kernelINS1_19lookback_scan_stateIN3c107complexIfEELb0ELb1EEENS1_16block_id_wrapperIjLb0EEEEEvT_jT0_jPNSA_10value_typeE,"axG",@progbits,_ZN7rocprim17ROCPRIM_400000_NS6detail31init_lookback_scan_state_kernelINS1_19lookback_scan_stateIN3c107complexIfEELb0ELb1EEENS1_16block_id_wrapperIjLb0EEEEEvT_jT0_jPNSA_10value_typeE,comdat
	.protected	_ZN7rocprim17ROCPRIM_400000_NS6detail31init_lookback_scan_state_kernelINS1_19lookback_scan_stateIN3c107complexIfEELb0ELb1EEENS1_16block_id_wrapperIjLb0EEEEEvT_jT0_jPNSA_10value_typeE ; -- Begin function _ZN7rocprim17ROCPRIM_400000_NS6detail31init_lookback_scan_state_kernelINS1_19lookback_scan_stateIN3c107complexIfEELb0ELb1EEENS1_16block_id_wrapperIjLb0EEEEEvT_jT0_jPNSA_10value_typeE
	.globl	_ZN7rocprim17ROCPRIM_400000_NS6detail31init_lookback_scan_state_kernelINS1_19lookback_scan_stateIN3c107complexIfEELb0ELb1EEENS1_16block_id_wrapperIjLb0EEEEEvT_jT0_jPNSA_10value_typeE
	.p2align	8
	.type	_ZN7rocprim17ROCPRIM_400000_NS6detail31init_lookback_scan_state_kernelINS1_19lookback_scan_stateIN3c107complexIfEELb0ELb1EEENS1_16block_id_wrapperIjLb0EEEEEvT_jT0_jPNSA_10value_typeE,@function
_ZN7rocprim17ROCPRIM_400000_NS6detail31init_lookback_scan_state_kernelINS1_19lookback_scan_stateIN3c107complexIfEELb0ELb1EEENS1_16block_id_wrapperIjLb0EEEEEvT_jT0_jPNSA_10value_typeE: ; @_ZN7rocprim17ROCPRIM_400000_NS6detail31init_lookback_scan_state_kernelINS1_19lookback_scan_stateIN3c107complexIfEELb0ELb1EEENS1_16block_id_wrapperIjLb0EEEEEvT_jT0_jPNSA_10value_typeE
; %bb.0:
	s_clause 0x3
	s_load_dword s8, s[4:5], 0x2c
	s_load_dwordx2 s[2:3], s[4:5], 0x18
	s_load_dwordx2 s[0:1], s[4:5], 0x0
	s_load_dword s7, s[4:5], 0x8
	s_waitcnt lgkmcnt(0)
	s_and_b32 s8, s8, 0xffff
	s_cmp_eq_u64 s[2:3], 0
	v_mad_u64_u32 v[0:1], null, s6, s8, v[0:1]
	s_cbranch_scc1 .LBB262_8
; %bb.1:
	s_load_dword s4, s[4:5], 0x10
	s_waitcnt lgkmcnt(0)
	s_cmp_lt_u32 s4, s7
	s_cselect_b32 s5, s4, 0
	v_cmp_eq_u32_e32 vcc_lo, s5, v0
	s_mov_b32 s5, 0
	s_and_saveexec_b32 s6, vcc_lo
	s_cbranch_execz .LBB262_7
; %bb.2:
	s_add_i32 s4, s4, 32
	v_mov_b32_e32 v5, 0
	s_lshl_b64 s[4:5], s[4:5], 4
	s_mov_b32 s8, exec_lo
	s_add_u32 s4, s0, s4
	s_addc_u32 s5, s1, s5
	v_mov_b32_e32 v1, s4
	v_mov_b32_e32 v2, s5
	;;#ASMSTART
	global_load_dwordx4 v[1:4], v[1:2] off glc dlc	
s_waitcnt vmcnt(0)
	;;#ASMEND
	v_and_b32_e32 v4, 0xff, v3
	v_cmpx_eq_u64_e32 0, v[4:5]
	s_cbranch_execz .LBB262_6
; %bb.3:
	v_mov_b32_e32 v7, s5
	v_mov_b32_e32 v6, s4
	s_mov_b32 s4, 0
.LBB262_4:                              ; =>This Inner Loop Header: Depth=1
	;;#ASMSTART
	global_load_dwordx4 v[1:4], v[6:7] off glc dlc	
s_waitcnt vmcnt(0)
	;;#ASMEND
	v_and_b32_e32 v4, 0xff, v3
	v_cmp_ne_u64_e32 vcc_lo, 0, v[4:5]
	s_or_b32 s4, vcc_lo, s4
	s_andn2_b32 exec_lo, exec_lo, s4
	s_cbranch_execnz .LBB262_4
; %bb.5:
	s_or_b32 exec_lo, exec_lo, s4
.LBB262_6:
	s_or_b32 exec_lo, exec_lo, s8
	v_mov_b32_e32 v3, 0
	global_store_dwordx2 v3, v[1:2], s[2:3]
.LBB262_7:
	s_or_b32 exec_lo, exec_lo, s6
.LBB262_8:
	s_mov_b32 s2, exec_lo
	v_cmpx_gt_u32_e64 s7, v0
	s_cbranch_execz .LBB262_10
; %bb.9:
	v_add_nc_u32_e32 v1, 32, v0
	v_mov_b32_e32 v2, 0
	v_lshlrev_b64 v[4:5], 4, v[1:2]
	v_mov_b32_e32 v1, v2
	v_mov_b32_e32 v3, v2
	v_add_co_u32 v6, vcc_lo, s0, v4
	v_add_co_ci_u32_e64 v7, null, s1, v5, vcc_lo
	v_mov_b32_e32 v4, v2
	global_store_dwordx4 v[6:7], v[1:4], off
.LBB262_10:
	s_or_b32 exec_lo, exec_lo, s2
	s_mov_b32 s2, exec_lo
	v_cmpx_gt_u32_e32 32, v0
	s_cbranch_execz .LBB262_12
; %bb.11:
	v_mov_b32_e32 v1, 0
	v_mov_b32_e32 v2, 0xff
	v_lshlrev_b64 v[3:4], 4, v[0:1]
	v_mov_b32_e32 v0, v1
	v_add_co_u32 v5, vcc_lo, s0, v3
	v_add_co_ci_u32_e64 v6, null, s1, v4, vcc_lo
	v_mov_b32_e32 v3, v1
	global_store_dwordx4 v[5:6], v[0:3], off
.LBB262_12:
	s_endpgm
	.section	.rodata,"a",@progbits
	.p2align	6, 0x0
	.amdhsa_kernel _ZN7rocprim17ROCPRIM_400000_NS6detail31init_lookback_scan_state_kernelINS1_19lookback_scan_stateIN3c107complexIfEELb0ELb1EEENS1_16block_id_wrapperIjLb0EEEEEvT_jT0_jPNSA_10value_typeE
		.amdhsa_group_segment_fixed_size 0
		.amdhsa_private_segment_fixed_size 0
		.amdhsa_kernarg_size 288
		.amdhsa_user_sgpr_count 6
		.amdhsa_user_sgpr_private_segment_buffer 1
		.amdhsa_user_sgpr_dispatch_ptr 0
		.amdhsa_user_sgpr_queue_ptr 0
		.amdhsa_user_sgpr_kernarg_segment_ptr 1
		.amdhsa_user_sgpr_dispatch_id 0
		.amdhsa_user_sgpr_flat_scratch_init 0
		.amdhsa_user_sgpr_private_segment_size 0
		.amdhsa_wavefront_size32 1
		.amdhsa_uses_dynamic_stack 0
		.amdhsa_system_sgpr_private_segment_wavefront_offset 0
		.amdhsa_system_sgpr_workgroup_id_x 1
		.amdhsa_system_sgpr_workgroup_id_y 0
		.amdhsa_system_sgpr_workgroup_id_z 0
		.amdhsa_system_sgpr_workgroup_info 0
		.amdhsa_system_vgpr_workitem_id 0
		.amdhsa_next_free_vgpr 8
		.amdhsa_next_free_sgpr 9
		.amdhsa_reserve_vcc 1
		.amdhsa_reserve_flat_scratch 0
		.amdhsa_float_round_mode_32 0
		.amdhsa_float_round_mode_16_64 0
		.amdhsa_float_denorm_mode_32 3
		.amdhsa_float_denorm_mode_16_64 3
		.amdhsa_dx10_clamp 1
		.amdhsa_ieee_mode 1
		.amdhsa_fp16_overflow 0
		.amdhsa_workgroup_processor_mode 1
		.amdhsa_memory_ordered 1
		.amdhsa_forward_progress 1
		.amdhsa_shared_vgpr_count 0
		.amdhsa_exception_fp_ieee_invalid_op 0
		.amdhsa_exception_fp_denorm_src 0
		.amdhsa_exception_fp_ieee_div_zero 0
		.amdhsa_exception_fp_ieee_overflow 0
		.amdhsa_exception_fp_ieee_underflow 0
		.amdhsa_exception_fp_ieee_inexact 0
		.amdhsa_exception_int_div_zero 0
	.end_amdhsa_kernel
	.section	.text._ZN7rocprim17ROCPRIM_400000_NS6detail31init_lookback_scan_state_kernelINS1_19lookback_scan_stateIN3c107complexIfEELb0ELb1EEENS1_16block_id_wrapperIjLb0EEEEEvT_jT0_jPNSA_10value_typeE,"axG",@progbits,_ZN7rocprim17ROCPRIM_400000_NS6detail31init_lookback_scan_state_kernelINS1_19lookback_scan_stateIN3c107complexIfEELb0ELb1EEENS1_16block_id_wrapperIjLb0EEEEEvT_jT0_jPNSA_10value_typeE,comdat
.Lfunc_end262:
	.size	_ZN7rocprim17ROCPRIM_400000_NS6detail31init_lookback_scan_state_kernelINS1_19lookback_scan_stateIN3c107complexIfEELb0ELb1EEENS1_16block_id_wrapperIjLb0EEEEEvT_jT0_jPNSA_10value_typeE, .Lfunc_end262-_ZN7rocprim17ROCPRIM_400000_NS6detail31init_lookback_scan_state_kernelINS1_19lookback_scan_stateIN3c107complexIfEELb0ELb1EEENS1_16block_id_wrapperIjLb0EEEEEvT_jT0_jPNSA_10value_typeE
                                        ; -- End function
	.set _ZN7rocprim17ROCPRIM_400000_NS6detail31init_lookback_scan_state_kernelINS1_19lookback_scan_stateIN3c107complexIfEELb0ELb1EEENS1_16block_id_wrapperIjLb0EEEEEvT_jT0_jPNSA_10value_typeE.num_vgpr, 8
	.set _ZN7rocprim17ROCPRIM_400000_NS6detail31init_lookback_scan_state_kernelINS1_19lookback_scan_stateIN3c107complexIfEELb0ELb1EEENS1_16block_id_wrapperIjLb0EEEEEvT_jT0_jPNSA_10value_typeE.num_agpr, 0
	.set _ZN7rocprim17ROCPRIM_400000_NS6detail31init_lookback_scan_state_kernelINS1_19lookback_scan_stateIN3c107complexIfEELb0ELb1EEENS1_16block_id_wrapperIjLb0EEEEEvT_jT0_jPNSA_10value_typeE.numbered_sgpr, 9
	.set _ZN7rocprim17ROCPRIM_400000_NS6detail31init_lookback_scan_state_kernelINS1_19lookback_scan_stateIN3c107complexIfEELb0ELb1EEENS1_16block_id_wrapperIjLb0EEEEEvT_jT0_jPNSA_10value_typeE.num_named_barrier, 0
	.set _ZN7rocprim17ROCPRIM_400000_NS6detail31init_lookback_scan_state_kernelINS1_19lookback_scan_stateIN3c107complexIfEELb0ELb1EEENS1_16block_id_wrapperIjLb0EEEEEvT_jT0_jPNSA_10value_typeE.private_seg_size, 0
	.set _ZN7rocprim17ROCPRIM_400000_NS6detail31init_lookback_scan_state_kernelINS1_19lookback_scan_stateIN3c107complexIfEELb0ELb1EEENS1_16block_id_wrapperIjLb0EEEEEvT_jT0_jPNSA_10value_typeE.uses_vcc, 1
	.set _ZN7rocprim17ROCPRIM_400000_NS6detail31init_lookback_scan_state_kernelINS1_19lookback_scan_stateIN3c107complexIfEELb0ELb1EEENS1_16block_id_wrapperIjLb0EEEEEvT_jT0_jPNSA_10value_typeE.uses_flat_scratch, 0
	.set _ZN7rocprim17ROCPRIM_400000_NS6detail31init_lookback_scan_state_kernelINS1_19lookback_scan_stateIN3c107complexIfEELb0ELb1EEENS1_16block_id_wrapperIjLb0EEEEEvT_jT0_jPNSA_10value_typeE.has_dyn_sized_stack, 0
	.set _ZN7rocprim17ROCPRIM_400000_NS6detail31init_lookback_scan_state_kernelINS1_19lookback_scan_stateIN3c107complexIfEELb0ELb1EEENS1_16block_id_wrapperIjLb0EEEEEvT_jT0_jPNSA_10value_typeE.has_recursion, 0
	.set _ZN7rocprim17ROCPRIM_400000_NS6detail31init_lookback_scan_state_kernelINS1_19lookback_scan_stateIN3c107complexIfEELb0ELb1EEENS1_16block_id_wrapperIjLb0EEEEEvT_jT0_jPNSA_10value_typeE.has_indirect_call, 0
	.section	.AMDGPU.csdata,"",@progbits
; Kernel info:
; codeLenInByte = 428
; TotalNumSgprs: 11
; NumVgprs: 8
; ScratchSize: 0
; MemoryBound: 0
; FloatMode: 240
; IeeeMode: 1
; LDSByteSize: 0 bytes/workgroup (compile time only)
; SGPRBlocks: 0
; VGPRBlocks: 0
; NumSGPRsForWavesPerEU: 11
; NumVGPRsForWavesPerEU: 8
; Occupancy: 16
; WaveLimiterHint : 0
; COMPUTE_PGM_RSRC2:SCRATCH_EN: 0
; COMPUTE_PGM_RSRC2:USER_SGPR: 6
; COMPUTE_PGM_RSRC2:TRAP_HANDLER: 0
; COMPUTE_PGM_RSRC2:TGID_X_EN: 1
; COMPUTE_PGM_RSRC2:TGID_Y_EN: 0
; COMPUTE_PGM_RSRC2:TGID_Z_EN: 0
; COMPUTE_PGM_RSRC2:TIDIG_COMP_CNT: 0
	.section	.text._ZN7rocprim17ROCPRIM_400000_NS6detail17trampoline_kernelINS0_14default_configENS1_20scan_config_selectorIN3c107complexIfEEEEZZNS1_9scan_implILNS1_25lookback_scan_determinismE0ELb0ELb0ES3_PKS7_PS7_S7_ZZZN2at6native31launch_logcumsumexp_cuda_kernelERKNSE_10TensorBaseESI_lENKUlvE_clEvENKUlvE2_clEvEUlS7_S7_E_S7_EEDaPvRmT3_T4_T5_mT6_P12ihipStream_tbENKUlT_T0_E_clISt17integral_constantIbLb0EESZ_EEDaSU_SV_EUlSU_E_NS1_11comp_targetILNS1_3genE0ELNS1_11target_archE4294967295ELNS1_3gpuE0ELNS1_3repE0EEENS1_30default_config_static_selectorELNS0_4arch9wavefront6targetE0EEEvT1_,"axG",@progbits,_ZN7rocprim17ROCPRIM_400000_NS6detail17trampoline_kernelINS0_14default_configENS1_20scan_config_selectorIN3c107complexIfEEEEZZNS1_9scan_implILNS1_25lookback_scan_determinismE0ELb0ELb0ES3_PKS7_PS7_S7_ZZZN2at6native31launch_logcumsumexp_cuda_kernelERKNSE_10TensorBaseESI_lENKUlvE_clEvENKUlvE2_clEvEUlS7_S7_E_S7_EEDaPvRmT3_T4_T5_mT6_P12ihipStream_tbENKUlT_T0_E_clISt17integral_constantIbLb0EESZ_EEDaSU_SV_EUlSU_E_NS1_11comp_targetILNS1_3genE0ELNS1_11target_archE4294967295ELNS1_3gpuE0ELNS1_3repE0EEENS1_30default_config_static_selectorELNS0_4arch9wavefront6targetE0EEEvT1_,comdat
	.globl	_ZN7rocprim17ROCPRIM_400000_NS6detail17trampoline_kernelINS0_14default_configENS1_20scan_config_selectorIN3c107complexIfEEEEZZNS1_9scan_implILNS1_25lookback_scan_determinismE0ELb0ELb0ES3_PKS7_PS7_S7_ZZZN2at6native31launch_logcumsumexp_cuda_kernelERKNSE_10TensorBaseESI_lENKUlvE_clEvENKUlvE2_clEvEUlS7_S7_E_S7_EEDaPvRmT3_T4_T5_mT6_P12ihipStream_tbENKUlT_T0_E_clISt17integral_constantIbLb0EESZ_EEDaSU_SV_EUlSU_E_NS1_11comp_targetILNS1_3genE0ELNS1_11target_archE4294967295ELNS1_3gpuE0ELNS1_3repE0EEENS1_30default_config_static_selectorELNS0_4arch9wavefront6targetE0EEEvT1_ ; -- Begin function _ZN7rocprim17ROCPRIM_400000_NS6detail17trampoline_kernelINS0_14default_configENS1_20scan_config_selectorIN3c107complexIfEEEEZZNS1_9scan_implILNS1_25lookback_scan_determinismE0ELb0ELb0ES3_PKS7_PS7_S7_ZZZN2at6native31launch_logcumsumexp_cuda_kernelERKNSE_10TensorBaseESI_lENKUlvE_clEvENKUlvE2_clEvEUlS7_S7_E_S7_EEDaPvRmT3_T4_T5_mT6_P12ihipStream_tbENKUlT_T0_E_clISt17integral_constantIbLb0EESZ_EEDaSU_SV_EUlSU_E_NS1_11comp_targetILNS1_3genE0ELNS1_11target_archE4294967295ELNS1_3gpuE0ELNS1_3repE0EEENS1_30default_config_static_selectorELNS0_4arch9wavefront6targetE0EEEvT1_
	.p2align	8
	.type	_ZN7rocprim17ROCPRIM_400000_NS6detail17trampoline_kernelINS0_14default_configENS1_20scan_config_selectorIN3c107complexIfEEEEZZNS1_9scan_implILNS1_25lookback_scan_determinismE0ELb0ELb0ES3_PKS7_PS7_S7_ZZZN2at6native31launch_logcumsumexp_cuda_kernelERKNSE_10TensorBaseESI_lENKUlvE_clEvENKUlvE2_clEvEUlS7_S7_E_S7_EEDaPvRmT3_T4_T5_mT6_P12ihipStream_tbENKUlT_T0_E_clISt17integral_constantIbLb0EESZ_EEDaSU_SV_EUlSU_E_NS1_11comp_targetILNS1_3genE0ELNS1_11target_archE4294967295ELNS1_3gpuE0ELNS1_3repE0EEENS1_30default_config_static_selectorELNS0_4arch9wavefront6targetE0EEEvT1_,@function
_ZN7rocprim17ROCPRIM_400000_NS6detail17trampoline_kernelINS0_14default_configENS1_20scan_config_selectorIN3c107complexIfEEEEZZNS1_9scan_implILNS1_25lookback_scan_determinismE0ELb0ELb0ES3_PKS7_PS7_S7_ZZZN2at6native31launch_logcumsumexp_cuda_kernelERKNSE_10TensorBaseESI_lENKUlvE_clEvENKUlvE2_clEvEUlS7_S7_E_S7_EEDaPvRmT3_T4_T5_mT6_P12ihipStream_tbENKUlT_T0_E_clISt17integral_constantIbLb0EESZ_EEDaSU_SV_EUlSU_E_NS1_11comp_targetILNS1_3genE0ELNS1_11target_archE4294967295ELNS1_3gpuE0ELNS1_3repE0EEENS1_30default_config_static_selectorELNS0_4arch9wavefront6targetE0EEEvT1_: ; @_ZN7rocprim17ROCPRIM_400000_NS6detail17trampoline_kernelINS0_14default_configENS1_20scan_config_selectorIN3c107complexIfEEEEZZNS1_9scan_implILNS1_25lookback_scan_determinismE0ELb0ELb0ES3_PKS7_PS7_S7_ZZZN2at6native31launch_logcumsumexp_cuda_kernelERKNSE_10TensorBaseESI_lENKUlvE_clEvENKUlvE2_clEvEUlS7_S7_E_S7_EEDaPvRmT3_T4_T5_mT6_P12ihipStream_tbENKUlT_T0_E_clISt17integral_constantIbLb0EESZ_EEDaSU_SV_EUlSU_E_NS1_11comp_targetILNS1_3genE0ELNS1_11target_archE4294967295ELNS1_3gpuE0ELNS1_3repE0EEENS1_30default_config_static_selectorELNS0_4arch9wavefront6targetE0EEEvT1_
; %bb.0:
	.section	.rodata,"a",@progbits
	.p2align	6, 0x0
	.amdhsa_kernel _ZN7rocprim17ROCPRIM_400000_NS6detail17trampoline_kernelINS0_14default_configENS1_20scan_config_selectorIN3c107complexIfEEEEZZNS1_9scan_implILNS1_25lookback_scan_determinismE0ELb0ELb0ES3_PKS7_PS7_S7_ZZZN2at6native31launch_logcumsumexp_cuda_kernelERKNSE_10TensorBaseESI_lENKUlvE_clEvENKUlvE2_clEvEUlS7_S7_E_S7_EEDaPvRmT3_T4_T5_mT6_P12ihipStream_tbENKUlT_T0_E_clISt17integral_constantIbLb0EESZ_EEDaSU_SV_EUlSU_E_NS1_11comp_targetILNS1_3genE0ELNS1_11target_archE4294967295ELNS1_3gpuE0ELNS1_3repE0EEENS1_30default_config_static_selectorELNS0_4arch9wavefront6targetE0EEEvT1_
		.amdhsa_group_segment_fixed_size 0
		.amdhsa_private_segment_fixed_size 0
		.amdhsa_kernarg_size 104
		.amdhsa_user_sgpr_count 6
		.amdhsa_user_sgpr_private_segment_buffer 1
		.amdhsa_user_sgpr_dispatch_ptr 0
		.amdhsa_user_sgpr_queue_ptr 0
		.amdhsa_user_sgpr_kernarg_segment_ptr 1
		.amdhsa_user_sgpr_dispatch_id 0
		.amdhsa_user_sgpr_flat_scratch_init 0
		.amdhsa_user_sgpr_private_segment_size 0
		.amdhsa_wavefront_size32 1
		.amdhsa_uses_dynamic_stack 0
		.amdhsa_system_sgpr_private_segment_wavefront_offset 0
		.amdhsa_system_sgpr_workgroup_id_x 1
		.amdhsa_system_sgpr_workgroup_id_y 0
		.amdhsa_system_sgpr_workgroup_id_z 0
		.amdhsa_system_sgpr_workgroup_info 0
		.amdhsa_system_vgpr_workitem_id 0
		.amdhsa_next_free_vgpr 1
		.amdhsa_next_free_sgpr 1
		.amdhsa_reserve_vcc 0
		.amdhsa_reserve_flat_scratch 0
		.amdhsa_float_round_mode_32 0
		.amdhsa_float_round_mode_16_64 0
		.amdhsa_float_denorm_mode_32 3
		.amdhsa_float_denorm_mode_16_64 3
		.amdhsa_dx10_clamp 1
		.amdhsa_ieee_mode 1
		.amdhsa_fp16_overflow 0
		.amdhsa_workgroup_processor_mode 1
		.amdhsa_memory_ordered 1
		.amdhsa_forward_progress 1
		.amdhsa_shared_vgpr_count 0
		.amdhsa_exception_fp_ieee_invalid_op 0
		.amdhsa_exception_fp_denorm_src 0
		.amdhsa_exception_fp_ieee_div_zero 0
		.amdhsa_exception_fp_ieee_overflow 0
		.amdhsa_exception_fp_ieee_underflow 0
		.amdhsa_exception_fp_ieee_inexact 0
		.amdhsa_exception_int_div_zero 0
	.end_amdhsa_kernel
	.section	.text._ZN7rocprim17ROCPRIM_400000_NS6detail17trampoline_kernelINS0_14default_configENS1_20scan_config_selectorIN3c107complexIfEEEEZZNS1_9scan_implILNS1_25lookback_scan_determinismE0ELb0ELb0ES3_PKS7_PS7_S7_ZZZN2at6native31launch_logcumsumexp_cuda_kernelERKNSE_10TensorBaseESI_lENKUlvE_clEvENKUlvE2_clEvEUlS7_S7_E_S7_EEDaPvRmT3_T4_T5_mT6_P12ihipStream_tbENKUlT_T0_E_clISt17integral_constantIbLb0EESZ_EEDaSU_SV_EUlSU_E_NS1_11comp_targetILNS1_3genE0ELNS1_11target_archE4294967295ELNS1_3gpuE0ELNS1_3repE0EEENS1_30default_config_static_selectorELNS0_4arch9wavefront6targetE0EEEvT1_,"axG",@progbits,_ZN7rocprim17ROCPRIM_400000_NS6detail17trampoline_kernelINS0_14default_configENS1_20scan_config_selectorIN3c107complexIfEEEEZZNS1_9scan_implILNS1_25lookback_scan_determinismE0ELb0ELb0ES3_PKS7_PS7_S7_ZZZN2at6native31launch_logcumsumexp_cuda_kernelERKNSE_10TensorBaseESI_lENKUlvE_clEvENKUlvE2_clEvEUlS7_S7_E_S7_EEDaPvRmT3_T4_T5_mT6_P12ihipStream_tbENKUlT_T0_E_clISt17integral_constantIbLb0EESZ_EEDaSU_SV_EUlSU_E_NS1_11comp_targetILNS1_3genE0ELNS1_11target_archE4294967295ELNS1_3gpuE0ELNS1_3repE0EEENS1_30default_config_static_selectorELNS0_4arch9wavefront6targetE0EEEvT1_,comdat
.Lfunc_end263:
	.size	_ZN7rocprim17ROCPRIM_400000_NS6detail17trampoline_kernelINS0_14default_configENS1_20scan_config_selectorIN3c107complexIfEEEEZZNS1_9scan_implILNS1_25lookback_scan_determinismE0ELb0ELb0ES3_PKS7_PS7_S7_ZZZN2at6native31launch_logcumsumexp_cuda_kernelERKNSE_10TensorBaseESI_lENKUlvE_clEvENKUlvE2_clEvEUlS7_S7_E_S7_EEDaPvRmT3_T4_T5_mT6_P12ihipStream_tbENKUlT_T0_E_clISt17integral_constantIbLb0EESZ_EEDaSU_SV_EUlSU_E_NS1_11comp_targetILNS1_3genE0ELNS1_11target_archE4294967295ELNS1_3gpuE0ELNS1_3repE0EEENS1_30default_config_static_selectorELNS0_4arch9wavefront6targetE0EEEvT1_, .Lfunc_end263-_ZN7rocprim17ROCPRIM_400000_NS6detail17trampoline_kernelINS0_14default_configENS1_20scan_config_selectorIN3c107complexIfEEEEZZNS1_9scan_implILNS1_25lookback_scan_determinismE0ELb0ELb0ES3_PKS7_PS7_S7_ZZZN2at6native31launch_logcumsumexp_cuda_kernelERKNSE_10TensorBaseESI_lENKUlvE_clEvENKUlvE2_clEvEUlS7_S7_E_S7_EEDaPvRmT3_T4_T5_mT6_P12ihipStream_tbENKUlT_T0_E_clISt17integral_constantIbLb0EESZ_EEDaSU_SV_EUlSU_E_NS1_11comp_targetILNS1_3genE0ELNS1_11target_archE4294967295ELNS1_3gpuE0ELNS1_3repE0EEENS1_30default_config_static_selectorELNS0_4arch9wavefront6targetE0EEEvT1_
                                        ; -- End function
	.set _ZN7rocprim17ROCPRIM_400000_NS6detail17trampoline_kernelINS0_14default_configENS1_20scan_config_selectorIN3c107complexIfEEEEZZNS1_9scan_implILNS1_25lookback_scan_determinismE0ELb0ELb0ES3_PKS7_PS7_S7_ZZZN2at6native31launch_logcumsumexp_cuda_kernelERKNSE_10TensorBaseESI_lENKUlvE_clEvENKUlvE2_clEvEUlS7_S7_E_S7_EEDaPvRmT3_T4_T5_mT6_P12ihipStream_tbENKUlT_T0_E_clISt17integral_constantIbLb0EESZ_EEDaSU_SV_EUlSU_E_NS1_11comp_targetILNS1_3genE0ELNS1_11target_archE4294967295ELNS1_3gpuE0ELNS1_3repE0EEENS1_30default_config_static_selectorELNS0_4arch9wavefront6targetE0EEEvT1_.num_vgpr, 0
	.set _ZN7rocprim17ROCPRIM_400000_NS6detail17trampoline_kernelINS0_14default_configENS1_20scan_config_selectorIN3c107complexIfEEEEZZNS1_9scan_implILNS1_25lookback_scan_determinismE0ELb0ELb0ES3_PKS7_PS7_S7_ZZZN2at6native31launch_logcumsumexp_cuda_kernelERKNSE_10TensorBaseESI_lENKUlvE_clEvENKUlvE2_clEvEUlS7_S7_E_S7_EEDaPvRmT3_T4_T5_mT6_P12ihipStream_tbENKUlT_T0_E_clISt17integral_constantIbLb0EESZ_EEDaSU_SV_EUlSU_E_NS1_11comp_targetILNS1_3genE0ELNS1_11target_archE4294967295ELNS1_3gpuE0ELNS1_3repE0EEENS1_30default_config_static_selectorELNS0_4arch9wavefront6targetE0EEEvT1_.num_agpr, 0
	.set _ZN7rocprim17ROCPRIM_400000_NS6detail17trampoline_kernelINS0_14default_configENS1_20scan_config_selectorIN3c107complexIfEEEEZZNS1_9scan_implILNS1_25lookback_scan_determinismE0ELb0ELb0ES3_PKS7_PS7_S7_ZZZN2at6native31launch_logcumsumexp_cuda_kernelERKNSE_10TensorBaseESI_lENKUlvE_clEvENKUlvE2_clEvEUlS7_S7_E_S7_EEDaPvRmT3_T4_T5_mT6_P12ihipStream_tbENKUlT_T0_E_clISt17integral_constantIbLb0EESZ_EEDaSU_SV_EUlSU_E_NS1_11comp_targetILNS1_3genE0ELNS1_11target_archE4294967295ELNS1_3gpuE0ELNS1_3repE0EEENS1_30default_config_static_selectorELNS0_4arch9wavefront6targetE0EEEvT1_.numbered_sgpr, 0
	.set _ZN7rocprim17ROCPRIM_400000_NS6detail17trampoline_kernelINS0_14default_configENS1_20scan_config_selectorIN3c107complexIfEEEEZZNS1_9scan_implILNS1_25lookback_scan_determinismE0ELb0ELb0ES3_PKS7_PS7_S7_ZZZN2at6native31launch_logcumsumexp_cuda_kernelERKNSE_10TensorBaseESI_lENKUlvE_clEvENKUlvE2_clEvEUlS7_S7_E_S7_EEDaPvRmT3_T4_T5_mT6_P12ihipStream_tbENKUlT_T0_E_clISt17integral_constantIbLb0EESZ_EEDaSU_SV_EUlSU_E_NS1_11comp_targetILNS1_3genE0ELNS1_11target_archE4294967295ELNS1_3gpuE0ELNS1_3repE0EEENS1_30default_config_static_selectorELNS0_4arch9wavefront6targetE0EEEvT1_.num_named_barrier, 0
	.set _ZN7rocprim17ROCPRIM_400000_NS6detail17trampoline_kernelINS0_14default_configENS1_20scan_config_selectorIN3c107complexIfEEEEZZNS1_9scan_implILNS1_25lookback_scan_determinismE0ELb0ELb0ES3_PKS7_PS7_S7_ZZZN2at6native31launch_logcumsumexp_cuda_kernelERKNSE_10TensorBaseESI_lENKUlvE_clEvENKUlvE2_clEvEUlS7_S7_E_S7_EEDaPvRmT3_T4_T5_mT6_P12ihipStream_tbENKUlT_T0_E_clISt17integral_constantIbLb0EESZ_EEDaSU_SV_EUlSU_E_NS1_11comp_targetILNS1_3genE0ELNS1_11target_archE4294967295ELNS1_3gpuE0ELNS1_3repE0EEENS1_30default_config_static_selectorELNS0_4arch9wavefront6targetE0EEEvT1_.private_seg_size, 0
	.set _ZN7rocprim17ROCPRIM_400000_NS6detail17trampoline_kernelINS0_14default_configENS1_20scan_config_selectorIN3c107complexIfEEEEZZNS1_9scan_implILNS1_25lookback_scan_determinismE0ELb0ELb0ES3_PKS7_PS7_S7_ZZZN2at6native31launch_logcumsumexp_cuda_kernelERKNSE_10TensorBaseESI_lENKUlvE_clEvENKUlvE2_clEvEUlS7_S7_E_S7_EEDaPvRmT3_T4_T5_mT6_P12ihipStream_tbENKUlT_T0_E_clISt17integral_constantIbLb0EESZ_EEDaSU_SV_EUlSU_E_NS1_11comp_targetILNS1_3genE0ELNS1_11target_archE4294967295ELNS1_3gpuE0ELNS1_3repE0EEENS1_30default_config_static_selectorELNS0_4arch9wavefront6targetE0EEEvT1_.uses_vcc, 0
	.set _ZN7rocprim17ROCPRIM_400000_NS6detail17trampoline_kernelINS0_14default_configENS1_20scan_config_selectorIN3c107complexIfEEEEZZNS1_9scan_implILNS1_25lookback_scan_determinismE0ELb0ELb0ES3_PKS7_PS7_S7_ZZZN2at6native31launch_logcumsumexp_cuda_kernelERKNSE_10TensorBaseESI_lENKUlvE_clEvENKUlvE2_clEvEUlS7_S7_E_S7_EEDaPvRmT3_T4_T5_mT6_P12ihipStream_tbENKUlT_T0_E_clISt17integral_constantIbLb0EESZ_EEDaSU_SV_EUlSU_E_NS1_11comp_targetILNS1_3genE0ELNS1_11target_archE4294967295ELNS1_3gpuE0ELNS1_3repE0EEENS1_30default_config_static_selectorELNS0_4arch9wavefront6targetE0EEEvT1_.uses_flat_scratch, 0
	.set _ZN7rocprim17ROCPRIM_400000_NS6detail17trampoline_kernelINS0_14default_configENS1_20scan_config_selectorIN3c107complexIfEEEEZZNS1_9scan_implILNS1_25lookback_scan_determinismE0ELb0ELb0ES3_PKS7_PS7_S7_ZZZN2at6native31launch_logcumsumexp_cuda_kernelERKNSE_10TensorBaseESI_lENKUlvE_clEvENKUlvE2_clEvEUlS7_S7_E_S7_EEDaPvRmT3_T4_T5_mT6_P12ihipStream_tbENKUlT_T0_E_clISt17integral_constantIbLb0EESZ_EEDaSU_SV_EUlSU_E_NS1_11comp_targetILNS1_3genE0ELNS1_11target_archE4294967295ELNS1_3gpuE0ELNS1_3repE0EEENS1_30default_config_static_selectorELNS0_4arch9wavefront6targetE0EEEvT1_.has_dyn_sized_stack, 0
	.set _ZN7rocprim17ROCPRIM_400000_NS6detail17trampoline_kernelINS0_14default_configENS1_20scan_config_selectorIN3c107complexIfEEEEZZNS1_9scan_implILNS1_25lookback_scan_determinismE0ELb0ELb0ES3_PKS7_PS7_S7_ZZZN2at6native31launch_logcumsumexp_cuda_kernelERKNSE_10TensorBaseESI_lENKUlvE_clEvENKUlvE2_clEvEUlS7_S7_E_S7_EEDaPvRmT3_T4_T5_mT6_P12ihipStream_tbENKUlT_T0_E_clISt17integral_constantIbLb0EESZ_EEDaSU_SV_EUlSU_E_NS1_11comp_targetILNS1_3genE0ELNS1_11target_archE4294967295ELNS1_3gpuE0ELNS1_3repE0EEENS1_30default_config_static_selectorELNS0_4arch9wavefront6targetE0EEEvT1_.has_recursion, 0
	.set _ZN7rocprim17ROCPRIM_400000_NS6detail17trampoline_kernelINS0_14default_configENS1_20scan_config_selectorIN3c107complexIfEEEEZZNS1_9scan_implILNS1_25lookback_scan_determinismE0ELb0ELb0ES3_PKS7_PS7_S7_ZZZN2at6native31launch_logcumsumexp_cuda_kernelERKNSE_10TensorBaseESI_lENKUlvE_clEvENKUlvE2_clEvEUlS7_S7_E_S7_EEDaPvRmT3_T4_T5_mT6_P12ihipStream_tbENKUlT_T0_E_clISt17integral_constantIbLb0EESZ_EEDaSU_SV_EUlSU_E_NS1_11comp_targetILNS1_3genE0ELNS1_11target_archE4294967295ELNS1_3gpuE0ELNS1_3repE0EEENS1_30default_config_static_selectorELNS0_4arch9wavefront6targetE0EEEvT1_.has_indirect_call, 0
	.section	.AMDGPU.csdata,"",@progbits
; Kernel info:
; codeLenInByte = 0
; TotalNumSgprs: 0
; NumVgprs: 0
; ScratchSize: 0
; MemoryBound: 0
; FloatMode: 240
; IeeeMode: 1
; LDSByteSize: 0 bytes/workgroup (compile time only)
; SGPRBlocks: 0
; VGPRBlocks: 0
; NumSGPRsForWavesPerEU: 1
; NumVGPRsForWavesPerEU: 1
; Occupancy: 16
; WaveLimiterHint : 0
; COMPUTE_PGM_RSRC2:SCRATCH_EN: 0
; COMPUTE_PGM_RSRC2:USER_SGPR: 6
; COMPUTE_PGM_RSRC2:TRAP_HANDLER: 0
; COMPUTE_PGM_RSRC2:TGID_X_EN: 1
; COMPUTE_PGM_RSRC2:TGID_Y_EN: 0
; COMPUTE_PGM_RSRC2:TGID_Z_EN: 0
; COMPUTE_PGM_RSRC2:TIDIG_COMP_CNT: 0
	.section	.text._ZN7rocprim17ROCPRIM_400000_NS6detail17trampoline_kernelINS0_14default_configENS1_20scan_config_selectorIN3c107complexIfEEEEZZNS1_9scan_implILNS1_25lookback_scan_determinismE0ELb0ELb0ES3_PKS7_PS7_S7_ZZZN2at6native31launch_logcumsumexp_cuda_kernelERKNSE_10TensorBaseESI_lENKUlvE_clEvENKUlvE2_clEvEUlS7_S7_E_S7_EEDaPvRmT3_T4_T5_mT6_P12ihipStream_tbENKUlT_T0_E_clISt17integral_constantIbLb0EESZ_EEDaSU_SV_EUlSU_E_NS1_11comp_targetILNS1_3genE5ELNS1_11target_archE942ELNS1_3gpuE9ELNS1_3repE0EEENS1_30default_config_static_selectorELNS0_4arch9wavefront6targetE0EEEvT1_,"axG",@progbits,_ZN7rocprim17ROCPRIM_400000_NS6detail17trampoline_kernelINS0_14default_configENS1_20scan_config_selectorIN3c107complexIfEEEEZZNS1_9scan_implILNS1_25lookback_scan_determinismE0ELb0ELb0ES3_PKS7_PS7_S7_ZZZN2at6native31launch_logcumsumexp_cuda_kernelERKNSE_10TensorBaseESI_lENKUlvE_clEvENKUlvE2_clEvEUlS7_S7_E_S7_EEDaPvRmT3_T4_T5_mT6_P12ihipStream_tbENKUlT_T0_E_clISt17integral_constantIbLb0EESZ_EEDaSU_SV_EUlSU_E_NS1_11comp_targetILNS1_3genE5ELNS1_11target_archE942ELNS1_3gpuE9ELNS1_3repE0EEENS1_30default_config_static_selectorELNS0_4arch9wavefront6targetE0EEEvT1_,comdat
	.globl	_ZN7rocprim17ROCPRIM_400000_NS6detail17trampoline_kernelINS0_14default_configENS1_20scan_config_selectorIN3c107complexIfEEEEZZNS1_9scan_implILNS1_25lookback_scan_determinismE0ELb0ELb0ES3_PKS7_PS7_S7_ZZZN2at6native31launch_logcumsumexp_cuda_kernelERKNSE_10TensorBaseESI_lENKUlvE_clEvENKUlvE2_clEvEUlS7_S7_E_S7_EEDaPvRmT3_T4_T5_mT6_P12ihipStream_tbENKUlT_T0_E_clISt17integral_constantIbLb0EESZ_EEDaSU_SV_EUlSU_E_NS1_11comp_targetILNS1_3genE5ELNS1_11target_archE942ELNS1_3gpuE9ELNS1_3repE0EEENS1_30default_config_static_selectorELNS0_4arch9wavefront6targetE0EEEvT1_ ; -- Begin function _ZN7rocprim17ROCPRIM_400000_NS6detail17trampoline_kernelINS0_14default_configENS1_20scan_config_selectorIN3c107complexIfEEEEZZNS1_9scan_implILNS1_25lookback_scan_determinismE0ELb0ELb0ES3_PKS7_PS7_S7_ZZZN2at6native31launch_logcumsumexp_cuda_kernelERKNSE_10TensorBaseESI_lENKUlvE_clEvENKUlvE2_clEvEUlS7_S7_E_S7_EEDaPvRmT3_T4_T5_mT6_P12ihipStream_tbENKUlT_T0_E_clISt17integral_constantIbLb0EESZ_EEDaSU_SV_EUlSU_E_NS1_11comp_targetILNS1_3genE5ELNS1_11target_archE942ELNS1_3gpuE9ELNS1_3repE0EEENS1_30default_config_static_selectorELNS0_4arch9wavefront6targetE0EEEvT1_
	.p2align	8
	.type	_ZN7rocprim17ROCPRIM_400000_NS6detail17trampoline_kernelINS0_14default_configENS1_20scan_config_selectorIN3c107complexIfEEEEZZNS1_9scan_implILNS1_25lookback_scan_determinismE0ELb0ELb0ES3_PKS7_PS7_S7_ZZZN2at6native31launch_logcumsumexp_cuda_kernelERKNSE_10TensorBaseESI_lENKUlvE_clEvENKUlvE2_clEvEUlS7_S7_E_S7_EEDaPvRmT3_T4_T5_mT6_P12ihipStream_tbENKUlT_T0_E_clISt17integral_constantIbLb0EESZ_EEDaSU_SV_EUlSU_E_NS1_11comp_targetILNS1_3genE5ELNS1_11target_archE942ELNS1_3gpuE9ELNS1_3repE0EEENS1_30default_config_static_selectorELNS0_4arch9wavefront6targetE0EEEvT1_,@function
_ZN7rocprim17ROCPRIM_400000_NS6detail17trampoline_kernelINS0_14default_configENS1_20scan_config_selectorIN3c107complexIfEEEEZZNS1_9scan_implILNS1_25lookback_scan_determinismE0ELb0ELb0ES3_PKS7_PS7_S7_ZZZN2at6native31launch_logcumsumexp_cuda_kernelERKNSE_10TensorBaseESI_lENKUlvE_clEvENKUlvE2_clEvEUlS7_S7_E_S7_EEDaPvRmT3_T4_T5_mT6_P12ihipStream_tbENKUlT_T0_E_clISt17integral_constantIbLb0EESZ_EEDaSU_SV_EUlSU_E_NS1_11comp_targetILNS1_3genE5ELNS1_11target_archE942ELNS1_3gpuE9ELNS1_3repE0EEENS1_30default_config_static_selectorELNS0_4arch9wavefront6targetE0EEEvT1_: ; @_ZN7rocprim17ROCPRIM_400000_NS6detail17trampoline_kernelINS0_14default_configENS1_20scan_config_selectorIN3c107complexIfEEEEZZNS1_9scan_implILNS1_25lookback_scan_determinismE0ELb0ELb0ES3_PKS7_PS7_S7_ZZZN2at6native31launch_logcumsumexp_cuda_kernelERKNSE_10TensorBaseESI_lENKUlvE_clEvENKUlvE2_clEvEUlS7_S7_E_S7_EEDaPvRmT3_T4_T5_mT6_P12ihipStream_tbENKUlT_T0_E_clISt17integral_constantIbLb0EESZ_EEDaSU_SV_EUlSU_E_NS1_11comp_targetILNS1_3genE5ELNS1_11target_archE942ELNS1_3gpuE9ELNS1_3repE0EEENS1_30default_config_static_selectorELNS0_4arch9wavefront6targetE0EEEvT1_
; %bb.0:
	.section	.rodata,"a",@progbits
	.p2align	6, 0x0
	.amdhsa_kernel _ZN7rocprim17ROCPRIM_400000_NS6detail17trampoline_kernelINS0_14default_configENS1_20scan_config_selectorIN3c107complexIfEEEEZZNS1_9scan_implILNS1_25lookback_scan_determinismE0ELb0ELb0ES3_PKS7_PS7_S7_ZZZN2at6native31launch_logcumsumexp_cuda_kernelERKNSE_10TensorBaseESI_lENKUlvE_clEvENKUlvE2_clEvEUlS7_S7_E_S7_EEDaPvRmT3_T4_T5_mT6_P12ihipStream_tbENKUlT_T0_E_clISt17integral_constantIbLb0EESZ_EEDaSU_SV_EUlSU_E_NS1_11comp_targetILNS1_3genE5ELNS1_11target_archE942ELNS1_3gpuE9ELNS1_3repE0EEENS1_30default_config_static_selectorELNS0_4arch9wavefront6targetE0EEEvT1_
		.amdhsa_group_segment_fixed_size 0
		.amdhsa_private_segment_fixed_size 0
		.amdhsa_kernarg_size 104
		.amdhsa_user_sgpr_count 6
		.amdhsa_user_sgpr_private_segment_buffer 1
		.amdhsa_user_sgpr_dispatch_ptr 0
		.amdhsa_user_sgpr_queue_ptr 0
		.amdhsa_user_sgpr_kernarg_segment_ptr 1
		.amdhsa_user_sgpr_dispatch_id 0
		.amdhsa_user_sgpr_flat_scratch_init 0
		.amdhsa_user_sgpr_private_segment_size 0
		.amdhsa_wavefront_size32 1
		.amdhsa_uses_dynamic_stack 0
		.amdhsa_system_sgpr_private_segment_wavefront_offset 0
		.amdhsa_system_sgpr_workgroup_id_x 1
		.amdhsa_system_sgpr_workgroup_id_y 0
		.amdhsa_system_sgpr_workgroup_id_z 0
		.amdhsa_system_sgpr_workgroup_info 0
		.amdhsa_system_vgpr_workitem_id 0
		.amdhsa_next_free_vgpr 1
		.amdhsa_next_free_sgpr 1
		.amdhsa_reserve_vcc 0
		.amdhsa_reserve_flat_scratch 0
		.amdhsa_float_round_mode_32 0
		.amdhsa_float_round_mode_16_64 0
		.amdhsa_float_denorm_mode_32 3
		.amdhsa_float_denorm_mode_16_64 3
		.amdhsa_dx10_clamp 1
		.amdhsa_ieee_mode 1
		.amdhsa_fp16_overflow 0
		.amdhsa_workgroup_processor_mode 1
		.amdhsa_memory_ordered 1
		.amdhsa_forward_progress 1
		.amdhsa_shared_vgpr_count 0
		.amdhsa_exception_fp_ieee_invalid_op 0
		.amdhsa_exception_fp_denorm_src 0
		.amdhsa_exception_fp_ieee_div_zero 0
		.amdhsa_exception_fp_ieee_overflow 0
		.amdhsa_exception_fp_ieee_underflow 0
		.amdhsa_exception_fp_ieee_inexact 0
		.amdhsa_exception_int_div_zero 0
	.end_amdhsa_kernel
	.section	.text._ZN7rocprim17ROCPRIM_400000_NS6detail17trampoline_kernelINS0_14default_configENS1_20scan_config_selectorIN3c107complexIfEEEEZZNS1_9scan_implILNS1_25lookback_scan_determinismE0ELb0ELb0ES3_PKS7_PS7_S7_ZZZN2at6native31launch_logcumsumexp_cuda_kernelERKNSE_10TensorBaseESI_lENKUlvE_clEvENKUlvE2_clEvEUlS7_S7_E_S7_EEDaPvRmT3_T4_T5_mT6_P12ihipStream_tbENKUlT_T0_E_clISt17integral_constantIbLb0EESZ_EEDaSU_SV_EUlSU_E_NS1_11comp_targetILNS1_3genE5ELNS1_11target_archE942ELNS1_3gpuE9ELNS1_3repE0EEENS1_30default_config_static_selectorELNS0_4arch9wavefront6targetE0EEEvT1_,"axG",@progbits,_ZN7rocprim17ROCPRIM_400000_NS6detail17trampoline_kernelINS0_14default_configENS1_20scan_config_selectorIN3c107complexIfEEEEZZNS1_9scan_implILNS1_25lookback_scan_determinismE0ELb0ELb0ES3_PKS7_PS7_S7_ZZZN2at6native31launch_logcumsumexp_cuda_kernelERKNSE_10TensorBaseESI_lENKUlvE_clEvENKUlvE2_clEvEUlS7_S7_E_S7_EEDaPvRmT3_T4_T5_mT6_P12ihipStream_tbENKUlT_T0_E_clISt17integral_constantIbLb0EESZ_EEDaSU_SV_EUlSU_E_NS1_11comp_targetILNS1_3genE5ELNS1_11target_archE942ELNS1_3gpuE9ELNS1_3repE0EEENS1_30default_config_static_selectorELNS0_4arch9wavefront6targetE0EEEvT1_,comdat
.Lfunc_end264:
	.size	_ZN7rocprim17ROCPRIM_400000_NS6detail17trampoline_kernelINS0_14default_configENS1_20scan_config_selectorIN3c107complexIfEEEEZZNS1_9scan_implILNS1_25lookback_scan_determinismE0ELb0ELb0ES3_PKS7_PS7_S7_ZZZN2at6native31launch_logcumsumexp_cuda_kernelERKNSE_10TensorBaseESI_lENKUlvE_clEvENKUlvE2_clEvEUlS7_S7_E_S7_EEDaPvRmT3_T4_T5_mT6_P12ihipStream_tbENKUlT_T0_E_clISt17integral_constantIbLb0EESZ_EEDaSU_SV_EUlSU_E_NS1_11comp_targetILNS1_3genE5ELNS1_11target_archE942ELNS1_3gpuE9ELNS1_3repE0EEENS1_30default_config_static_selectorELNS0_4arch9wavefront6targetE0EEEvT1_, .Lfunc_end264-_ZN7rocprim17ROCPRIM_400000_NS6detail17trampoline_kernelINS0_14default_configENS1_20scan_config_selectorIN3c107complexIfEEEEZZNS1_9scan_implILNS1_25lookback_scan_determinismE0ELb0ELb0ES3_PKS7_PS7_S7_ZZZN2at6native31launch_logcumsumexp_cuda_kernelERKNSE_10TensorBaseESI_lENKUlvE_clEvENKUlvE2_clEvEUlS7_S7_E_S7_EEDaPvRmT3_T4_T5_mT6_P12ihipStream_tbENKUlT_T0_E_clISt17integral_constantIbLb0EESZ_EEDaSU_SV_EUlSU_E_NS1_11comp_targetILNS1_3genE5ELNS1_11target_archE942ELNS1_3gpuE9ELNS1_3repE0EEENS1_30default_config_static_selectorELNS0_4arch9wavefront6targetE0EEEvT1_
                                        ; -- End function
	.set _ZN7rocprim17ROCPRIM_400000_NS6detail17trampoline_kernelINS0_14default_configENS1_20scan_config_selectorIN3c107complexIfEEEEZZNS1_9scan_implILNS1_25lookback_scan_determinismE0ELb0ELb0ES3_PKS7_PS7_S7_ZZZN2at6native31launch_logcumsumexp_cuda_kernelERKNSE_10TensorBaseESI_lENKUlvE_clEvENKUlvE2_clEvEUlS7_S7_E_S7_EEDaPvRmT3_T4_T5_mT6_P12ihipStream_tbENKUlT_T0_E_clISt17integral_constantIbLb0EESZ_EEDaSU_SV_EUlSU_E_NS1_11comp_targetILNS1_3genE5ELNS1_11target_archE942ELNS1_3gpuE9ELNS1_3repE0EEENS1_30default_config_static_selectorELNS0_4arch9wavefront6targetE0EEEvT1_.num_vgpr, 0
	.set _ZN7rocprim17ROCPRIM_400000_NS6detail17trampoline_kernelINS0_14default_configENS1_20scan_config_selectorIN3c107complexIfEEEEZZNS1_9scan_implILNS1_25lookback_scan_determinismE0ELb0ELb0ES3_PKS7_PS7_S7_ZZZN2at6native31launch_logcumsumexp_cuda_kernelERKNSE_10TensorBaseESI_lENKUlvE_clEvENKUlvE2_clEvEUlS7_S7_E_S7_EEDaPvRmT3_T4_T5_mT6_P12ihipStream_tbENKUlT_T0_E_clISt17integral_constantIbLb0EESZ_EEDaSU_SV_EUlSU_E_NS1_11comp_targetILNS1_3genE5ELNS1_11target_archE942ELNS1_3gpuE9ELNS1_3repE0EEENS1_30default_config_static_selectorELNS0_4arch9wavefront6targetE0EEEvT1_.num_agpr, 0
	.set _ZN7rocprim17ROCPRIM_400000_NS6detail17trampoline_kernelINS0_14default_configENS1_20scan_config_selectorIN3c107complexIfEEEEZZNS1_9scan_implILNS1_25lookback_scan_determinismE0ELb0ELb0ES3_PKS7_PS7_S7_ZZZN2at6native31launch_logcumsumexp_cuda_kernelERKNSE_10TensorBaseESI_lENKUlvE_clEvENKUlvE2_clEvEUlS7_S7_E_S7_EEDaPvRmT3_T4_T5_mT6_P12ihipStream_tbENKUlT_T0_E_clISt17integral_constantIbLb0EESZ_EEDaSU_SV_EUlSU_E_NS1_11comp_targetILNS1_3genE5ELNS1_11target_archE942ELNS1_3gpuE9ELNS1_3repE0EEENS1_30default_config_static_selectorELNS0_4arch9wavefront6targetE0EEEvT1_.numbered_sgpr, 0
	.set _ZN7rocprim17ROCPRIM_400000_NS6detail17trampoline_kernelINS0_14default_configENS1_20scan_config_selectorIN3c107complexIfEEEEZZNS1_9scan_implILNS1_25lookback_scan_determinismE0ELb0ELb0ES3_PKS7_PS7_S7_ZZZN2at6native31launch_logcumsumexp_cuda_kernelERKNSE_10TensorBaseESI_lENKUlvE_clEvENKUlvE2_clEvEUlS7_S7_E_S7_EEDaPvRmT3_T4_T5_mT6_P12ihipStream_tbENKUlT_T0_E_clISt17integral_constantIbLb0EESZ_EEDaSU_SV_EUlSU_E_NS1_11comp_targetILNS1_3genE5ELNS1_11target_archE942ELNS1_3gpuE9ELNS1_3repE0EEENS1_30default_config_static_selectorELNS0_4arch9wavefront6targetE0EEEvT1_.num_named_barrier, 0
	.set _ZN7rocprim17ROCPRIM_400000_NS6detail17trampoline_kernelINS0_14default_configENS1_20scan_config_selectorIN3c107complexIfEEEEZZNS1_9scan_implILNS1_25lookback_scan_determinismE0ELb0ELb0ES3_PKS7_PS7_S7_ZZZN2at6native31launch_logcumsumexp_cuda_kernelERKNSE_10TensorBaseESI_lENKUlvE_clEvENKUlvE2_clEvEUlS7_S7_E_S7_EEDaPvRmT3_T4_T5_mT6_P12ihipStream_tbENKUlT_T0_E_clISt17integral_constantIbLb0EESZ_EEDaSU_SV_EUlSU_E_NS1_11comp_targetILNS1_3genE5ELNS1_11target_archE942ELNS1_3gpuE9ELNS1_3repE0EEENS1_30default_config_static_selectorELNS0_4arch9wavefront6targetE0EEEvT1_.private_seg_size, 0
	.set _ZN7rocprim17ROCPRIM_400000_NS6detail17trampoline_kernelINS0_14default_configENS1_20scan_config_selectorIN3c107complexIfEEEEZZNS1_9scan_implILNS1_25lookback_scan_determinismE0ELb0ELb0ES3_PKS7_PS7_S7_ZZZN2at6native31launch_logcumsumexp_cuda_kernelERKNSE_10TensorBaseESI_lENKUlvE_clEvENKUlvE2_clEvEUlS7_S7_E_S7_EEDaPvRmT3_T4_T5_mT6_P12ihipStream_tbENKUlT_T0_E_clISt17integral_constantIbLb0EESZ_EEDaSU_SV_EUlSU_E_NS1_11comp_targetILNS1_3genE5ELNS1_11target_archE942ELNS1_3gpuE9ELNS1_3repE0EEENS1_30default_config_static_selectorELNS0_4arch9wavefront6targetE0EEEvT1_.uses_vcc, 0
	.set _ZN7rocprim17ROCPRIM_400000_NS6detail17trampoline_kernelINS0_14default_configENS1_20scan_config_selectorIN3c107complexIfEEEEZZNS1_9scan_implILNS1_25lookback_scan_determinismE0ELb0ELb0ES3_PKS7_PS7_S7_ZZZN2at6native31launch_logcumsumexp_cuda_kernelERKNSE_10TensorBaseESI_lENKUlvE_clEvENKUlvE2_clEvEUlS7_S7_E_S7_EEDaPvRmT3_T4_T5_mT6_P12ihipStream_tbENKUlT_T0_E_clISt17integral_constantIbLb0EESZ_EEDaSU_SV_EUlSU_E_NS1_11comp_targetILNS1_3genE5ELNS1_11target_archE942ELNS1_3gpuE9ELNS1_3repE0EEENS1_30default_config_static_selectorELNS0_4arch9wavefront6targetE0EEEvT1_.uses_flat_scratch, 0
	.set _ZN7rocprim17ROCPRIM_400000_NS6detail17trampoline_kernelINS0_14default_configENS1_20scan_config_selectorIN3c107complexIfEEEEZZNS1_9scan_implILNS1_25lookback_scan_determinismE0ELb0ELb0ES3_PKS7_PS7_S7_ZZZN2at6native31launch_logcumsumexp_cuda_kernelERKNSE_10TensorBaseESI_lENKUlvE_clEvENKUlvE2_clEvEUlS7_S7_E_S7_EEDaPvRmT3_T4_T5_mT6_P12ihipStream_tbENKUlT_T0_E_clISt17integral_constantIbLb0EESZ_EEDaSU_SV_EUlSU_E_NS1_11comp_targetILNS1_3genE5ELNS1_11target_archE942ELNS1_3gpuE9ELNS1_3repE0EEENS1_30default_config_static_selectorELNS0_4arch9wavefront6targetE0EEEvT1_.has_dyn_sized_stack, 0
	.set _ZN7rocprim17ROCPRIM_400000_NS6detail17trampoline_kernelINS0_14default_configENS1_20scan_config_selectorIN3c107complexIfEEEEZZNS1_9scan_implILNS1_25lookback_scan_determinismE0ELb0ELb0ES3_PKS7_PS7_S7_ZZZN2at6native31launch_logcumsumexp_cuda_kernelERKNSE_10TensorBaseESI_lENKUlvE_clEvENKUlvE2_clEvEUlS7_S7_E_S7_EEDaPvRmT3_T4_T5_mT6_P12ihipStream_tbENKUlT_T0_E_clISt17integral_constantIbLb0EESZ_EEDaSU_SV_EUlSU_E_NS1_11comp_targetILNS1_3genE5ELNS1_11target_archE942ELNS1_3gpuE9ELNS1_3repE0EEENS1_30default_config_static_selectorELNS0_4arch9wavefront6targetE0EEEvT1_.has_recursion, 0
	.set _ZN7rocprim17ROCPRIM_400000_NS6detail17trampoline_kernelINS0_14default_configENS1_20scan_config_selectorIN3c107complexIfEEEEZZNS1_9scan_implILNS1_25lookback_scan_determinismE0ELb0ELb0ES3_PKS7_PS7_S7_ZZZN2at6native31launch_logcumsumexp_cuda_kernelERKNSE_10TensorBaseESI_lENKUlvE_clEvENKUlvE2_clEvEUlS7_S7_E_S7_EEDaPvRmT3_T4_T5_mT6_P12ihipStream_tbENKUlT_T0_E_clISt17integral_constantIbLb0EESZ_EEDaSU_SV_EUlSU_E_NS1_11comp_targetILNS1_3genE5ELNS1_11target_archE942ELNS1_3gpuE9ELNS1_3repE0EEENS1_30default_config_static_selectorELNS0_4arch9wavefront6targetE0EEEvT1_.has_indirect_call, 0
	.section	.AMDGPU.csdata,"",@progbits
; Kernel info:
; codeLenInByte = 0
; TotalNumSgprs: 0
; NumVgprs: 0
; ScratchSize: 0
; MemoryBound: 0
; FloatMode: 240
; IeeeMode: 1
; LDSByteSize: 0 bytes/workgroup (compile time only)
; SGPRBlocks: 0
; VGPRBlocks: 0
; NumSGPRsForWavesPerEU: 1
; NumVGPRsForWavesPerEU: 1
; Occupancy: 16
; WaveLimiterHint : 0
; COMPUTE_PGM_RSRC2:SCRATCH_EN: 0
; COMPUTE_PGM_RSRC2:USER_SGPR: 6
; COMPUTE_PGM_RSRC2:TRAP_HANDLER: 0
; COMPUTE_PGM_RSRC2:TGID_X_EN: 1
; COMPUTE_PGM_RSRC2:TGID_Y_EN: 0
; COMPUTE_PGM_RSRC2:TGID_Z_EN: 0
; COMPUTE_PGM_RSRC2:TIDIG_COMP_CNT: 0
	.section	.text._ZN7rocprim17ROCPRIM_400000_NS6detail17trampoline_kernelINS0_14default_configENS1_20scan_config_selectorIN3c107complexIfEEEEZZNS1_9scan_implILNS1_25lookback_scan_determinismE0ELb0ELb0ES3_PKS7_PS7_S7_ZZZN2at6native31launch_logcumsumexp_cuda_kernelERKNSE_10TensorBaseESI_lENKUlvE_clEvENKUlvE2_clEvEUlS7_S7_E_S7_EEDaPvRmT3_T4_T5_mT6_P12ihipStream_tbENKUlT_T0_E_clISt17integral_constantIbLb0EESZ_EEDaSU_SV_EUlSU_E_NS1_11comp_targetILNS1_3genE4ELNS1_11target_archE910ELNS1_3gpuE8ELNS1_3repE0EEENS1_30default_config_static_selectorELNS0_4arch9wavefront6targetE0EEEvT1_,"axG",@progbits,_ZN7rocprim17ROCPRIM_400000_NS6detail17trampoline_kernelINS0_14default_configENS1_20scan_config_selectorIN3c107complexIfEEEEZZNS1_9scan_implILNS1_25lookback_scan_determinismE0ELb0ELb0ES3_PKS7_PS7_S7_ZZZN2at6native31launch_logcumsumexp_cuda_kernelERKNSE_10TensorBaseESI_lENKUlvE_clEvENKUlvE2_clEvEUlS7_S7_E_S7_EEDaPvRmT3_T4_T5_mT6_P12ihipStream_tbENKUlT_T0_E_clISt17integral_constantIbLb0EESZ_EEDaSU_SV_EUlSU_E_NS1_11comp_targetILNS1_3genE4ELNS1_11target_archE910ELNS1_3gpuE8ELNS1_3repE0EEENS1_30default_config_static_selectorELNS0_4arch9wavefront6targetE0EEEvT1_,comdat
	.globl	_ZN7rocprim17ROCPRIM_400000_NS6detail17trampoline_kernelINS0_14default_configENS1_20scan_config_selectorIN3c107complexIfEEEEZZNS1_9scan_implILNS1_25lookback_scan_determinismE0ELb0ELb0ES3_PKS7_PS7_S7_ZZZN2at6native31launch_logcumsumexp_cuda_kernelERKNSE_10TensorBaseESI_lENKUlvE_clEvENKUlvE2_clEvEUlS7_S7_E_S7_EEDaPvRmT3_T4_T5_mT6_P12ihipStream_tbENKUlT_T0_E_clISt17integral_constantIbLb0EESZ_EEDaSU_SV_EUlSU_E_NS1_11comp_targetILNS1_3genE4ELNS1_11target_archE910ELNS1_3gpuE8ELNS1_3repE0EEENS1_30default_config_static_selectorELNS0_4arch9wavefront6targetE0EEEvT1_ ; -- Begin function _ZN7rocprim17ROCPRIM_400000_NS6detail17trampoline_kernelINS0_14default_configENS1_20scan_config_selectorIN3c107complexIfEEEEZZNS1_9scan_implILNS1_25lookback_scan_determinismE0ELb0ELb0ES3_PKS7_PS7_S7_ZZZN2at6native31launch_logcumsumexp_cuda_kernelERKNSE_10TensorBaseESI_lENKUlvE_clEvENKUlvE2_clEvEUlS7_S7_E_S7_EEDaPvRmT3_T4_T5_mT6_P12ihipStream_tbENKUlT_T0_E_clISt17integral_constantIbLb0EESZ_EEDaSU_SV_EUlSU_E_NS1_11comp_targetILNS1_3genE4ELNS1_11target_archE910ELNS1_3gpuE8ELNS1_3repE0EEENS1_30default_config_static_selectorELNS0_4arch9wavefront6targetE0EEEvT1_
	.p2align	8
	.type	_ZN7rocprim17ROCPRIM_400000_NS6detail17trampoline_kernelINS0_14default_configENS1_20scan_config_selectorIN3c107complexIfEEEEZZNS1_9scan_implILNS1_25lookback_scan_determinismE0ELb0ELb0ES3_PKS7_PS7_S7_ZZZN2at6native31launch_logcumsumexp_cuda_kernelERKNSE_10TensorBaseESI_lENKUlvE_clEvENKUlvE2_clEvEUlS7_S7_E_S7_EEDaPvRmT3_T4_T5_mT6_P12ihipStream_tbENKUlT_T0_E_clISt17integral_constantIbLb0EESZ_EEDaSU_SV_EUlSU_E_NS1_11comp_targetILNS1_3genE4ELNS1_11target_archE910ELNS1_3gpuE8ELNS1_3repE0EEENS1_30default_config_static_selectorELNS0_4arch9wavefront6targetE0EEEvT1_,@function
_ZN7rocprim17ROCPRIM_400000_NS6detail17trampoline_kernelINS0_14default_configENS1_20scan_config_selectorIN3c107complexIfEEEEZZNS1_9scan_implILNS1_25lookback_scan_determinismE0ELb0ELb0ES3_PKS7_PS7_S7_ZZZN2at6native31launch_logcumsumexp_cuda_kernelERKNSE_10TensorBaseESI_lENKUlvE_clEvENKUlvE2_clEvEUlS7_S7_E_S7_EEDaPvRmT3_T4_T5_mT6_P12ihipStream_tbENKUlT_T0_E_clISt17integral_constantIbLb0EESZ_EEDaSU_SV_EUlSU_E_NS1_11comp_targetILNS1_3genE4ELNS1_11target_archE910ELNS1_3gpuE8ELNS1_3repE0EEENS1_30default_config_static_selectorELNS0_4arch9wavefront6targetE0EEEvT1_: ; @_ZN7rocprim17ROCPRIM_400000_NS6detail17trampoline_kernelINS0_14default_configENS1_20scan_config_selectorIN3c107complexIfEEEEZZNS1_9scan_implILNS1_25lookback_scan_determinismE0ELb0ELb0ES3_PKS7_PS7_S7_ZZZN2at6native31launch_logcumsumexp_cuda_kernelERKNSE_10TensorBaseESI_lENKUlvE_clEvENKUlvE2_clEvEUlS7_S7_E_S7_EEDaPvRmT3_T4_T5_mT6_P12ihipStream_tbENKUlT_T0_E_clISt17integral_constantIbLb0EESZ_EEDaSU_SV_EUlSU_E_NS1_11comp_targetILNS1_3genE4ELNS1_11target_archE910ELNS1_3gpuE8ELNS1_3repE0EEENS1_30default_config_static_selectorELNS0_4arch9wavefront6targetE0EEEvT1_
; %bb.0:
	.section	.rodata,"a",@progbits
	.p2align	6, 0x0
	.amdhsa_kernel _ZN7rocprim17ROCPRIM_400000_NS6detail17trampoline_kernelINS0_14default_configENS1_20scan_config_selectorIN3c107complexIfEEEEZZNS1_9scan_implILNS1_25lookback_scan_determinismE0ELb0ELb0ES3_PKS7_PS7_S7_ZZZN2at6native31launch_logcumsumexp_cuda_kernelERKNSE_10TensorBaseESI_lENKUlvE_clEvENKUlvE2_clEvEUlS7_S7_E_S7_EEDaPvRmT3_T4_T5_mT6_P12ihipStream_tbENKUlT_T0_E_clISt17integral_constantIbLb0EESZ_EEDaSU_SV_EUlSU_E_NS1_11comp_targetILNS1_3genE4ELNS1_11target_archE910ELNS1_3gpuE8ELNS1_3repE0EEENS1_30default_config_static_selectorELNS0_4arch9wavefront6targetE0EEEvT1_
		.amdhsa_group_segment_fixed_size 0
		.amdhsa_private_segment_fixed_size 0
		.amdhsa_kernarg_size 104
		.amdhsa_user_sgpr_count 6
		.amdhsa_user_sgpr_private_segment_buffer 1
		.amdhsa_user_sgpr_dispatch_ptr 0
		.amdhsa_user_sgpr_queue_ptr 0
		.amdhsa_user_sgpr_kernarg_segment_ptr 1
		.amdhsa_user_sgpr_dispatch_id 0
		.amdhsa_user_sgpr_flat_scratch_init 0
		.amdhsa_user_sgpr_private_segment_size 0
		.amdhsa_wavefront_size32 1
		.amdhsa_uses_dynamic_stack 0
		.amdhsa_system_sgpr_private_segment_wavefront_offset 0
		.amdhsa_system_sgpr_workgroup_id_x 1
		.amdhsa_system_sgpr_workgroup_id_y 0
		.amdhsa_system_sgpr_workgroup_id_z 0
		.amdhsa_system_sgpr_workgroup_info 0
		.amdhsa_system_vgpr_workitem_id 0
		.amdhsa_next_free_vgpr 1
		.amdhsa_next_free_sgpr 1
		.amdhsa_reserve_vcc 0
		.amdhsa_reserve_flat_scratch 0
		.amdhsa_float_round_mode_32 0
		.amdhsa_float_round_mode_16_64 0
		.amdhsa_float_denorm_mode_32 3
		.amdhsa_float_denorm_mode_16_64 3
		.amdhsa_dx10_clamp 1
		.amdhsa_ieee_mode 1
		.amdhsa_fp16_overflow 0
		.amdhsa_workgroup_processor_mode 1
		.amdhsa_memory_ordered 1
		.amdhsa_forward_progress 1
		.amdhsa_shared_vgpr_count 0
		.amdhsa_exception_fp_ieee_invalid_op 0
		.amdhsa_exception_fp_denorm_src 0
		.amdhsa_exception_fp_ieee_div_zero 0
		.amdhsa_exception_fp_ieee_overflow 0
		.amdhsa_exception_fp_ieee_underflow 0
		.amdhsa_exception_fp_ieee_inexact 0
		.amdhsa_exception_int_div_zero 0
	.end_amdhsa_kernel
	.section	.text._ZN7rocprim17ROCPRIM_400000_NS6detail17trampoline_kernelINS0_14default_configENS1_20scan_config_selectorIN3c107complexIfEEEEZZNS1_9scan_implILNS1_25lookback_scan_determinismE0ELb0ELb0ES3_PKS7_PS7_S7_ZZZN2at6native31launch_logcumsumexp_cuda_kernelERKNSE_10TensorBaseESI_lENKUlvE_clEvENKUlvE2_clEvEUlS7_S7_E_S7_EEDaPvRmT3_T4_T5_mT6_P12ihipStream_tbENKUlT_T0_E_clISt17integral_constantIbLb0EESZ_EEDaSU_SV_EUlSU_E_NS1_11comp_targetILNS1_3genE4ELNS1_11target_archE910ELNS1_3gpuE8ELNS1_3repE0EEENS1_30default_config_static_selectorELNS0_4arch9wavefront6targetE0EEEvT1_,"axG",@progbits,_ZN7rocprim17ROCPRIM_400000_NS6detail17trampoline_kernelINS0_14default_configENS1_20scan_config_selectorIN3c107complexIfEEEEZZNS1_9scan_implILNS1_25lookback_scan_determinismE0ELb0ELb0ES3_PKS7_PS7_S7_ZZZN2at6native31launch_logcumsumexp_cuda_kernelERKNSE_10TensorBaseESI_lENKUlvE_clEvENKUlvE2_clEvEUlS7_S7_E_S7_EEDaPvRmT3_T4_T5_mT6_P12ihipStream_tbENKUlT_T0_E_clISt17integral_constantIbLb0EESZ_EEDaSU_SV_EUlSU_E_NS1_11comp_targetILNS1_3genE4ELNS1_11target_archE910ELNS1_3gpuE8ELNS1_3repE0EEENS1_30default_config_static_selectorELNS0_4arch9wavefront6targetE0EEEvT1_,comdat
.Lfunc_end265:
	.size	_ZN7rocprim17ROCPRIM_400000_NS6detail17trampoline_kernelINS0_14default_configENS1_20scan_config_selectorIN3c107complexIfEEEEZZNS1_9scan_implILNS1_25lookback_scan_determinismE0ELb0ELb0ES3_PKS7_PS7_S7_ZZZN2at6native31launch_logcumsumexp_cuda_kernelERKNSE_10TensorBaseESI_lENKUlvE_clEvENKUlvE2_clEvEUlS7_S7_E_S7_EEDaPvRmT3_T4_T5_mT6_P12ihipStream_tbENKUlT_T0_E_clISt17integral_constantIbLb0EESZ_EEDaSU_SV_EUlSU_E_NS1_11comp_targetILNS1_3genE4ELNS1_11target_archE910ELNS1_3gpuE8ELNS1_3repE0EEENS1_30default_config_static_selectorELNS0_4arch9wavefront6targetE0EEEvT1_, .Lfunc_end265-_ZN7rocprim17ROCPRIM_400000_NS6detail17trampoline_kernelINS0_14default_configENS1_20scan_config_selectorIN3c107complexIfEEEEZZNS1_9scan_implILNS1_25lookback_scan_determinismE0ELb0ELb0ES3_PKS7_PS7_S7_ZZZN2at6native31launch_logcumsumexp_cuda_kernelERKNSE_10TensorBaseESI_lENKUlvE_clEvENKUlvE2_clEvEUlS7_S7_E_S7_EEDaPvRmT3_T4_T5_mT6_P12ihipStream_tbENKUlT_T0_E_clISt17integral_constantIbLb0EESZ_EEDaSU_SV_EUlSU_E_NS1_11comp_targetILNS1_3genE4ELNS1_11target_archE910ELNS1_3gpuE8ELNS1_3repE0EEENS1_30default_config_static_selectorELNS0_4arch9wavefront6targetE0EEEvT1_
                                        ; -- End function
	.set _ZN7rocprim17ROCPRIM_400000_NS6detail17trampoline_kernelINS0_14default_configENS1_20scan_config_selectorIN3c107complexIfEEEEZZNS1_9scan_implILNS1_25lookback_scan_determinismE0ELb0ELb0ES3_PKS7_PS7_S7_ZZZN2at6native31launch_logcumsumexp_cuda_kernelERKNSE_10TensorBaseESI_lENKUlvE_clEvENKUlvE2_clEvEUlS7_S7_E_S7_EEDaPvRmT3_T4_T5_mT6_P12ihipStream_tbENKUlT_T0_E_clISt17integral_constantIbLb0EESZ_EEDaSU_SV_EUlSU_E_NS1_11comp_targetILNS1_3genE4ELNS1_11target_archE910ELNS1_3gpuE8ELNS1_3repE0EEENS1_30default_config_static_selectorELNS0_4arch9wavefront6targetE0EEEvT1_.num_vgpr, 0
	.set _ZN7rocprim17ROCPRIM_400000_NS6detail17trampoline_kernelINS0_14default_configENS1_20scan_config_selectorIN3c107complexIfEEEEZZNS1_9scan_implILNS1_25lookback_scan_determinismE0ELb0ELb0ES3_PKS7_PS7_S7_ZZZN2at6native31launch_logcumsumexp_cuda_kernelERKNSE_10TensorBaseESI_lENKUlvE_clEvENKUlvE2_clEvEUlS7_S7_E_S7_EEDaPvRmT3_T4_T5_mT6_P12ihipStream_tbENKUlT_T0_E_clISt17integral_constantIbLb0EESZ_EEDaSU_SV_EUlSU_E_NS1_11comp_targetILNS1_3genE4ELNS1_11target_archE910ELNS1_3gpuE8ELNS1_3repE0EEENS1_30default_config_static_selectorELNS0_4arch9wavefront6targetE0EEEvT1_.num_agpr, 0
	.set _ZN7rocprim17ROCPRIM_400000_NS6detail17trampoline_kernelINS0_14default_configENS1_20scan_config_selectorIN3c107complexIfEEEEZZNS1_9scan_implILNS1_25lookback_scan_determinismE0ELb0ELb0ES3_PKS7_PS7_S7_ZZZN2at6native31launch_logcumsumexp_cuda_kernelERKNSE_10TensorBaseESI_lENKUlvE_clEvENKUlvE2_clEvEUlS7_S7_E_S7_EEDaPvRmT3_T4_T5_mT6_P12ihipStream_tbENKUlT_T0_E_clISt17integral_constantIbLb0EESZ_EEDaSU_SV_EUlSU_E_NS1_11comp_targetILNS1_3genE4ELNS1_11target_archE910ELNS1_3gpuE8ELNS1_3repE0EEENS1_30default_config_static_selectorELNS0_4arch9wavefront6targetE0EEEvT1_.numbered_sgpr, 0
	.set _ZN7rocprim17ROCPRIM_400000_NS6detail17trampoline_kernelINS0_14default_configENS1_20scan_config_selectorIN3c107complexIfEEEEZZNS1_9scan_implILNS1_25lookback_scan_determinismE0ELb0ELb0ES3_PKS7_PS7_S7_ZZZN2at6native31launch_logcumsumexp_cuda_kernelERKNSE_10TensorBaseESI_lENKUlvE_clEvENKUlvE2_clEvEUlS7_S7_E_S7_EEDaPvRmT3_T4_T5_mT6_P12ihipStream_tbENKUlT_T0_E_clISt17integral_constantIbLb0EESZ_EEDaSU_SV_EUlSU_E_NS1_11comp_targetILNS1_3genE4ELNS1_11target_archE910ELNS1_3gpuE8ELNS1_3repE0EEENS1_30default_config_static_selectorELNS0_4arch9wavefront6targetE0EEEvT1_.num_named_barrier, 0
	.set _ZN7rocprim17ROCPRIM_400000_NS6detail17trampoline_kernelINS0_14default_configENS1_20scan_config_selectorIN3c107complexIfEEEEZZNS1_9scan_implILNS1_25lookback_scan_determinismE0ELb0ELb0ES3_PKS7_PS7_S7_ZZZN2at6native31launch_logcumsumexp_cuda_kernelERKNSE_10TensorBaseESI_lENKUlvE_clEvENKUlvE2_clEvEUlS7_S7_E_S7_EEDaPvRmT3_T4_T5_mT6_P12ihipStream_tbENKUlT_T0_E_clISt17integral_constantIbLb0EESZ_EEDaSU_SV_EUlSU_E_NS1_11comp_targetILNS1_3genE4ELNS1_11target_archE910ELNS1_3gpuE8ELNS1_3repE0EEENS1_30default_config_static_selectorELNS0_4arch9wavefront6targetE0EEEvT1_.private_seg_size, 0
	.set _ZN7rocprim17ROCPRIM_400000_NS6detail17trampoline_kernelINS0_14default_configENS1_20scan_config_selectorIN3c107complexIfEEEEZZNS1_9scan_implILNS1_25lookback_scan_determinismE0ELb0ELb0ES3_PKS7_PS7_S7_ZZZN2at6native31launch_logcumsumexp_cuda_kernelERKNSE_10TensorBaseESI_lENKUlvE_clEvENKUlvE2_clEvEUlS7_S7_E_S7_EEDaPvRmT3_T4_T5_mT6_P12ihipStream_tbENKUlT_T0_E_clISt17integral_constantIbLb0EESZ_EEDaSU_SV_EUlSU_E_NS1_11comp_targetILNS1_3genE4ELNS1_11target_archE910ELNS1_3gpuE8ELNS1_3repE0EEENS1_30default_config_static_selectorELNS0_4arch9wavefront6targetE0EEEvT1_.uses_vcc, 0
	.set _ZN7rocprim17ROCPRIM_400000_NS6detail17trampoline_kernelINS0_14default_configENS1_20scan_config_selectorIN3c107complexIfEEEEZZNS1_9scan_implILNS1_25lookback_scan_determinismE0ELb0ELb0ES3_PKS7_PS7_S7_ZZZN2at6native31launch_logcumsumexp_cuda_kernelERKNSE_10TensorBaseESI_lENKUlvE_clEvENKUlvE2_clEvEUlS7_S7_E_S7_EEDaPvRmT3_T4_T5_mT6_P12ihipStream_tbENKUlT_T0_E_clISt17integral_constantIbLb0EESZ_EEDaSU_SV_EUlSU_E_NS1_11comp_targetILNS1_3genE4ELNS1_11target_archE910ELNS1_3gpuE8ELNS1_3repE0EEENS1_30default_config_static_selectorELNS0_4arch9wavefront6targetE0EEEvT1_.uses_flat_scratch, 0
	.set _ZN7rocprim17ROCPRIM_400000_NS6detail17trampoline_kernelINS0_14default_configENS1_20scan_config_selectorIN3c107complexIfEEEEZZNS1_9scan_implILNS1_25lookback_scan_determinismE0ELb0ELb0ES3_PKS7_PS7_S7_ZZZN2at6native31launch_logcumsumexp_cuda_kernelERKNSE_10TensorBaseESI_lENKUlvE_clEvENKUlvE2_clEvEUlS7_S7_E_S7_EEDaPvRmT3_T4_T5_mT6_P12ihipStream_tbENKUlT_T0_E_clISt17integral_constantIbLb0EESZ_EEDaSU_SV_EUlSU_E_NS1_11comp_targetILNS1_3genE4ELNS1_11target_archE910ELNS1_3gpuE8ELNS1_3repE0EEENS1_30default_config_static_selectorELNS0_4arch9wavefront6targetE0EEEvT1_.has_dyn_sized_stack, 0
	.set _ZN7rocprim17ROCPRIM_400000_NS6detail17trampoline_kernelINS0_14default_configENS1_20scan_config_selectorIN3c107complexIfEEEEZZNS1_9scan_implILNS1_25lookback_scan_determinismE0ELb0ELb0ES3_PKS7_PS7_S7_ZZZN2at6native31launch_logcumsumexp_cuda_kernelERKNSE_10TensorBaseESI_lENKUlvE_clEvENKUlvE2_clEvEUlS7_S7_E_S7_EEDaPvRmT3_T4_T5_mT6_P12ihipStream_tbENKUlT_T0_E_clISt17integral_constantIbLb0EESZ_EEDaSU_SV_EUlSU_E_NS1_11comp_targetILNS1_3genE4ELNS1_11target_archE910ELNS1_3gpuE8ELNS1_3repE0EEENS1_30default_config_static_selectorELNS0_4arch9wavefront6targetE0EEEvT1_.has_recursion, 0
	.set _ZN7rocprim17ROCPRIM_400000_NS6detail17trampoline_kernelINS0_14default_configENS1_20scan_config_selectorIN3c107complexIfEEEEZZNS1_9scan_implILNS1_25lookback_scan_determinismE0ELb0ELb0ES3_PKS7_PS7_S7_ZZZN2at6native31launch_logcumsumexp_cuda_kernelERKNSE_10TensorBaseESI_lENKUlvE_clEvENKUlvE2_clEvEUlS7_S7_E_S7_EEDaPvRmT3_T4_T5_mT6_P12ihipStream_tbENKUlT_T0_E_clISt17integral_constantIbLb0EESZ_EEDaSU_SV_EUlSU_E_NS1_11comp_targetILNS1_3genE4ELNS1_11target_archE910ELNS1_3gpuE8ELNS1_3repE0EEENS1_30default_config_static_selectorELNS0_4arch9wavefront6targetE0EEEvT1_.has_indirect_call, 0
	.section	.AMDGPU.csdata,"",@progbits
; Kernel info:
; codeLenInByte = 0
; TotalNumSgprs: 0
; NumVgprs: 0
; ScratchSize: 0
; MemoryBound: 0
; FloatMode: 240
; IeeeMode: 1
; LDSByteSize: 0 bytes/workgroup (compile time only)
; SGPRBlocks: 0
; VGPRBlocks: 0
; NumSGPRsForWavesPerEU: 1
; NumVGPRsForWavesPerEU: 1
; Occupancy: 16
; WaveLimiterHint : 0
; COMPUTE_PGM_RSRC2:SCRATCH_EN: 0
; COMPUTE_PGM_RSRC2:USER_SGPR: 6
; COMPUTE_PGM_RSRC2:TRAP_HANDLER: 0
; COMPUTE_PGM_RSRC2:TGID_X_EN: 1
; COMPUTE_PGM_RSRC2:TGID_Y_EN: 0
; COMPUTE_PGM_RSRC2:TGID_Z_EN: 0
; COMPUTE_PGM_RSRC2:TIDIG_COMP_CNT: 0
	.section	.text._ZN7rocprim17ROCPRIM_400000_NS6detail17trampoline_kernelINS0_14default_configENS1_20scan_config_selectorIN3c107complexIfEEEEZZNS1_9scan_implILNS1_25lookback_scan_determinismE0ELb0ELb0ES3_PKS7_PS7_S7_ZZZN2at6native31launch_logcumsumexp_cuda_kernelERKNSE_10TensorBaseESI_lENKUlvE_clEvENKUlvE2_clEvEUlS7_S7_E_S7_EEDaPvRmT3_T4_T5_mT6_P12ihipStream_tbENKUlT_T0_E_clISt17integral_constantIbLb0EESZ_EEDaSU_SV_EUlSU_E_NS1_11comp_targetILNS1_3genE3ELNS1_11target_archE908ELNS1_3gpuE7ELNS1_3repE0EEENS1_30default_config_static_selectorELNS0_4arch9wavefront6targetE0EEEvT1_,"axG",@progbits,_ZN7rocprim17ROCPRIM_400000_NS6detail17trampoline_kernelINS0_14default_configENS1_20scan_config_selectorIN3c107complexIfEEEEZZNS1_9scan_implILNS1_25lookback_scan_determinismE0ELb0ELb0ES3_PKS7_PS7_S7_ZZZN2at6native31launch_logcumsumexp_cuda_kernelERKNSE_10TensorBaseESI_lENKUlvE_clEvENKUlvE2_clEvEUlS7_S7_E_S7_EEDaPvRmT3_T4_T5_mT6_P12ihipStream_tbENKUlT_T0_E_clISt17integral_constantIbLb0EESZ_EEDaSU_SV_EUlSU_E_NS1_11comp_targetILNS1_3genE3ELNS1_11target_archE908ELNS1_3gpuE7ELNS1_3repE0EEENS1_30default_config_static_selectorELNS0_4arch9wavefront6targetE0EEEvT1_,comdat
	.globl	_ZN7rocprim17ROCPRIM_400000_NS6detail17trampoline_kernelINS0_14default_configENS1_20scan_config_selectorIN3c107complexIfEEEEZZNS1_9scan_implILNS1_25lookback_scan_determinismE0ELb0ELb0ES3_PKS7_PS7_S7_ZZZN2at6native31launch_logcumsumexp_cuda_kernelERKNSE_10TensorBaseESI_lENKUlvE_clEvENKUlvE2_clEvEUlS7_S7_E_S7_EEDaPvRmT3_T4_T5_mT6_P12ihipStream_tbENKUlT_T0_E_clISt17integral_constantIbLb0EESZ_EEDaSU_SV_EUlSU_E_NS1_11comp_targetILNS1_3genE3ELNS1_11target_archE908ELNS1_3gpuE7ELNS1_3repE0EEENS1_30default_config_static_selectorELNS0_4arch9wavefront6targetE0EEEvT1_ ; -- Begin function _ZN7rocprim17ROCPRIM_400000_NS6detail17trampoline_kernelINS0_14default_configENS1_20scan_config_selectorIN3c107complexIfEEEEZZNS1_9scan_implILNS1_25lookback_scan_determinismE0ELb0ELb0ES3_PKS7_PS7_S7_ZZZN2at6native31launch_logcumsumexp_cuda_kernelERKNSE_10TensorBaseESI_lENKUlvE_clEvENKUlvE2_clEvEUlS7_S7_E_S7_EEDaPvRmT3_T4_T5_mT6_P12ihipStream_tbENKUlT_T0_E_clISt17integral_constantIbLb0EESZ_EEDaSU_SV_EUlSU_E_NS1_11comp_targetILNS1_3genE3ELNS1_11target_archE908ELNS1_3gpuE7ELNS1_3repE0EEENS1_30default_config_static_selectorELNS0_4arch9wavefront6targetE0EEEvT1_
	.p2align	8
	.type	_ZN7rocprim17ROCPRIM_400000_NS6detail17trampoline_kernelINS0_14default_configENS1_20scan_config_selectorIN3c107complexIfEEEEZZNS1_9scan_implILNS1_25lookback_scan_determinismE0ELb0ELb0ES3_PKS7_PS7_S7_ZZZN2at6native31launch_logcumsumexp_cuda_kernelERKNSE_10TensorBaseESI_lENKUlvE_clEvENKUlvE2_clEvEUlS7_S7_E_S7_EEDaPvRmT3_T4_T5_mT6_P12ihipStream_tbENKUlT_T0_E_clISt17integral_constantIbLb0EESZ_EEDaSU_SV_EUlSU_E_NS1_11comp_targetILNS1_3genE3ELNS1_11target_archE908ELNS1_3gpuE7ELNS1_3repE0EEENS1_30default_config_static_selectorELNS0_4arch9wavefront6targetE0EEEvT1_,@function
_ZN7rocprim17ROCPRIM_400000_NS6detail17trampoline_kernelINS0_14default_configENS1_20scan_config_selectorIN3c107complexIfEEEEZZNS1_9scan_implILNS1_25lookback_scan_determinismE0ELb0ELb0ES3_PKS7_PS7_S7_ZZZN2at6native31launch_logcumsumexp_cuda_kernelERKNSE_10TensorBaseESI_lENKUlvE_clEvENKUlvE2_clEvEUlS7_S7_E_S7_EEDaPvRmT3_T4_T5_mT6_P12ihipStream_tbENKUlT_T0_E_clISt17integral_constantIbLb0EESZ_EEDaSU_SV_EUlSU_E_NS1_11comp_targetILNS1_3genE3ELNS1_11target_archE908ELNS1_3gpuE7ELNS1_3repE0EEENS1_30default_config_static_selectorELNS0_4arch9wavefront6targetE0EEEvT1_: ; @_ZN7rocprim17ROCPRIM_400000_NS6detail17trampoline_kernelINS0_14default_configENS1_20scan_config_selectorIN3c107complexIfEEEEZZNS1_9scan_implILNS1_25lookback_scan_determinismE0ELb0ELb0ES3_PKS7_PS7_S7_ZZZN2at6native31launch_logcumsumexp_cuda_kernelERKNSE_10TensorBaseESI_lENKUlvE_clEvENKUlvE2_clEvEUlS7_S7_E_S7_EEDaPvRmT3_T4_T5_mT6_P12ihipStream_tbENKUlT_T0_E_clISt17integral_constantIbLb0EESZ_EEDaSU_SV_EUlSU_E_NS1_11comp_targetILNS1_3genE3ELNS1_11target_archE908ELNS1_3gpuE7ELNS1_3repE0EEENS1_30default_config_static_selectorELNS0_4arch9wavefront6targetE0EEEvT1_
; %bb.0:
	.section	.rodata,"a",@progbits
	.p2align	6, 0x0
	.amdhsa_kernel _ZN7rocprim17ROCPRIM_400000_NS6detail17trampoline_kernelINS0_14default_configENS1_20scan_config_selectorIN3c107complexIfEEEEZZNS1_9scan_implILNS1_25lookback_scan_determinismE0ELb0ELb0ES3_PKS7_PS7_S7_ZZZN2at6native31launch_logcumsumexp_cuda_kernelERKNSE_10TensorBaseESI_lENKUlvE_clEvENKUlvE2_clEvEUlS7_S7_E_S7_EEDaPvRmT3_T4_T5_mT6_P12ihipStream_tbENKUlT_T0_E_clISt17integral_constantIbLb0EESZ_EEDaSU_SV_EUlSU_E_NS1_11comp_targetILNS1_3genE3ELNS1_11target_archE908ELNS1_3gpuE7ELNS1_3repE0EEENS1_30default_config_static_selectorELNS0_4arch9wavefront6targetE0EEEvT1_
		.amdhsa_group_segment_fixed_size 0
		.amdhsa_private_segment_fixed_size 0
		.amdhsa_kernarg_size 104
		.amdhsa_user_sgpr_count 6
		.amdhsa_user_sgpr_private_segment_buffer 1
		.amdhsa_user_sgpr_dispatch_ptr 0
		.amdhsa_user_sgpr_queue_ptr 0
		.amdhsa_user_sgpr_kernarg_segment_ptr 1
		.amdhsa_user_sgpr_dispatch_id 0
		.amdhsa_user_sgpr_flat_scratch_init 0
		.amdhsa_user_sgpr_private_segment_size 0
		.amdhsa_wavefront_size32 1
		.amdhsa_uses_dynamic_stack 0
		.amdhsa_system_sgpr_private_segment_wavefront_offset 0
		.amdhsa_system_sgpr_workgroup_id_x 1
		.amdhsa_system_sgpr_workgroup_id_y 0
		.amdhsa_system_sgpr_workgroup_id_z 0
		.amdhsa_system_sgpr_workgroup_info 0
		.amdhsa_system_vgpr_workitem_id 0
		.amdhsa_next_free_vgpr 1
		.amdhsa_next_free_sgpr 1
		.amdhsa_reserve_vcc 0
		.amdhsa_reserve_flat_scratch 0
		.amdhsa_float_round_mode_32 0
		.amdhsa_float_round_mode_16_64 0
		.amdhsa_float_denorm_mode_32 3
		.amdhsa_float_denorm_mode_16_64 3
		.amdhsa_dx10_clamp 1
		.amdhsa_ieee_mode 1
		.amdhsa_fp16_overflow 0
		.amdhsa_workgroup_processor_mode 1
		.amdhsa_memory_ordered 1
		.amdhsa_forward_progress 1
		.amdhsa_shared_vgpr_count 0
		.amdhsa_exception_fp_ieee_invalid_op 0
		.amdhsa_exception_fp_denorm_src 0
		.amdhsa_exception_fp_ieee_div_zero 0
		.amdhsa_exception_fp_ieee_overflow 0
		.amdhsa_exception_fp_ieee_underflow 0
		.amdhsa_exception_fp_ieee_inexact 0
		.amdhsa_exception_int_div_zero 0
	.end_amdhsa_kernel
	.section	.text._ZN7rocprim17ROCPRIM_400000_NS6detail17trampoline_kernelINS0_14default_configENS1_20scan_config_selectorIN3c107complexIfEEEEZZNS1_9scan_implILNS1_25lookback_scan_determinismE0ELb0ELb0ES3_PKS7_PS7_S7_ZZZN2at6native31launch_logcumsumexp_cuda_kernelERKNSE_10TensorBaseESI_lENKUlvE_clEvENKUlvE2_clEvEUlS7_S7_E_S7_EEDaPvRmT3_T4_T5_mT6_P12ihipStream_tbENKUlT_T0_E_clISt17integral_constantIbLb0EESZ_EEDaSU_SV_EUlSU_E_NS1_11comp_targetILNS1_3genE3ELNS1_11target_archE908ELNS1_3gpuE7ELNS1_3repE0EEENS1_30default_config_static_selectorELNS0_4arch9wavefront6targetE0EEEvT1_,"axG",@progbits,_ZN7rocprim17ROCPRIM_400000_NS6detail17trampoline_kernelINS0_14default_configENS1_20scan_config_selectorIN3c107complexIfEEEEZZNS1_9scan_implILNS1_25lookback_scan_determinismE0ELb0ELb0ES3_PKS7_PS7_S7_ZZZN2at6native31launch_logcumsumexp_cuda_kernelERKNSE_10TensorBaseESI_lENKUlvE_clEvENKUlvE2_clEvEUlS7_S7_E_S7_EEDaPvRmT3_T4_T5_mT6_P12ihipStream_tbENKUlT_T0_E_clISt17integral_constantIbLb0EESZ_EEDaSU_SV_EUlSU_E_NS1_11comp_targetILNS1_3genE3ELNS1_11target_archE908ELNS1_3gpuE7ELNS1_3repE0EEENS1_30default_config_static_selectorELNS0_4arch9wavefront6targetE0EEEvT1_,comdat
.Lfunc_end266:
	.size	_ZN7rocprim17ROCPRIM_400000_NS6detail17trampoline_kernelINS0_14default_configENS1_20scan_config_selectorIN3c107complexIfEEEEZZNS1_9scan_implILNS1_25lookback_scan_determinismE0ELb0ELb0ES3_PKS7_PS7_S7_ZZZN2at6native31launch_logcumsumexp_cuda_kernelERKNSE_10TensorBaseESI_lENKUlvE_clEvENKUlvE2_clEvEUlS7_S7_E_S7_EEDaPvRmT3_T4_T5_mT6_P12ihipStream_tbENKUlT_T0_E_clISt17integral_constantIbLb0EESZ_EEDaSU_SV_EUlSU_E_NS1_11comp_targetILNS1_3genE3ELNS1_11target_archE908ELNS1_3gpuE7ELNS1_3repE0EEENS1_30default_config_static_selectorELNS0_4arch9wavefront6targetE0EEEvT1_, .Lfunc_end266-_ZN7rocprim17ROCPRIM_400000_NS6detail17trampoline_kernelINS0_14default_configENS1_20scan_config_selectorIN3c107complexIfEEEEZZNS1_9scan_implILNS1_25lookback_scan_determinismE0ELb0ELb0ES3_PKS7_PS7_S7_ZZZN2at6native31launch_logcumsumexp_cuda_kernelERKNSE_10TensorBaseESI_lENKUlvE_clEvENKUlvE2_clEvEUlS7_S7_E_S7_EEDaPvRmT3_T4_T5_mT6_P12ihipStream_tbENKUlT_T0_E_clISt17integral_constantIbLb0EESZ_EEDaSU_SV_EUlSU_E_NS1_11comp_targetILNS1_3genE3ELNS1_11target_archE908ELNS1_3gpuE7ELNS1_3repE0EEENS1_30default_config_static_selectorELNS0_4arch9wavefront6targetE0EEEvT1_
                                        ; -- End function
	.set _ZN7rocprim17ROCPRIM_400000_NS6detail17trampoline_kernelINS0_14default_configENS1_20scan_config_selectorIN3c107complexIfEEEEZZNS1_9scan_implILNS1_25lookback_scan_determinismE0ELb0ELb0ES3_PKS7_PS7_S7_ZZZN2at6native31launch_logcumsumexp_cuda_kernelERKNSE_10TensorBaseESI_lENKUlvE_clEvENKUlvE2_clEvEUlS7_S7_E_S7_EEDaPvRmT3_T4_T5_mT6_P12ihipStream_tbENKUlT_T0_E_clISt17integral_constantIbLb0EESZ_EEDaSU_SV_EUlSU_E_NS1_11comp_targetILNS1_3genE3ELNS1_11target_archE908ELNS1_3gpuE7ELNS1_3repE0EEENS1_30default_config_static_selectorELNS0_4arch9wavefront6targetE0EEEvT1_.num_vgpr, 0
	.set _ZN7rocprim17ROCPRIM_400000_NS6detail17trampoline_kernelINS0_14default_configENS1_20scan_config_selectorIN3c107complexIfEEEEZZNS1_9scan_implILNS1_25lookback_scan_determinismE0ELb0ELb0ES3_PKS7_PS7_S7_ZZZN2at6native31launch_logcumsumexp_cuda_kernelERKNSE_10TensorBaseESI_lENKUlvE_clEvENKUlvE2_clEvEUlS7_S7_E_S7_EEDaPvRmT3_T4_T5_mT6_P12ihipStream_tbENKUlT_T0_E_clISt17integral_constantIbLb0EESZ_EEDaSU_SV_EUlSU_E_NS1_11comp_targetILNS1_3genE3ELNS1_11target_archE908ELNS1_3gpuE7ELNS1_3repE0EEENS1_30default_config_static_selectorELNS0_4arch9wavefront6targetE0EEEvT1_.num_agpr, 0
	.set _ZN7rocprim17ROCPRIM_400000_NS6detail17trampoline_kernelINS0_14default_configENS1_20scan_config_selectorIN3c107complexIfEEEEZZNS1_9scan_implILNS1_25lookback_scan_determinismE0ELb0ELb0ES3_PKS7_PS7_S7_ZZZN2at6native31launch_logcumsumexp_cuda_kernelERKNSE_10TensorBaseESI_lENKUlvE_clEvENKUlvE2_clEvEUlS7_S7_E_S7_EEDaPvRmT3_T4_T5_mT6_P12ihipStream_tbENKUlT_T0_E_clISt17integral_constantIbLb0EESZ_EEDaSU_SV_EUlSU_E_NS1_11comp_targetILNS1_3genE3ELNS1_11target_archE908ELNS1_3gpuE7ELNS1_3repE0EEENS1_30default_config_static_selectorELNS0_4arch9wavefront6targetE0EEEvT1_.numbered_sgpr, 0
	.set _ZN7rocprim17ROCPRIM_400000_NS6detail17trampoline_kernelINS0_14default_configENS1_20scan_config_selectorIN3c107complexIfEEEEZZNS1_9scan_implILNS1_25lookback_scan_determinismE0ELb0ELb0ES3_PKS7_PS7_S7_ZZZN2at6native31launch_logcumsumexp_cuda_kernelERKNSE_10TensorBaseESI_lENKUlvE_clEvENKUlvE2_clEvEUlS7_S7_E_S7_EEDaPvRmT3_T4_T5_mT6_P12ihipStream_tbENKUlT_T0_E_clISt17integral_constantIbLb0EESZ_EEDaSU_SV_EUlSU_E_NS1_11comp_targetILNS1_3genE3ELNS1_11target_archE908ELNS1_3gpuE7ELNS1_3repE0EEENS1_30default_config_static_selectorELNS0_4arch9wavefront6targetE0EEEvT1_.num_named_barrier, 0
	.set _ZN7rocprim17ROCPRIM_400000_NS6detail17trampoline_kernelINS0_14default_configENS1_20scan_config_selectorIN3c107complexIfEEEEZZNS1_9scan_implILNS1_25lookback_scan_determinismE0ELb0ELb0ES3_PKS7_PS7_S7_ZZZN2at6native31launch_logcumsumexp_cuda_kernelERKNSE_10TensorBaseESI_lENKUlvE_clEvENKUlvE2_clEvEUlS7_S7_E_S7_EEDaPvRmT3_T4_T5_mT6_P12ihipStream_tbENKUlT_T0_E_clISt17integral_constantIbLb0EESZ_EEDaSU_SV_EUlSU_E_NS1_11comp_targetILNS1_3genE3ELNS1_11target_archE908ELNS1_3gpuE7ELNS1_3repE0EEENS1_30default_config_static_selectorELNS0_4arch9wavefront6targetE0EEEvT1_.private_seg_size, 0
	.set _ZN7rocprim17ROCPRIM_400000_NS6detail17trampoline_kernelINS0_14default_configENS1_20scan_config_selectorIN3c107complexIfEEEEZZNS1_9scan_implILNS1_25lookback_scan_determinismE0ELb0ELb0ES3_PKS7_PS7_S7_ZZZN2at6native31launch_logcumsumexp_cuda_kernelERKNSE_10TensorBaseESI_lENKUlvE_clEvENKUlvE2_clEvEUlS7_S7_E_S7_EEDaPvRmT3_T4_T5_mT6_P12ihipStream_tbENKUlT_T0_E_clISt17integral_constantIbLb0EESZ_EEDaSU_SV_EUlSU_E_NS1_11comp_targetILNS1_3genE3ELNS1_11target_archE908ELNS1_3gpuE7ELNS1_3repE0EEENS1_30default_config_static_selectorELNS0_4arch9wavefront6targetE0EEEvT1_.uses_vcc, 0
	.set _ZN7rocprim17ROCPRIM_400000_NS6detail17trampoline_kernelINS0_14default_configENS1_20scan_config_selectorIN3c107complexIfEEEEZZNS1_9scan_implILNS1_25lookback_scan_determinismE0ELb0ELb0ES3_PKS7_PS7_S7_ZZZN2at6native31launch_logcumsumexp_cuda_kernelERKNSE_10TensorBaseESI_lENKUlvE_clEvENKUlvE2_clEvEUlS7_S7_E_S7_EEDaPvRmT3_T4_T5_mT6_P12ihipStream_tbENKUlT_T0_E_clISt17integral_constantIbLb0EESZ_EEDaSU_SV_EUlSU_E_NS1_11comp_targetILNS1_3genE3ELNS1_11target_archE908ELNS1_3gpuE7ELNS1_3repE0EEENS1_30default_config_static_selectorELNS0_4arch9wavefront6targetE0EEEvT1_.uses_flat_scratch, 0
	.set _ZN7rocprim17ROCPRIM_400000_NS6detail17trampoline_kernelINS0_14default_configENS1_20scan_config_selectorIN3c107complexIfEEEEZZNS1_9scan_implILNS1_25lookback_scan_determinismE0ELb0ELb0ES3_PKS7_PS7_S7_ZZZN2at6native31launch_logcumsumexp_cuda_kernelERKNSE_10TensorBaseESI_lENKUlvE_clEvENKUlvE2_clEvEUlS7_S7_E_S7_EEDaPvRmT3_T4_T5_mT6_P12ihipStream_tbENKUlT_T0_E_clISt17integral_constantIbLb0EESZ_EEDaSU_SV_EUlSU_E_NS1_11comp_targetILNS1_3genE3ELNS1_11target_archE908ELNS1_3gpuE7ELNS1_3repE0EEENS1_30default_config_static_selectorELNS0_4arch9wavefront6targetE0EEEvT1_.has_dyn_sized_stack, 0
	.set _ZN7rocprim17ROCPRIM_400000_NS6detail17trampoline_kernelINS0_14default_configENS1_20scan_config_selectorIN3c107complexIfEEEEZZNS1_9scan_implILNS1_25lookback_scan_determinismE0ELb0ELb0ES3_PKS7_PS7_S7_ZZZN2at6native31launch_logcumsumexp_cuda_kernelERKNSE_10TensorBaseESI_lENKUlvE_clEvENKUlvE2_clEvEUlS7_S7_E_S7_EEDaPvRmT3_T4_T5_mT6_P12ihipStream_tbENKUlT_T0_E_clISt17integral_constantIbLb0EESZ_EEDaSU_SV_EUlSU_E_NS1_11comp_targetILNS1_3genE3ELNS1_11target_archE908ELNS1_3gpuE7ELNS1_3repE0EEENS1_30default_config_static_selectorELNS0_4arch9wavefront6targetE0EEEvT1_.has_recursion, 0
	.set _ZN7rocprim17ROCPRIM_400000_NS6detail17trampoline_kernelINS0_14default_configENS1_20scan_config_selectorIN3c107complexIfEEEEZZNS1_9scan_implILNS1_25lookback_scan_determinismE0ELb0ELb0ES3_PKS7_PS7_S7_ZZZN2at6native31launch_logcumsumexp_cuda_kernelERKNSE_10TensorBaseESI_lENKUlvE_clEvENKUlvE2_clEvEUlS7_S7_E_S7_EEDaPvRmT3_T4_T5_mT6_P12ihipStream_tbENKUlT_T0_E_clISt17integral_constantIbLb0EESZ_EEDaSU_SV_EUlSU_E_NS1_11comp_targetILNS1_3genE3ELNS1_11target_archE908ELNS1_3gpuE7ELNS1_3repE0EEENS1_30default_config_static_selectorELNS0_4arch9wavefront6targetE0EEEvT1_.has_indirect_call, 0
	.section	.AMDGPU.csdata,"",@progbits
; Kernel info:
; codeLenInByte = 0
; TotalNumSgprs: 0
; NumVgprs: 0
; ScratchSize: 0
; MemoryBound: 0
; FloatMode: 240
; IeeeMode: 1
; LDSByteSize: 0 bytes/workgroup (compile time only)
; SGPRBlocks: 0
; VGPRBlocks: 0
; NumSGPRsForWavesPerEU: 1
; NumVGPRsForWavesPerEU: 1
; Occupancy: 16
; WaveLimiterHint : 0
; COMPUTE_PGM_RSRC2:SCRATCH_EN: 0
; COMPUTE_PGM_RSRC2:USER_SGPR: 6
; COMPUTE_PGM_RSRC2:TRAP_HANDLER: 0
; COMPUTE_PGM_RSRC2:TGID_X_EN: 1
; COMPUTE_PGM_RSRC2:TGID_Y_EN: 0
; COMPUTE_PGM_RSRC2:TGID_Z_EN: 0
; COMPUTE_PGM_RSRC2:TIDIG_COMP_CNT: 0
	.section	.text._ZN7rocprim17ROCPRIM_400000_NS6detail17trampoline_kernelINS0_14default_configENS1_20scan_config_selectorIN3c107complexIfEEEEZZNS1_9scan_implILNS1_25lookback_scan_determinismE0ELb0ELb0ES3_PKS7_PS7_S7_ZZZN2at6native31launch_logcumsumexp_cuda_kernelERKNSE_10TensorBaseESI_lENKUlvE_clEvENKUlvE2_clEvEUlS7_S7_E_S7_EEDaPvRmT3_T4_T5_mT6_P12ihipStream_tbENKUlT_T0_E_clISt17integral_constantIbLb0EESZ_EEDaSU_SV_EUlSU_E_NS1_11comp_targetILNS1_3genE2ELNS1_11target_archE906ELNS1_3gpuE6ELNS1_3repE0EEENS1_30default_config_static_selectorELNS0_4arch9wavefront6targetE0EEEvT1_,"axG",@progbits,_ZN7rocprim17ROCPRIM_400000_NS6detail17trampoline_kernelINS0_14default_configENS1_20scan_config_selectorIN3c107complexIfEEEEZZNS1_9scan_implILNS1_25lookback_scan_determinismE0ELb0ELb0ES3_PKS7_PS7_S7_ZZZN2at6native31launch_logcumsumexp_cuda_kernelERKNSE_10TensorBaseESI_lENKUlvE_clEvENKUlvE2_clEvEUlS7_S7_E_S7_EEDaPvRmT3_T4_T5_mT6_P12ihipStream_tbENKUlT_T0_E_clISt17integral_constantIbLb0EESZ_EEDaSU_SV_EUlSU_E_NS1_11comp_targetILNS1_3genE2ELNS1_11target_archE906ELNS1_3gpuE6ELNS1_3repE0EEENS1_30default_config_static_selectorELNS0_4arch9wavefront6targetE0EEEvT1_,comdat
	.globl	_ZN7rocprim17ROCPRIM_400000_NS6detail17trampoline_kernelINS0_14default_configENS1_20scan_config_selectorIN3c107complexIfEEEEZZNS1_9scan_implILNS1_25lookback_scan_determinismE0ELb0ELb0ES3_PKS7_PS7_S7_ZZZN2at6native31launch_logcumsumexp_cuda_kernelERKNSE_10TensorBaseESI_lENKUlvE_clEvENKUlvE2_clEvEUlS7_S7_E_S7_EEDaPvRmT3_T4_T5_mT6_P12ihipStream_tbENKUlT_T0_E_clISt17integral_constantIbLb0EESZ_EEDaSU_SV_EUlSU_E_NS1_11comp_targetILNS1_3genE2ELNS1_11target_archE906ELNS1_3gpuE6ELNS1_3repE0EEENS1_30default_config_static_selectorELNS0_4arch9wavefront6targetE0EEEvT1_ ; -- Begin function _ZN7rocprim17ROCPRIM_400000_NS6detail17trampoline_kernelINS0_14default_configENS1_20scan_config_selectorIN3c107complexIfEEEEZZNS1_9scan_implILNS1_25lookback_scan_determinismE0ELb0ELb0ES3_PKS7_PS7_S7_ZZZN2at6native31launch_logcumsumexp_cuda_kernelERKNSE_10TensorBaseESI_lENKUlvE_clEvENKUlvE2_clEvEUlS7_S7_E_S7_EEDaPvRmT3_T4_T5_mT6_P12ihipStream_tbENKUlT_T0_E_clISt17integral_constantIbLb0EESZ_EEDaSU_SV_EUlSU_E_NS1_11comp_targetILNS1_3genE2ELNS1_11target_archE906ELNS1_3gpuE6ELNS1_3repE0EEENS1_30default_config_static_selectorELNS0_4arch9wavefront6targetE0EEEvT1_
	.p2align	8
	.type	_ZN7rocprim17ROCPRIM_400000_NS6detail17trampoline_kernelINS0_14default_configENS1_20scan_config_selectorIN3c107complexIfEEEEZZNS1_9scan_implILNS1_25lookback_scan_determinismE0ELb0ELb0ES3_PKS7_PS7_S7_ZZZN2at6native31launch_logcumsumexp_cuda_kernelERKNSE_10TensorBaseESI_lENKUlvE_clEvENKUlvE2_clEvEUlS7_S7_E_S7_EEDaPvRmT3_T4_T5_mT6_P12ihipStream_tbENKUlT_T0_E_clISt17integral_constantIbLb0EESZ_EEDaSU_SV_EUlSU_E_NS1_11comp_targetILNS1_3genE2ELNS1_11target_archE906ELNS1_3gpuE6ELNS1_3repE0EEENS1_30default_config_static_selectorELNS0_4arch9wavefront6targetE0EEEvT1_,@function
_ZN7rocprim17ROCPRIM_400000_NS6detail17trampoline_kernelINS0_14default_configENS1_20scan_config_selectorIN3c107complexIfEEEEZZNS1_9scan_implILNS1_25lookback_scan_determinismE0ELb0ELb0ES3_PKS7_PS7_S7_ZZZN2at6native31launch_logcumsumexp_cuda_kernelERKNSE_10TensorBaseESI_lENKUlvE_clEvENKUlvE2_clEvEUlS7_S7_E_S7_EEDaPvRmT3_T4_T5_mT6_P12ihipStream_tbENKUlT_T0_E_clISt17integral_constantIbLb0EESZ_EEDaSU_SV_EUlSU_E_NS1_11comp_targetILNS1_3genE2ELNS1_11target_archE906ELNS1_3gpuE6ELNS1_3repE0EEENS1_30default_config_static_selectorELNS0_4arch9wavefront6targetE0EEEvT1_: ; @_ZN7rocprim17ROCPRIM_400000_NS6detail17trampoline_kernelINS0_14default_configENS1_20scan_config_selectorIN3c107complexIfEEEEZZNS1_9scan_implILNS1_25lookback_scan_determinismE0ELb0ELb0ES3_PKS7_PS7_S7_ZZZN2at6native31launch_logcumsumexp_cuda_kernelERKNSE_10TensorBaseESI_lENKUlvE_clEvENKUlvE2_clEvEUlS7_S7_E_S7_EEDaPvRmT3_T4_T5_mT6_P12ihipStream_tbENKUlT_T0_E_clISt17integral_constantIbLb0EESZ_EEDaSU_SV_EUlSU_E_NS1_11comp_targetILNS1_3genE2ELNS1_11target_archE906ELNS1_3gpuE6ELNS1_3repE0EEENS1_30default_config_static_selectorELNS0_4arch9wavefront6targetE0EEEvT1_
; %bb.0:
	.section	.rodata,"a",@progbits
	.p2align	6, 0x0
	.amdhsa_kernel _ZN7rocprim17ROCPRIM_400000_NS6detail17trampoline_kernelINS0_14default_configENS1_20scan_config_selectorIN3c107complexIfEEEEZZNS1_9scan_implILNS1_25lookback_scan_determinismE0ELb0ELb0ES3_PKS7_PS7_S7_ZZZN2at6native31launch_logcumsumexp_cuda_kernelERKNSE_10TensorBaseESI_lENKUlvE_clEvENKUlvE2_clEvEUlS7_S7_E_S7_EEDaPvRmT3_T4_T5_mT6_P12ihipStream_tbENKUlT_T0_E_clISt17integral_constantIbLb0EESZ_EEDaSU_SV_EUlSU_E_NS1_11comp_targetILNS1_3genE2ELNS1_11target_archE906ELNS1_3gpuE6ELNS1_3repE0EEENS1_30default_config_static_selectorELNS0_4arch9wavefront6targetE0EEEvT1_
		.amdhsa_group_segment_fixed_size 0
		.amdhsa_private_segment_fixed_size 0
		.amdhsa_kernarg_size 104
		.amdhsa_user_sgpr_count 6
		.amdhsa_user_sgpr_private_segment_buffer 1
		.amdhsa_user_sgpr_dispatch_ptr 0
		.amdhsa_user_sgpr_queue_ptr 0
		.amdhsa_user_sgpr_kernarg_segment_ptr 1
		.amdhsa_user_sgpr_dispatch_id 0
		.amdhsa_user_sgpr_flat_scratch_init 0
		.amdhsa_user_sgpr_private_segment_size 0
		.amdhsa_wavefront_size32 1
		.amdhsa_uses_dynamic_stack 0
		.amdhsa_system_sgpr_private_segment_wavefront_offset 0
		.amdhsa_system_sgpr_workgroup_id_x 1
		.amdhsa_system_sgpr_workgroup_id_y 0
		.amdhsa_system_sgpr_workgroup_id_z 0
		.amdhsa_system_sgpr_workgroup_info 0
		.amdhsa_system_vgpr_workitem_id 0
		.amdhsa_next_free_vgpr 1
		.amdhsa_next_free_sgpr 1
		.amdhsa_reserve_vcc 0
		.amdhsa_reserve_flat_scratch 0
		.amdhsa_float_round_mode_32 0
		.amdhsa_float_round_mode_16_64 0
		.amdhsa_float_denorm_mode_32 3
		.amdhsa_float_denorm_mode_16_64 3
		.amdhsa_dx10_clamp 1
		.amdhsa_ieee_mode 1
		.amdhsa_fp16_overflow 0
		.amdhsa_workgroup_processor_mode 1
		.amdhsa_memory_ordered 1
		.amdhsa_forward_progress 1
		.amdhsa_shared_vgpr_count 0
		.amdhsa_exception_fp_ieee_invalid_op 0
		.amdhsa_exception_fp_denorm_src 0
		.amdhsa_exception_fp_ieee_div_zero 0
		.amdhsa_exception_fp_ieee_overflow 0
		.amdhsa_exception_fp_ieee_underflow 0
		.amdhsa_exception_fp_ieee_inexact 0
		.amdhsa_exception_int_div_zero 0
	.end_amdhsa_kernel
	.section	.text._ZN7rocprim17ROCPRIM_400000_NS6detail17trampoline_kernelINS0_14default_configENS1_20scan_config_selectorIN3c107complexIfEEEEZZNS1_9scan_implILNS1_25lookback_scan_determinismE0ELb0ELb0ES3_PKS7_PS7_S7_ZZZN2at6native31launch_logcumsumexp_cuda_kernelERKNSE_10TensorBaseESI_lENKUlvE_clEvENKUlvE2_clEvEUlS7_S7_E_S7_EEDaPvRmT3_T4_T5_mT6_P12ihipStream_tbENKUlT_T0_E_clISt17integral_constantIbLb0EESZ_EEDaSU_SV_EUlSU_E_NS1_11comp_targetILNS1_3genE2ELNS1_11target_archE906ELNS1_3gpuE6ELNS1_3repE0EEENS1_30default_config_static_selectorELNS0_4arch9wavefront6targetE0EEEvT1_,"axG",@progbits,_ZN7rocprim17ROCPRIM_400000_NS6detail17trampoline_kernelINS0_14default_configENS1_20scan_config_selectorIN3c107complexIfEEEEZZNS1_9scan_implILNS1_25lookback_scan_determinismE0ELb0ELb0ES3_PKS7_PS7_S7_ZZZN2at6native31launch_logcumsumexp_cuda_kernelERKNSE_10TensorBaseESI_lENKUlvE_clEvENKUlvE2_clEvEUlS7_S7_E_S7_EEDaPvRmT3_T4_T5_mT6_P12ihipStream_tbENKUlT_T0_E_clISt17integral_constantIbLb0EESZ_EEDaSU_SV_EUlSU_E_NS1_11comp_targetILNS1_3genE2ELNS1_11target_archE906ELNS1_3gpuE6ELNS1_3repE0EEENS1_30default_config_static_selectorELNS0_4arch9wavefront6targetE0EEEvT1_,comdat
.Lfunc_end267:
	.size	_ZN7rocprim17ROCPRIM_400000_NS6detail17trampoline_kernelINS0_14default_configENS1_20scan_config_selectorIN3c107complexIfEEEEZZNS1_9scan_implILNS1_25lookback_scan_determinismE0ELb0ELb0ES3_PKS7_PS7_S7_ZZZN2at6native31launch_logcumsumexp_cuda_kernelERKNSE_10TensorBaseESI_lENKUlvE_clEvENKUlvE2_clEvEUlS7_S7_E_S7_EEDaPvRmT3_T4_T5_mT6_P12ihipStream_tbENKUlT_T0_E_clISt17integral_constantIbLb0EESZ_EEDaSU_SV_EUlSU_E_NS1_11comp_targetILNS1_3genE2ELNS1_11target_archE906ELNS1_3gpuE6ELNS1_3repE0EEENS1_30default_config_static_selectorELNS0_4arch9wavefront6targetE0EEEvT1_, .Lfunc_end267-_ZN7rocprim17ROCPRIM_400000_NS6detail17trampoline_kernelINS0_14default_configENS1_20scan_config_selectorIN3c107complexIfEEEEZZNS1_9scan_implILNS1_25lookback_scan_determinismE0ELb0ELb0ES3_PKS7_PS7_S7_ZZZN2at6native31launch_logcumsumexp_cuda_kernelERKNSE_10TensorBaseESI_lENKUlvE_clEvENKUlvE2_clEvEUlS7_S7_E_S7_EEDaPvRmT3_T4_T5_mT6_P12ihipStream_tbENKUlT_T0_E_clISt17integral_constantIbLb0EESZ_EEDaSU_SV_EUlSU_E_NS1_11comp_targetILNS1_3genE2ELNS1_11target_archE906ELNS1_3gpuE6ELNS1_3repE0EEENS1_30default_config_static_selectorELNS0_4arch9wavefront6targetE0EEEvT1_
                                        ; -- End function
	.set _ZN7rocprim17ROCPRIM_400000_NS6detail17trampoline_kernelINS0_14default_configENS1_20scan_config_selectorIN3c107complexIfEEEEZZNS1_9scan_implILNS1_25lookback_scan_determinismE0ELb0ELb0ES3_PKS7_PS7_S7_ZZZN2at6native31launch_logcumsumexp_cuda_kernelERKNSE_10TensorBaseESI_lENKUlvE_clEvENKUlvE2_clEvEUlS7_S7_E_S7_EEDaPvRmT3_T4_T5_mT6_P12ihipStream_tbENKUlT_T0_E_clISt17integral_constantIbLb0EESZ_EEDaSU_SV_EUlSU_E_NS1_11comp_targetILNS1_3genE2ELNS1_11target_archE906ELNS1_3gpuE6ELNS1_3repE0EEENS1_30default_config_static_selectorELNS0_4arch9wavefront6targetE0EEEvT1_.num_vgpr, 0
	.set _ZN7rocprim17ROCPRIM_400000_NS6detail17trampoline_kernelINS0_14default_configENS1_20scan_config_selectorIN3c107complexIfEEEEZZNS1_9scan_implILNS1_25lookback_scan_determinismE0ELb0ELb0ES3_PKS7_PS7_S7_ZZZN2at6native31launch_logcumsumexp_cuda_kernelERKNSE_10TensorBaseESI_lENKUlvE_clEvENKUlvE2_clEvEUlS7_S7_E_S7_EEDaPvRmT3_T4_T5_mT6_P12ihipStream_tbENKUlT_T0_E_clISt17integral_constantIbLb0EESZ_EEDaSU_SV_EUlSU_E_NS1_11comp_targetILNS1_3genE2ELNS1_11target_archE906ELNS1_3gpuE6ELNS1_3repE0EEENS1_30default_config_static_selectorELNS0_4arch9wavefront6targetE0EEEvT1_.num_agpr, 0
	.set _ZN7rocprim17ROCPRIM_400000_NS6detail17trampoline_kernelINS0_14default_configENS1_20scan_config_selectorIN3c107complexIfEEEEZZNS1_9scan_implILNS1_25lookback_scan_determinismE0ELb0ELb0ES3_PKS7_PS7_S7_ZZZN2at6native31launch_logcumsumexp_cuda_kernelERKNSE_10TensorBaseESI_lENKUlvE_clEvENKUlvE2_clEvEUlS7_S7_E_S7_EEDaPvRmT3_T4_T5_mT6_P12ihipStream_tbENKUlT_T0_E_clISt17integral_constantIbLb0EESZ_EEDaSU_SV_EUlSU_E_NS1_11comp_targetILNS1_3genE2ELNS1_11target_archE906ELNS1_3gpuE6ELNS1_3repE0EEENS1_30default_config_static_selectorELNS0_4arch9wavefront6targetE0EEEvT1_.numbered_sgpr, 0
	.set _ZN7rocprim17ROCPRIM_400000_NS6detail17trampoline_kernelINS0_14default_configENS1_20scan_config_selectorIN3c107complexIfEEEEZZNS1_9scan_implILNS1_25lookback_scan_determinismE0ELb0ELb0ES3_PKS7_PS7_S7_ZZZN2at6native31launch_logcumsumexp_cuda_kernelERKNSE_10TensorBaseESI_lENKUlvE_clEvENKUlvE2_clEvEUlS7_S7_E_S7_EEDaPvRmT3_T4_T5_mT6_P12ihipStream_tbENKUlT_T0_E_clISt17integral_constantIbLb0EESZ_EEDaSU_SV_EUlSU_E_NS1_11comp_targetILNS1_3genE2ELNS1_11target_archE906ELNS1_3gpuE6ELNS1_3repE0EEENS1_30default_config_static_selectorELNS0_4arch9wavefront6targetE0EEEvT1_.num_named_barrier, 0
	.set _ZN7rocprim17ROCPRIM_400000_NS6detail17trampoline_kernelINS0_14default_configENS1_20scan_config_selectorIN3c107complexIfEEEEZZNS1_9scan_implILNS1_25lookback_scan_determinismE0ELb0ELb0ES3_PKS7_PS7_S7_ZZZN2at6native31launch_logcumsumexp_cuda_kernelERKNSE_10TensorBaseESI_lENKUlvE_clEvENKUlvE2_clEvEUlS7_S7_E_S7_EEDaPvRmT3_T4_T5_mT6_P12ihipStream_tbENKUlT_T0_E_clISt17integral_constantIbLb0EESZ_EEDaSU_SV_EUlSU_E_NS1_11comp_targetILNS1_3genE2ELNS1_11target_archE906ELNS1_3gpuE6ELNS1_3repE0EEENS1_30default_config_static_selectorELNS0_4arch9wavefront6targetE0EEEvT1_.private_seg_size, 0
	.set _ZN7rocprim17ROCPRIM_400000_NS6detail17trampoline_kernelINS0_14default_configENS1_20scan_config_selectorIN3c107complexIfEEEEZZNS1_9scan_implILNS1_25lookback_scan_determinismE0ELb0ELb0ES3_PKS7_PS7_S7_ZZZN2at6native31launch_logcumsumexp_cuda_kernelERKNSE_10TensorBaseESI_lENKUlvE_clEvENKUlvE2_clEvEUlS7_S7_E_S7_EEDaPvRmT3_T4_T5_mT6_P12ihipStream_tbENKUlT_T0_E_clISt17integral_constantIbLb0EESZ_EEDaSU_SV_EUlSU_E_NS1_11comp_targetILNS1_3genE2ELNS1_11target_archE906ELNS1_3gpuE6ELNS1_3repE0EEENS1_30default_config_static_selectorELNS0_4arch9wavefront6targetE0EEEvT1_.uses_vcc, 0
	.set _ZN7rocprim17ROCPRIM_400000_NS6detail17trampoline_kernelINS0_14default_configENS1_20scan_config_selectorIN3c107complexIfEEEEZZNS1_9scan_implILNS1_25lookback_scan_determinismE0ELb0ELb0ES3_PKS7_PS7_S7_ZZZN2at6native31launch_logcumsumexp_cuda_kernelERKNSE_10TensorBaseESI_lENKUlvE_clEvENKUlvE2_clEvEUlS7_S7_E_S7_EEDaPvRmT3_T4_T5_mT6_P12ihipStream_tbENKUlT_T0_E_clISt17integral_constantIbLb0EESZ_EEDaSU_SV_EUlSU_E_NS1_11comp_targetILNS1_3genE2ELNS1_11target_archE906ELNS1_3gpuE6ELNS1_3repE0EEENS1_30default_config_static_selectorELNS0_4arch9wavefront6targetE0EEEvT1_.uses_flat_scratch, 0
	.set _ZN7rocprim17ROCPRIM_400000_NS6detail17trampoline_kernelINS0_14default_configENS1_20scan_config_selectorIN3c107complexIfEEEEZZNS1_9scan_implILNS1_25lookback_scan_determinismE0ELb0ELb0ES3_PKS7_PS7_S7_ZZZN2at6native31launch_logcumsumexp_cuda_kernelERKNSE_10TensorBaseESI_lENKUlvE_clEvENKUlvE2_clEvEUlS7_S7_E_S7_EEDaPvRmT3_T4_T5_mT6_P12ihipStream_tbENKUlT_T0_E_clISt17integral_constantIbLb0EESZ_EEDaSU_SV_EUlSU_E_NS1_11comp_targetILNS1_3genE2ELNS1_11target_archE906ELNS1_3gpuE6ELNS1_3repE0EEENS1_30default_config_static_selectorELNS0_4arch9wavefront6targetE0EEEvT1_.has_dyn_sized_stack, 0
	.set _ZN7rocprim17ROCPRIM_400000_NS6detail17trampoline_kernelINS0_14default_configENS1_20scan_config_selectorIN3c107complexIfEEEEZZNS1_9scan_implILNS1_25lookback_scan_determinismE0ELb0ELb0ES3_PKS7_PS7_S7_ZZZN2at6native31launch_logcumsumexp_cuda_kernelERKNSE_10TensorBaseESI_lENKUlvE_clEvENKUlvE2_clEvEUlS7_S7_E_S7_EEDaPvRmT3_T4_T5_mT6_P12ihipStream_tbENKUlT_T0_E_clISt17integral_constantIbLb0EESZ_EEDaSU_SV_EUlSU_E_NS1_11comp_targetILNS1_3genE2ELNS1_11target_archE906ELNS1_3gpuE6ELNS1_3repE0EEENS1_30default_config_static_selectorELNS0_4arch9wavefront6targetE0EEEvT1_.has_recursion, 0
	.set _ZN7rocprim17ROCPRIM_400000_NS6detail17trampoline_kernelINS0_14default_configENS1_20scan_config_selectorIN3c107complexIfEEEEZZNS1_9scan_implILNS1_25lookback_scan_determinismE0ELb0ELb0ES3_PKS7_PS7_S7_ZZZN2at6native31launch_logcumsumexp_cuda_kernelERKNSE_10TensorBaseESI_lENKUlvE_clEvENKUlvE2_clEvEUlS7_S7_E_S7_EEDaPvRmT3_T4_T5_mT6_P12ihipStream_tbENKUlT_T0_E_clISt17integral_constantIbLb0EESZ_EEDaSU_SV_EUlSU_E_NS1_11comp_targetILNS1_3genE2ELNS1_11target_archE906ELNS1_3gpuE6ELNS1_3repE0EEENS1_30default_config_static_selectorELNS0_4arch9wavefront6targetE0EEEvT1_.has_indirect_call, 0
	.section	.AMDGPU.csdata,"",@progbits
; Kernel info:
; codeLenInByte = 0
; TotalNumSgprs: 0
; NumVgprs: 0
; ScratchSize: 0
; MemoryBound: 0
; FloatMode: 240
; IeeeMode: 1
; LDSByteSize: 0 bytes/workgroup (compile time only)
; SGPRBlocks: 0
; VGPRBlocks: 0
; NumSGPRsForWavesPerEU: 1
; NumVGPRsForWavesPerEU: 1
; Occupancy: 16
; WaveLimiterHint : 0
; COMPUTE_PGM_RSRC2:SCRATCH_EN: 0
; COMPUTE_PGM_RSRC2:USER_SGPR: 6
; COMPUTE_PGM_RSRC2:TRAP_HANDLER: 0
; COMPUTE_PGM_RSRC2:TGID_X_EN: 1
; COMPUTE_PGM_RSRC2:TGID_Y_EN: 0
; COMPUTE_PGM_RSRC2:TGID_Z_EN: 0
; COMPUTE_PGM_RSRC2:TIDIG_COMP_CNT: 0
	.section	.text._ZN7rocprim17ROCPRIM_400000_NS6detail17trampoline_kernelINS0_14default_configENS1_20scan_config_selectorIN3c107complexIfEEEEZZNS1_9scan_implILNS1_25lookback_scan_determinismE0ELb0ELb0ES3_PKS7_PS7_S7_ZZZN2at6native31launch_logcumsumexp_cuda_kernelERKNSE_10TensorBaseESI_lENKUlvE_clEvENKUlvE2_clEvEUlS7_S7_E_S7_EEDaPvRmT3_T4_T5_mT6_P12ihipStream_tbENKUlT_T0_E_clISt17integral_constantIbLb0EESZ_EEDaSU_SV_EUlSU_E_NS1_11comp_targetILNS1_3genE10ELNS1_11target_archE1201ELNS1_3gpuE5ELNS1_3repE0EEENS1_30default_config_static_selectorELNS0_4arch9wavefront6targetE0EEEvT1_,"axG",@progbits,_ZN7rocprim17ROCPRIM_400000_NS6detail17trampoline_kernelINS0_14default_configENS1_20scan_config_selectorIN3c107complexIfEEEEZZNS1_9scan_implILNS1_25lookback_scan_determinismE0ELb0ELb0ES3_PKS7_PS7_S7_ZZZN2at6native31launch_logcumsumexp_cuda_kernelERKNSE_10TensorBaseESI_lENKUlvE_clEvENKUlvE2_clEvEUlS7_S7_E_S7_EEDaPvRmT3_T4_T5_mT6_P12ihipStream_tbENKUlT_T0_E_clISt17integral_constantIbLb0EESZ_EEDaSU_SV_EUlSU_E_NS1_11comp_targetILNS1_3genE10ELNS1_11target_archE1201ELNS1_3gpuE5ELNS1_3repE0EEENS1_30default_config_static_selectorELNS0_4arch9wavefront6targetE0EEEvT1_,comdat
	.globl	_ZN7rocprim17ROCPRIM_400000_NS6detail17trampoline_kernelINS0_14default_configENS1_20scan_config_selectorIN3c107complexIfEEEEZZNS1_9scan_implILNS1_25lookback_scan_determinismE0ELb0ELb0ES3_PKS7_PS7_S7_ZZZN2at6native31launch_logcumsumexp_cuda_kernelERKNSE_10TensorBaseESI_lENKUlvE_clEvENKUlvE2_clEvEUlS7_S7_E_S7_EEDaPvRmT3_T4_T5_mT6_P12ihipStream_tbENKUlT_T0_E_clISt17integral_constantIbLb0EESZ_EEDaSU_SV_EUlSU_E_NS1_11comp_targetILNS1_3genE10ELNS1_11target_archE1201ELNS1_3gpuE5ELNS1_3repE0EEENS1_30default_config_static_selectorELNS0_4arch9wavefront6targetE0EEEvT1_ ; -- Begin function _ZN7rocprim17ROCPRIM_400000_NS6detail17trampoline_kernelINS0_14default_configENS1_20scan_config_selectorIN3c107complexIfEEEEZZNS1_9scan_implILNS1_25lookback_scan_determinismE0ELb0ELb0ES3_PKS7_PS7_S7_ZZZN2at6native31launch_logcumsumexp_cuda_kernelERKNSE_10TensorBaseESI_lENKUlvE_clEvENKUlvE2_clEvEUlS7_S7_E_S7_EEDaPvRmT3_T4_T5_mT6_P12ihipStream_tbENKUlT_T0_E_clISt17integral_constantIbLb0EESZ_EEDaSU_SV_EUlSU_E_NS1_11comp_targetILNS1_3genE10ELNS1_11target_archE1201ELNS1_3gpuE5ELNS1_3repE0EEENS1_30default_config_static_selectorELNS0_4arch9wavefront6targetE0EEEvT1_
	.p2align	8
	.type	_ZN7rocprim17ROCPRIM_400000_NS6detail17trampoline_kernelINS0_14default_configENS1_20scan_config_selectorIN3c107complexIfEEEEZZNS1_9scan_implILNS1_25lookback_scan_determinismE0ELb0ELb0ES3_PKS7_PS7_S7_ZZZN2at6native31launch_logcumsumexp_cuda_kernelERKNSE_10TensorBaseESI_lENKUlvE_clEvENKUlvE2_clEvEUlS7_S7_E_S7_EEDaPvRmT3_T4_T5_mT6_P12ihipStream_tbENKUlT_T0_E_clISt17integral_constantIbLb0EESZ_EEDaSU_SV_EUlSU_E_NS1_11comp_targetILNS1_3genE10ELNS1_11target_archE1201ELNS1_3gpuE5ELNS1_3repE0EEENS1_30default_config_static_selectorELNS0_4arch9wavefront6targetE0EEEvT1_,@function
_ZN7rocprim17ROCPRIM_400000_NS6detail17trampoline_kernelINS0_14default_configENS1_20scan_config_selectorIN3c107complexIfEEEEZZNS1_9scan_implILNS1_25lookback_scan_determinismE0ELb0ELb0ES3_PKS7_PS7_S7_ZZZN2at6native31launch_logcumsumexp_cuda_kernelERKNSE_10TensorBaseESI_lENKUlvE_clEvENKUlvE2_clEvEUlS7_S7_E_S7_EEDaPvRmT3_T4_T5_mT6_P12ihipStream_tbENKUlT_T0_E_clISt17integral_constantIbLb0EESZ_EEDaSU_SV_EUlSU_E_NS1_11comp_targetILNS1_3genE10ELNS1_11target_archE1201ELNS1_3gpuE5ELNS1_3repE0EEENS1_30default_config_static_selectorELNS0_4arch9wavefront6targetE0EEEvT1_: ; @_ZN7rocprim17ROCPRIM_400000_NS6detail17trampoline_kernelINS0_14default_configENS1_20scan_config_selectorIN3c107complexIfEEEEZZNS1_9scan_implILNS1_25lookback_scan_determinismE0ELb0ELb0ES3_PKS7_PS7_S7_ZZZN2at6native31launch_logcumsumexp_cuda_kernelERKNSE_10TensorBaseESI_lENKUlvE_clEvENKUlvE2_clEvEUlS7_S7_E_S7_EEDaPvRmT3_T4_T5_mT6_P12ihipStream_tbENKUlT_T0_E_clISt17integral_constantIbLb0EESZ_EEDaSU_SV_EUlSU_E_NS1_11comp_targetILNS1_3genE10ELNS1_11target_archE1201ELNS1_3gpuE5ELNS1_3repE0EEENS1_30default_config_static_selectorELNS0_4arch9wavefront6targetE0EEEvT1_
; %bb.0:
	.section	.rodata,"a",@progbits
	.p2align	6, 0x0
	.amdhsa_kernel _ZN7rocprim17ROCPRIM_400000_NS6detail17trampoline_kernelINS0_14default_configENS1_20scan_config_selectorIN3c107complexIfEEEEZZNS1_9scan_implILNS1_25lookback_scan_determinismE0ELb0ELb0ES3_PKS7_PS7_S7_ZZZN2at6native31launch_logcumsumexp_cuda_kernelERKNSE_10TensorBaseESI_lENKUlvE_clEvENKUlvE2_clEvEUlS7_S7_E_S7_EEDaPvRmT3_T4_T5_mT6_P12ihipStream_tbENKUlT_T0_E_clISt17integral_constantIbLb0EESZ_EEDaSU_SV_EUlSU_E_NS1_11comp_targetILNS1_3genE10ELNS1_11target_archE1201ELNS1_3gpuE5ELNS1_3repE0EEENS1_30default_config_static_selectorELNS0_4arch9wavefront6targetE0EEEvT1_
		.amdhsa_group_segment_fixed_size 0
		.amdhsa_private_segment_fixed_size 0
		.amdhsa_kernarg_size 104
		.amdhsa_user_sgpr_count 6
		.amdhsa_user_sgpr_private_segment_buffer 1
		.amdhsa_user_sgpr_dispatch_ptr 0
		.amdhsa_user_sgpr_queue_ptr 0
		.amdhsa_user_sgpr_kernarg_segment_ptr 1
		.amdhsa_user_sgpr_dispatch_id 0
		.amdhsa_user_sgpr_flat_scratch_init 0
		.amdhsa_user_sgpr_private_segment_size 0
		.amdhsa_wavefront_size32 1
		.amdhsa_uses_dynamic_stack 0
		.amdhsa_system_sgpr_private_segment_wavefront_offset 0
		.amdhsa_system_sgpr_workgroup_id_x 1
		.amdhsa_system_sgpr_workgroup_id_y 0
		.amdhsa_system_sgpr_workgroup_id_z 0
		.amdhsa_system_sgpr_workgroup_info 0
		.amdhsa_system_vgpr_workitem_id 0
		.amdhsa_next_free_vgpr 1
		.amdhsa_next_free_sgpr 1
		.amdhsa_reserve_vcc 0
		.amdhsa_reserve_flat_scratch 0
		.amdhsa_float_round_mode_32 0
		.amdhsa_float_round_mode_16_64 0
		.amdhsa_float_denorm_mode_32 3
		.amdhsa_float_denorm_mode_16_64 3
		.amdhsa_dx10_clamp 1
		.amdhsa_ieee_mode 1
		.amdhsa_fp16_overflow 0
		.amdhsa_workgroup_processor_mode 1
		.amdhsa_memory_ordered 1
		.amdhsa_forward_progress 1
		.amdhsa_shared_vgpr_count 0
		.amdhsa_exception_fp_ieee_invalid_op 0
		.amdhsa_exception_fp_denorm_src 0
		.amdhsa_exception_fp_ieee_div_zero 0
		.amdhsa_exception_fp_ieee_overflow 0
		.amdhsa_exception_fp_ieee_underflow 0
		.amdhsa_exception_fp_ieee_inexact 0
		.amdhsa_exception_int_div_zero 0
	.end_amdhsa_kernel
	.section	.text._ZN7rocprim17ROCPRIM_400000_NS6detail17trampoline_kernelINS0_14default_configENS1_20scan_config_selectorIN3c107complexIfEEEEZZNS1_9scan_implILNS1_25lookback_scan_determinismE0ELb0ELb0ES3_PKS7_PS7_S7_ZZZN2at6native31launch_logcumsumexp_cuda_kernelERKNSE_10TensorBaseESI_lENKUlvE_clEvENKUlvE2_clEvEUlS7_S7_E_S7_EEDaPvRmT3_T4_T5_mT6_P12ihipStream_tbENKUlT_T0_E_clISt17integral_constantIbLb0EESZ_EEDaSU_SV_EUlSU_E_NS1_11comp_targetILNS1_3genE10ELNS1_11target_archE1201ELNS1_3gpuE5ELNS1_3repE0EEENS1_30default_config_static_selectorELNS0_4arch9wavefront6targetE0EEEvT1_,"axG",@progbits,_ZN7rocprim17ROCPRIM_400000_NS6detail17trampoline_kernelINS0_14default_configENS1_20scan_config_selectorIN3c107complexIfEEEEZZNS1_9scan_implILNS1_25lookback_scan_determinismE0ELb0ELb0ES3_PKS7_PS7_S7_ZZZN2at6native31launch_logcumsumexp_cuda_kernelERKNSE_10TensorBaseESI_lENKUlvE_clEvENKUlvE2_clEvEUlS7_S7_E_S7_EEDaPvRmT3_T4_T5_mT6_P12ihipStream_tbENKUlT_T0_E_clISt17integral_constantIbLb0EESZ_EEDaSU_SV_EUlSU_E_NS1_11comp_targetILNS1_3genE10ELNS1_11target_archE1201ELNS1_3gpuE5ELNS1_3repE0EEENS1_30default_config_static_selectorELNS0_4arch9wavefront6targetE0EEEvT1_,comdat
.Lfunc_end268:
	.size	_ZN7rocprim17ROCPRIM_400000_NS6detail17trampoline_kernelINS0_14default_configENS1_20scan_config_selectorIN3c107complexIfEEEEZZNS1_9scan_implILNS1_25lookback_scan_determinismE0ELb0ELb0ES3_PKS7_PS7_S7_ZZZN2at6native31launch_logcumsumexp_cuda_kernelERKNSE_10TensorBaseESI_lENKUlvE_clEvENKUlvE2_clEvEUlS7_S7_E_S7_EEDaPvRmT3_T4_T5_mT6_P12ihipStream_tbENKUlT_T0_E_clISt17integral_constantIbLb0EESZ_EEDaSU_SV_EUlSU_E_NS1_11comp_targetILNS1_3genE10ELNS1_11target_archE1201ELNS1_3gpuE5ELNS1_3repE0EEENS1_30default_config_static_selectorELNS0_4arch9wavefront6targetE0EEEvT1_, .Lfunc_end268-_ZN7rocprim17ROCPRIM_400000_NS6detail17trampoline_kernelINS0_14default_configENS1_20scan_config_selectorIN3c107complexIfEEEEZZNS1_9scan_implILNS1_25lookback_scan_determinismE0ELb0ELb0ES3_PKS7_PS7_S7_ZZZN2at6native31launch_logcumsumexp_cuda_kernelERKNSE_10TensorBaseESI_lENKUlvE_clEvENKUlvE2_clEvEUlS7_S7_E_S7_EEDaPvRmT3_T4_T5_mT6_P12ihipStream_tbENKUlT_T0_E_clISt17integral_constantIbLb0EESZ_EEDaSU_SV_EUlSU_E_NS1_11comp_targetILNS1_3genE10ELNS1_11target_archE1201ELNS1_3gpuE5ELNS1_3repE0EEENS1_30default_config_static_selectorELNS0_4arch9wavefront6targetE0EEEvT1_
                                        ; -- End function
	.set _ZN7rocprim17ROCPRIM_400000_NS6detail17trampoline_kernelINS0_14default_configENS1_20scan_config_selectorIN3c107complexIfEEEEZZNS1_9scan_implILNS1_25lookback_scan_determinismE0ELb0ELb0ES3_PKS7_PS7_S7_ZZZN2at6native31launch_logcumsumexp_cuda_kernelERKNSE_10TensorBaseESI_lENKUlvE_clEvENKUlvE2_clEvEUlS7_S7_E_S7_EEDaPvRmT3_T4_T5_mT6_P12ihipStream_tbENKUlT_T0_E_clISt17integral_constantIbLb0EESZ_EEDaSU_SV_EUlSU_E_NS1_11comp_targetILNS1_3genE10ELNS1_11target_archE1201ELNS1_3gpuE5ELNS1_3repE0EEENS1_30default_config_static_selectorELNS0_4arch9wavefront6targetE0EEEvT1_.num_vgpr, 0
	.set _ZN7rocprim17ROCPRIM_400000_NS6detail17trampoline_kernelINS0_14default_configENS1_20scan_config_selectorIN3c107complexIfEEEEZZNS1_9scan_implILNS1_25lookback_scan_determinismE0ELb0ELb0ES3_PKS7_PS7_S7_ZZZN2at6native31launch_logcumsumexp_cuda_kernelERKNSE_10TensorBaseESI_lENKUlvE_clEvENKUlvE2_clEvEUlS7_S7_E_S7_EEDaPvRmT3_T4_T5_mT6_P12ihipStream_tbENKUlT_T0_E_clISt17integral_constantIbLb0EESZ_EEDaSU_SV_EUlSU_E_NS1_11comp_targetILNS1_3genE10ELNS1_11target_archE1201ELNS1_3gpuE5ELNS1_3repE0EEENS1_30default_config_static_selectorELNS0_4arch9wavefront6targetE0EEEvT1_.num_agpr, 0
	.set _ZN7rocprim17ROCPRIM_400000_NS6detail17trampoline_kernelINS0_14default_configENS1_20scan_config_selectorIN3c107complexIfEEEEZZNS1_9scan_implILNS1_25lookback_scan_determinismE0ELb0ELb0ES3_PKS7_PS7_S7_ZZZN2at6native31launch_logcumsumexp_cuda_kernelERKNSE_10TensorBaseESI_lENKUlvE_clEvENKUlvE2_clEvEUlS7_S7_E_S7_EEDaPvRmT3_T4_T5_mT6_P12ihipStream_tbENKUlT_T0_E_clISt17integral_constantIbLb0EESZ_EEDaSU_SV_EUlSU_E_NS1_11comp_targetILNS1_3genE10ELNS1_11target_archE1201ELNS1_3gpuE5ELNS1_3repE0EEENS1_30default_config_static_selectorELNS0_4arch9wavefront6targetE0EEEvT1_.numbered_sgpr, 0
	.set _ZN7rocprim17ROCPRIM_400000_NS6detail17trampoline_kernelINS0_14default_configENS1_20scan_config_selectorIN3c107complexIfEEEEZZNS1_9scan_implILNS1_25lookback_scan_determinismE0ELb0ELb0ES3_PKS7_PS7_S7_ZZZN2at6native31launch_logcumsumexp_cuda_kernelERKNSE_10TensorBaseESI_lENKUlvE_clEvENKUlvE2_clEvEUlS7_S7_E_S7_EEDaPvRmT3_T4_T5_mT6_P12ihipStream_tbENKUlT_T0_E_clISt17integral_constantIbLb0EESZ_EEDaSU_SV_EUlSU_E_NS1_11comp_targetILNS1_3genE10ELNS1_11target_archE1201ELNS1_3gpuE5ELNS1_3repE0EEENS1_30default_config_static_selectorELNS0_4arch9wavefront6targetE0EEEvT1_.num_named_barrier, 0
	.set _ZN7rocprim17ROCPRIM_400000_NS6detail17trampoline_kernelINS0_14default_configENS1_20scan_config_selectorIN3c107complexIfEEEEZZNS1_9scan_implILNS1_25lookback_scan_determinismE0ELb0ELb0ES3_PKS7_PS7_S7_ZZZN2at6native31launch_logcumsumexp_cuda_kernelERKNSE_10TensorBaseESI_lENKUlvE_clEvENKUlvE2_clEvEUlS7_S7_E_S7_EEDaPvRmT3_T4_T5_mT6_P12ihipStream_tbENKUlT_T0_E_clISt17integral_constantIbLb0EESZ_EEDaSU_SV_EUlSU_E_NS1_11comp_targetILNS1_3genE10ELNS1_11target_archE1201ELNS1_3gpuE5ELNS1_3repE0EEENS1_30default_config_static_selectorELNS0_4arch9wavefront6targetE0EEEvT1_.private_seg_size, 0
	.set _ZN7rocprim17ROCPRIM_400000_NS6detail17trampoline_kernelINS0_14default_configENS1_20scan_config_selectorIN3c107complexIfEEEEZZNS1_9scan_implILNS1_25lookback_scan_determinismE0ELb0ELb0ES3_PKS7_PS7_S7_ZZZN2at6native31launch_logcumsumexp_cuda_kernelERKNSE_10TensorBaseESI_lENKUlvE_clEvENKUlvE2_clEvEUlS7_S7_E_S7_EEDaPvRmT3_T4_T5_mT6_P12ihipStream_tbENKUlT_T0_E_clISt17integral_constantIbLb0EESZ_EEDaSU_SV_EUlSU_E_NS1_11comp_targetILNS1_3genE10ELNS1_11target_archE1201ELNS1_3gpuE5ELNS1_3repE0EEENS1_30default_config_static_selectorELNS0_4arch9wavefront6targetE0EEEvT1_.uses_vcc, 0
	.set _ZN7rocprim17ROCPRIM_400000_NS6detail17trampoline_kernelINS0_14default_configENS1_20scan_config_selectorIN3c107complexIfEEEEZZNS1_9scan_implILNS1_25lookback_scan_determinismE0ELb0ELb0ES3_PKS7_PS7_S7_ZZZN2at6native31launch_logcumsumexp_cuda_kernelERKNSE_10TensorBaseESI_lENKUlvE_clEvENKUlvE2_clEvEUlS7_S7_E_S7_EEDaPvRmT3_T4_T5_mT6_P12ihipStream_tbENKUlT_T0_E_clISt17integral_constantIbLb0EESZ_EEDaSU_SV_EUlSU_E_NS1_11comp_targetILNS1_3genE10ELNS1_11target_archE1201ELNS1_3gpuE5ELNS1_3repE0EEENS1_30default_config_static_selectorELNS0_4arch9wavefront6targetE0EEEvT1_.uses_flat_scratch, 0
	.set _ZN7rocprim17ROCPRIM_400000_NS6detail17trampoline_kernelINS0_14default_configENS1_20scan_config_selectorIN3c107complexIfEEEEZZNS1_9scan_implILNS1_25lookback_scan_determinismE0ELb0ELb0ES3_PKS7_PS7_S7_ZZZN2at6native31launch_logcumsumexp_cuda_kernelERKNSE_10TensorBaseESI_lENKUlvE_clEvENKUlvE2_clEvEUlS7_S7_E_S7_EEDaPvRmT3_T4_T5_mT6_P12ihipStream_tbENKUlT_T0_E_clISt17integral_constantIbLb0EESZ_EEDaSU_SV_EUlSU_E_NS1_11comp_targetILNS1_3genE10ELNS1_11target_archE1201ELNS1_3gpuE5ELNS1_3repE0EEENS1_30default_config_static_selectorELNS0_4arch9wavefront6targetE0EEEvT1_.has_dyn_sized_stack, 0
	.set _ZN7rocprim17ROCPRIM_400000_NS6detail17trampoline_kernelINS0_14default_configENS1_20scan_config_selectorIN3c107complexIfEEEEZZNS1_9scan_implILNS1_25lookback_scan_determinismE0ELb0ELb0ES3_PKS7_PS7_S7_ZZZN2at6native31launch_logcumsumexp_cuda_kernelERKNSE_10TensorBaseESI_lENKUlvE_clEvENKUlvE2_clEvEUlS7_S7_E_S7_EEDaPvRmT3_T4_T5_mT6_P12ihipStream_tbENKUlT_T0_E_clISt17integral_constantIbLb0EESZ_EEDaSU_SV_EUlSU_E_NS1_11comp_targetILNS1_3genE10ELNS1_11target_archE1201ELNS1_3gpuE5ELNS1_3repE0EEENS1_30default_config_static_selectorELNS0_4arch9wavefront6targetE0EEEvT1_.has_recursion, 0
	.set _ZN7rocprim17ROCPRIM_400000_NS6detail17trampoline_kernelINS0_14default_configENS1_20scan_config_selectorIN3c107complexIfEEEEZZNS1_9scan_implILNS1_25lookback_scan_determinismE0ELb0ELb0ES3_PKS7_PS7_S7_ZZZN2at6native31launch_logcumsumexp_cuda_kernelERKNSE_10TensorBaseESI_lENKUlvE_clEvENKUlvE2_clEvEUlS7_S7_E_S7_EEDaPvRmT3_T4_T5_mT6_P12ihipStream_tbENKUlT_T0_E_clISt17integral_constantIbLb0EESZ_EEDaSU_SV_EUlSU_E_NS1_11comp_targetILNS1_3genE10ELNS1_11target_archE1201ELNS1_3gpuE5ELNS1_3repE0EEENS1_30default_config_static_selectorELNS0_4arch9wavefront6targetE0EEEvT1_.has_indirect_call, 0
	.section	.AMDGPU.csdata,"",@progbits
; Kernel info:
; codeLenInByte = 0
; TotalNumSgprs: 0
; NumVgprs: 0
; ScratchSize: 0
; MemoryBound: 0
; FloatMode: 240
; IeeeMode: 1
; LDSByteSize: 0 bytes/workgroup (compile time only)
; SGPRBlocks: 0
; VGPRBlocks: 0
; NumSGPRsForWavesPerEU: 1
; NumVGPRsForWavesPerEU: 1
; Occupancy: 16
; WaveLimiterHint : 0
; COMPUTE_PGM_RSRC2:SCRATCH_EN: 0
; COMPUTE_PGM_RSRC2:USER_SGPR: 6
; COMPUTE_PGM_RSRC2:TRAP_HANDLER: 0
; COMPUTE_PGM_RSRC2:TGID_X_EN: 1
; COMPUTE_PGM_RSRC2:TGID_Y_EN: 0
; COMPUTE_PGM_RSRC2:TGID_Z_EN: 0
; COMPUTE_PGM_RSRC2:TIDIG_COMP_CNT: 0
	.section	.text._ZN7rocprim17ROCPRIM_400000_NS6detail17trampoline_kernelINS0_14default_configENS1_20scan_config_selectorIN3c107complexIfEEEEZZNS1_9scan_implILNS1_25lookback_scan_determinismE0ELb0ELb0ES3_PKS7_PS7_S7_ZZZN2at6native31launch_logcumsumexp_cuda_kernelERKNSE_10TensorBaseESI_lENKUlvE_clEvENKUlvE2_clEvEUlS7_S7_E_S7_EEDaPvRmT3_T4_T5_mT6_P12ihipStream_tbENKUlT_T0_E_clISt17integral_constantIbLb0EESZ_EEDaSU_SV_EUlSU_E_NS1_11comp_targetILNS1_3genE10ELNS1_11target_archE1200ELNS1_3gpuE4ELNS1_3repE0EEENS1_30default_config_static_selectorELNS0_4arch9wavefront6targetE0EEEvT1_,"axG",@progbits,_ZN7rocprim17ROCPRIM_400000_NS6detail17trampoline_kernelINS0_14default_configENS1_20scan_config_selectorIN3c107complexIfEEEEZZNS1_9scan_implILNS1_25lookback_scan_determinismE0ELb0ELb0ES3_PKS7_PS7_S7_ZZZN2at6native31launch_logcumsumexp_cuda_kernelERKNSE_10TensorBaseESI_lENKUlvE_clEvENKUlvE2_clEvEUlS7_S7_E_S7_EEDaPvRmT3_T4_T5_mT6_P12ihipStream_tbENKUlT_T0_E_clISt17integral_constantIbLb0EESZ_EEDaSU_SV_EUlSU_E_NS1_11comp_targetILNS1_3genE10ELNS1_11target_archE1200ELNS1_3gpuE4ELNS1_3repE0EEENS1_30default_config_static_selectorELNS0_4arch9wavefront6targetE0EEEvT1_,comdat
	.globl	_ZN7rocprim17ROCPRIM_400000_NS6detail17trampoline_kernelINS0_14default_configENS1_20scan_config_selectorIN3c107complexIfEEEEZZNS1_9scan_implILNS1_25lookback_scan_determinismE0ELb0ELb0ES3_PKS7_PS7_S7_ZZZN2at6native31launch_logcumsumexp_cuda_kernelERKNSE_10TensorBaseESI_lENKUlvE_clEvENKUlvE2_clEvEUlS7_S7_E_S7_EEDaPvRmT3_T4_T5_mT6_P12ihipStream_tbENKUlT_T0_E_clISt17integral_constantIbLb0EESZ_EEDaSU_SV_EUlSU_E_NS1_11comp_targetILNS1_3genE10ELNS1_11target_archE1200ELNS1_3gpuE4ELNS1_3repE0EEENS1_30default_config_static_selectorELNS0_4arch9wavefront6targetE0EEEvT1_ ; -- Begin function _ZN7rocprim17ROCPRIM_400000_NS6detail17trampoline_kernelINS0_14default_configENS1_20scan_config_selectorIN3c107complexIfEEEEZZNS1_9scan_implILNS1_25lookback_scan_determinismE0ELb0ELb0ES3_PKS7_PS7_S7_ZZZN2at6native31launch_logcumsumexp_cuda_kernelERKNSE_10TensorBaseESI_lENKUlvE_clEvENKUlvE2_clEvEUlS7_S7_E_S7_EEDaPvRmT3_T4_T5_mT6_P12ihipStream_tbENKUlT_T0_E_clISt17integral_constantIbLb0EESZ_EEDaSU_SV_EUlSU_E_NS1_11comp_targetILNS1_3genE10ELNS1_11target_archE1200ELNS1_3gpuE4ELNS1_3repE0EEENS1_30default_config_static_selectorELNS0_4arch9wavefront6targetE0EEEvT1_
	.p2align	8
	.type	_ZN7rocprim17ROCPRIM_400000_NS6detail17trampoline_kernelINS0_14default_configENS1_20scan_config_selectorIN3c107complexIfEEEEZZNS1_9scan_implILNS1_25lookback_scan_determinismE0ELb0ELb0ES3_PKS7_PS7_S7_ZZZN2at6native31launch_logcumsumexp_cuda_kernelERKNSE_10TensorBaseESI_lENKUlvE_clEvENKUlvE2_clEvEUlS7_S7_E_S7_EEDaPvRmT3_T4_T5_mT6_P12ihipStream_tbENKUlT_T0_E_clISt17integral_constantIbLb0EESZ_EEDaSU_SV_EUlSU_E_NS1_11comp_targetILNS1_3genE10ELNS1_11target_archE1200ELNS1_3gpuE4ELNS1_3repE0EEENS1_30default_config_static_selectorELNS0_4arch9wavefront6targetE0EEEvT1_,@function
_ZN7rocprim17ROCPRIM_400000_NS6detail17trampoline_kernelINS0_14default_configENS1_20scan_config_selectorIN3c107complexIfEEEEZZNS1_9scan_implILNS1_25lookback_scan_determinismE0ELb0ELb0ES3_PKS7_PS7_S7_ZZZN2at6native31launch_logcumsumexp_cuda_kernelERKNSE_10TensorBaseESI_lENKUlvE_clEvENKUlvE2_clEvEUlS7_S7_E_S7_EEDaPvRmT3_T4_T5_mT6_P12ihipStream_tbENKUlT_T0_E_clISt17integral_constantIbLb0EESZ_EEDaSU_SV_EUlSU_E_NS1_11comp_targetILNS1_3genE10ELNS1_11target_archE1200ELNS1_3gpuE4ELNS1_3repE0EEENS1_30default_config_static_selectorELNS0_4arch9wavefront6targetE0EEEvT1_: ; @_ZN7rocprim17ROCPRIM_400000_NS6detail17trampoline_kernelINS0_14default_configENS1_20scan_config_selectorIN3c107complexIfEEEEZZNS1_9scan_implILNS1_25lookback_scan_determinismE0ELb0ELb0ES3_PKS7_PS7_S7_ZZZN2at6native31launch_logcumsumexp_cuda_kernelERKNSE_10TensorBaseESI_lENKUlvE_clEvENKUlvE2_clEvEUlS7_S7_E_S7_EEDaPvRmT3_T4_T5_mT6_P12ihipStream_tbENKUlT_T0_E_clISt17integral_constantIbLb0EESZ_EEDaSU_SV_EUlSU_E_NS1_11comp_targetILNS1_3genE10ELNS1_11target_archE1200ELNS1_3gpuE4ELNS1_3repE0EEENS1_30default_config_static_selectorELNS0_4arch9wavefront6targetE0EEEvT1_
; %bb.0:
	.section	.rodata,"a",@progbits
	.p2align	6, 0x0
	.amdhsa_kernel _ZN7rocprim17ROCPRIM_400000_NS6detail17trampoline_kernelINS0_14default_configENS1_20scan_config_selectorIN3c107complexIfEEEEZZNS1_9scan_implILNS1_25lookback_scan_determinismE0ELb0ELb0ES3_PKS7_PS7_S7_ZZZN2at6native31launch_logcumsumexp_cuda_kernelERKNSE_10TensorBaseESI_lENKUlvE_clEvENKUlvE2_clEvEUlS7_S7_E_S7_EEDaPvRmT3_T4_T5_mT6_P12ihipStream_tbENKUlT_T0_E_clISt17integral_constantIbLb0EESZ_EEDaSU_SV_EUlSU_E_NS1_11comp_targetILNS1_3genE10ELNS1_11target_archE1200ELNS1_3gpuE4ELNS1_3repE0EEENS1_30default_config_static_selectorELNS0_4arch9wavefront6targetE0EEEvT1_
		.amdhsa_group_segment_fixed_size 0
		.amdhsa_private_segment_fixed_size 0
		.amdhsa_kernarg_size 104
		.amdhsa_user_sgpr_count 6
		.amdhsa_user_sgpr_private_segment_buffer 1
		.amdhsa_user_sgpr_dispatch_ptr 0
		.amdhsa_user_sgpr_queue_ptr 0
		.amdhsa_user_sgpr_kernarg_segment_ptr 1
		.amdhsa_user_sgpr_dispatch_id 0
		.amdhsa_user_sgpr_flat_scratch_init 0
		.amdhsa_user_sgpr_private_segment_size 0
		.amdhsa_wavefront_size32 1
		.amdhsa_uses_dynamic_stack 0
		.amdhsa_system_sgpr_private_segment_wavefront_offset 0
		.amdhsa_system_sgpr_workgroup_id_x 1
		.amdhsa_system_sgpr_workgroup_id_y 0
		.amdhsa_system_sgpr_workgroup_id_z 0
		.amdhsa_system_sgpr_workgroup_info 0
		.amdhsa_system_vgpr_workitem_id 0
		.amdhsa_next_free_vgpr 1
		.amdhsa_next_free_sgpr 1
		.amdhsa_reserve_vcc 0
		.amdhsa_reserve_flat_scratch 0
		.amdhsa_float_round_mode_32 0
		.amdhsa_float_round_mode_16_64 0
		.amdhsa_float_denorm_mode_32 3
		.amdhsa_float_denorm_mode_16_64 3
		.amdhsa_dx10_clamp 1
		.amdhsa_ieee_mode 1
		.amdhsa_fp16_overflow 0
		.amdhsa_workgroup_processor_mode 1
		.amdhsa_memory_ordered 1
		.amdhsa_forward_progress 1
		.amdhsa_shared_vgpr_count 0
		.amdhsa_exception_fp_ieee_invalid_op 0
		.amdhsa_exception_fp_denorm_src 0
		.amdhsa_exception_fp_ieee_div_zero 0
		.amdhsa_exception_fp_ieee_overflow 0
		.amdhsa_exception_fp_ieee_underflow 0
		.amdhsa_exception_fp_ieee_inexact 0
		.amdhsa_exception_int_div_zero 0
	.end_amdhsa_kernel
	.section	.text._ZN7rocprim17ROCPRIM_400000_NS6detail17trampoline_kernelINS0_14default_configENS1_20scan_config_selectorIN3c107complexIfEEEEZZNS1_9scan_implILNS1_25lookback_scan_determinismE0ELb0ELb0ES3_PKS7_PS7_S7_ZZZN2at6native31launch_logcumsumexp_cuda_kernelERKNSE_10TensorBaseESI_lENKUlvE_clEvENKUlvE2_clEvEUlS7_S7_E_S7_EEDaPvRmT3_T4_T5_mT6_P12ihipStream_tbENKUlT_T0_E_clISt17integral_constantIbLb0EESZ_EEDaSU_SV_EUlSU_E_NS1_11comp_targetILNS1_3genE10ELNS1_11target_archE1200ELNS1_3gpuE4ELNS1_3repE0EEENS1_30default_config_static_selectorELNS0_4arch9wavefront6targetE0EEEvT1_,"axG",@progbits,_ZN7rocprim17ROCPRIM_400000_NS6detail17trampoline_kernelINS0_14default_configENS1_20scan_config_selectorIN3c107complexIfEEEEZZNS1_9scan_implILNS1_25lookback_scan_determinismE0ELb0ELb0ES3_PKS7_PS7_S7_ZZZN2at6native31launch_logcumsumexp_cuda_kernelERKNSE_10TensorBaseESI_lENKUlvE_clEvENKUlvE2_clEvEUlS7_S7_E_S7_EEDaPvRmT3_T4_T5_mT6_P12ihipStream_tbENKUlT_T0_E_clISt17integral_constantIbLb0EESZ_EEDaSU_SV_EUlSU_E_NS1_11comp_targetILNS1_3genE10ELNS1_11target_archE1200ELNS1_3gpuE4ELNS1_3repE0EEENS1_30default_config_static_selectorELNS0_4arch9wavefront6targetE0EEEvT1_,comdat
.Lfunc_end269:
	.size	_ZN7rocprim17ROCPRIM_400000_NS6detail17trampoline_kernelINS0_14default_configENS1_20scan_config_selectorIN3c107complexIfEEEEZZNS1_9scan_implILNS1_25lookback_scan_determinismE0ELb0ELb0ES3_PKS7_PS7_S7_ZZZN2at6native31launch_logcumsumexp_cuda_kernelERKNSE_10TensorBaseESI_lENKUlvE_clEvENKUlvE2_clEvEUlS7_S7_E_S7_EEDaPvRmT3_T4_T5_mT6_P12ihipStream_tbENKUlT_T0_E_clISt17integral_constantIbLb0EESZ_EEDaSU_SV_EUlSU_E_NS1_11comp_targetILNS1_3genE10ELNS1_11target_archE1200ELNS1_3gpuE4ELNS1_3repE0EEENS1_30default_config_static_selectorELNS0_4arch9wavefront6targetE0EEEvT1_, .Lfunc_end269-_ZN7rocprim17ROCPRIM_400000_NS6detail17trampoline_kernelINS0_14default_configENS1_20scan_config_selectorIN3c107complexIfEEEEZZNS1_9scan_implILNS1_25lookback_scan_determinismE0ELb0ELb0ES3_PKS7_PS7_S7_ZZZN2at6native31launch_logcumsumexp_cuda_kernelERKNSE_10TensorBaseESI_lENKUlvE_clEvENKUlvE2_clEvEUlS7_S7_E_S7_EEDaPvRmT3_T4_T5_mT6_P12ihipStream_tbENKUlT_T0_E_clISt17integral_constantIbLb0EESZ_EEDaSU_SV_EUlSU_E_NS1_11comp_targetILNS1_3genE10ELNS1_11target_archE1200ELNS1_3gpuE4ELNS1_3repE0EEENS1_30default_config_static_selectorELNS0_4arch9wavefront6targetE0EEEvT1_
                                        ; -- End function
	.set _ZN7rocprim17ROCPRIM_400000_NS6detail17trampoline_kernelINS0_14default_configENS1_20scan_config_selectorIN3c107complexIfEEEEZZNS1_9scan_implILNS1_25lookback_scan_determinismE0ELb0ELb0ES3_PKS7_PS7_S7_ZZZN2at6native31launch_logcumsumexp_cuda_kernelERKNSE_10TensorBaseESI_lENKUlvE_clEvENKUlvE2_clEvEUlS7_S7_E_S7_EEDaPvRmT3_T4_T5_mT6_P12ihipStream_tbENKUlT_T0_E_clISt17integral_constantIbLb0EESZ_EEDaSU_SV_EUlSU_E_NS1_11comp_targetILNS1_3genE10ELNS1_11target_archE1200ELNS1_3gpuE4ELNS1_3repE0EEENS1_30default_config_static_selectorELNS0_4arch9wavefront6targetE0EEEvT1_.num_vgpr, 0
	.set _ZN7rocprim17ROCPRIM_400000_NS6detail17trampoline_kernelINS0_14default_configENS1_20scan_config_selectorIN3c107complexIfEEEEZZNS1_9scan_implILNS1_25lookback_scan_determinismE0ELb0ELb0ES3_PKS7_PS7_S7_ZZZN2at6native31launch_logcumsumexp_cuda_kernelERKNSE_10TensorBaseESI_lENKUlvE_clEvENKUlvE2_clEvEUlS7_S7_E_S7_EEDaPvRmT3_T4_T5_mT6_P12ihipStream_tbENKUlT_T0_E_clISt17integral_constantIbLb0EESZ_EEDaSU_SV_EUlSU_E_NS1_11comp_targetILNS1_3genE10ELNS1_11target_archE1200ELNS1_3gpuE4ELNS1_3repE0EEENS1_30default_config_static_selectorELNS0_4arch9wavefront6targetE0EEEvT1_.num_agpr, 0
	.set _ZN7rocprim17ROCPRIM_400000_NS6detail17trampoline_kernelINS0_14default_configENS1_20scan_config_selectorIN3c107complexIfEEEEZZNS1_9scan_implILNS1_25lookback_scan_determinismE0ELb0ELb0ES3_PKS7_PS7_S7_ZZZN2at6native31launch_logcumsumexp_cuda_kernelERKNSE_10TensorBaseESI_lENKUlvE_clEvENKUlvE2_clEvEUlS7_S7_E_S7_EEDaPvRmT3_T4_T5_mT6_P12ihipStream_tbENKUlT_T0_E_clISt17integral_constantIbLb0EESZ_EEDaSU_SV_EUlSU_E_NS1_11comp_targetILNS1_3genE10ELNS1_11target_archE1200ELNS1_3gpuE4ELNS1_3repE0EEENS1_30default_config_static_selectorELNS0_4arch9wavefront6targetE0EEEvT1_.numbered_sgpr, 0
	.set _ZN7rocprim17ROCPRIM_400000_NS6detail17trampoline_kernelINS0_14default_configENS1_20scan_config_selectorIN3c107complexIfEEEEZZNS1_9scan_implILNS1_25lookback_scan_determinismE0ELb0ELb0ES3_PKS7_PS7_S7_ZZZN2at6native31launch_logcumsumexp_cuda_kernelERKNSE_10TensorBaseESI_lENKUlvE_clEvENKUlvE2_clEvEUlS7_S7_E_S7_EEDaPvRmT3_T4_T5_mT6_P12ihipStream_tbENKUlT_T0_E_clISt17integral_constantIbLb0EESZ_EEDaSU_SV_EUlSU_E_NS1_11comp_targetILNS1_3genE10ELNS1_11target_archE1200ELNS1_3gpuE4ELNS1_3repE0EEENS1_30default_config_static_selectorELNS0_4arch9wavefront6targetE0EEEvT1_.num_named_barrier, 0
	.set _ZN7rocprim17ROCPRIM_400000_NS6detail17trampoline_kernelINS0_14default_configENS1_20scan_config_selectorIN3c107complexIfEEEEZZNS1_9scan_implILNS1_25lookback_scan_determinismE0ELb0ELb0ES3_PKS7_PS7_S7_ZZZN2at6native31launch_logcumsumexp_cuda_kernelERKNSE_10TensorBaseESI_lENKUlvE_clEvENKUlvE2_clEvEUlS7_S7_E_S7_EEDaPvRmT3_T4_T5_mT6_P12ihipStream_tbENKUlT_T0_E_clISt17integral_constantIbLb0EESZ_EEDaSU_SV_EUlSU_E_NS1_11comp_targetILNS1_3genE10ELNS1_11target_archE1200ELNS1_3gpuE4ELNS1_3repE0EEENS1_30default_config_static_selectorELNS0_4arch9wavefront6targetE0EEEvT1_.private_seg_size, 0
	.set _ZN7rocprim17ROCPRIM_400000_NS6detail17trampoline_kernelINS0_14default_configENS1_20scan_config_selectorIN3c107complexIfEEEEZZNS1_9scan_implILNS1_25lookback_scan_determinismE0ELb0ELb0ES3_PKS7_PS7_S7_ZZZN2at6native31launch_logcumsumexp_cuda_kernelERKNSE_10TensorBaseESI_lENKUlvE_clEvENKUlvE2_clEvEUlS7_S7_E_S7_EEDaPvRmT3_T4_T5_mT6_P12ihipStream_tbENKUlT_T0_E_clISt17integral_constantIbLb0EESZ_EEDaSU_SV_EUlSU_E_NS1_11comp_targetILNS1_3genE10ELNS1_11target_archE1200ELNS1_3gpuE4ELNS1_3repE0EEENS1_30default_config_static_selectorELNS0_4arch9wavefront6targetE0EEEvT1_.uses_vcc, 0
	.set _ZN7rocprim17ROCPRIM_400000_NS6detail17trampoline_kernelINS0_14default_configENS1_20scan_config_selectorIN3c107complexIfEEEEZZNS1_9scan_implILNS1_25lookback_scan_determinismE0ELb0ELb0ES3_PKS7_PS7_S7_ZZZN2at6native31launch_logcumsumexp_cuda_kernelERKNSE_10TensorBaseESI_lENKUlvE_clEvENKUlvE2_clEvEUlS7_S7_E_S7_EEDaPvRmT3_T4_T5_mT6_P12ihipStream_tbENKUlT_T0_E_clISt17integral_constantIbLb0EESZ_EEDaSU_SV_EUlSU_E_NS1_11comp_targetILNS1_3genE10ELNS1_11target_archE1200ELNS1_3gpuE4ELNS1_3repE0EEENS1_30default_config_static_selectorELNS0_4arch9wavefront6targetE0EEEvT1_.uses_flat_scratch, 0
	.set _ZN7rocprim17ROCPRIM_400000_NS6detail17trampoline_kernelINS0_14default_configENS1_20scan_config_selectorIN3c107complexIfEEEEZZNS1_9scan_implILNS1_25lookback_scan_determinismE0ELb0ELb0ES3_PKS7_PS7_S7_ZZZN2at6native31launch_logcumsumexp_cuda_kernelERKNSE_10TensorBaseESI_lENKUlvE_clEvENKUlvE2_clEvEUlS7_S7_E_S7_EEDaPvRmT3_T4_T5_mT6_P12ihipStream_tbENKUlT_T0_E_clISt17integral_constantIbLb0EESZ_EEDaSU_SV_EUlSU_E_NS1_11comp_targetILNS1_3genE10ELNS1_11target_archE1200ELNS1_3gpuE4ELNS1_3repE0EEENS1_30default_config_static_selectorELNS0_4arch9wavefront6targetE0EEEvT1_.has_dyn_sized_stack, 0
	.set _ZN7rocprim17ROCPRIM_400000_NS6detail17trampoline_kernelINS0_14default_configENS1_20scan_config_selectorIN3c107complexIfEEEEZZNS1_9scan_implILNS1_25lookback_scan_determinismE0ELb0ELb0ES3_PKS7_PS7_S7_ZZZN2at6native31launch_logcumsumexp_cuda_kernelERKNSE_10TensorBaseESI_lENKUlvE_clEvENKUlvE2_clEvEUlS7_S7_E_S7_EEDaPvRmT3_T4_T5_mT6_P12ihipStream_tbENKUlT_T0_E_clISt17integral_constantIbLb0EESZ_EEDaSU_SV_EUlSU_E_NS1_11comp_targetILNS1_3genE10ELNS1_11target_archE1200ELNS1_3gpuE4ELNS1_3repE0EEENS1_30default_config_static_selectorELNS0_4arch9wavefront6targetE0EEEvT1_.has_recursion, 0
	.set _ZN7rocprim17ROCPRIM_400000_NS6detail17trampoline_kernelINS0_14default_configENS1_20scan_config_selectorIN3c107complexIfEEEEZZNS1_9scan_implILNS1_25lookback_scan_determinismE0ELb0ELb0ES3_PKS7_PS7_S7_ZZZN2at6native31launch_logcumsumexp_cuda_kernelERKNSE_10TensorBaseESI_lENKUlvE_clEvENKUlvE2_clEvEUlS7_S7_E_S7_EEDaPvRmT3_T4_T5_mT6_P12ihipStream_tbENKUlT_T0_E_clISt17integral_constantIbLb0EESZ_EEDaSU_SV_EUlSU_E_NS1_11comp_targetILNS1_3genE10ELNS1_11target_archE1200ELNS1_3gpuE4ELNS1_3repE0EEENS1_30default_config_static_selectorELNS0_4arch9wavefront6targetE0EEEvT1_.has_indirect_call, 0
	.section	.AMDGPU.csdata,"",@progbits
; Kernel info:
; codeLenInByte = 0
; TotalNumSgprs: 0
; NumVgprs: 0
; ScratchSize: 0
; MemoryBound: 0
; FloatMode: 240
; IeeeMode: 1
; LDSByteSize: 0 bytes/workgroup (compile time only)
; SGPRBlocks: 0
; VGPRBlocks: 0
; NumSGPRsForWavesPerEU: 1
; NumVGPRsForWavesPerEU: 1
; Occupancy: 16
; WaveLimiterHint : 0
; COMPUTE_PGM_RSRC2:SCRATCH_EN: 0
; COMPUTE_PGM_RSRC2:USER_SGPR: 6
; COMPUTE_PGM_RSRC2:TRAP_HANDLER: 0
; COMPUTE_PGM_RSRC2:TGID_X_EN: 1
; COMPUTE_PGM_RSRC2:TGID_Y_EN: 0
; COMPUTE_PGM_RSRC2:TGID_Z_EN: 0
; COMPUTE_PGM_RSRC2:TIDIG_COMP_CNT: 0
	.section	.text._ZN7rocprim17ROCPRIM_400000_NS6detail17trampoline_kernelINS0_14default_configENS1_20scan_config_selectorIN3c107complexIfEEEEZZNS1_9scan_implILNS1_25lookback_scan_determinismE0ELb0ELb0ES3_PKS7_PS7_S7_ZZZN2at6native31launch_logcumsumexp_cuda_kernelERKNSE_10TensorBaseESI_lENKUlvE_clEvENKUlvE2_clEvEUlS7_S7_E_S7_EEDaPvRmT3_T4_T5_mT6_P12ihipStream_tbENKUlT_T0_E_clISt17integral_constantIbLb0EESZ_EEDaSU_SV_EUlSU_E_NS1_11comp_targetILNS1_3genE9ELNS1_11target_archE1100ELNS1_3gpuE3ELNS1_3repE0EEENS1_30default_config_static_selectorELNS0_4arch9wavefront6targetE0EEEvT1_,"axG",@progbits,_ZN7rocprim17ROCPRIM_400000_NS6detail17trampoline_kernelINS0_14default_configENS1_20scan_config_selectorIN3c107complexIfEEEEZZNS1_9scan_implILNS1_25lookback_scan_determinismE0ELb0ELb0ES3_PKS7_PS7_S7_ZZZN2at6native31launch_logcumsumexp_cuda_kernelERKNSE_10TensorBaseESI_lENKUlvE_clEvENKUlvE2_clEvEUlS7_S7_E_S7_EEDaPvRmT3_T4_T5_mT6_P12ihipStream_tbENKUlT_T0_E_clISt17integral_constantIbLb0EESZ_EEDaSU_SV_EUlSU_E_NS1_11comp_targetILNS1_3genE9ELNS1_11target_archE1100ELNS1_3gpuE3ELNS1_3repE0EEENS1_30default_config_static_selectorELNS0_4arch9wavefront6targetE0EEEvT1_,comdat
	.globl	_ZN7rocprim17ROCPRIM_400000_NS6detail17trampoline_kernelINS0_14default_configENS1_20scan_config_selectorIN3c107complexIfEEEEZZNS1_9scan_implILNS1_25lookback_scan_determinismE0ELb0ELb0ES3_PKS7_PS7_S7_ZZZN2at6native31launch_logcumsumexp_cuda_kernelERKNSE_10TensorBaseESI_lENKUlvE_clEvENKUlvE2_clEvEUlS7_S7_E_S7_EEDaPvRmT3_T4_T5_mT6_P12ihipStream_tbENKUlT_T0_E_clISt17integral_constantIbLb0EESZ_EEDaSU_SV_EUlSU_E_NS1_11comp_targetILNS1_3genE9ELNS1_11target_archE1100ELNS1_3gpuE3ELNS1_3repE0EEENS1_30default_config_static_selectorELNS0_4arch9wavefront6targetE0EEEvT1_ ; -- Begin function _ZN7rocprim17ROCPRIM_400000_NS6detail17trampoline_kernelINS0_14default_configENS1_20scan_config_selectorIN3c107complexIfEEEEZZNS1_9scan_implILNS1_25lookback_scan_determinismE0ELb0ELb0ES3_PKS7_PS7_S7_ZZZN2at6native31launch_logcumsumexp_cuda_kernelERKNSE_10TensorBaseESI_lENKUlvE_clEvENKUlvE2_clEvEUlS7_S7_E_S7_EEDaPvRmT3_T4_T5_mT6_P12ihipStream_tbENKUlT_T0_E_clISt17integral_constantIbLb0EESZ_EEDaSU_SV_EUlSU_E_NS1_11comp_targetILNS1_3genE9ELNS1_11target_archE1100ELNS1_3gpuE3ELNS1_3repE0EEENS1_30default_config_static_selectorELNS0_4arch9wavefront6targetE0EEEvT1_
	.p2align	8
	.type	_ZN7rocprim17ROCPRIM_400000_NS6detail17trampoline_kernelINS0_14default_configENS1_20scan_config_selectorIN3c107complexIfEEEEZZNS1_9scan_implILNS1_25lookback_scan_determinismE0ELb0ELb0ES3_PKS7_PS7_S7_ZZZN2at6native31launch_logcumsumexp_cuda_kernelERKNSE_10TensorBaseESI_lENKUlvE_clEvENKUlvE2_clEvEUlS7_S7_E_S7_EEDaPvRmT3_T4_T5_mT6_P12ihipStream_tbENKUlT_T0_E_clISt17integral_constantIbLb0EESZ_EEDaSU_SV_EUlSU_E_NS1_11comp_targetILNS1_3genE9ELNS1_11target_archE1100ELNS1_3gpuE3ELNS1_3repE0EEENS1_30default_config_static_selectorELNS0_4arch9wavefront6targetE0EEEvT1_,@function
_ZN7rocprim17ROCPRIM_400000_NS6detail17trampoline_kernelINS0_14default_configENS1_20scan_config_selectorIN3c107complexIfEEEEZZNS1_9scan_implILNS1_25lookback_scan_determinismE0ELb0ELb0ES3_PKS7_PS7_S7_ZZZN2at6native31launch_logcumsumexp_cuda_kernelERKNSE_10TensorBaseESI_lENKUlvE_clEvENKUlvE2_clEvEUlS7_S7_E_S7_EEDaPvRmT3_T4_T5_mT6_P12ihipStream_tbENKUlT_T0_E_clISt17integral_constantIbLb0EESZ_EEDaSU_SV_EUlSU_E_NS1_11comp_targetILNS1_3genE9ELNS1_11target_archE1100ELNS1_3gpuE3ELNS1_3repE0EEENS1_30default_config_static_selectorELNS0_4arch9wavefront6targetE0EEEvT1_: ; @_ZN7rocprim17ROCPRIM_400000_NS6detail17trampoline_kernelINS0_14default_configENS1_20scan_config_selectorIN3c107complexIfEEEEZZNS1_9scan_implILNS1_25lookback_scan_determinismE0ELb0ELb0ES3_PKS7_PS7_S7_ZZZN2at6native31launch_logcumsumexp_cuda_kernelERKNSE_10TensorBaseESI_lENKUlvE_clEvENKUlvE2_clEvEUlS7_S7_E_S7_EEDaPvRmT3_T4_T5_mT6_P12ihipStream_tbENKUlT_T0_E_clISt17integral_constantIbLb0EESZ_EEDaSU_SV_EUlSU_E_NS1_11comp_targetILNS1_3genE9ELNS1_11target_archE1100ELNS1_3gpuE3ELNS1_3repE0EEENS1_30default_config_static_selectorELNS0_4arch9wavefront6targetE0EEEvT1_
; %bb.0:
	.section	.rodata,"a",@progbits
	.p2align	6, 0x0
	.amdhsa_kernel _ZN7rocprim17ROCPRIM_400000_NS6detail17trampoline_kernelINS0_14default_configENS1_20scan_config_selectorIN3c107complexIfEEEEZZNS1_9scan_implILNS1_25lookback_scan_determinismE0ELb0ELb0ES3_PKS7_PS7_S7_ZZZN2at6native31launch_logcumsumexp_cuda_kernelERKNSE_10TensorBaseESI_lENKUlvE_clEvENKUlvE2_clEvEUlS7_S7_E_S7_EEDaPvRmT3_T4_T5_mT6_P12ihipStream_tbENKUlT_T0_E_clISt17integral_constantIbLb0EESZ_EEDaSU_SV_EUlSU_E_NS1_11comp_targetILNS1_3genE9ELNS1_11target_archE1100ELNS1_3gpuE3ELNS1_3repE0EEENS1_30default_config_static_selectorELNS0_4arch9wavefront6targetE0EEEvT1_
		.amdhsa_group_segment_fixed_size 0
		.amdhsa_private_segment_fixed_size 0
		.amdhsa_kernarg_size 104
		.amdhsa_user_sgpr_count 6
		.amdhsa_user_sgpr_private_segment_buffer 1
		.amdhsa_user_sgpr_dispatch_ptr 0
		.amdhsa_user_sgpr_queue_ptr 0
		.amdhsa_user_sgpr_kernarg_segment_ptr 1
		.amdhsa_user_sgpr_dispatch_id 0
		.amdhsa_user_sgpr_flat_scratch_init 0
		.amdhsa_user_sgpr_private_segment_size 0
		.amdhsa_wavefront_size32 1
		.amdhsa_uses_dynamic_stack 0
		.amdhsa_system_sgpr_private_segment_wavefront_offset 0
		.amdhsa_system_sgpr_workgroup_id_x 1
		.amdhsa_system_sgpr_workgroup_id_y 0
		.amdhsa_system_sgpr_workgroup_id_z 0
		.amdhsa_system_sgpr_workgroup_info 0
		.amdhsa_system_vgpr_workitem_id 0
		.amdhsa_next_free_vgpr 1
		.amdhsa_next_free_sgpr 1
		.amdhsa_reserve_vcc 0
		.amdhsa_reserve_flat_scratch 0
		.amdhsa_float_round_mode_32 0
		.amdhsa_float_round_mode_16_64 0
		.amdhsa_float_denorm_mode_32 3
		.amdhsa_float_denorm_mode_16_64 3
		.amdhsa_dx10_clamp 1
		.amdhsa_ieee_mode 1
		.amdhsa_fp16_overflow 0
		.amdhsa_workgroup_processor_mode 1
		.amdhsa_memory_ordered 1
		.amdhsa_forward_progress 1
		.amdhsa_shared_vgpr_count 0
		.amdhsa_exception_fp_ieee_invalid_op 0
		.amdhsa_exception_fp_denorm_src 0
		.amdhsa_exception_fp_ieee_div_zero 0
		.amdhsa_exception_fp_ieee_overflow 0
		.amdhsa_exception_fp_ieee_underflow 0
		.amdhsa_exception_fp_ieee_inexact 0
		.amdhsa_exception_int_div_zero 0
	.end_amdhsa_kernel
	.section	.text._ZN7rocprim17ROCPRIM_400000_NS6detail17trampoline_kernelINS0_14default_configENS1_20scan_config_selectorIN3c107complexIfEEEEZZNS1_9scan_implILNS1_25lookback_scan_determinismE0ELb0ELb0ES3_PKS7_PS7_S7_ZZZN2at6native31launch_logcumsumexp_cuda_kernelERKNSE_10TensorBaseESI_lENKUlvE_clEvENKUlvE2_clEvEUlS7_S7_E_S7_EEDaPvRmT3_T4_T5_mT6_P12ihipStream_tbENKUlT_T0_E_clISt17integral_constantIbLb0EESZ_EEDaSU_SV_EUlSU_E_NS1_11comp_targetILNS1_3genE9ELNS1_11target_archE1100ELNS1_3gpuE3ELNS1_3repE0EEENS1_30default_config_static_selectorELNS0_4arch9wavefront6targetE0EEEvT1_,"axG",@progbits,_ZN7rocprim17ROCPRIM_400000_NS6detail17trampoline_kernelINS0_14default_configENS1_20scan_config_selectorIN3c107complexIfEEEEZZNS1_9scan_implILNS1_25lookback_scan_determinismE0ELb0ELb0ES3_PKS7_PS7_S7_ZZZN2at6native31launch_logcumsumexp_cuda_kernelERKNSE_10TensorBaseESI_lENKUlvE_clEvENKUlvE2_clEvEUlS7_S7_E_S7_EEDaPvRmT3_T4_T5_mT6_P12ihipStream_tbENKUlT_T0_E_clISt17integral_constantIbLb0EESZ_EEDaSU_SV_EUlSU_E_NS1_11comp_targetILNS1_3genE9ELNS1_11target_archE1100ELNS1_3gpuE3ELNS1_3repE0EEENS1_30default_config_static_selectorELNS0_4arch9wavefront6targetE0EEEvT1_,comdat
.Lfunc_end270:
	.size	_ZN7rocprim17ROCPRIM_400000_NS6detail17trampoline_kernelINS0_14default_configENS1_20scan_config_selectorIN3c107complexIfEEEEZZNS1_9scan_implILNS1_25lookback_scan_determinismE0ELb0ELb0ES3_PKS7_PS7_S7_ZZZN2at6native31launch_logcumsumexp_cuda_kernelERKNSE_10TensorBaseESI_lENKUlvE_clEvENKUlvE2_clEvEUlS7_S7_E_S7_EEDaPvRmT3_T4_T5_mT6_P12ihipStream_tbENKUlT_T0_E_clISt17integral_constantIbLb0EESZ_EEDaSU_SV_EUlSU_E_NS1_11comp_targetILNS1_3genE9ELNS1_11target_archE1100ELNS1_3gpuE3ELNS1_3repE0EEENS1_30default_config_static_selectorELNS0_4arch9wavefront6targetE0EEEvT1_, .Lfunc_end270-_ZN7rocprim17ROCPRIM_400000_NS6detail17trampoline_kernelINS0_14default_configENS1_20scan_config_selectorIN3c107complexIfEEEEZZNS1_9scan_implILNS1_25lookback_scan_determinismE0ELb0ELb0ES3_PKS7_PS7_S7_ZZZN2at6native31launch_logcumsumexp_cuda_kernelERKNSE_10TensorBaseESI_lENKUlvE_clEvENKUlvE2_clEvEUlS7_S7_E_S7_EEDaPvRmT3_T4_T5_mT6_P12ihipStream_tbENKUlT_T0_E_clISt17integral_constantIbLb0EESZ_EEDaSU_SV_EUlSU_E_NS1_11comp_targetILNS1_3genE9ELNS1_11target_archE1100ELNS1_3gpuE3ELNS1_3repE0EEENS1_30default_config_static_selectorELNS0_4arch9wavefront6targetE0EEEvT1_
                                        ; -- End function
	.set _ZN7rocprim17ROCPRIM_400000_NS6detail17trampoline_kernelINS0_14default_configENS1_20scan_config_selectorIN3c107complexIfEEEEZZNS1_9scan_implILNS1_25lookback_scan_determinismE0ELb0ELb0ES3_PKS7_PS7_S7_ZZZN2at6native31launch_logcumsumexp_cuda_kernelERKNSE_10TensorBaseESI_lENKUlvE_clEvENKUlvE2_clEvEUlS7_S7_E_S7_EEDaPvRmT3_T4_T5_mT6_P12ihipStream_tbENKUlT_T0_E_clISt17integral_constantIbLb0EESZ_EEDaSU_SV_EUlSU_E_NS1_11comp_targetILNS1_3genE9ELNS1_11target_archE1100ELNS1_3gpuE3ELNS1_3repE0EEENS1_30default_config_static_selectorELNS0_4arch9wavefront6targetE0EEEvT1_.num_vgpr, 0
	.set _ZN7rocprim17ROCPRIM_400000_NS6detail17trampoline_kernelINS0_14default_configENS1_20scan_config_selectorIN3c107complexIfEEEEZZNS1_9scan_implILNS1_25lookback_scan_determinismE0ELb0ELb0ES3_PKS7_PS7_S7_ZZZN2at6native31launch_logcumsumexp_cuda_kernelERKNSE_10TensorBaseESI_lENKUlvE_clEvENKUlvE2_clEvEUlS7_S7_E_S7_EEDaPvRmT3_T4_T5_mT6_P12ihipStream_tbENKUlT_T0_E_clISt17integral_constantIbLb0EESZ_EEDaSU_SV_EUlSU_E_NS1_11comp_targetILNS1_3genE9ELNS1_11target_archE1100ELNS1_3gpuE3ELNS1_3repE0EEENS1_30default_config_static_selectorELNS0_4arch9wavefront6targetE0EEEvT1_.num_agpr, 0
	.set _ZN7rocprim17ROCPRIM_400000_NS6detail17trampoline_kernelINS0_14default_configENS1_20scan_config_selectorIN3c107complexIfEEEEZZNS1_9scan_implILNS1_25lookback_scan_determinismE0ELb0ELb0ES3_PKS7_PS7_S7_ZZZN2at6native31launch_logcumsumexp_cuda_kernelERKNSE_10TensorBaseESI_lENKUlvE_clEvENKUlvE2_clEvEUlS7_S7_E_S7_EEDaPvRmT3_T4_T5_mT6_P12ihipStream_tbENKUlT_T0_E_clISt17integral_constantIbLb0EESZ_EEDaSU_SV_EUlSU_E_NS1_11comp_targetILNS1_3genE9ELNS1_11target_archE1100ELNS1_3gpuE3ELNS1_3repE0EEENS1_30default_config_static_selectorELNS0_4arch9wavefront6targetE0EEEvT1_.numbered_sgpr, 0
	.set _ZN7rocprim17ROCPRIM_400000_NS6detail17trampoline_kernelINS0_14default_configENS1_20scan_config_selectorIN3c107complexIfEEEEZZNS1_9scan_implILNS1_25lookback_scan_determinismE0ELb0ELb0ES3_PKS7_PS7_S7_ZZZN2at6native31launch_logcumsumexp_cuda_kernelERKNSE_10TensorBaseESI_lENKUlvE_clEvENKUlvE2_clEvEUlS7_S7_E_S7_EEDaPvRmT3_T4_T5_mT6_P12ihipStream_tbENKUlT_T0_E_clISt17integral_constantIbLb0EESZ_EEDaSU_SV_EUlSU_E_NS1_11comp_targetILNS1_3genE9ELNS1_11target_archE1100ELNS1_3gpuE3ELNS1_3repE0EEENS1_30default_config_static_selectorELNS0_4arch9wavefront6targetE0EEEvT1_.num_named_barrier, 0
	.set _ZN7rocprim17ROCPRIM_400000_NS6detail17trampoline_kernelINS0_14default_configENS1_20scan_config_selectorIN3c107complexIfEEEEZZNS1_9scan_implILNS1_25lookback_scan_determinismE0ELb0ELb0ES3_PKS7_PS7_S7_ZZZN2at6native31launch_logcumsumexp_cuda_kernelERKNSE_10TensorBaseESI_lENKUlvE_clEvENKUlvE2_clEvEUlS7_S7_E_S7_EEDaPvRmT3_T4_T5_mT6_P12ihipStream_tbENKUlT_T0_E_clISt17integral_constantIbLb0EESZ_EEDaSU_SV_EUlSU_E_NS1_11comp_targetILNS1_3genE9ELNS1_11target_archE1100ELNS1_3gpuE3ELNS1_3repE0EEENS1_30default_config_static_selectorELNS0_4arch9wavefront6targetE0EEEvT1_.private_seg_size, 0
	.set _ZN7rocprim17ROCPRIM_400000_NS6detail17trampoline_kernelINS0_14default_configENS1_20scan_config_selectorIN3c107complexIfEEEEZZNS1_9scan_implILNS1_25lookback_scan_determinismE0ELb0ELb0ES3_PKS7_PS7_S7_ZZZN2at6native31launch_logcumsumexp_cuda_kernelERKNSE_10TensorBaseESI_lENKUlvE_clEvENKUlvE2_clEvEUlS7_S7_E_S7_EEDaPvRmT3_T4_T5_mT6_P12ihipStream_tbENKUlT_T0_E_clISt17integral_constantIbLb0EESZ_EEDaSU_SV_EUlSU_E_NS1_11comp_targetILNS1_3genE9ELNS1_11target_archE1100ELNS1_3gpuE3ELNS1_3repE0EEENS1_30default_config_static_selectorELNS0_4arch9wavefront6targetE0EEEvT1_.uses_vcc, 0
	.set _ZN7rocprim17ROCPRIM_400000_NS6detail17trampoline_kernelINS0_14default_configENS1_20scan_config_selectorIN3c107complexIfEEEEZZNS1_9scan_implILNS1_25lookback_scan_determinismE0ELb0ELb0ES3_PKS7_PS7_S7_ZZZN2at6native31launch_logcumsumexp_cuda_kernelERKNSE_10TensorBaseESI_lENKUlvE_clEvENKUlvE2_clEvEUlS7_S7_E_S7_EEDaPvRmT3_T4_T5_mT6_P12ihipStream_tbENKUlT_T0_E_clISt17integral_constantIbLb0EESZ_EEDaSU_SV_EUlSU_E_NS1_11comp_targetILNS1_3genE9ELNS1_11target_archE1100ELNS1_3gpuE3ELNS1_3repE0EEENS1_30default_config_static_selectorELNS0_4arch9wavefront6targetE0EEEvT1_.uses_flat_scratch, 0
	.set _ZN7rocprim17ROCPRIM_400000_NS6detail17trampoline_kernelINS0_14default_configENS1_20scan_config_selectorIN3c107complexIfEEEEZZNS1_9scan_implILNS1_25lookback_scan_determinismE0ELb0ELb0ES3_PKS7_PS7_S7_ZZZN2at6native31launch_logcumsumexp_cuda_kernelERKNSE_10TensorBaseESI_lENKUlvE_clEvENKUlvE2_clEvEUlS7_S7_E_S7_EEDaPvRmT3_T4_T5_mT6_P12ihipStream_tbENKUlT_T0_E_clISt17integral_constantIbLb0EESZ_EEDaSU_SV_EUlSU_E_NS1_11comp_targetILNS1_3genE9ELNS1_11target_archE1100ELNS1_3gpuE3ELNS1_3repE0EEENS1_30default_config_static_selectorELNS0_4arch9wavefront6targetE0EEEvT1_.has_dyn_sized_stack, 0
	.set _ZN7rocprim17ROCPRIM_400000_NS6detail17trampoline_kernelINS0_14default_configENS1_20scan_config_selectorIN3c107complexIfEEEEZZNS1_9scan_implILNS1_25lookback_scan_determinismE0ELb0ELb0ES3_PKS7_PS7_S7_ZZZN2at6native31launch_logcumsumexp_cuda_kernelERKNSE_10TensorBaseESI_lENKUlvE_clEvENKUlvE2_clEvEUlS7_S7_E_S7_EEDaPvRmT3_T4_T5_mT6_P12ihipStream_tbENKUlT_T0_E_clISt17integral_constantIbLb0EESZ_EEDaSU_SV_EUlSU_E_NS1_11comp_targetILNS1_3genE9ELNS1_11target_archE1100ELNS1_3gpuE3ELNS1_3repE0EEENS1_30default_config_static_selectorELNS0_4arch9wavefront6targetE0EEEvT1_.has_recursion, 0
	.set _ZN7rocprim17ROCPRIM_400000_NS6detail17trampoline_kernelINS0_14default_configENS1_20scan_config_selectorIN3c107complexIfEEEEZZNS1_9scan_implILNS1_25lookback_scan_determinismE0ELb0ELb0ES3_PKS7_PS7_S7_ZZZN2at6native31launch_logcumsumexp_cuda_kernelERKNSE_10TensorBaseESI_lENKUlvE_clEvENKUlvE2_clEvEUlS7_S7_E_S7_EEDaPvRmT3_T4_T5_mT6_P12ihipStream_tbENKUlT_T0_E_clISt17integral_constantIbLb0EESZ_EEDaSU_SV_EUlSU_E_NS1_11comp_targetILNS1_3genE9ELNS1_11target_archE1100ELNS1_3gpuE3ELNS1_3repE0EEENS1_30default_config_static_selectorELNS0_4arch9wavefront6targetE0EEEvT1_.has_indirect_call, 0
	.section	.AMDGPU.csdata,"",@progbits
; Kernel info:
; codeLenInByte = 0
; TotalNumSgprs: 0
; NumVgprs: 0
; ScratchSize: 0
; MemoryBound: 0
; FloatMode: 240
; IeeeMode: 1
; LDSByteSize: 0 bytes/workgroup (compile time only)
; SGPRBlocks: 0
; VGPRBlocks: 0
; NumSGPRsForWavesPerEU: 1
; NumVGPRsForWavesPerEU: 1
; Occupancy: 16
; WaveLimiterHint : 0
; COMPUTE_PGM_RSRC2:SCRATCH_EN: 0
; COMPUTE_PGM_RSRC2:USER_SGPR: 6
; COMPUTE_PGM_RSRC2:TRAP_HANDLER: 0
; COMPUTE_PGM_RSRC2:TGID_X_EN: 1
; COMPUTE_PGM_RSRC2:TGID_Y_EN: 0
; COMPUTE_PGM_RSRC2:TGID_Z_EN: 0
; COMPUTE_PGM_RSRC2:TIDIG_COMP_CNT: 0
	.text
	.p2align	2                               ; -- Begin function _ZZZZN2at6native31launch_logcumsumexp_cuda_kernelERKNS_10TensorBaseES3_lENKUlvE_clEvENKUlvE2_clEvENKUlN3c107complexIfEES8_E_clES8_S8_
	.type	_ZZZZN2at6native31launch_logcumsumexp_cuda_kernelERKNS_10TensorBaseES3_lENKUlvE_clEvENKUlvE2_clEvENKUlN3c107complexIfEES8_E_clES8_S8_,@function
_ZZZZN2at6native31launch_logcumsumexp_cuda_kernelERKNS_10TensorBaseES3_lENKUlvE_clEvENKUlvE2_clEvENKUlN3c107complexIfEES8_E_clES8_S8_: ; @_ZZZZN2at6native31launch_logcumsumexp_cuda_kernelERKNS_10TensorBaseES3_lENKUlvE_clEvENKUlvE2_clEvENKUlN3c107complexIfEES8_E_clES8_S8_
; %bb.0:
	s_waitcnt vmcnt(0) expcnt(0) lgkmcnt(0)
	v_cmp_o_f32_e32 vcc_lo, v2, v3
	v_mov_b32_e32 v4, v3
	v_mov_b32_e32 v5, v2
	s_and_saveexec_b32 s6, vcc_lo
; %bb.1:
	v_cmp_u_f32_e64 s4, v0, v1
	v_cmp_lt_f32_e64 s5, v0, v2
	s_or_b32 s4, s4, s5
	v_cndmask_b32_e64 v4, v3, v1, s4
	v_cndmask_b32_e64 v5, v2, v0, s4
; %bb.2:
	s_or_b32 exec_lo, exec_lo, s6
	s_and_saveexec_b32 s5, vcc_lo
; %bb.3:
	v_cmp_u_f32_e32 vcc_lo, v0, v1
	v_cmp_ge_f32_e64 s4, v0, v2
	s_or_b32 vcc_lo, vcc_lo, s4
	v_cndmask_b32_e32 v3, v3, v1, vcc_lo
	v_cndmask_b32_e32 v2, v2, v0, vcc_lo
; %bb.4:
	s_or_b32 exec_lo, exec_lo, s5
	v_mov_b32_e32 v0, 0x7fc00000
	v_mov_b32_e32 v1, 0x7fc00000
	s_mov_b32 s6, exec_lo
	v_cmpx_o_f32_e32 v5, v4
	s_cbranch_execz .LBB271_48
; %bb.5:
	v_cmp_class_f32_e64 s4, v5, 0x1f8
	v_cmp_neq_f32_e32 vcc_lo, v2, v5
	s_or_b32 s4, s4, vcc_lo
	s_and_saveexec_b32 s5, s4
	s_xor_b32 s7, exec_lo, s5
	s_cbranch_execz .LBB271_21
; %bb.6:
	v_sub_f32_e32 v0, v4, v3
                                        ; implicit-def: $vgpr6
                                        ; implicit-def: $vgpr4
	v_and_b32_e32 v1, 0x7fffffff, v0
	v_cmp_ngt_f32_e64 s8, 0x48000000, |v0|
	v_lshrrev_b32_e32 v7, 23, v1
	s_and_saveexec_b32 s4, s8
	s_xor_b32 s9, exec_lo, s4
	s_cbranch_execz .LBB271_8
; %bb.7:
	s_mov_b32 s4, 0x7fffff
	v_mov_b32_e32 v10, 0
	v_and_or_b32 v4, v1, s4, 0x800000
	v_add_nc_u32_e32 v6, 0xffffff88, v7
	v_mad_u64_u32 v[8:9], null, 0xfe5163ab, v4, 0
	v_cmp_lt_u32_e32 vcc_lo, 63, v6
	v_cndmask_b32_e64 v16, 0, 0xffffffc0, vcc_lo
	v_mad_u64_u32 v[11:12], null, 0x3c439041, v4, v[9:10]
	v_add_nc_u32_e32 v6, v16, v6
	v_mov_b32_e32 v9, v12
	v_cmp_lt_u32_e64 s4, 31, v6
	v_mad_u64_u32 v[12:13], null, 0xdb629599, v4, v[9:10]
	v_cndmask_b32_e64 v17, 0, 0xffffffe0, s4
	v_add_nc_u32_e32 v6, v17, v6
	v_mov_b32_e32 v9, v13
	v_cndmask_b32_e32 v8, v12, v8, vcc_lo
	v_cmp_lt_u32_e64 s5, 31, v6
	v_mad_u64_u32 v[13:14], null, 0xf534ddc0, v4, v[9:10]
	v_mov_b32_e32 v9, v14
	v_mad_u64_u32 v[14:15], null, 0xfc2757d1, v4, v[9:10]
	v_mov_b32_e32 v9, v15
	;; [unrolled: 2-line block ×3, first 2 shown]
	v_cndmask_b32_e32 v16, v15, v13, vcc_lo
	v_mad_u64_u32 v[9:10], null, 0xa2f9836e, v4, v[9:10]
	v_cndmask_b32_e64 v4, 0, 0xffffffe0, s5
	v_add_nc_u32_e32 v4, v4, v6
	v_cndmask_b32_e32 v9, v9, v14, vcc_lo
	v_cndmask_b32_e32 v10, v10, v15, vcc_lo
	;; [unrolled: 1-line block ×4, first 2 shown]
	v_sub_nc_u32_e32 v13, 32, v4
	v_cndmask_b32_e64 v11, v9, v16, s4
	v_cndmask_b32_e64 v9, v10, v9, s4
	;; [unrolled: 1-line block ×4, first 2 shown]
	v_cmp_eq_u32_e32 vcc_lo, 0, v4
	v_cndmask_b32_e64 v6, v6, v8, s4
	v_cndmask_b32_e64 v9, v9, v11, s5
	;; [unrolled: 1-line block ×5, first 2 shown]
	v_alignbit_b32 v15, v9, v11, v13
	v_alignbit_b32 v12, v11, v10, v13
	;; [unrolled: 1-line block ×3, first 2 shown]
	v_cndmask_b32_e32 v4, v15, v9, vcc_lo
	v_cndmask_b32_e32 v8, v12, v11, vcc_lo
	;; [unrolled: 1-line block ×3, first 2 shown]
	v_bfe_u32 v9, v4, 29, 1
	v_alignbit_b32 v11, v4, v8, 30
	v_alignbit_b32 v8, v8, v10, 30
	;; [unrolled: 1-line block ×3, first 2 shown]
	v_sub_nc_u32_e32 v12, 0, v9
	v_xor_b32_e32 v11, v11, v12
	v_xor_b32_e32 v8, v8, v12
	v_xor_b32_e32 v6, v6, v12
	v_lshrrev_b32_e32 v12, 29, v4
	v_ffbh_u32_e32 v13, v11
	v_min_u32_e32 v13, 32, v13
	v_sub_nc_u32_e32 v10, 31, v13
	v_lshlrev_b32_e32 v14, 23, v13
	v_alignbit_b32 v11, v11, v8, v10
	v_alignbit_b32 v6, v8, v6, v10
	v_lshlrev_b32_e32 v8, 31, v12
	v_alignbit_b32 v10, v11, v6, 9
	v_or_b32_e32 v12, 0.5, v8
	v_lshrrev_b32_e32 v11, 9, v11
	v_or_b32_e32 v8, 0x33000000, v8
	v_ffbh_u32_e32 v15, v10
	v_sub_nc_u32_e32 v12, v12, v14
	v_min_u32_e32 v14, 32, v15
	v_or_b32_e32 v11, v11, v12
	v_not_b32_e32 v12, v14
	v_mul_f32_e32 v15, 0x3fc90fda, v11
	v_add_lshl_u32 v13, v14, v13, 23
	v_alignbit_b32 v6, v10, v6, v12
	v_fma_f32 v10, 0x3fc90fda, v11, -v15
	v_sub_nc_u32_e32 v8, v8, v13
	v_lshrrev_b32_e32 v6, 9, v6
	v_fmamk_f32 v10, v11, 0x33a22168, v10
	v_or_b32_e32 v6, v8, v6
	v_fmac_f32_e32 v10, 0x3fc90fda, v6
	v_lshrrev_b32_e32 v6, 30, v4
	v_add_f32_e32 v4, v15, v10
	v_add_nc_u32_e32 v6, v9, v6
	s_or_saveexec_b32 s4, s9
	v_mul_f32_e64 v10, 0x3f22f983, |v0|
	s_xor_b32 exec_lo, exec_lo, s4
	s_branch .LBB271_9
.LBB271_8:
	s_or_saveexec_b32 s4, s9
	v_mul_f32_e64 v10, 0x3f22f983, |v0|
	s_xor_b32 exec_lo, exec_lo, s4
.LBB271_9:
	v_rndne_f32_e32 v6, v10
	v_fma_f32 v4, 0xbfc90fda, v6, |v0|
	v_fmamk_f32 v4, v6, 0xb3a22168, v4
	v_fmamk_f32 v4, v6, 0xa7c234c4, v4
	v_cvt_i32_f32_e32 v6, v6
; %bb.10:
	s_or_b32 exec_lo, exec_lo, s4
                                        ; implicit-def: $vgpr9
                                        ; implicit-def: $vgpr8
	s_and_saveexec_b32 s4, s8
	s_xor_b32 s8, exec_lo, s4
	s_cbranch_execz .LBB271_12
; %bb.11:
	s_mov_b32 s4, 0x7fffff
	v_mov_b32_e32 v10, 0
	v_and_or_b32 v17, v1, s4, 0x800000
	v_add_nc_u32_e32 v7, 0xffffff88, v7
	v_mad_u64_u32 v[8:9], null, 0xfe5163ab, v17, 0
	v_cmp_lt_u32_e32 vcc_lo, 63, v7
	v_cndmask_b32_e64 v16, 0, 0xffffffc0, vcc_lo
	v_mad_u64_u32 v[11:12], null, 0x3c439041, v17, v[9:10]
	v_add_nc_u32_e32 v7, v16, v7
	v_mov_b32_e32 v9, v12
	v_cmp_lt_u32_e64 s4, 31, v7
	v_mad_u64_u32 v[12:13], null, 0xdb629599, v17, v[9:10]
	v_cndmask_b32_e64 v18, 0, 0xffffffe0, s4
	v_add_nc_u32_e32 v7, v18, v7
	v_mov_b32_e32 v9, v13
	v_cndmask_b32_e32 v8, v12, v8, vcc_lo
	v_cmp_lt_u32_e64 s5, 31, v7
	v_mad_u64_u32 v[13:14], null, 0xf534ddc0, v17, v[9:10]
	v_mov_b32_e32 v9, v14
	v_cndmask_b32_e32 v11, v13, v11, vcc_lo
	v_mad_u64_u32 v[14:15], null, 0xfc2757d1, v17, v[9:10]
	v_cndmask_b32_e64 v8, v11, v8, s4
	v_mov_b32_e32 v9, v15
	v_mad_u64_u32 v[15:16], null, 0x4e441529, v17, v[9:10]
	v_mov_b32_e32 v9, v16
	v_cndmask_b32_e64 v16, 0, 0xffffffe0, s5
	v_mad_u64_u32 v[9:10], null, 0xa2f9836e, v17, v[9:10]
	v_cndmask_b32_e32 v17, v15, v13, vcc_lo
	v_add_nc_u32_e32 v7, v16, v7
	v_cndmask_b32_e32 v9, v9, v14, vcc_lo
	v_cndmask_b32_e32 v10, v10, v15, vcc_lo
	;; [unrolled: 1-line block ×3, first 2 shown]
	v_sub_nc_u32_e32 v15, 32, v7
	v_cmp_eq_u32_e32 vcc_lo, 0, v7
	v_cndmask_b32_e64 v13, v9, v17, s4
	v_cndmask_b32_e64 v9, v10, v9, s4
	;; [unrolled: 1-line block ×8, first 2 shown]
	v_alignbit_b32 v16, v9, v13, v15
	v_alignbit_b32 v12, v13, v10, v15
	;; [unrolled: 1-line block ×3, first 2 shown]
	v_cndmask_b32_e32 v7, v16, v9, vcc_lo
	v_cndmask_b32_e32 v9, v12, v13, vcc_lo
	;; [unrolled: 1-line block ×3, first 2 shown]
	v_bfe_u32 v11, v7, 29, 1
	v_alignbit_b32 v12, v7, v9, 30
	v_alignbit_b32 v9, v9, v10, 30
	;; [unrolled: 1-line block ×3, first 2 shown]
	v_sub_nc_u32_e32 v13, 0, v11
	v_xor_b32_e32 v12, v12, v13
	v_xor_b32_e32 v9, v9, v13
	v_xor_b32_e32 v8, v8, v13
	v_lshrrev_b32_e32 v13, 29, v7
	v_lshrrev_b32_e32 v7, 30, v7
	v_ffbh_u32_e32 v14, v12
	v_min_u32_e32 v14, 32, v14
	v_sub_nc_u32_e32 v10, 31, v14
	v_lshlrev_b32_e32 v15, 23, v14
	v_alignbit_b32 v12, v12, v9, v10
	v_alignbit_b32 v8, v9, v8, v10
	v_lshlrev_b32_e32 v9, 31, v13
	v_alignbit_b32 v10, v12, v8, 9
	v_or_b32_e32 v13, 0.5, v9
	v_lshrrev_b32_e32 v12, 9, v12
	v_or_b32_e32 v9, 0x33000000, v9
	v_ffbh_u32_e32 v16, v10
	v_sub_nc_u32_e32 v13, v13, v15
	v_min_u32_e32 v15, 32, v16
	v_or_b32_e32 v12, v12, v13
	v_not_b32_e32 v13, v15
	v_mul_f32_e32 v16, 0x3fc90fda, v12
	v_add_lshl_u32 v14, v15, v14, 23
	v_alignbit_b32 v8, v10, v8, v13
	v_fma_f32 v10, 0x3fc90fda, v12, -v16
	v_sub_nc_u32_e32 v9, v9, v14
	v_lshrrev_b32_e32 v8, 9, v8
	v_fmamk_f32 v10, v12, 0x33a22168, v10
	v_or_b32_e32 v8, v9, v8
	v_add_nc_u32_e32 v9, v11, v7
	v_fmac_f32_e32 v10, 0x3fc90fda, v8
	v_add_f32_e32 v8, v16, v10
                                        ; implicit-def: $vgpr10
	s_andn2_saveexec_b32 s4, s8
	s_cbranch_execnz .LBB271_13
	s_branch .LBB271_14
.LBB271_12:
	s_andn2_saveexec_b32 s4, s8
.LBB271_13:
	v_rndne_f32_e32 v7, v10
	v_fma_f32 v8, 0xbfc90fda, v7, |v0|
	v_cvt_i32_f32_e32 v9, v7
	v_fmamk_f32 v8, v7, 0xb3a22168, v8
	v_fmamk_f32 v8, v7, 0xa7c234c4, v8
.LBB271_14:
	s_or_b32 exec_lo, exec_lo, s4
	v_sub_f32_e32 v5, v5, v2
	v_mul_f32_e32 v11, v4, v4
	s_mov_b32 s4, 0x37d75334
	s_mov_b32 s5, 0xb94c1982
	v_mul_f32_e32 v12, v8, v8
	v_mul_f32_e32 v10, 0x3fb8aa3b, v5
	v_fmaak_f32 v16, s4, v11, 0xbab64f3b
	v_fmaak_f32 v17, s5, v11, 0x3c0881c4
	v_lshlrev_b32_e32 v7, 30, v6
	v_fmaak_f32 v18, s5, v12, 0x3c0881c4
	v_fma_f32 v13, 0x3fb8aa3b, v5, -v10
	v_rndne_f32_e32 v14, v10
	v_fmaak_f32 v19, s4, v12, 0xbab64f3b
	v_and_b32_e32 v6, 1, v6
	v_and_b32_e32 v15, 1, v9
	v_fmamk_f32 v13, v5, 0x32a5705f, v13
	v_sub_f32_e32 v10, v10, v14
	v_lshlrev_b32_e32 v9, 30, v9
	v_cmp_eq_u32_e32 vcc_lo, 0, v6
	v_cvt_i32_f32_e32 v14, v14
	v_and_b32_e32 v7, 0x80000000, v7
	v_add_f32_e32 v10, v10, v13
	v_fmaak_f32 v13, v11, v16, 0x3d2aabf7
	v_fmaak_f32 v16, v11, v17, 0xbe2aaa9d
	;; [unrolled: 1-line block ×4, first 2 shown]
	v_exp_f32_e32 v10, v10
	v_fmaak_f32 v13, v11, v13, 0xbf000004
	v_mul_f32_e32 v16, v11, v16
	v_mul_f32_e32 v17, v12, v17
	v_fmaak_f32 v18, v12, v18, 0xbf000004
	v_xor_b32_e32 v1, v1, v0
	v_fma_f32 v11, v11, v13, 1.0
	v_fmac_f32_e32 v4, v4, v16
	v_fmac_f32_e32 v8, v8, v17
	v_fma_f32 v12, v12, v18, 1.0
	v_ldexp_f32 v10, v10, v14
	v_cmp_nlt_f32_e64 s4, 0x42b17218, v5
	v_cndmask_b32_e64 v4, -v4, v11, vcc_lo
	v_cmp_eq_u32_e32 vcc_lo, 0, v15
	v_xor_b32_e32 v4, v7, v4
	v_cndmask_b32_e32 v6, v12, v8, vcc_lo
	v_and_b32_e32 v8, 0x80000000, v9
	v_cmp_ngt_f32_e32 vcc_lo, 0xc2ce8ed0, v5
	v_cndmask_b32_e32 v9, 0, v10, vcc_lo
	v_cmp_class_f32_e64 vcc_lo, v0, 0x1f8
	v_xor3_b32 v0, v1, v8, v6
	v_cndmask_b32_e64 v1, 0x7f800000, v9, s4
	v_cndmask_b32_e32 v7, 0x7fc00000, v4, vcc_lo
	v_cndmask_b32_e32 v0, 0x7fc00000, v0, vcc_lo
	v_mul_f32_e32 v6, v1, v7
	v_mul_f32_e32 v0, v1, v0
	v_fma_f32 v1, v1, v7, 1.0
	v_max_f32_e64 v8, |v6|, |v0|
	v_cvt_f64_f32_e32 v[4:5], v8
	v_cmp_eq_f32_e32 vcc_lo, 0x7f800000, v8
	v_frexp_exp_i32_f64_e32 v4, v[4:5]
	v_sub_nc_u32_e32 v5, 0, v4
	v_ldexp_f32 v9, |v0|, v5
	v_ldexp_f32 v5, |v6|, v5
	v_mul_f32_e32 v9, v9, v9
	v_fmac_f32_e32 v9, v5, v5
	v_sqrt_f32_e32 v5, v9
	v_ldexp_f32 v4, v5, v4
	v_cmp_ngt_f32_e64 s4, 0.5, v4
	v_max_f32_e64 v4, |v1|, |v0|
	s_or_b32 s4, vcc_lo, s4
	s_and_saveexec_b32 s5, s4
	s_xor_b32 s5, exec_lo, s5
	s_cbranch_execz .LBB271_16
; %bb.15:
	v_cvt_f64_f32_e32 v[5:6], v4
	v_cmp_neq_f32_e32 vcc_lo, 0x7f800000, v4
	v_frexp_exp_i32_f64_e32 v5, v[5:6]
	v_sub_nc_u32_e32 v6, 0, v5
	v_ldexp_f32 v7, |v0|, v6
	v_ldexp_f32 v6, |v1|, v6
	v_mul_f32_e32 v7, v7, v7
	v_fmac_f32_e32 v7, v6, v6
	v_sqrt_f32_e32 v6, v7
	v_ldexp_f32 v5, v6, v5
	v_cndmask_b32_e32 v5, 0x7f800000, v5, vcc_lo
	v_cmp_gt_f32_e32 vcc_lo, 0x800000, v5
	v_cndmask_b32_e64 v6, 0, 32, vcc_lo
	v_ldexp_f32 v5, v5, v6
	v_log_f32_e32 v5, v5
	v_mul_f32_e32 v6, 0x3f317217, v5
	v_cmp_gt_f32_e64 s4, 0x7f800000, |v5|
	v_fma_f32 v6, 0x3f317217, v5, -v6
	v_fmamk_f32 v6, v5, 0x3377d1cf, v6
	v_fmac_f32_e32 v6, 0x3f317217, v5
	v_cndmask_b32_e64 v5, v5, v6, s4
	v_cndmask_b32_e64 v6, 0, 0x41b17218, vcc_lo
	v_sub_f32_e32 v6, v5, v6
.LBB271_16:
	s_andn2_saveexec_b32 s4, s5
	s_cbranch_execz .LBB271_20
; %bb.17:
	v_add_f32_e32 v7, 2.0, v6
	v_mul_f32_e32 v5, v0, v0
	s_mov_b32 s5, exec_lo
	v_fmac_f32_e32 v5, v6, v7
	v_cmpx_neq_f32_e32 0, v5
	s_cbranch_execz .LBB271_19
; %bb.18:
	v_add_f32_e32 v8, 1.0, v5
	s_mov_b32 s8, 0x3e9b6dac
	v_cvt_f64_f32_e32 v[6:7], v8
	v_frexp_exp_i32_f64_e32 v6, v[6:7]
	v_frexp_mant_f32_e32 v7, v8
	v_cmp_gt_f32_e32 vcc_lo, 0x3f2aaaab, v7
	v_add_f32_e32 v7, -1.0, v8
	v_sub_f32_e32 v10, v7, v8
	v_sub_f32_e32 v7, v5, v7
	v_add_f32_e32 v10, 1.0, v10
	v_add_f32_e32 v7, v7, v10
	v_subrev_co_ci_u32_e64 v6, null, 0, v6, vcc_lo
	v_cmp_neq_f32_e32 vcc_lo, 0x7f800000, v5
	v_sub_nc_u32_e32 v9, 0, v6
	v_cvt_f32_i32_e32 v6, v6
	v_ldexp_f32 v8, v8, v9
	v_ldexp_f32 v7, v7, v9
	v_add_f32_e32 v11, 1.0, v8
	v_add_f32_e32 v9, -1.0, v8
	v_add_f32_e32 v10, -1.0, v11
	v_add_f32_e32 v12, 1.0, v9
	v_sub_f32_e32 v10, v8, v10
	v_sub_f32_e32 v8, v8, v12
	v_add_f32_e32 v10, v7, v10
	v_add_f32_e32 v7, v7, v8
	v_add_f32_e32 v12, v11, v10
	v_add_f32_e32 v13, v9, v7
	v_rcp_f32_e32 v8, v12
	v_sub_f32_e32 v11, v12, v11
	v_sub_f32_e32 v9, v13, v9
	;; [unrolled: 1-line block ×4, first 2 shown]
	v_mul_f32_e32 v14, v13, v8
	v_mul_f32_e32 v15, v12, v14
	v_fma_f32 v11, v14, v12, -v15
	v_fmac_f32_e32 v11, v14, v10
	v_add_f32_e32 v16, v15, v11
	v_sub_f32_e32 v17, v13, v16
	v_sub_f32_e32 v9, v16, v15
	;; [unrolled: 1-line block ×5, first 2 shown]
	v_add_f32_e32 v7, v7, v13
	v_add_f32_e32 v7, v9, v7
	;; [unrolled: 1-line block ×3, first 2 shown]
	v_mul_f32_e32 v11, v8, v9
	v_sub_f32_e32 v16, v17, v9
	v_mul_f32_e32 v13, v12, v11
	v_add_f32_e32 v7, v7, v16
	v_fma_f32 v12, v11, v12, -v13
	v_fmac_f32_e32 v12, v11, v10
	v_add_f32_e32 v10, v13, v12
	v_sub_f32_e32 v15, v9, v10
	v_sub_f32_e32 v13, v10, v13
	;; [unrolled: 1-line block ×5, first 2 shown]
	v_add_f32_e32 v7, v7, v9
	v_add_f32_e32 v9, v14, v11
	;; [unrolled: 1-line block ×3, first 2 shown]
	v_sub_f32_e32 v10, v9, v14
	v_add_f32_e32 v7, v15, v7
	v_sub_f32_e32 v10, v11, v10
	v_mul_f32_e32 v7, v8, v7
	v_add_f32_e32 v7, v10, v7
	v_add_f32_e32 v8, v9, v7
	v_mul_f32_e32 v10, v8, v8
	v_fmaak_f32 v11, s8, v10, 0x3ecc95a3
	v_mul_f32_e32 v12, v8, v10
	v_fmaak_f32 v10, v10, v11, 0x3f2aaada
	v_ldexp_f32 v11, v8, 1
	v_sub_f32_e32 v8, v8, v9
	v_mul_f32_e32 v10, v12, v10
	v_mul_f32_e32 v12, 0x3f317218, v6
	v_sub_f32_e32 v7, v7, v8
	v_add_f32_e32 v9, v11, v10
	v_ldexp_f32 v7, v7, 1
	v_sub_f32_e32 v8, v9, v11
	v_fma_f32 v11, 0x3f317218, v6, -v12
	v_sub_f32_e32 v8, v10, v8
	v_fmamk_f32 v6, v6, 0xb102e308, v11
	v_add_f32_e32 v7, v7, v8
	v_add_f32_e32 v8, v12, v6
	;; [unrolled: 1-line block ×3, first 2 shown]
	v_sub_f32_e32 v12, v8, v12
	v_add_f32_e32 v11, v8, v10
	v_sub_f32_e32 v9, v10, v9
	v_sub_f32_e32 v6, v6, v12
	;; [unrolled: 1-line block ×6, first 2 shown]
	v_add_f32_e32 v10, v6, v7
	v_sub_f32_e32 v8, v8, v14
	v_add_f32_e32 v8, v9, v8
	v_sub_f32_e32 v9, v10, v6
	v_add_f32_e32 v8, v10, v8
	v_sub_f32_e32 v10, v10, v9
	v_sub_f32_e32 v7, v7, v9
	v_add_f32_e32 v12, v11, v8
	v_sub_f32_e32 v6, v6, v10
	v_sub_f32_e32 v9, v12, v11
	v_add_f32_e32 v6, v7, v6
	v_sub_f32_e32 v7, v8, v9
	v_add_f32_e32 v6, v6, v7
	v_add_f32_e32 v6, v12, v6
	v_cndmask_b32_e32 v6, 0x7f800000, v6, vcc_lo
	v_cmp_ngt_f32_e32 vcc_lo, -1.0, v5
	v_cndmask_b32_e32 v6, 0x7fc00000, v6, vcc_lo
	v_cmp_neq_f32_e32 vcc_lo, -1.0, v5
	v_cndmask_b32_e32 v6, 0xff800000, v6, vcc_lo
	v_cmp_gt_f32_e64 vcc_lo, 0x33800000, |v5|
	v_cndmask_b32_e32 v5, v6, v5, vcc_lo
	v_mul_f32_e32 v6, 0.5, v5
.LBB271_19:
	s_or_b32 exec_lo, exec_lo, s5
.LBB271_20:
	s_or_b32 exec_lo, exec_lo, s4
	v_max_f32_e64 v5, |v0|, |v0|
	v_max_f32_e64 v7, |v1|, |v1|
	v_frexp_mant_f32_e32 v8, v4
	v_frexp_exp_i32_f32_e32 v4, v4
	s_mov_b32 s4, 0x3b2d2a58
	v_cmp_gt_f32_e64 vcc_lo, |v0|, |v1|
	v_min_f32_e32 v5, v7, v5
	v_rcp_f32_e32 v7, v8
	v_cmp_class_f32_e64 s5, v1, 0x204
	v_frexp_mant_f32_e32 v8, v5
	v_frexp_exp_i32_f32_e32 v5, v5
	v_mul_f32_e32 v7, v8, v7
	v_sub_nc_u32_e32 v4, v5, v4
	v_ldexp_f32 v4, v7, v4
	v_mul_f32_e32 v5, v4, v4
	v_fmaak_f32 v7, s4, v5, 0xbc7a590c
	v_cmp_gt_i32_e64 s4, 0, v1
	v_fmaak_f32 v7, v5, v7, 0x3d29fb3f
	v_cndmask_b32_e64 v8, 0, 0x40490fdb, s4
	v_cmp_class_f32_e64 s4, v0, 0x204
	v_fmaak_f32 v7, v5, v7, 0xbd97d4d7
	v_fmaak_f32 v7, v5, v7, 0x3dd931b2
	;; [unrolled: 1-line block ×5, first 2 shown]
	v_mul_f32_e32 v5, v5, v7
	v_fmac_f32_e32 v4, v4, v5
	v_sub_f32_e32 v5, 0x3fc90fdb, v4
	v_cndmask_b32_e32 v4, v4, v5, vcc_lo
	v_mov_b32_e32 v5, 0x4016cbe4
	v_cmp_gt_f32_e32 vcc_lo, 0, v1
	v_sub_f32_e32 v7, 0x40490fdb, v4
	v_cndmask_b32_e32 v5, 0x3f490fdb, v5, vcc_lo
	v_cndmask_b32_e32 v4, v4, v7, vcc_lo
	v_cmp_eq_f32_e32 vcc_lo, 0, v0
	v_cndmask_b32_e32 v4, v4, v8, vcc_lo
	s_and_b32 vcc_lo, s5, s4
	v_cndmask_b32_e32 v4, v4, v5, vcc_lo
	v_cmp_o_f32_e32 vcc_lo, v1, v0
	v_add_f32_e32 v5, v2, v6
	v_cndmask_b32_e32 v1, 0x7fc00000, v4, vcc_lo
	v_bfi_b32 v0, 0x7fffffff, v1, v0
	v_add_f32_e32 v4, v0, v3
                                        ; implicit-def: $vgpr3
.LBB271_21:
	s_andn2_saveexec_b32 s7, s7
	s_cbranch_execz .LBB271_47
; %bb.22:
	s_mov_b32 s8, exec_lo
	v_cmpx_ngt_f32_e32 0, v5
	s_cbranch_execz .LBB271_46
; %bb.23:
	v_and_b32_e32 v0, 0x7fffffff, v4
	v_cmp_ngt_f32_e64 s9, 0x48000000, |v4|
                                        ; implicit-def: $vgpr2
                                        ; implicit-def: $vgpr1
	v_lshrrev_b32_e32 v6, 23, v0
	s_and_saveexec_b32 s4, s9
	s_xor_b32 s10, exec_lo, s4
	s_cbranch_execz .LBB271_25
; %bb.24:
	s_mov_b32 s4, 0x7fffff
	v_mov_b32_e32 v8, 0
	v_and_or_b32 v5, v0, s4, 0x800000
	v_mad_u64_u32 v[1:2], null, 0xfe5163ab, v5, 0
	v_mov_b32_e32 v7, v2
	v_add_nc_u32_e32 v2, 0xffffff88, v6
	v_mad_u64_u32 v[9:10], null, 0x3c439041, v5, v[7:8]
	v_cmp_lt_u32_e32 vcc_lo, 63, v2
	v_cndmask_b32_e64 v14, 0, 0xffffffc0, vcc_lo
	v_mov_b32_e32 v7, v10
	v_add_nc_u32_e32 v2, v14, v2
	v_mad_u64_u32 v[10:11], null, 0xdb629599, v5, v[7:8]
	v_cmp_lt_u32_e64 s4, 31, v2
	v_mov_b32_e32 v7, v11
	v_cndmask_b32_e64 v15, 0, 0xffffffe0, s4
	v_cndmask_b32_e32 v1, v10, v1, vcc_lo
	v_mad_u64_u32 v[11:12], null, 0xf534ddc0, v5, v[7:8]
	v_add_nc_u32_e32 v2, v15, v2
	v_cmp_lt_u32_e64 s5, 31, v2
	v_mov_b32_e32 v7, v12
	v_mad_u64_u32 v[12:13], null, 0xfc2757d1, v5, v[7:8]
	v_mov_b32_e32 v7, v13
	v_mad_u64_u32 v[13:14], null, 0x4e441529, v5, v[7:8]
	v_mov_b32_e32 v7, v14
	v_cndmask_b32_e32 v14, v13, v11, vcc_lo
	v_mad_u64_u32 v[7:8], null, 0xa2f9836e, v5, v[7:8]
	v_cndmask_b32_e64 v5, 0, 0xffffffe0, s5
	v_add_nc_u32_e32 v2, v5, v2
	v_cndmask_b32_e32 v7, v7, v12, vcc_lo
	v_cndmask_b32_e32 v8, v8, v13, vcc_lo
	;; [unrolled: 1-line block ×4, first 2 shown]
	v_sub_nc_u32_e32 v11, 32, v2
	v_cndmask_b32_e64 v9, v7, v14, s4
	v_cndmask_b32_e64 v7, v8, v7, s4
	;; [unrolled: 1-line block ×4, first 2 shown]
	v_cmp_eq_u32_e32 vcc_lo, 0, v2
	v_cndmask_b32_e64 v1, v5, v1, s4
	v_cndmask_b32_e64 v7, v7, v9, s5
	;; [unrolled: 1-line block ×5, first 2 shown]
	v_alignbit_b32 v13, v7, v9, v11
	v_alignbit_b32 v10, v9, v8, v11
	;; [unrolled: 1-line block ×3, first 2 shown]
	v_cndmask_b32_e32 v2, v13, v7, vcc_lo
	v_cndmask_b32_e32 v5, v10, v9, vcc_lo
	;; [unrolled: 1-line block ×3, first 2 shown]
	v_bfe_u32 v7, v2, 29, 1
	v_alignbit_b32 v9, v2, v5, 30
	v_alignbit_b32 v5, v5, v8, 30
	;; [unrolled: 1-line block ×3, first 2 shown]
	v_sub_nc_u32_e32 v10, 0, v7
	v_xor_b32_e32 v9, v9, v10
	v_xor_b32_e32 v5, v5, v10
	;; [unrolled: 1-line block ×3, first 2 shown]
	v_lshrrev_b32_e32 v10, 29, v2
	v_lshrrev_b32_e32 v2, 30, v2
	v_ffbh_u32_e32 v11, v9
	v_add_nc_u32_e32 v2, v7, v2
	v_min_u32_e32 v11, 32, v11
	v_sub_nc_u32_e32 v8, 31, v11
	v_lshlrev_b32_e32 v12, 23, v11
	v_alignbit_b32 v9, v9, v5, v8
	v_alignbit_b32 v1, v5, v1, v8
	v_lshlrev_b32_e32 v5, 31, v10
	v_alignbit_b32 v8, v9, v1, 9
	v_or_b32_e32 v10, 0.5, v5
	v_lshrrev_b32_e32 v9, 9, v9
	v_or_b32_e32 v5, 0x33000000, v5
	v_ffbh_u32_e32 v13, v8
	v_sub_nc_u32_e32 v10, v10, v12
	v_min_u32_e32 v12, 32, v13
	v_or_b32_e32 v9, v9, v10
	v_not_b32_e32 v10, v12
	v_mul_f32_e32 v13, 0x3fc90fda, v9
	v_add_lshl_u32 v11, v12, v11, 23
	v_alignbit_b32 v1, v8, v1, v10
	v_fma_f32 v8, 0x3fc90fda, v9, -v13
	v_sub_nc_u32_e32 v5, v5, v11
	v_lshrrev_b32_e32 v1, 9, v1
	v_fmamk_f32 v8, v9, 0x33a22168, v8
	v_or_b32_e32 v1, v5, v1
	v_fmac_f32_e32 v8, 0x3fc90fda, v1
	v_add_f32_e32 v1, v13, v8
	s_or_saveexec_b32 s4, s10
	v_mul_f32_e64 v8, 0x3f22f983, |v4|
	s_xor_b32 exec_lo, exec_lo, s4
	s_branch .LBB271_26
.LBB271_25:
	s_or_saveexec_b32 s4, s10
	v_mul_f32_e64 v8, 0x3f22f983, |v4|
	s_xor_b32 exec_lo, exec_lo, s4
.LBB271_26:
	v_rndne_f32_e32 v2, v8
	v_fma_f32 v1, 0xbfc90fda, v2, |v4|
	v_fmamk_f32 v1, v2, 0xb3a22168, v1
	v_fmamk_f32 v1, v2, 0xa7c234c4, v1
	v_cvt_i32_f32_e32 v2, v2
; %bb.27:
	s_or_b32 exec_lo, exec_lo, s4
                                        ; implicit-def: $vgpr7
                                        ; implicit-def: $vgpr5
	s_and_saveexec_b32 s4, s9
	s_xor_b32 s9, exec_lo, s4
	s_cbranch_execz .LBB271_29
; %bb.28:
	s_mov_b32 s4, 0x7fffff
	v_mov_b32_e32 v9, 0
	v_and_or_b32 v15, v0, s4, 0x800000
	v_mad_u64_u32 v[7:8], null, 0xfe5163ab, v15, 0
	v_mad_u64_u32 v[10:11], null, 0x3c439041, v15, v[8:9]
	v_mov_b32_e32 v8, v11
	v_mad_u64_u32 v[11:12], null, 0xdb629599, v15, v[8:9]
	v_mov_b32_e32 v8, v12
	;; [unrolled: 2-line block ×3, first 2 shown]
	v_add_nc_u32_e32 v13, 0xffffff88, v6
	v_mad_u64_u32 v[5:6], null, 0xfc2757d1, v15, v[8:9]
	v_cmp_lt_u32_e32 vcc_lo, 63, v13
	v_cndmask_b32_e64 v14, 0, 0xffffffc0, vcc_lo
	v_mov_b32_e32 v8, v6
	v_cndmask_b32_e32 v10, v12, v10, vcc_lo
	v_cndmask_b32_e32 v7, v11, v7, vcc_lo
	v_add_nc_u32_e32 v6, v14, v13
	v_mad_u64_u32 v[13:14], null, 0x4e441529, v15, v[8:9]
	v_cmp_lt_u32_e64 s4, 31, v6
	v_mov_b32_e32 v8, v14
	v_cndmask_b32_e64 v16, 0, 0xffffffe0, s4
	v_cndmask_b32_e64 v7, v10, v7, s4
	v_mad_u64_u32 v[8:9], null, 0xa2f9836e, v15, v[8:9]
	v_add_nc_u32_e32 v6, v16, v6
	v_cndmask_b32_e32 v15, v13, v12, vcc_lo
	v_cmp_lt_u32_e64 s5, 31, v6
	v_cndmask_b32_e32 v8, v8, v5, vcc_lo
	v_cndmask_b32_e32 v9, v9, v13, vcc_lo
	;; [unrolled: 1-line block ×3, first 2 shown]
	v_cndmask_b32_e64 v14, 0, 0xffffffe0, s5
	v_cndmask_b32_e64 v12, v8, v15, s4
	;; [unrolled: 1-line block ×5, first 2 shown]
	v_add_nc_u32_e32 v6, v14, v6
	v_cndmask_b32_e64 v8, v8, v12, s5
	v_cndmask_b32_e64 v12, v12, v9, s5
	;; [unrolled: 1-line block ×3, first 2 shown]
	v_sub_nc_u32_e32 v13, 32, v6
	v_cmp_eq_u32_e32 vcc_lo, 0, v6
	v_cndmask_b32_e64 v5, v5, v7, s5
	v_alignbit_b32 v14, v8, v12, v13
	v_alignbit_b32 v11, v12, v9, v13
	v_cndmask_b32_e32 v6, v14, v8, vcc_lo
	v_cndmask_b32_e32 v8, v11, v12, vcc_lo
	v_alignbit_b32 v12, v9, v5, v13
	v_bfe_u32 v10, v6, 29, 1
	v_alignbit_b32 v7, v6, v8, 30
	v_cndmask_b32_e32 v9, v12, v9, vcc_lo
	v_sub_nc_u32_e32 v11, 0, v10
	v_alignbit_b32 v8, v8, v9, 30
	v_alignbit_b32 v5, v9, v5, 30
	v_xor_b32_e32 v7, v7, v11
	v_xor_b32_e32 v8, v8, v11
	;; [unrolled: 1-line block ×3, first 2 shown]
	v_lshrrev_b32_e32 v11, 29, v6
	v_ffbh_u32_e32 v12, v7
	v_lshrrev_b32_e32 v6, 30, v6
	v_min_u32_e32 v12, 32, v12
	v_sub_nc_u32_e32 v9, 31, v12
	v_lshlrev_b32_e32 v13, 23, v12
	v_alignbit_b32 v7, v7, v8, v9
	v_alignbit_b32 v5, v8, v5, v9
	v_lshlrev_b32_e32 v8, 31, v11
	v_alignbit_b32 v9, v7, v5, 9
	v_or_b32_e32 v11, 0.5, v8
	v_lshrrev_b32_e32 v7, 9, v7
	v_or_b32_e32 v8, 0x33000000, v8
	v_ffbh_u32_e32 v14, v9
	v_sub_nc_u32_e32 v11, v11, v13
	v_min_u32_e32 v13, 32, v14
	v_or_b32_e32 v7, v7, v11
	v_not_b32_e32 v11, v13
	v_mul_f32_e32 v14, 0x3fc90fda, v7
	v_add_lshl_u32 v12, v13, v12, 23
	v_alignbit_b32 v5, v9, v5, v11
	v_fma_f32 v9, 0x3fc90fda, v7, -v14
	v_sub_nc_u32_e32 v8, v8, v12
	v_lshrrev_b32_e32 v5, 9, v5
	v_fmamk_f32 v7, v7, 0x33a22168, v9
	v_or_b32_e32 v5, v8, v5
                                        ; implicit-def: $vgpr8
	v_fmac_f32_e32 v7, 0x3fc90fda, v5
	v_add_f32_e32 v5, v14, v7
	v_add_nc_u32_e32 v7, v10, v6
	s_andn2_saveexec_b32 s4, s9
	s_cbranch_execnz .LBB271_30
	s_branch .LBB271_31
.LBB271_29:
	s_andn2_saveexec_b32 s4, s9
.LBB271_30:
	v_rndne_f32_e32 v6, v8
	v_fma_f32 v5, 0xbfc90fda, v6, |v4|
	v_cvt_i32_f32_e32 v7, v6
	v_fmamk_f32 v5, v6, 0xb3a22168, v5
	v_fmamk_f32 v5, v6, 0xa7c234c4, v5
.LBB271_31:
	s_or_b32 exec_lo, exec_lo, s4
	v_and_b32_e32 v6, 0x7fffffff, v3
	v_cmp_ngt_f32_e64 s9, 0x48000000, |v3|
                                        ; implicit-def: $vgpr9
                                        ; implicit-def: $vgpr8
	v_lshrrev_b32_e32 v10, 23, v6
	s_and_saveexec_b32 s4, s9
	s_xor_b32 s10, exec_lo, s4
	s_cbranch_execz .LBB271_33
; %bb.32:
	s_mov_b32 s4, 0x7fffff
	v_mov_b32_e32 v12, 0
	v_and_or_b32 v19, v6, s4, 0x800000
	v_mad_u64_u32 v[8:9], null, 0xfe5163ab, v19, 0
	v_mov_b32_e32 v11, v9
	v_add_nc_u32_e32 v9, 0xffffff88, v10
	v_mad_u64_u32 v[13:14], null, 0x3c439041, v19, v[11:12]
	v_cmp_lt_u32_e32 vcc_lo, 63, v9
	v_cndmask_b32_e64 v18, 0, 0xffffffc0, vcc_lo
	v_mov_b32_e32 v11, v14
	v_add_nc_u32_e32 v9, v18, v9
	v_mad_u64_u32 v[14:15], null, 0xdb629599, v19, v[11:12]
	v_cmp_lt_u32_e64 s4, 31, v9
	v_mov_b32_e32 v11, v15
	v_cndmask_b32_e64 v20, 0, 0xffffffe0, s4
	v_cndmask_b32_e32 v8, v14, v8, vcc_lo
	v_mad_u64_u32 v[15:16], null, 0xf534ddc0, v19, v[11:12]
	v_add_nc_u32_e32 v9, v20, v9
	v_cmp_lt_u32_e64 s5, 31, v9
	v_mov_b32_e32 v11, v16
	v_cndmask_b32_e32 v13, v15, v13, vcc_lo
	v_mad_u64_u32 v[16:17], null, 0xfc2757d1, v19, v[11:12]
	v_cndmask_b32_e64 v8, v13, v8, s4
	v_mov_b32_e32 v11, v17
	v_mad_u64_u32 v[17:18], null, 0x4e441529, v19, v[11:12]
	v_mov_b32_e32 v11, v18
	v_cndmask_b32_e64 v18, 0, 0xffffffe0, s5
	v_mad_u64_u32 v[11:12], null, 0xa2f9836e, v19, v[11:12]
	v_cndmask_b32_e32 v19, v17, v15, vcc_lo
	v_add_nc_u32_e32 v9, v18, v9
	v_cndmask_b32_e32 v11, v11, v16, vcc_lo
	v_cndmask_b32_e32 v12, v12, v17, vcc_lo
	;; [unrolled: 1-line block ×3, first 2 shown]
	v_sub_nc_u32_e32 v17, 32, v9
	v_cmp_eq_u32_e32 vcc_lo, 0, v9
	v_cndmask_b32_e64 v15, v11, v19, s4
	v_cndmask_b32_e64 v11, v12, v11, s4
	;; [unrolled: 1-line block ×8, first 2 shown]
	v_alignbit_b32 v18, v11, v15, v17
	v_alignbit_b32 v14, v15, v12, v17
	;; [unrolled: 1-line block ×3, first 2 shown]
	v_cndmask_b32_e32 v9, v18, v11, vcc_lo
	v_cndmask_b32_e32 v11, v14, v15, vcc_lo
	v_cndmask_b32_e32 v12, v16, v12, vcc_lo
	v_bfe_u32 v13, v9, 29, 1
	v_alignbit_b32 v14, v9, v11, 30
	v_alignbit_b32 v11, v11, v12, 30
	;; [unrolled: 1-line block ×3, first 2 shown]
	v_sub_nc_u32_e32 v15, 0, v13
	v_xor_b32_e32 v14, v14, v15
	v_xor_b32_e32 v11, v11, v15
	;; [unrolled: 1-line block ×3, first 2 shown]
	v_lshrrev_b32_e32 v15, 29, v9
	v_lshrrev_b32_e32 v9, 30, v9
	v_ffbh_u32_e32 v16, v14
	v_add_nc_u32_e32 v9, v13, v9
	v_min_u32_e32 v16, 32, v16
	v_sub_nc_u32_e32 v12, 31, v16
	v_lshlrev_b32_e32 v17, 23, v16
	v_alignbit_b32 v14, v14, v11, v12
	v_alignbit_b32 v8, v11, v8, v12
	v_lshlrev_b32_e32 v11, 31, v15
	v_alignbit_b32 v12, v14, v8, 9
	v_or_b32_e32 v15, 0.5, v11
	v_lshrrev_b32_e32 v14, 9, v14
	v_or_b32_e32 v11, 0x33000000, v11
	v_ffbh_u32_e32 v18, v12
	v_sub_nc_u32_e32 v15, v15, v17
	v_min_u32_e32 v17, 32, v18
	v_or_b32_e32 v14, v14, v15
	v_not_b32_e32 v15, v17
	v_mul_f32_e32 v18, 0x3fc90fda, v14
	v_add_lshl_u32 v16, v17, v16, 23
	v_alignbit_b32 v8, v12, v8, v15
	v_fma_f32 v12, 0x3fc90fda, v14, -v18
	v_sub_nc_u32_e32 v11, v11, v16
	v_lshrrev_b32_e32 v8, 9, v8
	v_fmamk_f32 v12, v14, 0x33a22168, v12
	v_or_b32_e32 v8, v11, v8
	v_fmac_f32_e32 v12, 0x3fc90fda, v8
	v_add_f32_e32 v8, v18, v12
	s_or_saveexec_b32 s4, s10
	v_mul_f32_e64 v13, 0x3f22f983, |v3|
	s_xor_b32 exec_lo, exec_lo, s4
	s_branch .LBB271_34
.LBB271_33:
	s_or_saveexec_b32 s4, s10
	v_mul_f32_e64 v13, 0x3f22f983, |v3|
	s_xor_b32 exec_lo, exec_lo, s4
.LBB271_34:
	v_rndne_f32_e32 v9, v13
	v_fma_f32 v8, 0xbfc90fda, v9, |v3|
	v_fmamk_f32 v8, v9, 0xb3a22168, v8
	v_fmamk_f32 v8, v9, 0xa7c234c4, v8
	v_cvt_i32_f32_e32 v9, v9
; %bb.35:
	s_or_b32 exec_lo, exec_lo, s4
                                        ; implicit-def: $vgpr12
                                        ; implicit-def: $vgpr11
	s_and_saveexec_b32 s4, s9
	s_xor_b32 s9, exec_lo, s4
	s_cbranch_execz .LBB271_37
; %bb.36:
	s_mov_b32 s4, 0x7fffff
	v_mov_b32_e32 v13, 0
	v_and_or_b32 v20, v6, s4, 0x800000
	v_add_nc_u32_e32 v10, 0xffffff88, v10
	v_mad_u64_u32 v[11:12], null, 0xfe5163ab, v20, 0
	v_cmp_lt_u32_e32 vcc_lo, 63, v10
	v_cndmask_b32_e64 v19, 0, 0xffffffc0, vcc_lo
	v_mad_u64_u32 v[14:15], null, 0x3c439041, v20, v[12:13]
	v_add_nc_u32_e32 v10, v19, v10
	v_mov_b32_e32 v12, v15
	v_cmp_lt_u32_e64 s4, 31, v10
	v_mad_u64_u32 v[15:16], null, 0xdb629599, v20, v[12:13]
	v_cndmask_b32_e64 v21, 0, 0xffffffe0, s4
	v_add_nc_u32_e32 v10, v21, v10
	v_mov_b32_e32 v12, v16
	v_cndmask_b32_e32 v11, v15, v11, vcc_lo
	v_cmp_lt_u32_e64 s5, 31, v10
	v_mad_u64_u32 v[16:17], null, 0xf534ddc0, v20, v[12:13]
	v_mov_b32_e32 v12, v17
	v_cndmask_b32_e32 v14, v16, v14, vcc_lo
	v_mad_u64_u32 v[17:18], null, 0xfc2757d1, v20, v[12:13]
	v_cndmask_b32_e64 v11, v14, v11, s4
	v_mov_b32_e32 v12, v18
	v_mad_u64_u32 v[18:19], null, 0x4e441529, v20, v[12:13]
	v_mov_b32_e32 v12, v19
	v_cndmask_b32_e64 v19, 0, 0xffffffe0, s5
	v_mad_u64_u32 v[12:13], null, 0xa2f9836e, v20, v[12:13]
	v_cndmask_b32_e32 v20, v18, v16, vcc_lo
	v_add_nc_u32_e32 v10, v19, v10
	v_cndmask_b32_e32 v12, v12, v17, vcc_lo
	v_cndmask_b32_e32 v13, v13, v18, vcc_lo
	;; [unrolled: 1-line block ×3, first 2 shown]
	v_sub_nc_u32_e32 v18, 32, v10
	v_cmp_eq_u32_e32 vcc_lo, 0, v10
	v_cndmask_b32_e64 v16, v12, v20, s4
	v_cndmask_b32_e64 v12, v13, v12, s4
	;; [unrolled: 1-line block ×8, first 2 shown]
	v_alignbit_b32 v19, v12, v16, v18
	v_alignbit_b32 v15, v16, v13, v18
	;; [unrolled: 1-line block ×3, first 2 shown]
	v_cndmask_b32_e32 v10, v19, v12, vcc_lo
	v_cndmask_b32_e32 v12, v15, v16, vcc_lo
	v_cndmask_b32_e32 v13, v17, v13, vcc_lo
	v_bfe_u32 v14, v10, 29, 1
	v_alignbit_b32 v15, v10, v12, 30
	v_alignbit_b32 v12, v12, v13, 30
	;; [unrolled: 1-line block ×3, first 2 shown]
	v_sub_nc_u32_e32 v16, 0, v14
	v_xor_b32_e32 v15, v15, v16
	v_xor_b32_e32 v12, v12, v16
	;; [unrolled: 1-line block ×3, first 2 shown]
	v_lshrrev_b32_e32 v16, 29, v10
	v_lshrrev_b32_e32 v10, 30, v10
	v_ffbh_u32_e32 v17, v15
	v_min_u32_e32 v17, 32, v17
	v_sub_nc_u32_e32 v13, 31, v17
	v_lshlrev_b32_e32 v18, 23, v17
	v_alignbit_b32 v15, v15, v12, v13
	v_alignbit_b32 v11, v12, v11, v13
	v_lshlrev_b32_e32 v12, 31, v16
	v_alignbit_b32 v13, v15, v11, 9
	v_or_b32_e32 v16, 0.5, v12
	v_lshrrev_b32_e32 v15, 9, v15
	v_or_b32_e32 v12, 0x33000000, v12
	v_ffbh_u32_e32 v19, v13
	v_sub_nc_u32_e32 v16, v16, v18
	v_min_u32_e32 v18, 32, v19
	v_or_b32_e32 v15, v15, v16
	v_not_b32_e32 v16, v18
	v_mul_f32_e32 v19, 0x3fc90fda, v15
	v_add_lshl_u32 v17, v18, v17, 23
	v_alignbit_b32 v11, v13, v11, v16
	v_fma_f32 v13, 0x3fc90fda, v15, -v19
	v_sub_nc_u32_e32 v12, v12, v17
	v_lshrrev_b32_e32 v11, 9, v11
	v_fmamk_f32 v13, v15, 0x33a22168, v13
	v_or_b32_e32 v11, v12, v11
	v_add_nc_u32_e32 v12, v14, v10
	v_fmac_f32_e32 v13, 0x3fc90fda, v11
	v_add_f32_e32 v11, v19, v13
                                        ; implicit-def: $vgpr13
	s_andn2_saveexec_b32 s4, s9
	s_cbranch_execnz .LBB271_38
	s_branch .LBB271_39
.LBB271_37:
	s_andn2_saveexec_b32 s4, s9
.LBB271_38:
	v_rndne_f32_e32 v10, v13
	v_fma_f32 v11, 0xbfc90fda, v10, |v3|
	v_cvt_i32_f32_e32 v12, v10
	v_fmamk_f32 v11, v10, 0xb3a22168, v11
	v_fmamk_f32 v11, v10, 0xa7c234c4, v11
.LBB271_39:
	s_or_b32 exec_lo, exec_lo, s4
	v_mul_f32_e32 v10, v1, v1
	s_mov_b32 s4, 0xb94c1982
	s_mov_b32 s5, 0x37d75334
	v_mul_f32_e32 v16, v5, v5
	v_lshlrev_b32_e32 v13, 30, v2
	v_fmaak_f32 v14, s4, v10, 0x3c0881c4
	v_fmaak_f32 v15, s5, v10, 0xbab64f3b
	v_and_b32_e32 v2, 1, v2
	v_fmaak_f32 v18, s4, v16, 0x3c0881c4
	v_fmaak_f32 v19, s5, v16, 0xbab64f3b
	;; [unrolled: 1-line block ×4, first 2 shown]
	v_and_b32_e32 v17, 1, v7
	v_fmaak_f32 v18, v16, v18, 0xbe2aaa9d
	v_fmaak_f32 v19, v16, v19, 0x3d2aabf7
	v_mul_f32_e32 v14, v10, v14
	v_fmaak_f32 v15, v10, v15, 0xbf000004
	v_and_b32_e32 v13, 0x80000000, v13
	v_cmp_eq_u32_e32 vcc_lo, 0, v2
	v_lshlrev_b32_e32 v7, 30, v7
	v_fmac_f32_e32 v1, v1, v14
	v_fma_f32 v10, v10, v15, 1.0
	v_mul_f32_e32 v14, v16, v18
	v_fmaak_f32 v15, v16, v19, 0xbf000004
	v_xor_b32_e32 v0, v0, v13
	v_mul_f32_e32 v13, v11, v11
	v_cndmask_b32_e32 v1, v10, v1, vcc_lo
	v_fmac_f32_e32 v5, v5, v14
	v_fma_f32 v2, v16, v15, 1.0
	v_mul_f32_e32 v10, v8, v8
	v_cmp_eq_u32_e32 vcc_lo, 0, v17
	v_xor3_b32 v0, v0, v1, v4
	v_fmaak_f32 v14, s4, v13, 0x3c0881c4
	v_fmaak_f32 v15, s5, v13, 0xbab64f3b
	v_lshlrev_b32_e32 v16, 30, v9
	v_cndmask_b32_e64 v1, -v5, v2, vcc_lo
	v_and_b32_e32 v2, 0x80000000, v7
	v_fmaak_f32 v5, s4, v10, 0x3c0881c4
	v_fmaak_f32 v7, s5, v10, 0xbab64f3b
	;; [unrolled: 1-line block ×4, first 2 shown]
	v_and_b32_e32 v9, 1, v9
	v_fmaak_f32 v5, v10, v5, 0xbe2aaa9d
	v_fmaak_f32 v7, v10, v7, 0x3d2aabf7
	v_mul_f32_e32 v14, v13, v14
	v_fmaak_f32 v15, v13, v15, 0xbf000004
	v_cmp_eq_u32_e32 vcc_lo, 0, v9
	v_mul_f32_e32 v5, v10, v5
	v_fmaak_f32 v7, v10, v7, 0xbf000004
	v_and_b32_e32 v16, 0x80000000, v16
	v_fmac_f32_e32 v11, v11, v14
	v_xor_b32_e32 v1, v2, v1
	v_fmac_f32_e32 v8, v8, v5
	v_fma_f32 v5, v10, v7, 1.0
	v_and_b32_e32 v10, 1, v12
	v_fma_f32 v7, v13, v15, 1.0
	v_lshlrev_b32_e32 v12, 30, v12
	v_xor_b32_e32 v6, v6, v16
	v_cndmask_b32_e32 v5, v5, v8, vcc_lo
	v_cmp_eq_u32_e32 vcc_lo, 0, v10
	v_cmp_class_f32_e64 s4, v3, 0x1f8
	v_and_b32_e32 v8, 0x80000000, v12
	v_xor3_b32 v2, v6, v5, v3
	v_cndmask_b32_e64 v7, -v11, v7, vcc_lo
	v_cmp_class_f32_e64 vcc_lo, v4, 0x1f8
	v_cndmask_b32_e64 v2, 0x7fc00000, v2, s4
	v_xor_b32_e32 v3, v8, v7
	v_cndmask_b32_e32 v1, 0x7fc00000, v1, vcc_lo
	v_cndmask_b32_e32 v0, 0x7fc00000, v0, vcc_lo
	v_mul_f32_e32 v6, 0x7f800000, v2
	v_cndmask_b32_e64 v3, 0x7fc00000, v3, s4
	v_mul_f32_e32 v4, 0x7f800000, v1
	v_cmp_neq_f32_e32 vcc_lo, 0, v1
	v_mul_f32_e32 v5, 0x7f800000, v3
	v_cndmask_b32_e32 v1, 0, v4, vcc_lo
	v_cmp_neq_f32_e32 vcc_lo, 0, v3
	v_mul_f32_e32 v4, 0x7f800000, v0
	v_cndmask_b32_e32 v3, 0, v5, vcc_lo
	v_cmp_neq_f32_e32 vcc_lo, 0, v0
	v_add_f32_e32 v1, v1, v3
	v_cndmask_b32_e32 v0, 0, v4, vcc_lo
	v_cmp_neq_f32_e32 vcc_lo, 0, v2
	v_add_f32_e32 v5, -1.0, v1
	v_cndmask_b32_e32 v2, 0, v6, vcc_lo
	v_add_f32_e32 v0, v0, v2
	v_max_f32_e64 v3, |v5|, |v0|
	v_cvt_f64_f32_e32 v[1:2], v3
	v_cmp_eq_f32_e32 vcc_lo, 0x7f800000, v3
	v_frexp_exp_i32_f64_e32 v1, v[1:2]
	v_sub_nc_u32_e32 v2, 0, v1
	v_ldexp_f32 v4, |v0|, v2
	v_ldexp_f32 v2, |v5|, v2
	v_mul_f32_e32 v4, v4, v4
	v_fmac_f32_e32 v4, v2, v2
	v_sqrt_f32_e32 v2, v4
	v_ldexp_f32 v2, v2, v1
	v_add_f32_e32 v1, 1.0, v5
	v_cmp_ngt_f32_e64 s4, 0.5, v2
	v_max_f32_e64 v2, |v1|, |v0|
	s_or_b32 s4, vcc_lo, s4
	s_and_saveexec_b32 s5, s4
	s_xor_b32 s5, exec_lo, s5
	s_cbranch_execz .LBB271_41
; %bb.40:
	v_cvt_f64_f32_e32 v[3:4], v2
	v_cmp_neq_f32_e32 vcc_lo, 0x7f800000, v2
	v_frexp_exp_i32_f64_e32 v3, v[3:4]
	v_sub_nc_u32_e32 v4, 0, v3
	v_ldexp_f32 v5, |v0|, v4
	v_ldexp_f32 v4, |v1|, v4
	v_mul_f32_e32 v5, v5, v5
	v_fmac_f32_e32 v5, v4, v4
	v_sqrt_f32_e32 v4, v5
	v_ldexp_f32 v3, v4, v3
	v_cndmask_b32_e32 v3, 0x7f800000, v3, vcc_lo
	v_cmp_gt_f32_e32 vcc_lo, 0x800000, v3
	v_cndmask_b32_e64 v4, 0, 32, vcc_lo
	v_ldexp_f32 v3, v3, v4
	v_log_f32_e32 v3, v3
	v_mul_f32_e32 v4, 0x3f317217, v3
	v_cmp_gt_f32_e64 s4, 0x7f800000, |v3|
	v_fma_f32 v4, 0x3f317217, v3, -v4
	v_fmamk_f32 v4, v3, 0x3377d1cf, v4
	v_fmac_f32_e32 v4, 0x3f317217, v3
	v_cndmask_b32_e64 v3, v3, v4, s4
	v_cndmask_b32_e64 v4, 0, 0x41b17218, vcc_lo
	v_sub_f32_e32 v5, v3, v4
.LBB271_41:
	s_andn2_saveexec_b32 s4, s5
	s_cbranch_execz .LBB271_45
; %bb.42:
	v_add_f32_e32 v3, 2.0, v5
	s_mov_b32 s5, exec_lo
	v_mul_f32_e32 v3, v5, v3
	v_fmac_f32_e32 v3, v0, v0
	v_cmpx_neq_f32_e32 0, v3
	s_cbranch_execz .LBB271_44
; %bb.43:
	v_add_f32_e32 v6, 1.0, v3
	s_mov_b32 s9, 0x3e9b6dac
	v_cvt_f64_f32_e32 v[4:5], v6
	v_frexp_exp_i32_f64_e32 v4, v[4:5]
	v_frexp_mant_f32_e32 v5, v6
	v_cmp_gt_f32_e32 vcc_lo, 0x3f2aaaab, v5
	v_add_f32_e32 v5, -1.0, v6
	v_sub_f32_e32 v8, v5, v6
	v_sub_f32_e32 v5, v3, v5
	v_add_f32_e32 v8, 1.0, v8
	v_add_f32_e32 v5, v5, v8
	v_subrev_co_ci_u32_e64 v4, null, 0, v4, vcc_lo
	v_cmp_neq_f32_e32 vcc_lo, 0x7f800000, v3
	v_sub_nc_u32_e32 v7, 0, v4
	v_cvt_f32_i32_e32 v4, v4
	v_ldexp_f32 v6, v6, v7
	v_ldexp_f32 v5, v5, v7
	v_add_f32_e32 v9, 1.0, v6
	v_add_f32_e32 v7, -1.0, v6
	v_add_f32_e32 v8, -1.0, v9
	v_add_f32_e32 v10, 1.0, v7
	v_sub_f32_e32 v8, v6, v8
	v_sub_f32_e32 v6, v6, v10
	v_add_f32_e32 v8, v5, v8
	v_add_f32_e32 v5, v5, v6
	;; [unrolled: 1-line block ×4, first 2 shown]
	v_rcp_f32_e32 v6, v10
	v_sub_f32_e32 v9, v10, v9
	v_sub_f32_e32 v7, v11, v7
	;; [unrolled: 1-line block ×4, first 2 shown]
	v_mul_f32_e32 v12, v11, v6
	v_mul_f32_e32 v13, v10, v12
	v_fma_f32 v9, v12, v10, -v13
	v_fmac_f32_e32 v9, v12, v8
	v_add_f32_e32 v14, v13, v9
	v_sub_f32_e32 v15, v11, v14
	v_sub_f32_e32 v7, v14, v13
	;; [unrolled: 1-line block ×5, first 2 shown]
	v_add_f32_e32 v5, v5, v11
	v_add_f32_e32 v5, v7, v5
	;; [unrolled: 1-line block ×3, first 2 shown]
	v_mul_f32_e32 v9, v6, v7
	v_sub_f32_e32 v14, v15, v7
	v_mul_f32_e32 v11, v10, v9
	v_add_f32_e32 v5, v5, v14
	v_fma_f32 v10, v9, v10, -v11
	v_fmac_f32_e32 v10, v9, v8
	v_add_f32_e32 v8, v11, v10
	v_sub_f32_e32 v13, v7, v8
	v_sub_f32_e32 v11, v8, v11
	;; [unrolled: 1-line block ×5, first 2 shown]
	v_add_f32_e32 v5, v5, v7
	v_add_f32_e32 v7, v12, v9
	;; [unrolled: 1-line block ×3, first 2 shown]
	v_sub_f32_e32 v8, v7, v12
	v_add_f32_e32 v5, v13, v5
	v_sub_f32_e32 v8, v9, v8
	v_mul_f32_e32 v5, v6, v5
	v_add_f32_e32 v5, v8, v5
	v_add_f32_e32 v6, v7, v5
	v_mul_f32_e32 v8, v6, v6
	v_fmaak_f32 v9, s9, v8, 0x3ecc95a3
	v_mul_f32_e32 v10, v6, v8
	v_fmaak_f32 v8, v8, v9, 0x3f2aaada
	v_ldexp_f32 v9, v6, 1
	v_sub_f32_e32 v6, v6, v7
	v_mul_f32_e32 v8, v10, v8
	v_mul_f32_e32 v10, 0x3f317218, v4
	v_sub_f32_e32 v5, v5, v6
	v_add_f32_e32 v7, v9, v8
	v_ldexp_f32 v5, v5, 1
	v_sub_f32_e32 v6, v7, v9
	v_fma_f32 v9, 0x3f317218, v4, -v10
	v_sub_f32_e32 v6, v8, v6
	v_fmamk_f32 v4, v4, 0xb102e308, v9
	v_add_f32_e32 v5, v5, v6
	v_add_f32_e32 v6, v10, v4
	v_add_f32_e32 v8, v7, v5
	v_sub_f32_e32 v10, v6, v10
	v_add_f32_e32 v9, v6, v8
	v_sub_f32_e32 v7, v8, v7
	v_sub_f32_e32 v4, v4, v10
	;; [unrolled: 1-line block ×6, first 2 shown]
	v_add_f32_e32 v8, v4, v5
	v_sub_f32_e32 v6, v6, v12
	v_add_f32_e32 v6, v7, v6
	v_sub_f32_e32 v7, v8, v4
	;; [unrolled: 2-line block ×3, first 2 shown]
	v_sub_f32_e32 v5, v5, v7
	v_add_f32_e32 v10, v9, v6
	v_sub_f32_e32 v4, v4, v8
	v_sub_f32_e32 v7, v10, v9
	v_add_f32_e32 v4, v5, v4
	v_sub_f32_e32 v5, v6, v7
	v_add_f32_e32 v4, v4, v5
	v_add_f32_e32 v4, v10, v4
	v_cndmask_b32_e32 v4, 0x7f800000, v4, vcc_lo
	v_cmp_ngt_f32_e32 vcc_lo, -1.0, v3
	v_cndmask_b32_e32 v4, 0x7fc00000, v4, vcc_lo
	v_cmp_neq_f32_e32 vcc_lo, -1.0, v3
	v_cndmask_b32_e32 v4, 0xff800000, v4, vcc_lo
	v_cmp_gt_f32_e64 vcc_lo, 0x33800000, |v3|
	v_cndmask_b32_e32 v3, v4, v3, vcc_lo
	v_mul_f32_e32 v5, 0.5, v3
.LBB271_44:
	s_or_b32 exec_lo, exec_lo, s5
.LBB271_45:
	s_or_b32 exec_lo, exec_lo, s4
	v_max_f32_e64 v3, |v0|, |v0|
	v_max_f32_e64 v4, |v1|, |v1|
	v_frexp_mant_f32_e32 v6, v2
	v_frexp_exp_i32_f32_e32 v2, v2
	s_mov_b32 s4, 0x3b2d2a58
	v_cmp_gt_f32_e64 vcc_lo, |v0|, |v1|
	v_min_f32_e32 v3, v4, v3
	v_rcp_f32_e32 v4, v6
	v_cmp_class_f32_e64 s5, v1, 0x204
	v_frexp_mant_f32_e32 v6, v3
	v_frexp_exp_i32_f32_e32 v3, v3
	v_mul_f32_e32 v4, v6, v4
	v_sub_nc_u32_e32 v2, v3, v2
	v_ldexp_f32 v2, v4, v2
	v_mul_f32_e32 v3, v2, v2
	v_fmaak_f32 v4, s4, v3, 0xbc7a590c
	v_cmp_gt_i32_e64 s4, 0, v1
	v_fmaak_f32 v4, v3, v4, 0x3d29fb3f
	v_cndmask_b32_e64 v6, 0, 0x40490fdb, s4
	v_cmp_class_f32_e64 s4, v0, 0x204
	v_fmaak_f32 v4, v3, v4, 0xbd97d4d7
	v_fmaak_f32 v4, v3, v4, 0x3dd931b2
	;; [unrolled: 1-line block ×5, first 2 shown]
	v_mul_f32_e32 v3, v3, v4
	v_fmac_f32_e32 v2, v2, v3
	v_sub_f32_e32 v3, 0x3fc90fdb, v2
	v_cndmask_b32_e32 v2, v2, v3, vcc_lo
	v_mov_b32_e32 v3, 0x4016cbe4
	v_cmp_gt_f32_e32 vcc_lo, 0, v1
	v_sub_f32_e32 v4, 0x40490fdb, v2
	v_cndmask_b32_e32 v3, 0x3f490fdb, v3, vcc_lo
	v_cndmask_b32_e32 v2, v2, v4, vcc_lo
	v_cmp_eq_f32_e32 vcc_lo, 0, v0
	v_cndmask_b32_e32 v2, v2, v6, vcc_lo
	s_and_b32 vcc_lo, s4, s5
	v_cndmask_b32_e32 v2, v2, v3, vcc_lo
	v_cmp_o_f32_e32 vcc_lo, v1, v0
	v_cndmask_b32_e32 v1, 0x7fc00000, v2, vcc_lo
	v_bfi_b32 v4, 0x7fffffff, v1, v0
.LBB271_46:
	s_or_b32 exec_lo, exec_lo, s8
.LBB271_47:
	s_or_b32 exec_lo, exec_lo, s7
	v_mov_b32_e32 v0, v5
	v_mov_b32_e32 v1, v4
.LBB271_48:
	s_or_b32 exec_lo, exec_lo, s6
	s_setpc_b64 s[30:31]
.Lfunc_end271:
	.size	_ZZZZN2at6native31launch_logcumsumexp_cuda_kernelERKNS_10TensorBaseES3_lENKUlvE_clEvENKUlvE2_clEvENKUlN3c107complexIfEES8_E_clES8_S8_, .Lfunc_end271-_ZZZZN2at6native31launch_logcumsumexp_cuda_kernelERKNS_10TensorBaseES3_lENKUlvE_clEvENKUlvE2_clEvENKUlN3c107complexIfEES8_E_clES8_S8_
                                        ; -- End function
	.set .L_ZZZZN2at6native31launch_logcumsumexp_cuda_kernelERKNS_10TensorBaseES3_lENKUlvE_clEvENKUlvE2_clEvENKUlN3c107complexIfEES8_E_clES8_S8_.num_vgpr, 22
	.set .L_ZZZZN2at6native31launch_logcumsumexp_cuda_kernelERKNS_10TensorBaseES3_lENKUlvE_clEvENKUlvE2_clEvENKUlN3c107complexIfEES8_E_clES8_S8_.num_agpr, 0
	.set .L_ZZZZN2at6native31launch_logcumsumexp_cuda_kernelERKNS_10TensorBaseES3_lENKUlvE_clEvENKUlvE2_clEvENKUlN3c107complexIfEES8_E_clES8_S8_.numbered_sgpr, 32
	.set .L_ZZZZN2at6native31launch_logcumsumexp_cuda_kernelERKNS_10TensorBaseES3_lENKUlvE_clEvENKUlvE2_clEvENKUlN3c107complexIfEES8_E_clES8_S8_.num_named_barrier, 0
	.set .L_ZZZZN2at6native31launch_logcumsumexp_cuda_kernelERKNS_10TensorBaseES3_lENKUlvE_clEvENKUlvE2_clEvENKUlN3c107complexIfEES8_E_clES8_S8_.private_seg_size, 0
	.set .L_ZZZZN2at6native31launch_logcumsumexp_cuda_kernelERKNS_10TensorBaseES3_lENKUlvE_clEvENKUlvE2_clEvENKUlN3c107complexIfEES8_E_clES8_S8_.uses_vcc, 1
	.set .L_ZZZZN2at6native31launch_logcumsumexp_cuda_kernelERKNS_10TensorBaseES3_lENKUlvE_clEvENKUlvE2_clEvENKUlN3c107complexIfEES8_E_clES8_S8_.uses_flat_scratch, 0
	.set .L_ZZZZN2at6native31launch_logcumsumexp_cuda_kernelERKNS_10TensorBaseES3_lENKUlvE_clEvENKUlvE2_clEvENKUlN3c107complexIfEES8_E_clES8_S8_.has_dyn_sized_stack, 0
	.set .L_ZZZZN2at6native31launch_logcumsumexp_cuda_kernelERKNS_10TensorBaseES3_lENKUlvE_clEvENKUlvE2_clEvENKUlN3c107complexIfEES8_E_clES8_S8_.has_recursion, 0
	.set .L_ZZZZN2at6native31launch_logcumsumexp_cuda_kernelERKNS_10TensorBaseES3_lENKUlvE_clEvENKUlvE2_clEvENKUlN3c107complexIfEES8_E_clES8_S8_.has_indirect_call, 0
	.section	.AMDGPU.csdata,"",@progbits
; Function info:
; codeLenInByte = 7188
; TotalNumSgprs: 34
; NumVgprs: 22
; ScratchSize: 0
; MemoryBound: 0
	.section	.text._ZN7rocprim17ROCPRIM_400000_NS6detail17trampoline_kernelINS0_14default_configENS1_20scan_config_selectorIN3c107complexIfEEEEZZNS1_9scan_implILNS1_25lookback_scan_determinismE0ELb0ELb0ES3_PKS7_PS7_S7_ZZZN2at6native31launch_logcumsumexp_cuda_kernelERKNSE_10TensorBaseESI_lENKUlvE_clEvENKUlvE2_clEvEUlS7_S7_E_S7_EEDaPvRmT3_T4_T5_mT6_P12ihipStream_tbENKUlT_T0_E_clISt17integral_constantIbLb0EESZ_EEDaSU_SV_EUlSU_E_NS1_11comp_targetILNS1_3genE8ELNS1_11target_archE1030ELNS1_3gpuE2ELNS1_3repE0EEENS1_30default_config_static_selectorELNS0_4arch9wavefront6targetE0EEEvT1_,"axG",@progbits,_ZN7rocprim17ROCPRIM_400000_NS6detail17trampoline_kernelINS0_14default_configENS1_20scan_config_selectorIN3c107complexIfEEEEZZNS1_9scan_implILNS1_25lookback_scan_determinismE0ELb0ELb0ES3_PKS7_PS7_S7_ZZZN2at6native31launch_logcumsumexp_cuda_kernelERKNSE_10TensorBaseESI_lENKUlvE_clEvENKUlvE2_clEvEUlS7_S7_E_S7_EEDaPvRmT3_T4_T5_mT6_P12ihipStream_tbENKUlT_T0_E_clISt17integral_constantIbLb0EESZ_EEDaSU_SV_EUlSU_E_NS1_11comp_targetILNS1_3genE8ELNS1_11target_archE1030ELNS1_3gpuE2ELNS1_3repE0EEENS1_30default_config_static_selectorELNS0_4arch9wavefront6targetE0EEEvT1_,comdat
	.globl	_ZN7rocprim17ROCPRIM_400000_NS6detail17trampoline_kernelINS0_14default_configENS1_20scan_config_selectorIN3c107complexIfEEEEZZNS1_9scan_implILNS1_25lookback_scan_determinismE0ELb0ELb0ES3_PKS7_PS7_S7_ZZZN2at6native31launch_logcumsumexp_cuda_kernelERKNSE_10TensorBaseESI_lENKUlvE_clEvENKUlvE2_clEvEUlS7_S7_E_S7_EEDaPvRmT3_T4_T5_mT6_P12ihipStream_tbENKUlT_T0_E_clISt17integral_constantIbLb0EESZ_EEDaSU_SV_EUlSU_E_NS1_11comp_targetILNS1_3genE8ELNS1_11target_archE1030ELNS1_3gpuE2ELNS1_3repE0EEENS1_30default_config_static_selectorELNS0_4arch9wavefront6targetE0EEEvT1_ ; -- Begin function _ZN7rocprim17ROCPRIM_400000_NS6detail17trampoline_kernelINS0_14default_configENS1_20scan_config_selectorIN3c107complexIfEEEEZZNS1_9scan_implILNS1_25lookback_scan_determinismE0ELb0ELb0ES3_PKS7_PS7_S7_ZZZN2at6native31launch_logcumsumexp_cuda_kernelERKNSE_10TensorBaseESI_lENKUlvE_clEvENKUlvE2_clEvEUlS7_S7_E_S7_EEDaPvRmT3_T4_T5_mT6_P12ihipStream_tbENKUlT_T0_E_clISt17integral_constantIbLb0EESZ_EEDaSU_SV_EUlSU_E_NS1_11comp_targetILNS1_3genE8ELNS1_11target_archE1030ELNS1_3gpuE2ELNS1_3repE0EEENS1_30default_config_static_selectorELNS0_4arch9wavefront6targetE0EEEvT1_
	.p2align	8
	.type	_ZN7rocprim17ROCPRIM_400000_NS6detail17trampoline_kernelINS0_14default_configENS1_20scan_config_selectorIN3c107complexIfEEEEZZNS1_9scan_implILNS1_25lookback_scan_determinismE0ELb0ELb0ES3_PKS7_PS7_S7_ZZZN2at6native31launch_logcumsumexp_cuda_kernelERKNSE_10TensorBaseESI_lENKUlvE_clEvENKUlvE2_clEvEUlS7_S7_E_S7_EEDaPvRmT3_T4_T5_mT6_P12ihipStream_tbENKUlT_T0_E_clISt17integral_constantIbLb0EESZ_EEDaSU_SV_EUlSU_E_NS1_11comp_targetILNS1_3genE8ELNS1_11target_archE1030ELNS1_3gpuE2ELNS1_3repE0EEENS1_30default_config_static_selectorELNS0_4arch9wavefront6targetE0EEEvT1_,@function
_ZN7rocprim17ROCPRIM_400000_NS6detail17trampoline_kernelINS0_14default_configENS1_20scan_config_selectorIN3c107complexIfEEEEZZNS1_9scan_implILNS1_25lookback_scan_determinismE0ELb0ELb0ES3_PKS7_PS7_S7_ZZZN2at6native31launch_logcumsumexp_cuda_kernelERKNSE_10TensorBaseESI_lENKUlvE_clEvENKUlvE2_clEvEUlS7_S7_E_S7_EEDaPvRmT3_T4_T5_mT6_P12ihipStream_tbENKUlT_T0_E_clISt17integral_constantIbLb0EESZ_EEDaSU_SV_EUlSU_E_NS1_11comp_targetILNS1_3genE8ELNS1_11target_archE1030ELNS1_3gpuE2ELNS1_3repE0EEENS1_30default_config_static_selectorELNS0_4arch9wavefront6targetE0EEEvT1_: ; @_ZN7rocprim17ROCPRIM_400000_NS6detail17trampoline_kernelINS0_14default_configENS1_20scan_config_selectorIN3c107complexIfEEEEZZNS1_9scan_implILNS1_25lookback_scan_determinismE0ELb0ELb0ES3_PKS7_PS7_S7_ZZZN2at6native31launch_logcumsumexp_cuda_kernelERKNSE_10TensorBaseESI_lENKUlvE_clEvENKUlvE2_clEvEUlS7_S7_E_S7_EEDaPvRmT3_T4_T5_mT6_P12ihipStream_tbENKUlT_T0_E_clISt17integral_constantIbLb0EESZ_EEDaSU_SV_EUlSU_E_NS1_11comp_targetILNS1_3genE8ELNS1_11target_archE1030ELNS1_3gpuE2ELNS1_3repE0EEENS1_30default_config_static_selectorELNS0_4arch9wavefront6targetE0EEEvT1_
; %bb.0:
	s_mov_b64 s[12:13], s[4:5]
	s_clause 0x1
	s_load_dwordx8 s[16:23], s[4:5], 0x0
	s_load_dword s4, s[4:5], 0x38
	s_add_u32 s0, s0, s7
	s_addc_u32 s1, s1, 0
	s_mov_b32 s11, s6
	v_mov_b32_e32 v41, v0
	s_mov_b32 s5, 0
	s_mov_b32 s32, 0
	v_lshlrev_b32_e32 v49, 3, v41
	v_lshrrev_b32_e32 v50, 2, v41
	v_or_b32_e32 v48, 0x100, v41
	v_or_b32_e32 v47, 0x200, v41
	v_or_b32_e32 v46, 0x300, v41
	s_waitcnt lgkmcnt(0)
	s_lshl_b64 s[18:19], s[18:19], 3
	s_add_u32 s6, s16, s18
	s_addc_u32 s7, s17, s19
	s_add_i32 s8, s4, -1
	s_lshl_b32 s4, s11, 10
	s_lshl_b32 s9, s8, 10
	s_sub_u32 s17, s22, s9
	s_subb_u32 s26, s23, 0
	s_cmp_lg_u32 s11, s8
	s_cselect_b32 s27, -1, 0
	s_lshl_b64 s[22:23], s[4:5], 3
	s_mov_b32 s5, -1
	s_add_u32 s6, s6, s22
	s_addc_u32 s7, s7, s23
	s_and_b32 vcc_lo, exec_lo, s27
	s_cbranch_vccz .LBB272_2
; %bb.1:
	v_add_co_u32 v2, s4, s6, v49
	v_add_co_ci_u32_e64 v3, null, s7, 0, s4
	v_lshrrev_b32_e32 v8, 2, v48
	v_add_co_u32 v0, vcc_lo, v2, 0x1000
	v_add_co_ci_u32_e64 v1, null, 0, v3, vcc_lo
	v_add_co_u32 v2, vcc_lo, 0x1800, v2
	v_add_co_ci_u32_e64 v3, null, 0, v3, vcc_lo
	s_clause 0x3
	global_load_dwordx2 v[4:5], v49, s[6:7]
	global_load_dwordx2 v[6:7], v[0:1], off offset:-2048
	global_load_dwordx2 v[0:1], v[0:1], off
	global_load_dwordx2 v[2:3], v[2:3], off
	v_lshrrev_b32_e32 v9, 2, v47
	v_lshrrev_b32_e32 v10, 2, v46
	v_and_b32_e32 v11, 56, v50
	v_and_b32_e32 v8, 0x78, v8
	s_mov_b32 s5, 0
	v_and_b32_e32 v9, 0xb8, v9
	v_and_b32_e32 v10, 0xf8, v10
	v_add_nc_u32_e32 v11, v11, v49
	v_add_nc_u32_e32 v8, v8, v49
	;; [unrolled: 1-line block ×4, first 2 shown]
	s_waitcnt vmcnt(3)
	ds_write_b64 v11, v[4:5]
	s_waitcnt vmcnt(2)
	ds_write_b64 v8, v[6:7] offset:2048
	s_waitcnt vmcnt(1)
	ds_write_b64 v9, v[0:1] offset:4096
	;; [unrolled: 2-line block ×3, first 2 shown]
	s_waitcnt lgkmcnt(0)
	s_barrier
.LBB272_2:
	s_load_dwordx2 s[24:25], s[12:13], 0x30
	v_cmp_gt_u32_e64 s4, s17, v41
	s_andn2_b32 vcc_lo, exec_lo, s5
	s_cbranch_vccnz .LBB272_12
; %bb.3:
	s_load_dwordx2 s[8:9], s[6:7], 0x0
	s_waitcnt lgkmcnt(0)
	v_mov_b32_e32 v1, s9
	v_mov_b32_e32 v0, s8
	s_and_saveexec_b32 s5, s4
	s_cbranch_execz .LBB272_5
; %bb.4:
	global_load_dwordx2 v[0:1], v49, s[6:7]
.LBB272_5:
	s_or_b32 exec_lo, exec_lo, s5
	v_mov_b32_e32 v3, s9
	v_mov_b32_e32 v2, s8
	s_mov_b32 s4, exec_lo
	v_cmpx_gt_u32_e64 s17, v48
	s_cbranch_execz .LBB272_7
; %bb.6:
	v_lshlrev_b32_e32 v2, 3, v48
	global_load_dwordx2 v[2:3], v2, s[6:7]
.LBB272_7:
	s_or_b32 exec_lo, exec_lo, s4
	v_mov_b32_e32 v5, s9
	v_mov_b32_e32 v4, s8
	s_mov_b32 s4, exec_lo
	v_cmpx_gt_u32_e64 s17, v47
	s_cbranch_execz .LBB272_9
; %bb.8:
	v_lshlrev_b32_e32 v4, 3, v47
	global_load_dwordx2 v[4:5], v4, s[6:7]
.LBB272_9:
	;; [unrolled: 10-line block ×3, first 2 shown]
	s_or_b32 exec_lo, exec_lo, s4
	v_lshrrev_b32_e32 v8, 2, v48
	v_lshrrev_b32_e32 v9, 2, v47
	;; [unrolled: 1-line block ×3, first 2 shown]
	v_and_b32_e32 v11, 56, v50
	v_and_b32_e32 v8, 0x78, v8
	v_and_b32_e32 v9, 0xf8, v9
	v_and_b32_e32 v10, 0xf8, v10
	v_add_nc_u32_e32 v11, v11, v49
	v_add_nc_u32_e32 v8, v8, v49
	;; [unrolled: 1-line block ×4, first 2 shown]
	s_waitcnt vmcnt(0)
	ds_write_b64 v11, v[0:1]
	ds_write_b64 v8, v[2:3] offset:2048
	ds_write_b64 v9, v[4:5] offset:4096
	;; [unrolled: 1-line block ×3, first 2 shown]
	s_waitcnt lgkmcnt(0)
	s_barrier
.LBB272_12:
	v_and_b32_e32 v0, 0xf8, v41
	v_lshlrev_b32_e32 v1, 5, v41
	s_waitcnt lgkmcnt(0)
	buffer_gl0_inv
	s_cmp_lg_u32 s11, 0
	v_add_nc_u32_e32 v51, v0, v1
	ds_read2_b64 v[22:25], v51 offset1:1
	ds_read2_b64 v[26:29], v51 offset0:2 offset1:3
	s_waitcnt lgkmcnt(0)
	s_barrier
	buffer_gl0_inv
	s_cbranch_scc0 .LBB272_63
; %bb.13:
	v_mov_b32_e32 v0, v22
	v_mov_b32_e32 v1, v23
	;; [unrolled: 1-line block ×4, first 2 shown]
	s_getpc_b64 s[14:15]
	s_add_u32 s14, s14, _ZZZZN2at6native31launch_logcumsumexp_cuda_kernelERKNS_10TensorBaseES3_lENKUlvE_clEvENKUlvE2_clEvENKUlN3c107complexIfEES8_E_clES8_S8_@rel32@lo+4
	s_addc_u32 s15, s15, _ZZZZN2at6native31launch_logcumsumexp_cuda_kernelERKNS_10TensorBaseES3_lENKUlvE_clEvENKUlvE2_clEvENKUlN3c107complexIfEES8_E_clES8_S8_@rel32@hi+12
	s_swappc_b64 s[30:31], s[14:15]
	v_mov_b32_e32 v2, v26
	v_mov_b32_e32 v3, v27
	s_swappc_b64 s[30:31], s[14:15]
	v_mov_b32_e32 v2, v28
	v_mov_b32_e32 v3, v29
	s_swappc_b64 s[30:31], s[14:15]
	v_mov_b32_e32 v42, v0
	v_and_b32_e32 v0, 56, v50
	v_mov_b32_e32 v43, v1
	v_cmp_gt_u32_e64 s16, 32, v41
	v_lshl_add_u32 v0, v41, 3, v0
	ds_write_b64 v0, v[42:43]
	s_waitcnt lgkmcnt(0)
	s_waitcnt_vscnt null, 0x0
	s_barrier
	buffer_gl0_inv
	s_and_saveexec_b32 s28, s16
	s_cbranch_execz .LBB272_25
; %bb.14:
	v_lshlrev_b32_e32 v0, 1, v41
	v_lshlrev_b32_e32 v1, 6, v41
	v_and_b32_e32 v0, 0x1f8, v0
	v_add_nc_u32_e32 v36, v0, v1
	ds_read_b64 v[30:31], v36
	ds_read2_b64 v[32:35], v36 offset0:1 offset1:2
	s_waitcnt lgkmcnt(1)
	v_mov_b32_e32 v0, v30
	v_mov_b32_e32 v1, v31
	s_waitcnt lgkmcnt(0)
	v_mov_b32_e32 v2, v32
	v_mov_b32_e32 v3, v33
	s_swappc_b64 s[30:31], s[14:15]
	v_mov_b32_e32 v2, v34
	v_mov_b32_e32 v3, v35
	s_swappc_b64 s[30:31], s[14:15]
	ds_read2_b64 v[32:35], v36 offset0:3 offset1:4
	s_waitcnt lgkmcnt(0)
	v_mov_b32_e32 v2, v32
	v_mov_b32_e32 v3, v33
	s_swappc_b64 s[30:31], s[14:15]
	v_mov_b32_e32 v2, v34
	v_mov_b32_e32 v3, v35
	s_swappc_b64 s[30:31], s[14:15]
	ds_read2_b64 v[32:35], v36 offset0:5 offset1:6
	s_waitcnt lgkmcnt(0)
	v_mov_b32_e32 v2, v32
	v_mov_b32_e32 v3, v33
	s_swappc_b64 s[30:31], s[14:15]
	v_mov_b32_e32 v2, v34
	v_mov_b32_e32 v3, v35
	s_swappc_b64 s[30:31], s[14:15]
	ds_read_b64 v[2:3], v36 offset:56
	s_swappc_b64 s[30:31], s[14:15]
	v_mov_b32_e32 v2, v0
	v_mov_b32_e32 v3, v1
	v_mbcnt_lo_u32_b32 v32, -1, 0
	s_mov_b32 s14, exec_lo
	v_mov_b32_dpp v0, v2 row_shr:1 row_mask:0xf bank_mask:0xf
	v_mov_b32_dpp v1, v3 row_shr:1 row_mask:0xf bank_mask:0xf
	v_and_b32_e32 v33, 15, v32
	v_cmpx_ne_u32_e32 0, v33
	s_cbranch_execz .LBB272_16
; %bb.15:
	s_getpc_b64 s[4:5]
	s_add_u32 s4, s4, _ZZZZN2at6native31launch_logcumsumexp_cuda_kernelERKNS_10TensorBaseES3_lENKUlvE_clEvENKUlvE2_clEvENKUlN3c107complexIfEES8_E_clES8_S8_@rel32@lo+4
	s_addc_u32 s5, s5, _ZZZZN2at6native31launch_logcumsumexp_cuda_kernelERKNS_10TensorBaseES3_lENKUlvE_clEvENKUlvE2_clEvENKUlN3c107complexIfEES8_E_clES8_S8_@rel32@hi+12
	s_swappc_b64 s[30:31], s[4:5]
	v_mov_b32_e32 v2, v0
	v_mov_b32_e32 v3, v1
.LBB272_16:
	s_or_b32 exec_lo, exec_lo, s14
	v_mov_b32_dpp v0, v2 row_shr:2 row_mask:0xf bank_mask:0xf
	v_mov_b32_dpp v1, v3 row_shr:2 row_mask:0xf bank_mask:0xf
	s_mov_b32 s14, exec_lo
	v_cmpx_lt_u32_e32 1, v33
	s_cbranch_execz .LBB272_18
; %bb.17:
	s_getpc_b64 s[4:5]
	s_add_u32 s4, s4, _ZZZZN2at6native31launch_logcumsumexp_cuda_kernelERKNS_10TensorBaseES3_lENKUlvE_clEvENKUlvE2_clEvENKUlN3c107complexIfEES8_E_clES8_S8_@rel32@lo+4
	s_addc_u32 s5, s5, _ZZZZN2at6native31launch_logcumsumexp_cuda_kernelERKNS_10TensorBaseES3_lENKUlvE_clEvENKUlvE2_clEvENKUlN3c107complexIfEES8_E_clES8_S8_@rel32@hi+12
	s_swappc_b64 s[30:31], s[4:5]
	v_mov_b32_e32 v2, v0
	v_mov_b32_e32 v3, v1
.LBB272_18:
	s_or_b32 exec_lo, exec_lo, s14
	v_mov_b32_dpp v0, v2 row_shr:4 row_mask:0xf bank_mask:0xf
	v_mov_b32_dpp v1, v3 row_shr:4 row_mask:0xf bank_mask:0xf
	s_mov_b32 s14, exec_lo
	v_cmpx_lt_u32_e32 3, v33
	;; [unrolled: 14-line block ×3, first 2 shown]
	s_cbranch_execz .LBB272_22
; %bb.21:
	s_getpc_b64 s[4:5]
	s_add_u32 s4, s4, _ZZZZN2at6native31launch_logcumsumexp_cuda_kernelERKNS_10TensorBaseES3_lENKUlvE_clEvENKUlvE2_clEvENKUlN3c107complexIfEES8_E_clES8_S8_@rel32@lo+4
	s_addc_u32 s5, s5, _ZZZZN2at6native31launch_logcumsumexp_cuda_kernelERKNS_10TensorBaseES3_lENKUlvE_clEvENKUlvE2_clEvENKUlN3c107complexIfEES8_E_clES8_S8_@rel32@hi+12
	s_swappc_b64 s[30:31], s[4:5]
	v_mov_b32_e32 v2, v0
	v_mov_b32_e32 v3, v1
.LBB272_22:
	s_or_b32 exec_lo, exec_lo, s14
	ds_swizzle_b32 v0, v2 offset:swizzle(BROADCAST,32,15)
	ds_swizzle_b32 v1, v3 offset:swizzle(BROADCAST,32,15)
	v_and_b32_e32 v4, 16, v32
	s_mov_b32 s14, exec_lo
	v_cmpx_ne_u32_e32 0, v4
	s_cbranch_execz .LBB272_24
; %bb.23:
	s_getpc_b64 s[4:5]
	s_add_u32 s4, s4, _ZZZZN2at6native31launch_logcumsumexp_cuda_kernelERKNS_10TensorBaseES3_lENKUlvE_clEvENKUlvE2_clEvENKUlN3c107complexIfEES8_E_clES8_S8_@rel32@lo+4
	s_addc_u32 s5, s5, _ZZZZN2at6native31launch_logcumsumexp_cuda_kernelERKNS_10TensorBaseES3_lENKUlvE_clEvENKUlvE2_clEvENKUlN3c107complexIfEES8_E_clES8_S8_@rel32@hi+12
	s_swappc_b64 s[30:31], s[4:5]
	v_mov_b32_e32 v2, v0
	v_mov_b32_e32 v3, v1
.LBB272_24:
	s_or_b32 exec_lo, exec_lo, s14
	s_waitcnt lgkmcnt(1)
	v_add_nc_u32_e32 v0, -1, v32
	s_getpc_b64 s[14:15]
	s_add_u32 s14, s14, _ZZZZN2at6native31launch_logcumsumexp_cuda_kernelERKNS_10TensorBaseES3_lENKUlvE_clEvENKUlvE2_clEvENKUlN3c107complexIfEES8_E_clES8_S8_@rel32@lo+4
	s_addc_u32 s15, s15, _ZZZZN2at6native31launch_logcumsumexp_cuda_kernelERKNS_10TensorBaseES3_lENKUlvE_clEvENKUlvE2_clEvENKUlN3c107complexIfEES8_E_clES8_S8_@rel32@hi+12
	v_cmp_gt_i32_e32 vcc_lo, 0, v0
	v_cndmask_b32_e32 v0, v0, v32, vcc_lo
	s_waitcnt lgkmcnt(0)
	v_lshlrev_b32_e32 v1, 2, v0
	ds_bpermute_b32 v0, v1, v2
	ds_bpermute_b32 v1, v1, v3
	v_mov_b32_e32 v2, v30
	v_mov_b32_e32 v3, v31
	s_swappc_b64 s[30:31], s[14:15]
	v_cmp_eq_u32_e32 vcc_lo, 0, v41
	; wave barrier
	v_cndmask_b32_e32 v0, v0, v42, vcc_lo
	v_cndmask_b32_e32 v1, v1, v43, vcc_lo
	ds_write_b64 v36, v[0:1]
	; wave barrier
	ds_read2_b64 v[30:33], v36 offset0:1 offset1:2
	s_waitcnt lgkmcnt(0)
	v_mov_b32_e32 v2, v30
	v_mov_b32_e32 v3, v31
	s_swappc_b64 s[30:31], s[14:15]
	v_mov_b32_e32 v2, v32
	v_mov_b32_e32 v3, v33
	;; [unrolled: 1-line block ×4, first 2 shown]
	s_swappc_b64 s[30:31], s[14:15]
	ds_read2_b64 v[30:33], v36 offset0:3 offset1:4
	ds_write2_b64 v36, v[34:35], v[0:1] offset0:1 offset1:2
	s_waitcnt lgkmcnt(1)
	v_mov_b32_e32 v2, v30
	v_mov_b32_e32 v3, v31
	s_swappc_b64 s[30:31], s[14:15]
	v_mov_b32_e32 v2, v32
	v_mov_b32_e32 v3, v33
	;; [unrolled: 1-line block ×4, first 2 shown]
	s_swappc_b64 s[30:31], s[14:15]
	ds_read2_b64 v[30:33], v36 offset0:5 offset1:6
	ds_write2_b64 v36, v[34:35], v[0:1] offset0:3 offset1:4
	s_waitcnt lgkmcnt(1)
	v_mov_b32_e32 v2, v30
	v_mov_b32_e32 v3, v31
	s_swappc_b64 s[30:31], s[14:15]
	v_mov_b32_e32 v2, v32
	v_mov_b32_e32 v3, v33
	;; [unrolled: 1-line block ×4, first 2 shown]
	s_swappc_b64 s[30:31], s[14:15]
	ds_read_b64 v[2:3], v36 offset:56
	ds_write2_b64 v36, v[30:31], v[0:1] offset0:5 offset1:6
	s_swappc_b64 s[30:31], s[14:15]
	ds_write_b64 v36, v[0:1] offset:56
.LBB272_25:
	s_or_b32 exec_lo, exec_lo, s28
	v_cmp_eq_u32_e64 s15, 0, v41
	v_cmp_ne_u32_e64 s14, 0, v41
	s_waitcnt lgkmcnt(0)
	s_waitcnt_vscnt null, 0x0
	s_barrier
	buffer_gl0_inv
	s_and_saveexec_b32 s4, s14
	s_cbranch_execz .LBB272_27
; %bb.26:
	v_add_nc_u32_e32 v0, -1, v41
	v_lshrrev_b32_e32 v1, 2, v0
	v_and_b32_e32 v1, 0x3ffffff8, v1
	v_lshl_add_u32 v0, v0, 3, v1
	ds_read_b64 v[42:43], v0
.LBB272_27:
	s_or_b32 exec_lo, exec_lo, s4
	s_and_saveexec_b32 s28, s16
	s_cbranch_execz .LBB272_68
; %bb.28:
	v_mov_b32_e32 v33, 0
	v_mbcnt_lo_u32_b32 v52, -1, 0
	s_mov_b32 s5, 0
	ds_read_b64 v[30:31], v33 offset:2096
	v_cmp_eq_u32_e64 s16, 0, v52
	s_and_saveexec_b32 s6, s16
	s_cbranch_execz .LBB272_30
; %bb.29:
	s_add_i32 s4, s11, 32
	v_mov_b32_e32 v32, 1
	s_lshl_b64 s[4:5], s[4:5], 4
	s_add_u32 s4, s24, s4
	s_addc_u32 s5, s25, s5
	v_mov_b32_e32 v0, s4
	v_mov_b32_e32 v1, s5
	s_waitcnt lgkmcnt(0)
	;;#ASMSTART
	global_store_dwordx4 v[0:1], v[30:33] off	
s_waitcnt vmcnt(0)
	;;#ASMEND
.LBB272_30:
	s_or_b32 exec_lo, exec_lo, s6
	v_xad_u32 v53, v52, -1, s11
	v_add_nc_u32_e32 v32, 32, v53
	v_lshlrev_b64 v[0:1], 4, v[32:33]
	v_add_co_u32 v0, vcc_lo, s24, v0
	v_add_co_ci_u32_e64 v1, null, s25, v1, vcc_lo
	;;#ASMSTART
	global_load_dwordx4 v[34:37], v[0:1] off glc dlc	
s_waitcnt vmcnt(0)
	;;#ASMEND
	v_cmp_eq_u16_sdwa s5, v36, v33 src0_sel:BYTE_0 src1_sel:DWORD
	s_and_saveexec_b32 s4, s5
	s_cbranch_execz .LBB272_34
; %bb.31:
	v_mov_b32_e32 v2, 0
	s_mov_b32 s5, 0
.LBB272_32:                             ; =>This Inner Loop Header: Depth=1
	;;#ASMSTART
	global_load_dwordx4 v[34:37], v[0:1] off glc dlc	
s_waitcnt vmcnt(0)
	;;#ASMEND
	v_cmp_ne_u16_sdwa s6, v36, v2 src0_sel:BYTE_0 src1_sel:DWORD
	s_or_b32 s5, s6, s5
	s_andn2_b32 exec_lo, exec_lo, s5
	s_cbranch_execnz .LBB272_32
; %bb.33:
	s_or_b32 exec_lo, exec_lo, s5
.LBB272_34:
	s_or_b32 exec_lo, exec_lo, s4
	v_cmp_ne_u32_e32 vcc_lo, 31, v52
	v_mov_b32_e32 v1, 2
	v_lshlrev_b32_e64 v55, v52, -1
	s_mov_b32 s29, exec_lo
	v_add_co_ci_u32_e64 v0, null, 0, v52, vcc_lo
	v_cmp_eq_u16_sdwa s4, v36, v1 src0_sel:BYTE_0 src1_sel:DWORD
	v_lshlrev_b32_e32 v54, 2, v0
	v_and_or_b32 v2, s4, v55, 0x80000000
	ds_bpermute_b32 v0, v54, v34
	ds_bpermute_b32 v1, v54, v35
	v_ffbl_b32_e32 v32, v2
	v_cmpx_lt_u32_e64 v52, v32
	s_cbranch_execz .LBB272_36
; %bb.35:
	v_mov_b32_e32 v2, v34
	v_mov_b32_e32 v3, v35
	s_getpc_b64 s[4:5]
	s_add_u32 s4, s4, _ZZZZN2at6native31launch_logcumsumexp_cuda_kernelERKNS_10TensorBaseES3_lENKUlvE_clEvENKUlvE2_clEvENKUlN3c107complexIfEES8_E_clES8_S8_@rel32@lo+4
	s_addc_u32 s5, s5, _ZZZZN2at6native31launch_logcumsumexp_cuda_kernelERKNS_10TensorBaseES3_lENKUlvE_clEvENKUlvE2_clEvENKUlN3c107complexIfEES8_E_clES8_S8_@rel32@hi+12
	s_swappc_b64 s[30:31], s[4:5]
	v_mov_b32_e32 v34, v0
	v_mov_b32_e32 v35, v1
.LBB272_36:
	s_or_b32 exec_lo, exec_lo, s29
	v_cmp_gt_u32_e32 vcc_lo, 30, v52
	v_add_nc_u32_e32 v57, 2, v52
	s_mov_b32 s29, exec_lo
	s_waitcnt lgkmcnt(1)
	v_cndmask_b32_e64 v0, 0, 2, vcc_lo
	v_add_lshl_u32 v56, v0, v52, 2
	ds_bpermute_b32 v0, v56, v34
	s_waitcnt lgkmcnt(1)
	ds_bpermute_b32 v1, v56, v35
	v_cmpx_le_u32_e64 v57, v32
	s_cbranch_execz .LBB272_38
; %bb.37:
	v_mov_b32_e32 v2, v34
	v_mov_b32_e32 v3, v35
	s_getpc_b64 s[4:5]
	s_add_u32 s4, s4, _ZZZZN2at6native31launch_logcumsumexp_cuda_kernelERKNS_10TensorBaseES3_lENKUlvE_clEvENKUlvE2_clEvENKUlN3c107complexIfEES8_E_clES8_S8_@rel32@lo+4
	s_addc_u32 s5, s5, _ZZZZN2at6native31launch_logcumsumexp_cuda_kernelERKNS_10TensorBaseES3_lENKUlvE_clEvENKUlvE2_clEvENKUlN3c107complexIfEES8_E_clES8_S8_@rel32@hi+12
	s_swappc_b64 s[30:31], s[4:5]
	v_mov_b32_e32 v34, v0
	v_mov_b32_e32 v35, v1
.LBB272_38:
	s_or_b32 exec_lo, exec_lo, s29
	v_cmp_gt_u32_e32 vcc_lo, 28, v52
	v_add_nc_u32_e32 v59, 4, v52
	s_mov_b32 s29, exec_lo
	s_waitcnt lgkmcnt(1)
	v_cndmask_b32_e64 v0, 0, 4, vcc_lo
	v_add_lshl_u32 v58, v0, v52, 2
	ds_bpermute_b32 v0, v58, v34
	s_waitcnt lgkmcnt(1)
	ds_bpermute_b32 v1, v58, v35
	v_cmpx_le_u32_e64 v59, v32
	;; [unrolled: 22-line block ×3, first 2 shown]
	s_cbranch_execz .LBB272_42
; %bb.41:
	v_mov_b32_e32 v2, v34
	v_mov_b32_e32 v3, v35
	s_getpc_b64 s[4:5]
	s_add_u32 s4, s4, _ZZZZN2at6native31launch_logcumsumexp_cuda_kernelERKNS_10TensorBaseES3_lENKUlvE_clEvENKUlvE2_clEvENKUlN3c107complexIfEES8_E_clES8_S8_@rel32@lo+4
	s_addc_u32 s5, s5, _ZZZZN2at6native31launch_logcumsumexp_cuda_kernelERKNS_10TensorBaseES3_lENKUlvE_clEvENKUlvE2_clEvENKUlN3c107complexIfEES8_E_clES8_S8_@rel32@hi+12
	s_swappc_b64 s[30:31], s[4:5]
	v_mov_b32_e32 v34, v0
	v_mov_b32_e32 v35, v1
.LBB272_42:
	s_or_b32 exec_lo, exec_lo, s29
	v_lshl_or_b32 v62, v52, 2, 64
	v_add_nc_u32_e32 v63, 16, v52
	v_mov_b32_e32 v45, 0
	v_mov_b32_e32 v64, 2
	;; [unrolled: 1-line block ×3, first 2 shown]
	ds_bpermute_b32 v37, v62, v34
	ds_bpermute_b32 v38, v62, v35
	v_cmp_le_u32_e64 s29, v63, v32
	v_mov_b32_e32 v39, v36
	v_mov_b32_e32 v3, v35
	;; [unrolled: 1-line block ×3, first 2 shown]
.LBB272_43:                             ; =>This Loop Header: Depth=1
                                        ;     Child Loop BB272_48 Depth 2
	s_waitcnt lgkmcnt(1)
	v_mov_b32_e32 v0, v36
	v_mov_b32_e32 v44, v53
	;; [unrolled: 1-line block ×4, first 2 shown]
	s_and_saveexec_b32 s4, s29
	s_xor_b32 s29, exec_lo, s4
	s_cbranch_execz .LBB272_45
; %bb.44:                               ;   in Loop: Header=BB272_43 Depth=1
	s_waitcnt lgkmcnt(1)
	v_mov_b32_e32 v0, v37
	s_waitcnt lgkmcnt(0)
	v_mov_b32_e32 v1, v38
	s_getpc_b64 s[4:5]
	s_add_u32 s4, s4, _ZZZZN2at6native31launch_logcumsumexp_cuda_kernelERKNS_10TensorBaseES3_lENKUlvE_clEvENKUlvE2_clEvENKUlN3c107complexIfEES8_E_clES8_S8_@rel32@lo+4
	s_addc_u32 s5, s5, _ZZZZN2at6native31launch_logcumsumexp_cuda_kernelERKNS_10TensorBaseES3_lENKUlvE_clEvENKUlvE2_clEvENKUlN3c107complexIfEES8_E_clES8_S8_@rel32@hi+12
	s_swappc_b64 s[30:31], s[4:5]
	v_mov_b32_e32 v32, v0
	v_mov_b32_e32 v33, v1
	;; [unrolled: 1-line block ×4, first 2 shown]
.LBB272_45:                             ;   in Loop: Header=BB272_43 Depth=1
	s_or_b32 exec_lo, exec_lo, s29
	v_cmp_ne_u16_sdwa s4, v0, v64 src0_sel:BYTE_0 src1_sel:DWORD
	s_mov_b32 s29, -1
                                        ; implicit-def: $vgpr37
                                        ; implicit-def: $vgpr40
	s_cmp_lg_u32 s4, exec_lo
	s_mov_b32 s4, -1
	s_cbranch_scc1 .LBB272_61
; %bb.46:                               ;   in Loop: Header=BB272_43 Depth=1
	s_waitcnt lgkmcnt(0)
	v_lshlrev_b64 v[0:1], 4, v[44:45]
	v_add_co_u32 v0, vcc_lo, s24, v0
	v_add_co_ci_u32_e64 v1, null, s25, v1, vcc_lo
	s_waitcnt lgkmcnt(0)
	;;#ASMSTART
	global_load_dwordx4 v[37:40], v[0:1] off glc dlc	
s_waitcnt vmcnt(0)
	;;#ASMEND
	v_cmp_eq_u16_sdwa s5, v39, v45 src0_sel:BYTE_0 src1_sel:DWORD
	s_and_saveexec_b32 s4, s5
	s_cbranch_execz .LBB272_50
; %bb.47:                               ;   in Loop: Header=BB272_43 Depth=1
	s_mov_b32 s5, 0
.LBB272_48:                             ;   Parent Loop BB272_43 Depth=1
                                        ; =>  This Inner Loop Header: Depth=2
	;;#ASMSTART
	global_load_dwordx4 v[37:40], v[0:1] off glc dlc	
s_waitcnt vmcnt(0)
	;;#ASMEND
	v_cmp_ne_u16_sdwa s6, v39, v45 src0_sel:BYTE_0 src1_sel:DWORD
	s_or_b32 s5, s6, s5
	s_andn2_b32 exec_lo, exec_lo, s5
	s_cbranch_execnz .LBB272_48
; %bb.49:                               ;   in Loop: Header=BB272_43 Depth=1
	s_or_b32 exec_lo, exec_lo, s5
.LBB272_50:                             ;   in Loop: Header=BB272_43 Depth=1
	s_or_b32 exec_lo, exec_lo, s4
	ds_bpermute_b32 v0, v54, v37
	ds_bpermute_b32 v1, v54, v38
	v_cmp_eq_u16_sdwa s4, v39, v64 src0_sel:BYTE_0 src1_sel:DWORD
	s_mov_b32 s33, exec_lo
	v_and_or_b32 v2, s4, v55, 0x80000000
	v_ffbl_b32_e32 v40, v2
	v_cmpx_lt_u32_e64 v52, v40
	s_cbranch_execz .LBB272_52
; %bb.51:                               ;   in Loop: Header=BB272_43 Depth=1
	v_mov_b32_e32 v2, v37
	v_mov_b32_e32 v3, v38
	s_getpc_b64 s[4:5]
	s_add_u32 s4, s4, _ZZZZN2at6native31launch_logcumsumexp_cuda_kernelERKNS_10TensorBaseES3_lENKUlvE_clEvENKUlvE2_clEvENKUlN3c107complexIfEES8_E_clES8_S8_@rel32@lo+4
	s_addc_u32 s5, s5, _ZZZZN2at6native31launch_logcumsumexp_cuda_kernelERKNS_10TensorBaseES3_lENKUlvE_clEvENKUlvE2_clEvENKUlN3c107complexIfEES8_E_clES8_S8_@rel32@hi+12
	s_swappc_b64 s[30:31], s[4:5]
	v_mov_b32_e32 v37, v0
	v_mov_b32_e32 v38, v1
.LBB272_52:                             ;   in Loop: Header=BB272_43 Depth=1
	s_or_b32 exec_lo, exec_lo, s33
	s_waitcnt lgkmcnt(1)
	ds_bpermute_b32 v0, v56, v37
	s_waitcnt lgkmcnt(1)
	ds_bpermute_b32 v1, v56, v38
	s_mov_b32 s33, exec_lo
	v_cmpx_le_u32_e64 v57, v40
	s_cbranch_execz .LBB272_54
; %bb.53:                               ;   in Loop: Header=BB272_43 Depth=1
	v_mov_b32_e32 v2, v37
	v_mov_b32_e32 v3, v38
	s_getpc_b64 s[4:5]
	s_add_u32 s4, s4, _ZZZZN2at6native31launch_logcumsumexp_cuda_kernelERKNS_10TensorBaseES3_lENKUlvE_clEvENKUlvE2_clEvENKUlN3c107complexIfEES8_E_clES8_S8_@rel32@lo+4
	s_addc_u32 s5, s5, _ZZZZN2at6native31launch_logcumsumexp_cuda_kernelERKNS_10TensorBaseES3_lENKUlvE_clEvENKUlvE2_clEvENKUlN3c107complexIfEES8_E_clES8_S8_@rel32@hi+12
	s_swappc_b64 s[30:31], s[4:5]
	v_mov_b32_e32 v37, v0
	v_mov_b32_e32 v38, v1
.LBB272_54:                             ;   in Loop: Header=BB272_43 Depth=1
	s_or_b32 exec_lo, exec_lo, s33
	s_waitcnt lgkmcnt(1)
	ds_bpermute_b32 v0, v58, v37
	s_waitcnt lgkmcnt(1)
	ds_bpermute_b32 v1, v58, v38
	s_mov_b32 s33, exec_lo
	v_cmpx_le_u32_e64 v59, v40
	;; [unrolled: 18-line block ×4, first 2 shown]
	s_cbranch_execz .LBB272_60
; %bb.59:                               ;   in Loop: Header=BB272_43 Depth=1
	v_mov_b32_e32 v2, v37
	v_mov_b32_e32 v3, v38
	s_getpc_b64 s[4:5]
	s_add_u32 s4, s4, _ZZZZN2at6native31launch_logcumsumexp_cuda_kernelERKNS_10TensorBaseES3_lENKUlvE_clEvENKUlvE2_clEvENKUlN3c107complexIfEES8_E_clES8_S8_@rel32@lo+4
	s_addc_u32 s5, s5, _ZZZZN2at6native31launch_logcumsumexp_cuda_kernelERKNS_10TensorBaseES3_lENKUlvE_clEvENKUlvE2_clEvENKUlN3c107complexIfEES8_E_clES8_S8_@rel32@hi+12
	s_swappc_b64 s[30:31], s[4:5]
	v_mov_b32_e32 v37, v0
	v_mov_b32_e32 v38, v1
.LBB272_60:                             ;   in Loop: Header=BB272_43 Depth=1
	s_or_b32 exec_lo, exec_lo, s33
	v_subrev_nc_u32_e32 v40, 32, v44
	s_mov_b32 s4, 0
.LBB272_61:                             ;   in Loop: Header=BB272_43 Depth=1
	s_and_b32 vcc_lo, exec_lo, s4
	s_cbranch_vccnz .LBB272_64
; %bb.62:                               ;   in Loop: Header=BB272_43 Depth=1
	v_mov_b32_e32 v3, v33
	v_mov_b32_e32 v2, v32
	s_branch .LBB272_43
.LBB272_63:
                                        ; implicit-def: $vgpr30
                                        ; implicit-def: $vgpr32
                                        ; implicit-def: $vgpr34_vgpr35
                                        ; implicit-def: $vgpr36_vgpr37
	s_load_dwordx8 s[36:43], s[12:13], 0x40
	s_cbranch_execnz .LBB272_71
	s_branch .LBB272_90
.LBB272_64:
	s_and_saveexec_b32 s29, s16
	s_cbranch_execz .LBB272_66
; %bb.65:
	s_waitcnt lgkmcnt(1)
	v_mov_b32_e32 v0, v32
	s_waitcnt lgkmcnt(0)
	v_mov_b32_e32 v1, v33
	v_mov_b32_e32 v2, v30
	v_mov_b32_e32 v3, v31
	s_getpc_b64 s[4:5]
	s_add_u32 s4, s4, _ZZZZN2at6native31launch_logcumsumexp_cuda_kernelERKNS_10TensorBaseES3_lENKUlvE_clEvENKUlvE2_clEvENKUlN3c107complexIfEES8_E_clES8_S8_@rel32@lo+4
	s_addc_u32 s5, s5, _ZZZZN2at6native31launch_logcumsumexp_cuda_kernelERKNS_10TensorBaseES3_lENKUlvE_clEvENKUlvE2_clEvENKUlN3c107complexIfEES8_E_clES8_S8_@rel32@hi+12
	s_swappc_b64 s[30:31], s[4:5]
	s_add_i32 s4, s11, 32
	s_mov_b32 s5, 0
	v_mov_b32_e32 v2, 2
	s_lshl_b64 s[4:5], s[4:5], 4
	v_mov_b32_e32 v3, 0
	s_add_u32 s4, s24, s4
	s_addc_u32 s5, s25, s5
	v_mov_b32_e32 v4, s4
	v_mov_b32_e32 v5, s5
	;;#ASMSTART
	global_store_dwordx4 v[4:5], v[0:3] off	
s_waitcnt vmcnt(0)
	;;#ASMEND
.LBB272_66:
	s_or_b32 exec_lo, exec_lo, s29
	s_and_b32 exec_lo, exec_lo, s15
	s_cbranch_execz .LBB272_68
; %bb.67:
	s_waitcnt lgkmcnt(1)
	v_mov_b32_e32 v0, 0
	ds_write_b64 v0, v[32:33]
.LBB272_68:
	s_or_b32 exec_lo, exec_lo, s28
	s_waitcnt lgkmcnt(1)
	v_mov_b32_e32 v0, 0
	s_waitcnt lgkmcnt(0)
	s_waitcnt_vscnt null, 0x0
	s_barrier
	buffer_gl0_inv
	v_mov_b32_e32 v2, v22
	ds_read_b64 v[30:31], v0
	v_mov_b32_e32 v3, v23
	s_and_saveexec_b32 s11, s14
	s_cbranch_execz .LBB272_70
; %bb.69:
	v_mov_b32_e32 v0, v42
	v_mov_b32_e32 v1, v43
	;; [unrolled: 1-line block ×4, first 2 shown]
	s_getpc_b64 s[4:5]
	s_add_u32 s4, s4, _ZZZZN2at6native31launch_logcumsumexp_cuda_kernelERKNS_10TensorBaseES3_lENKUlvE_clEvENKUlvE2_clEvENKUlN3c107complexIfEES8_E_clES8_S8_@rel32@lo+4
	s_addc_u32 s5, s5, _ZZZZN2at6native31launch_logcumsumexp_cuda_kernelERKNS_10TensorBaseES3_lENKUlvE_clEvENKUlvE2_clEvENKUlN3c107complexIfEES8_E_clES8_S8_@rel32@hi+12
	s_swappc_b64 s[30:31], s[4:5]
	v_mov_b32_e32 v2, v0
	v_mov_b32_e32 v3, v1
.LBB272_70:
	s_or_b32 exec_lo, exec_lo, s11
	s_waitcnt lgkmcnt(0)
	v_mov_b32_e32 v0, v30
	v_mov_b32_e32 v1, v31
	s_getpc_b64 s[14:15]
	s_add_u32 s14, s14, _ZZZZN2at6native31launch_logcumsumexp_cuda_kernelERKNS_10TensorBaseES3_lENKUlvE_clEvENKUlvE2_clEvENKUlN3c107complexIfEES8_E_clES8_S8_@rel32@lo+4
	s_addc_u32 s15, s15, _ZZZZN2at6native31launch_logcumsumexp_cuda_kernelERKNS_10TensorBaseES3_lENKUlvE_clEvENKUlvE2_clEvENKUlN3c107complexIfEES8_E_clES8_S8_@rel32@hi+12
	s_swappc_b64 s[30:31], s[14:15]
	v_mov_b32_e32 v2, v24
	v_mov_b32_e32 v3, v25
	v_mov_b32_e32 v36, v0
	v_mov_b32_e32 v37, v1
	s_swappc_b64 s[30:31], s[14:15]
	v_mov_b32_e32 v2, v26
	v_mov_b32_e32 v3, v27
	v_mov_b32_e32 v30, v0
	v_mov_b32_e32 v31, v1
	;; [unrolled: 5-line block ×3, first 2 shown]
	s_swappc_b64 s[30:31], s[14:15]
	v_mov_b32_e32 v34, v0
	v_mov_b32_e32 v35, v1
	s_load_dwordx8 s[36:43], s[12:13], 0x40
	s_branch .LBB272_90
.LBB272_71:
	v_cmp_eq_u32_e64 s12, 0, v41
	s_waitcnt lgkmcnt(0)
	s_cmp_lg_u64 s[40:41], 0
	v_cmp_ne_u32_e64 s11, 0, v41
	s_cselect_b32 s4, -1, 0
	s_and_b32 s4, s12, s4
	s_and_saveexec_b32 s13, s4
	s_cbranch_execz .LBB272_73
; %bb.72:
	v_mov_b32_e32 v0, 0
	v_mov_b32_e32 v2, v22
	v_mov_b32_e32 v3, v23
	s_getpc_b64 s[4:5]
	s_add_u32 s4, s4, _ZZZZN2at6native31launch_logcumsumexp_cuda_kernelERKNS_10TensorBaseES3_lENKUlvE_clEvENKUlvE2_clEvENKUlN3c107complexIfEES8_E_clES8_S8_@rel32@lo+4
	s_addc_u32 s5, s5, _ZZZZN2at6native31launch_logcumsumexp_cuda_kernelERKNS_10TensorBaseES3_lENKUlvE_clEvENKUlvE2_clEvENKUlN3c107complexIfEES8_E_clES8_S8_@rel32@hi+12
	global_load_dwordx2 v[0:1], v0, s[36:37]
	s_swappc_b64 s[30:31], s[4:5]
	v_mov_b32_e32 v22, v0
	v_mov_b32_e32 v23, v1
.LBB272_73:
	s_or_b32 exec_lo, exec_lo, s13
	v_mov_b32_e32 v0, v22
	v_mov_b32_e32 v1, v23
	;; [unrolled: 1-line block ×4, first 2 shown]
	s_getpc_b64 s[14:15]
	s_add_u32 s14, s14, _ZZZZN2at6native31launch_logcumsumexp_cuda_kernelERKNS_10TensorBaseES3_lENKUlvE_clEvENKUlvE2_clEvENKUlN3c107complexIfEES8_E_clES8_S8_@rel32@lo+4
	s_addc_u32 s15, s15, _ZZZZN2at6native31launch_logcumsumexp_cuda_kernelERKNS_10TensorBaseES3_lENKUlvE_clEvENKUlvE2_clEvENKUlN3c107complexIfEES8_E_clES8_S8_@rel32@hi+12
	s_swappc_b64 s[30:31], s[14:15]
	v_mov_b32_e32 v2, v26
	v_mov_b32_e32 v3, v27
	;; [unrolled: 1-line block ×4, first 2 shown]
	s_swappc_b64 s[30:31], s[14:15]
	v_mov_b32_e32 v2, v28
	v_mov_b32_e32 v3, v29
	;; [unrolled: 1-line block ×4, first 2 shown]
	s_swappc_b64 s[30:31], s[14:15]
	v_mov_b32_e32 v34, v0
	v_and_b32_e32 v0, 56, v50
	v_mov_b32_e32 v35, v1
	s_mov_b32 s13, exec_lo
	v_lshl_add_u32 v0, v41, 3, v0
	ds_write_b64 v0, v[34:35]
	s_waitcnt lgkmcnt(0)
	s_waitcnt_vscnt null, 0x0
	s_barrier
	buffer_gl0_inv
	v_cmpx_gt_u32_e32 32, v41
	s_cbranch_execz .LBB272_85
; %bb.74:
	v_lshlrev_b32_e32 v0, 1, v41
	v_lshlrev_b32_e32 v1, 6, v41
	v_and_b32_e32 v0, 0x1f8, v0
	v_add_nc_u32_e32 v40, v0, v1
	ds_read_b64 v[36:37], v40
	ds_read2_b64 v[42:45], v40 offset0:1 offset1:2
	s_waitcnt lgkmcnt(1)
	v_mov_b32_e32 v0, v36
	v_mov_b32_e32 v1, v37
	s_waitcnt lgkmcnt(0)
	v_mov_b32_e32 v2, v42
	v_mov_b32_e32 v3, v43
	s_swappc_b64 s[30:31], s[14:15]
	v_mov_b32_e32 v2, v44
	v_mov_b32_e32 v3, v45
	s_swappc_b64 s[30:31], s[14:15]
	ds_read2_b64 v[42:45], v40 offset0:3 offset1:4
	s_waitcnt lgkmcnt(0)
	v_mov_b32_e32 v2, v42
	v_mov_b32_e32 v3, v43
	s_swappc_b64 s[30:31], s[14:15]
	v_mov_b32_e32 v2, v44
	v_mov_b32_e32 v3, v45
	s_swappc_b64 s[30:31], s[14:15]
	ds_read2_b64 v[42:45], v40 offset0:5 offset1:6
	s_waitcnt lgkmcnt(0)
	v_mov_b32_e32 v2, v42
	v_mov_b32_e32 v3, v43
	s_swappc_b64 s[30:31], s[14:15]
	v_mov_b32_e32 v2, v44
	v_mov_b32_e32 v3, v45
	s_swappc_b64 s[30:31], s[14:15]
	ds_read_b64 v[2:3], v40 offset:56
	s_swappc_b64 s[30:31], s[14:15]
	v_mov_b32_e32 v2, v0
	v_mov_b32_e32 v3, v1
	v_mbcnt_lo_u32_b32 v38, -1, 0
	s_mov_b32 s14, exec_lo
	v_mov_b32_dpp v0, v2 row_shr:1 row_mask:0xf bank_mask:0xf
	v_mov_b32_dpp v1, v3 row_shr:1 row_mask:0xf bank_mask:0xf
	v_and_b32_e32 v39, 15, v38
	v_cmpx_ne_u32_e32 0, v39
	s_cbranch_execz .LBB272_76
; %bb.75:
	s_getpc_b64 s[4:5]
	s_add_u32 s4, s4, _ZZZZN2at6native31launch_logcumsumexp_cuda_kernelERKNS_10TensorBaseES3_lENKUlvE_clEvENKUlvE2_clEvENKUlN3c107complexIfEES8_E_clES8_S8_@rel32@lo+4
	s_addc_u32 s5, s5, _ZZZZN2at6native31launch_logcumsumexp_cuda_kernelERKNS_10TensorBaseES3_lENKUlvE_clEvENKUlvE2_clEvENKUlN3c107complexIfEES8_E_clES8_S8_@rel32@hi+12
	s_swappc_b64 s[30:31], s[4:5]
	v_mov_b32_e32 v2, v0
	v_mov_b32_e32 v3, v1
.LBB272_76:
	s_or_b32 exec_lo, exec_lo, s14
	v_mov_b32_dpp v0, v2 row_shr:2 row_mask:0xf bank_mask:0xf
	v_mov_b32_dpp v1, v3 row_shr:2 row_mask:0xf bank_mask:0xf
	s_mov_b32 s14, exec_lo
	v_cmpx_lt_u32_e32 1, v39
	s_cbranch_execz .LBB272_78
; %bb.77:
	s_getpc_b64 s[4:5]
	s_add_u32 s4, s4, _ZZZZN2at6native31launch_logcumsumexp_cuda_kernelERKNS_10TensorBaseES3_lENKUlvE_clEvENKUlvE2_clEvENKUlN3c107complexIfEES8_E_clES8_S8_@rel32@lo+4
	s_addc_u32 s5, s5, _ZZZZN2at6native31launch_logcumsumexp_cuda_kernelERKNS_10TensorBaseES3_lENKUlvE_clEvENKUlvE2_clEvENKUlN3c107complexIfEES8_E_clES8_S8_@rel32@hi+12
	s_swappc_b64 s[30:31], s[4:5]
	v_mov_b32_e32 v2, v0
	v_mov_b32_e32 v3, v1
.LBB272_78:
	s_or_b32 exec_lo, exec_lo, s14
	v_mov_b32_dpp v0, v2 row_shr:4 row_mask:0xf bank_mask:0xf
	v_mov_b32_dpp v1, v3 row_shr:4 row_mask:0xf bank_mask:0xf
	s_mov_b32 s14, exec_lo
	v_cmpx_lt_u32_e32 3, v39
	;; [unrolled: 14-line block ×3, first 2 shown]
	s_cbranch_execz .LBB272_82
; %bb.81:
	s_getpc_b64 s[4:5]
	s_add_u32 s4, s4, _ZZZZN2at6native31launch_logcumsumexp_cuda_kernelERKNS_10TensorBaseES3_lENKUlvE_clEvENKUlvE2_clEvENKUlN3c107complexIfEES8_E_clES8_S8_@rel32@lo+4
	s_addc_u32 s5, s5, _ZZZZN2at6native31launch_logcumsumexp_cuda_kernelERKNS_10TensorBaseES3_lENKUlvE_clEvENKUlvE2_clEvENKUlN3c107complexIfEES8_E_clES8_S8_@rel32@hi+12
	s_swappc_b64 s[30:31], s[4:5]
	v_mov_b32_e32 v2, v0
	v_mov_b32_e32 v3, v1
.LBB272_82:
	s_or_b32 exec_lo, exec_lo, s14
	ds_swizzle_b32 v0, v2 offset:swizzle(BROADCAST,32,15)
	ds_swizzle_b32 v1, v3 offset:swizzle(BROADCAST,32,15)
	v_and_b32_e32 v4, 16, v38
	s_mov_b32 s14, exec_lo
	v_cmpx_ne_u32_e32 0, v4
	s_cbranch_execz .LBB272_84
; %bb.83:
	s_getpc_b64 s[4:5]
	s_add_u32 s4, s4, _ZZZZN2at6native31launch_logcumsumexp_cuda_kernelERKNS_10TensorBaseES3_lENKUlvE_clEvENKUlvE2_clEvENKUlN3c107complexIfEES8_E_clES8_S8_@rel32@lo+4
	s_addc_u32 s5, s5, _ZZZZN2at6native31launch_logcumsumexp_cuda_kernelERKNS_10TensorBaseES3_lENKUlvE_clEvENKUlvE2_clEvENKUlN3c107complexIfEES8_E_clES8_S8_@rel32@hi+12
	s_swappc_b64 s[30:31], s[4:5]
	v_mov_b32_e32 v2, v0
	v_mov_b32_e32 v3, v1
.LBB272_84:
	s_or_b32 exec_lo, exec_lo, s14
	s_waitcnt lgkmcnt(1)
	v_add_nc_u32_e32 v0, -1, v38
	s_getpc_b64 s[14:15]
	s_add_u32 s14, s14, _ZZZZN2at6native31launch_logcumsumexp_cuda_kernelERKNS_10TensorBaseES3_lENKUlvE_clEvENKUlvE2_clEvENKUlN3c107complexIfEES8_E_clES8_S8_@rel32@lo+4
	s_addc_u32 s15, s15, _ZZZZN2at6native31launch_logcumsumexp_cuda_kernelERKNS_10TensorBaseES3_lENKUlvE_clEvENKUlvE2_clEvENKUlN3c107complexIfEES8_E_clES8_S8_@rel32@hi+12
	v_cmp_gt_i32_e32 vcc_lo, 0, v0
	v_cndmask_b32_e32 v0, v0, v38, vcc_lo
	s_waitcnt lgkmcnt(0)
	v_lshlrev_b32_e32 v1, 2, v0
	ds_bpermute_b32 v0, v1, v2
	ds_bpermute_b32 v1, v1, v3
	v_mov_b32_e32 v2, v36
	v_mov_b32_e32 v3, v37
	s_swappc_b64 s[30:31], s[14:15]
	v_cndmask_b32_e64 v0, v0, v34, s12
	v_cndmask_b32_e64 v1, v1, v35, s12
	; wave barrier
	ds_write_b64 v40, v[0:1]
	; wave barrier
	ds_read2_b64 v[36:39], v40 offset0:1 offset1:2
	s_waitcnt lgkmcnt(0)
	v_mov_b32_e32 v2, v36
	v_mov_b32_e32 v3, v37
	s_swappc_b64 s[30:31], s[14:15]
	v_mov_b32_e32 v2, v38
	v_mov_b32_e32 v3, v39
	;; [unrolled: 1-line block ×4, first 2 shown]
	s_swappc_b64 s[30:31], s[14:15]
	ds_read2_b64 v[36:39], v40 offset0:3 offset1:4
	ds_write2_b64 v40, v[42:43], v[0:1] offset0:1 offset1:2
	s_waitcnt lgkmcnt(1)
	v_mov_b32_e32 v2, v36
	v_mov_b32_e32 v3, v37
	s_swappc_b64 s[30:31], s[14:15]
	v_mov_b32_e32 v2, v38
	v_mov_b32_e32 v3, v39
	;; [unrolled: 1-line block ×4, first 2 shown]
	s_swappc_b64 s[30:31], s[14:15]
	ds_read2_b64 v[36:39], v40 offset0:5 offset1:6
	ds_write2_b64 v40, v[42:43], v[0:1] offset0:3 offset1:4
	s_waitcnt lgkmcnt(1)
	v_mov_b32_e32 v2, v36
	v_mov_b32_e32 v3, v37
	s_swappc_b64 s[30:31], s[14:15]
	v_mov_b32_e32 v2, v38
	v_mov_b32_e32 v3, v39
	;; [unrolled: 1-line block ×4, first 2 shown]
	s_swappc_b64 s[30:31], s[14:15]
	ds_read_b64 v[2:3], v40 offset:56
	ds_write2_b64 v40, v[36:37], v[0:1] offset0:5 offset1:6
	s_swappc_b64 s[30:31], s[14:15]
	ds_write_b64 v40, v[0:1] offset:56
.LBB272_85:
	s_or_b32 exec_lo, exec_lo, s13
	s_waitcnt lgkmcnt(0)
	s_waitcnt_vscnt null, 0x0
	s_barrier
	buffer_gl0_inv
	s_and_saveexec_b32 s12, s11
	s_cbranch_execz .LBB272_87
; %bb.86:
	v_add_nc_u32_e32 v0, -1, v41
	v_mov_b32_e32 v2, v22
	v_mov_b32_e32 v3, v23
	s_getpc_b64 s[14:15]
	s_add_u32 s14, s14, _ZZZZN2at6native31launch_logcumsumexp_cuda_kernelERKNS_10TensorBaseES3_lENKUlvE_clEvENKUlvE2_clEvENKUlN3c107complexIfEES8_E_clES8_S8_@rel32@lo+4
	s_addc_u32 s15, s15, _ZZZZN2at6native31launch_logcumsumexp_cuda_kernelERKNS_10TensorBaseES3_lENKUlvE_clEvENKUlvE2_clEvENKUlN3c107complexIfEES8_E_clES8_S8_@rel32@hi+12
	v_lshrrev_b32_e32 v1, 2, v0
	v_and_b32_e32 v1, 0x3ffffff8, v1
	v_lshl_add_u32 v0, v0, 3, v1
	ds_read_b64 v[0:1], v0
	s_swappc_b64 s[30:31], s[14:15]
	v_mov_b32_e32 v2, v24
	v_mov_b32_e32 v3, v25
	;; [unrolled: 1-line block ×4, first 2 shown]
	;;#ASMSTART
	;;#ASMEND
	s_swappc_b64 s[30:31], s[14:15]
	v_mov_b32_e32 v2, v26
	v_mov_b32_e32 v3, v27
	;; [unrolled: 1-line block ×4, first 2 shown]
	s_swappc_b64 s[30:31], s[14:15]
	v_mov_b32_e32 v2, v28
	v_mov_b32_e32 v3, v29
	;; [unrolled: 1-line block ×4, first 2 shown]
	s_swappc_b64 s[30:31], s[14:15]
	v_mov_b32_e32 v34, v0
	v_mov_b32_e32 v35, v1
.LBB272_87:
	s_or_b32 exec_lo, exec_lo, s12
	s_mov_b32 s4, exec_lo
	v_cmpx_eq_u32_e32 0xff, v41
	s_cbranch_execz .LBB272_89
; %bb.88:
	s_add_u32 s6, s24, 0x200
	s_addc_u32 s7, s25, 0
	v_mov_b32_e32 v4, s6
	v_mov_b32_e32 v2, 2
	v_mov_b32_e32 v3, 0
	v_mov_b32_e32 v0, v34
	v_mov_b32_e32 v1, v35
	v_mov_b32_e32 v5, s7
	;;#ASMSTART
	global_store_dwordx4 v[4:5], v[0:3] off	
s_waitcnt vmcnt(0)
	;;#ASMEND
.LBB272_89:
	s_or_b32 exec_lo, exec_lo, s4
	v_mov_b32_e32 v36, v22
	v_mov_b32_e32 v37, v23
.LBB272_90:
	s_add_u32 s4, s20, s18
	s_addc_u32 s5, s21, s19
	s_add_u32 s4, s4, s22
	s_addc_u32 s5, s5, s23
	s_and_b32 vcc_lo, exec_lo, s27
	s_mov_b32 s6, -1
	s_waitcnt lgkmcnt(0)
	s_waitcnt_vscnt null, 0x0
	s_barrier
	buffer_gl0_inv
	s_cbranch_vccz .LBB272_92
; %bb.91:
	v_lshrrev_b32_e32 v0, 2, v48
	v_lshrrev_b32_e32 v1, 2, v47
	;; [unrolled: 1-line block ×3, first 2 shown]
	v_and_b32_e32 v3, 56, v50
	ds_write2_b64 v51, v[36:37], v[30:31] offset1:1
	ds_write2_b64 v51, v[32:33], v[34:35] offset0:2 offset1:3
	v_and_b32_e32 v0, 0x78, v0
	v_and_b32_e32 v1, 0xb8, v1
	;; [unrolled: 1-line block ×3, first 2 shown]
	v_add_nc_u32_e32 v3, v3, v49
	s_waitcnt lgkmcnt(0)
	v_add_nc_u32_e32 v4, v0, v49
	v_add_nc_u32_e32 v5, v1, v49
	;; [unrolled: 1-line block ×3, first 2 shown]
	s_barrier
	buffer_gl0_inv
	ds_read_b64 v[0:1], v3
	ds_read_b64 v[2:3], v4 offset:2048
	ds_read_b64 v[4:5], v5 offset:4096
	;; [unrolled: 1-line block ×3, first 2 shown]
	v_add_co_u32 v10, s6, s4, v49
	v_add_co_ci_u32_e64 v11, null, s5, 0, s6
	s_mov_b32 s6, 0
	v_add_co_u32 v8, vcc_lo, v10, 0x1000
	v_add_co_ci_u32_e64 v9, null, 0, v11, vcc_lo
	v_add_co_u32 v10, vcc_lo, 0x1800, v10
	v_add_co_ci_u32_e64 v11, null, 0, v11, vcc_lo
	s_waitcnt lgkmcnt(3)
	global_store_dwordx2 v49, v[0:1], s[4:5]
	s_waitcnt lgkmcnt(2)
	global_store_dwordx2 v[8:9], v[2:3], off offset:-2048
	s_waitcnt lgkmcnt(1)
	global_store_dwordx2 v[8:9], v[4:5], off
	s_waitcnt lgkmcnt(0)
	global_store_dwordx2 v[10:11], v[6:7], off
.LBB272_92:
	s_andn2_b32 vcc_lo, exec_lo, s6
	s_cbranch_vccnz .LBB272_98
; %bb.93:
	v_lshrrev_b32_e32 v0, 2, v48
	v_lshrrev_b32_e32 v1, 2, v47
	;; [unrolled: 1-line block ×3, first 2 shown]
	v_and_b32_e32 v3, 56, v50
	ds_write2_b64 v51, v[36:37], v[30:31] offset1:1
	ds_write2_b64 v51, v[32:33], v[34:35] offset0:2 offset1:3
	v_and_b32_e32 v0, 0x78, v0
	v_and_b32_e32 v1, 0xb8, v1
	;; [unrolled: 1-line block ×3, first 2 shown]
	v_add_nc_u32_e32 v10, v3, v49
	s_waitcnt lgkmcnt(0)
	s_waitcnt_vscnt null, 0x0
	v_add_nc_u32_e32 v0, v0, v49
	v_add_nc_u32_e32 v4, v1, v49
	;; [unrolled: 1-line block ×3, first 2 shown]
	s_barrier
	buffer_gl0_inv
	ds_read_b64 v[2:3], v10
	ds_read_b64 v[0:1], v0 offset:2048
	ds_read_b64 v[4:5], v4 offset:4096
	ds_read_b64 v[6:7], v6 offset:6144
	v_add_co_u32 v8, s4, s4, v49
	v_mov_b32_e32 v42, 0
	v_add_co_ci_u32_e64 v9, null, s5, 0, s4
	s_mov_b32 s4, exec_lo
	v_cmpx_gt_u32_e64 s17, v41
	s_cbranch_execnz .LBB272_99
; %bb.94:
	s_or_b32 exec_lo, exec_lo, s4
	s_mov_b32 s4, exec_lo
	v_cmpx_gt_u32_e64 s17, v48
	s_cbranch_execnz .LBB272_100
.LBB272_95:
	s_or_b32 exec_lo, exec_lo, s4
	s_mov_b32 s4, exec_lo
	v_cmpx_gt_u32_e64 s17, v47
	s_cbranch_execnz .LBB272_101
.LBB272_96:
	s_or_b32 exec_lo, exec_lo, s4
	s_mov_b32 s4, exec_lo
	v_cmpx_gt_u32_e64 s17, v46
	s_cbranch_execnz .LBB272_102
.LBB272_97:
	s_or_b32 exec_lo, exec_lo, s4
	v_cmp_lt_u64_e64 s4, s[42:43], 2
	s_and_b32 vcc_lo, exec_lo, s4
	s_cbranch_vccz .LBB272_103
.LBB272_98:
	s_endpgm
.LBB272_99:
	ds_read_b64 v[10:11], v10
	s_waitcnt lgkmcnt(0)
	global_store_dwordx2 v[8:9], v[10:11], off
	s_or_b32 exec_lo, exec_lo, s4
	s_mov_b32 s4, exec_lo
	v_cmpx_gt_u32_e64 s17, v48
	s_cbranch_execz .LBB272_95
.LBB272_100:
	v_add_co_u32 v10, vcc_lo, 0x800, v8
	v_add_co_ci_u32_e64 v11, null, 0, v9, vcc_lo
	s_waitcnt lgkmcnt(2)
	global_store_dwordx2 v[10:11], v[0:1], off
	s_or_b32 exec_lo, exec_lo, s4
	s_mov_b32 s4, exec_lo
	v_cmpx_gt_u32_e64 s17, v47
	s_cbranch_execz .LBB272_96
.LBB272_101:
	v_add_co_u32 v10, vcc_lo, 0x1000, v8
	v_add_co_ci_u32_e64 v11, null, 0, v9, vcc_lo
	s_waitcnt lgkmcnt(1)
	global_store_dwordx2 v[10:11], v[4:5], off
	s_or_b32 exec_lo, exec_lo, s4
	s_mov_b32 s4, exec_lo
	v_cmpx_gt_u32_e64 s17, v46
	s_cbranch_execz .LBB272_97
.LBB272_102:
	v_add_co_u32 v8, vcc_lo, 0x1800, v8
	v_add_co_ci_u32_e64 v9, null, 0, v9, vcc_lo
	s_waitcnt lgkmcnt(0)
	global_store_dwordx2 v[8:9], v[6:7], off
	s_or_b32 exec_lo, exec_lo, s4
	v_cmp_lt_u64_e64 s4, s[42:43], 2
	s_and_b32 vcc_lo, exec_lo, s4
	s_cbranch_vccnz .LBB272_98
.LBB272_103:
	s_add_u32 s4, s17, -1
	s_addc_u32 s5, s26, -1
	s_lshr_b64 s[6:7], s[4:5], 2
	s_mov_b32 s5, exec_lo
	v_cmpx_eq_u64_e64 s[6:7], v[41:42]
	s_cbranch_execz .LBB272_98
; %bb.104:
	s_and_b32 s4, s4, 3
	s_mov_b32 s5, 0
	v_cmp_lt_i64_e64 s6, s[4:5], 2
	s_and_b32 vcc_lo, exec_lo, s6
	s_mov_b32 s6, -1
	s_cbranch_vccnz .LBB272_110
; %bb.105:
	v_cmp_gt_i64_e64 s6, s[4:5], 2
	s_and_b32 vcc_lo, exec_lo, s6
	s_mov_b32 s6, -1
	s_cbranch_vccz .LBB272_107
; %bb.106:
	v_mov_b32_e32 v8, 0
	s_mov_b32 s6, 0
	s_waitcnt lgkmcnt(0)
	global_store_dwordx2 v8, v[6:7], s[38:39]
.LBB272_107:
	s_andn2_b32 vcc_lo, exec_lo, s6
	s_cbranch_vccnz .LBB272_109
; %bb.108:
	s_waitcnt lgkmcnt(0)
	v_mov_b32_e32 v6, 0
	global_store_dwordx2 v6, v[4:5], s[38:39]
.LBB272_109:
	s_mov_b32 s6, 0
.LBB272_110:
	s_andn2_b32 vcc_lo, exec_lo, s6
	s_cbranch_vccnz .LBB272_98
; %bb.111:
	s_cmp_eq_u64 s[4:5], 1
	s_mov_b32 s4, -1
	s_cbranch_scc1 .LBB272_113
; %bb.112:
	s_waitcnt lgkmcnt(1)
	v_mov_b32_e32 v4, 0
	s_mov_b32 s4, 0
	global_store_dwordx2 v4, v[2:3], s[38:39]
.LBB272_113:
	s_andn2_b32 vcc_lo, exec_lo, s4
	s_cbranch_vccnz .LBB272_98
; %bb.114:
	s_waitcnt lgkmcnt(3)
	v_mov_b32_e32 v2, 0
	s_waitcnt lgkmcnt(2)
	global_store_dwordx2 v2, v[0:1], s[38:39]
	s_endpgm
	.section	.rodata,"a",@progbits
	.p2align	6, 0x0
	.amdhsa_kernel _ZN7rocprim17ROCPRIM_400000_NS6detail17trampoline_kernelINS0_14default_configENS1_20scan_config_selectorIN3c107complexIfEEEEZZNS1_9scan_implILNS1_25lookback_scan_determinismE0ELb0ELb0ES3_PKS7_PS7_S7_ZZZN2at6native31launch_logcumsumexp_cuda_kernelERKNSE_10TensorBaseESI_lENKUlvE_clEvENKUlvE2_clEvEUlS7_S7_E_S7_EEDaPvRmT3_T4_T5_mT6_P12ihipStream_tbENKUlT_T0_E_clISt17integral_constantIbLb0EESZ_EEDaSU_SV_EUlSU_E_NS1_11comp_targetILNS1_3genE8ELNS1_11target_archE1030ELNS1_3gpuE2ELNS1_3repE0EEENS1_30default_config_static_selectorELNS0_4arch9wavefront6targetE0EEEvT1_
		.amdhsa_group_segment_fixed_size 8448
		.amdhsa_private_segment_fixed_size 0
		.amdhsa_kernarg_size 104
		.amdhsa_user_sgpr_count 6
		.amdhsa_user_sgpr_private_segment_buffer 1
		.amdhsa_user_sgpr_dispatch_ptr 0
		.amdhsa_user_sgpr_queue_ptr 0
		.amdhsa_user_sgpr_kernarg_segment_ptr 1
		.amdhsa_user_sgpr_dispatch_id 0
		.amdhsa_user_sgpr_flat_scratch_init 0
		.amdhsa_user_sgpr_private_segment_size 0
		.amdhsa_wavefront_size32 1
		.amdhsa_uses_dynamic_stack 0
		.amdhsa_system_sgpr_private_segment_wavefront_offset 0
		.amdhsa_system_sgpr_workgroup_id_x 1
		.amdhsa_system_sgpr_workgroup_id_y 0
		.amdhsa_system_sgpr_workgroup_id_z 0
		.amdhsa_system_sgpr_workgroup_info 0
		.amdhsa_system_vgpr_workitem_id 0
		.amdhsa_next_free_vgpr 65
		.amdhsa_next_free_sgpr 44
		.amdhsa_reserve_vcc 1
		.amdhsa_reserve_flat_scratch 0
		.amdhsa_float_round_mode_32 0
		.amdhsa_float_round_mode_16_64 0
		.amdhsa_float_denorm_mode_32 3
		.amdhsa_float_denorm_mode_16_64 3
		.amdhsa_dx10_clamp 1
		.amdhsa_ieee_mode 1
		.amdhsa_fp16_overflow 0
		.amdhsa_workgroup_processor_mode 1
		.amdhsa_memory_ordered 1
		.amdhsa_forward_progress 1
		.amdhsa_shared_vgpr_count 0
		.amdhsa_exception_fp_ieee_invalid_op 0
		.amdhsa_exception_fp_denorm_src 0
		.amdhsa_exception_fp_ieee_div_zero 0
		.amdhsa_exception_fp_ieee_overflow 0
		.amdhsa_exception_fp_ieee_underflow 0
		.amdhsa_exception_fp_ieee_inexact 0
		.amdhsa_exception_int_div_zero 0
	.end_amdhsa_kernel
	.section	.text._ZN7rocprim17ROCPRIM_400000_NS6detail17trampoline_kernelINS0_14default_configENS1_20scan_config_selectorIN3c107complexIfEEEEZZNS1_9scan_implILNS1_25lookback_scan_determinismE0ELb0ELb0ES3_PKS7_PS7_S7_ZZZN2at6native31launch_logcumsumexp_cuda_kernelERKNSE_10TensorBaseESI_lENKUlvE_clEvENKUlvE2_clEvEUlS7_S7_E_S7_EEDaPvRmT3_T4_T5_mT6_P12ihipStream_tbENKUlT_T0_E_clISt17integral_constantIbLb0EESZ_EEDaSU_SV_EUlSU_E_NS1_11comp_targetILNS1_3genE8ELNS1_11target_archE1030ELNS1_3gpuE2ELNS1_3repE0EEENS1_30default_config_static_selectorELNS0_4arch9wavefront6targetE0EEEvT1_,"axG",@progbits,_ZN7rocprim17ROCPRIM_400000_NS6detail17trampoline_kernelINS0_14default_configENS1_20scan_config_selectorIN3c107complexIfEEEEZZNS1_9scan_implILNS1_25lookback_scan_determinismE0ELb0ELb0ES3_PKS7_PS7_S7_ZZZN2at6native31launch_logcumsumexp_cuda_kernelERKNSE_10TensorBaseESI_lENKUlvE_clEvENKUlvE2_clEvEUlS7_S7_E_S7_EEDaPvRmT3_T4_T5_mT6_P12ihipStream_tbENKUlT_T0_E_clISt17integral_constantIbLb0EESZ_EEDaSU_SV_EUlSU_E_NS1_11comp_targetILNS1_3genE8ELNS1_11target_archE1030ELNS1_3gpuE2ELNS1_3repE0EEENS1_30default_config_static_selectorELNS0_4arch9wavefront6targetE0EEEvT1_,comdat
.Lfunc_end272:
	.size	_ZN7rocprim17ROCPRIM_400000_NS6detail17trampoline_kernelINS0_14default_configENS1_20scan_config_selectorIN3c107complexIfEEEEZZNS1_9scan_implILNS1_25lookback_scan_determinismE0ELb0ELb0ES3_PKS7_PS7_S7_ZZZN2at6native31launch_logcumsumexp_cuda_kernelERKNSE_10TensorBaseESI_lENKUlvE_clEvENKUlvE2_clEvEUlS7_S7_E_S7_EEDaPvRmT3_T4_T5_mT6_P12ihipStream_tbENKUlT_T0_E_clISt17integral_constantIbLb0EESZ_EEDaSU_SV_EUlSU_E_NS1_11comp_targetILNS1_3genE8ELNS1_11target_archE1030ELNS1_3gpuE2ELNS1_3repE0EEENS1_30default_config_static_selectorELNS0_4arch9wavefront6targetE0EEEvT1_, .Lfunc_end272-_ZN7rocprim17ROCPRIM_400000_NS6detail17trampoline_kernelINS0_14default_configENS1_20scan_config_selectorIN3c107complexIfEEEEZZNS1_9scan_implILNS1_25lookback_scan_determinismE0ELb0ELb0ES3_PKS7_PS7_S7_ZZZN2at6native31launch_logcumsumexp_cuda_kernelERKNSE_10TensorBaseESI_lENKUlvE_clEvENKUlvE2_clEvEUlS7_S7_E_S7_EEDaPvRmT3_T4_T5_mT6_P12ihipStream_tbENKUlT_T0_E_clISt17integral_constantIbLb0EESZ_EEDaSU_SV_EUlSU_E_NS1_11comp_targetILNS1_3genE8ELNS1_11target_archE1030ELNS1_3gpuE2ELNS1_3repE0EEENS1_30default_config_static_selectorELNS0_4arch9wavefront6targetE0EEEvT1_
                                        ; -- End function
	.set _ZN7rocprim17ROCPRIM_400000_NS6detail17trampoline_kernelINS0_14default_configENS1_20scan_config_selectorIN3c107complexIfEEEEZZNS1_9scan_implILNS1_25lookback_scan_determinismE0ELb0ELb0ES3_PKS7_PS7_S7_ZZZN2at6native31launch_logcumsumexp_cuda_kernelERKNSE_10TensorBaseESI_lENKUlvE_clEvENKUlvE2_clEvEUlS7_S7_E_S7_EEDaPvRmT3_T4_T5_mT6_P12ihipStream_tbENKUlT_T0_E_clISt17integral_constantIbLb0EESZ_EEDaSU_SV_EUlSU_E_NS1_11comp_targetILNS1_3genE8ELNS1_11target_archE1030ELNS1_3gpuE2ELNS1_3repE0EEENS1_30default_config_static_selectorELNS0_4arch9wavefront6targetE0EEEvT1_.num_vgpr, max(65, .L_ZZZZN2at6native31launch_logcumsumexp_cuda_kernelERKNS_10TensorBaseES3_lENKUlvE_clEvENKUlvE2_clEvENKUlN3c107complexIfEES8_E_clES8_S8_.num_vgpr)
	.set _ZN7rocprim17ROCPRIM_400000_NS6detail17trampoline_kernelINS0_14default_configENS1_20scan_config_selectorIN3c107complexIfEEEEZZNS1_9scan_implILNS1_25lookback_scan_determinismE0ELb0ELb0ES3_PKS7_PS7_S7_ZZZN2at6native31launch_logcumsumexp_cuda_kernelERKNSE_10TensorBaseESI_lENKUlvE_clEvENKUlvE2_clEvEUlS7_S7_E_S7_EEDaPvRmT3_T4_T5_mT6_P12ihipStream_tbENKUlT_T0_E_clISt17integral_constantIbLb0EESZ_EEDaSU_SV_EUlSU_E_NS1_11comp_targetILNS1_3genE8ELNS1_11target_archE1030ELNS1_3gpuE2ELNS1_3repE0EEENS1_30default_config_static_selectorELNS0_4arch9wavefront6targetE0EEEvT1_.num_agpr, max(0, .L_ZZZZN2at6native31launch_logcumsumexp_cuda_kernelERKNS_10TensorBaseES3_lENKUlvE_clEvENKUlvE2_clEvENKUlN3c107complexIfEES8_E_clES8_S8_.num_agpr)
	.set _ZN7rocprim17ROCPRIM_400000_NS6detail17trampoline_kernelINS0_14default_configENS1_20scan_config_selectorIN3c107complexIfEEEEZZNS1_9scan_implILNS1_25lookback_scan_determinismE0ELb0ELb0ES3_PKS7_PS7_S7_ZZZN2at6native31launch_logcumsumexp_cuda_kernelERKNSE_10TensorBaseESI_lENKUlvE_clEvENKUlvE2_clEvEUlS7_S7_E_S7_EEDaPvRmT3_T4_T5_mT6_P12ihipStream_tbENKUlT_T0_E_clISt17integral_constantIbLb0EESZ_EEDaSU_SV_EUlSU_E_NS1_11comp_targetILNS1_3genE8ELNS1_11target_archE1030ELNS1_3gpuE2ELNS1_3repE0EEENS1_30default_config_static_selectorELNS0_4arch9wavefront6targetE0EEEvT1_.numbered_sgpr, max(44, .L_ZZZZN2at6native31launch_logcumsumexp_cuda_kernelERKNS_10TensorBaseES3_lENKUlvE_clEvENKUlvE2_clEvENKUlN3c107complexIfEES8_E_clES8_S8_.numbered_sgpr)
	.set _ZN7rocprim17ROCPRIM_400000_NS6detail17trampoline_kernelINS0_14default_configENS1_20scan_config_selectorIN3c107complexIfEEEEZZNS1_9scan_implILNS1_25lookback_scan_determinismE0ELb0ELb0ES3_PKS7_PS7_S7_ZZZN2at6native31launch_logcumsumexp_cuda_kernelERKNSE_10TensorBaseESI_lENKUlvE_clEvENKUlvE2_clEvEUlS7_S7_E_S7_EEDaPvRmT3_T4_T5_mT6_P12ihipStream_tbENKUlT_T0_E_clISt17integral_constantIbLb0EESZ_EEDaSU_SV_EUlSU_E_NS1_11comp_targetILNS1_3genE8ELNS1_11target_archE1030ELNS1_3gpuE2ELNS1_3repE0EEENS1_30default_config_static_selectorELNS0_4arch9wavefront6targetE0EEEvT1_.num_named_barrier, max(0, .L_ZZZZN2at6native31launch_logcumsumexp_cuda_kernelERKNS_10TensorBaseES3_lENKUlvE_clEvENKUlvE2_clEvENKUlN3c107complexIfEES8_E_clES8_S8_.num_named_barrier)
	.set _ZN7rocprim17ROCPRIM_400000_NS6detail17trampoline_kernelINS0_14default_configENS1_20scan_config_selectorIN3c107complexIfEEEEZZNS1_9scan_implILNS1_25lookback_scan_determinismE0ELb0ELb0ES3_PKS7_PS7_S7_ZZZN2at6native31launch_logcumsumexp_cuda_kernelERKNSE_10TensorBaseESI_lENKUlvE_clEvENKUlvE2_clEvEUlS7_S7_E_S7_EEDaPvRmT3_T4_T5_mT6_P12ihipStream_tbENKUlT_T0_E_clISt17integral_constantIbLb0EESZ_EEDaSU_SV_EUlSU_E_NS1_11comp_targetILNS1_3genE8ELNS1_11target_archE1030ELNS1_3gpuE2ELNS1_3repE0EEENS1_30default_config_static_selectorELNS0_4arch9wavefront6targetE0EEEvT1_.private_seg_size, 0+max(.L_ZZZZN2at6native31launch_logcumsumexp_cuda_kernelERKNS_10TensorBaseES3_lENKUlvE_clEvENKUlvE2_clEvENKUlN3c107complexIfEES8_E_clES8_S8_.private_seg_size)
	.set _ZN7rocprim17ROCPRIM_400000_NS6detail17trampoline_kernelINS0_14default_configENS1_20scan_config_selectorIN3c107complexIfEEEEZZNS1_9scan_implILNS1_25lookback_scan_determinismE0ELb0ELb0ES3_PKS7_PS7_S7_ZZZN2at6native31launch_logcumsumexp_cuda_kernelERKNSE_10TensorBaseESI_lENKUlvE_clEvENKUlvE2_clEvEUlS7_S7_E_S7_EEDaPvRmT3_T4_T5_mT6_P12ihipStream_tbENKUlT_T0_E_clISt17integral_constantIbLb0EESZ_EEDaSU_SV_EUlSU_E_NS1_11comp_targetILNS1_3genE8ELNS1_11target_archE1030ELNS1_3gpuE2ELNS1_3repE0EEENS1_30default_config_static_selectorELNS0_4arch9wavefront6targetE0EEEvT1_.uses_vcc, or(1, .L_ZZZZN2at6native31launch_logcumsumexp_cuda_kernelERKNS_10TensorBaseES3_lENKUlvE_clEvENKUlvE2_clEvENKUlN3c107complexIfEES8_E_clES8_S8_.uses_vcc)
	.set _ZN7rocprim17ROCPRIM_400000_NS6detail17trampoline_kernelINS0_14default_configENS1_20scan_config_selectorIN3c107complexIfEEEEZZNS1_9scan_implILNS1_25lookback_scan_determinismE0ELb0ELb0ES3_PKS7_PS7_S7_ZZZN2at6native31launch_logcumsumexp_cuda_kernelERKNSE_10TensorBaseESI_lENKUlvE_clEvENKUlvE2_clEvEUlS7_S7_E_S7_EEDaPvRmT3_T4_T5_mT6_P12ihipStream_tbENKUlT_T0_E_clISt17integral_constantIbLb0EESZ_EEDaSU_SV_EUlSU_E_NS1_11comp_targetILNS1_3genE8ELNS1_11target_archE1030ELNS1_3gpuE2ELNS1_3repE0EEENS1_30default_config_static_selectorELNS0_4arch9wavefront6targetE0EEEvT1_.uses_flat_scratch, or(0, .L_ZZZZN2at6native31launch_logcumsumexp_cuda_kernelERKNS_10TensorBaseES3_lENKUlvE_clEvENKUlvE2_clEvENKUlN3c107complexIfEES8_E_clES8_S8_.uses_flat_scratch)
	.set _ZN7rocprim17ROCPRIM_400000_NS6detail17trampoline_kernelINS0_14default_configENS1_20scan_config_selectorIN3c107complexIfEEEEZZNS1_9scan_implILNS1_25lookback_scan_determinismE0ELb0ELb0ES3_PKS7_PS7_S7_ZZZN2at6native31launch_logcumsumexp_cuda_kernelERKNSE_10TensorBaseESI_lENKUlvE_clEvENKUlvE2_clEvEUlS7_S7_E_S7_EEDaPvRmT3_T4_T5_mT6_P12ihipStream_tbENKUlT_T0_E_clISt17integral_constantIbLb0EESZ_EEDaSU_SV_EUlSU_E_NS1_11comp_targetILNS1_3genE8ELNS1_11target_archE1030ELNS1_3gpuE2ELNS1_3repE0EEENS1_30default_config_static_selectorELNS0_4arch9wavefront6targetE0EEEvT1_.has_dyn_sized_stack, or(0, .L_ZZZZN2at6native31launch_logcumsumexp_cuda_kernelERKNS_10TensorBaseES3_lENKUlvE_clEvENKUlvE2_clEvENKUlN3c107complexIfEES8_E_clES8_S8_.has_dyn_sized_stack)
	.set _ZN7rocprim17ROCPRIM_400000_NS6detail17trampoline_kernelINS0_14default_configENS1_20scan_config_selectorIN3c107complexIfEEEEZZNS1_9scan_implILNS1_25lookback_scan_determinismE0ELb0ELb0ES3_PKS7_PS7_S7_ZZZN2at6native31launch_logcumsumexp_cuda_kernelERKNSE_10TensorBaseESI_lENKUlvE_clEvENKUlvE2_clEvEUlS7_S7_E_S7_EEDaPvRmT3_T4_T5_mT6_P12ihipStream_tbENKUlT_T0_E_clISt17integral_constantIbLb0EESZ_EEDaSU_SV_EUlSU_E_NS1_11comp_targetILNS1_3genE8ELNS1_11target_archE1030ELNS1_3gpuE2ELNS1_3repE0EEENS1_30default_config_static_selectorELNS0_4arch9wavefront6targetE0EEEvT1_.has_recursion, or(0, .L_ZZZZN2at6native31launch_logcumsumexp_cuda_kernelERKNS_10TensorBaseES3_lENKUlvE_clEvENKUlvE2_clEvENKUlN3c107complexIfEES8_E_clES8_S8_.has_recursion)
	.set _ZN7rocprim17ROCPRIM_400000_NS6detail17trampoline_kernelINS0_14default_configENS1_20scan_config_selectorIN3c107complexIfEEEEZZNS1_9scan_implILNS1_25lookback_scan_determinismE0ELb0ELb0ES3_PKS7_PS7_S7_ZZZN2at6native31launch_logcumsumexp_cuda_kernelERKNSE_10TensorBaseESI_lENKUlvE_clEvENKUlvE2_clEvEUlS7_S7_E_S7_EEDaPvRmT3_T4_T5_mT6_P12ihipStream_tbENKUlT_T0_E_clISt17integral_constantIbLb0EESZ_EEDaSU_SV_EUlSU_E_NS1_11comp_targetILNS1_3genE8ELNS1_11target_archE1030ELNS1_3gpuE2ELNS1_3repE0EEENS1_30default_config_static_selectorELNS0_4arch9wavefront6targetE0EEEvT1_.has_indirect_call, or(0, .L_ZZZZN2at6native31launch_logcumsumexp_cuda_kernelERKNS_10TensorBaseES3_lENKUlvE_clEvENKUlvE2_clEvENKUlN3c107complexIfEES8_E_clES8_S8_.has_indirect_call)
	.section	.AMDGPU.csdata,"",@progbits
; Kernel info:
; codeLenInByte = 5840
; TotalNumSgprs: 46
; NumVgprs: 65
; ScratchSize: 0
; MemoryBound: 0
; FloatMode: 240
; IeeeMode: 1
; LDSByteSize: 8448 bytes/workgroup (compile time only)
; SGPRBlocks: 0
; VGPRBlocks: 8
; NumSGPRsForWavesPerEU: 46
; NumVGPRsForWavesPerEU: 65
; Occupancy: 12
; WaveLimiterHint : 0
; COMPUTE_PGM_RSRC2:SCRATCH_EN: 0
; COMPUTE_PGM_RSRC2:USER_SGPR: 6
; COMPUTE_PGM_RSRC2:TRAP_HANDLER: 0
; COMPUTE_PGM_RSRC2:TGID_X_EN: 1
; COMPUTE_PGM_RSRC2:TGID_Y_EN: 0
; COMPUTE_PGM_RSRC2:TGID_Z_EN: 0
; COMPUTE_PGM_RSRC2:TIDIG_COMP_CNT: 0
	.section	.text._ZN7rocprim17ROCPRIM_400000_NS6detail17trampoline_kernelINS0_14default_configENS1_25transform_config_selectorIN3c107complexIfEELb1EEEZNS1_14transform_implILb1ES3_S8_PS7_SA_NS0_8identityIS7_EEEE10hipError_tT2_T3_mT4_P12ihipStream_tbEUlT_E_NS1_11comp_targetILNS1_3genE0ELNS1_11target_archE4294967295ELNS1_3gpuE0ELNS1_3repE0EEENS1_30default_config_static_selectorELNS0_4arch9wavefront6targetE0EEEvT1_,"axG",@progbits,_ZN7rocprim17ROCPRIM_400000_NS6detail17trampoline_kernelINS0_14default_configENS1_25transform_config_selectorIN3c107complexIfEELb1EEEZNS1_14transform_implILb1ES3_S8_PS7_SA_NS0_8identityIS7_EEEE10hipError_tT2_T3_mT4_P12ihipStream_tbEUlT_E_NS1_11comp_targetILNS1_3genE0ELNS1_11target_archE4294967295ELNS1_3gpuE0ELNS1_3repE0EEENS1_30default_config_static_selectorELNS0_4arch9wavefront6targetE0EEEvT1_,comdat
	.protected	_ZN7rocprim17ROCPRIM_400000_NS6detail17trampoline_kernelINS0_14default_configENS1_25transform_config_selectorIN3c107complexIfEELb1EEEZNS1_14transform_implILb1ES3_S8_PS7_SA_NS0_8identityIS7_EEEE10hipError_tT2_T3_mT4_P12ihipStream_tbEUlT_E_NS1_11comp_targetILNS1_3genE0ELNS1_11target_archE4294967295ELNS1_3gpuE0ELNS1_3repE0EEENS1_30default_config_static_selectorELNS0_4arch9wavefront6targetE0EEEvT1_ ; -- Begin function _ZN7rocprim17ROCPRIM_400000_NS6detail17trampoline_kernelINS0_14default_configENS1_25transform_config_selectorIN3c107complexIfEELb1EEEZNS1_14transform_implILb1ES3_S8_PS7_SA_NS0_8identityIS7_EEEE10hipError_tT2_T3_mT4_P12ihipStream_tbEUlT_E_NS1_11comp_targetILNS1_3genE0ELNS1_11target_archE4294967295ELNS1_3gpuE0ELNS1_3repE0EEENS1_30default_config_static_selectorELNS0_4arch9wavefront6targetE0EEEvT1_
	.globl	_ZN7rocprim17ROCPRIM_400000_NS6detail17trampoline_kernelINS0_14default_configENS1_25transform_config_selectorIN3c107complexIfEELb1EEEZNS1_14transform_implILb1ES3_S8_PS7_SA_NS0_8identityIS7_EEEE10hipError_tT2_T3_mT4_P12ihipStream_tbEUlT_E_NS1_11comp_targetILNS1_3genE0ELNS1_11target_archE4294967295ELNS1_3gpuE0ELNS1_3repE0EEENS1_30default_config_static_selectorELNS0_4arch9wavefront6targetE0EEEvT1_
	.p2align	8
	.type	_ZN7rocprim17ROCPRIM_400000_NS6detail17trampoline_kernelINS0_14default_configENS1_25transform_config_selectorIN3c107complexIfEELb1EEEZNS1_14transform_implILb1ES3_S8_PS7_SA_NS0_8identityIS7_EEEE10hipError_tT2_T3_mT4_P12ihipStream_tbEUlT_E_NS1_11comp_targetILNS1_3genE0ELNS1_11target_archE4294967295ELNS1_3gpuE0ELNS1_3repE0EEENS1_30default_config_static_selectorELNS0_4arch9wavefront6targetE0EEEvT1_,@function
_ZN7rocprim17ROCPRIM_400000_NS6detail17trampoline_kernelINS0_14default_configENS1_25transform_config_selectorIN3c107complexIfEELb1EEEZNS1_14transform_implILb1ES3_S8_PS7_SA_NS0_8identityIS7_EEEE10hipError_tT2_T3_mT4_P12ihipStream_tbEUlT_E_NS1_11comp_targetILNS1_3genE0ELNS1_11target_archE4294967295ELNS1_3gpuE0ELNS1_3repE0EEENS1_30default_config_static_selectorELNS0_4arch9wavefront6targetE0EEEvT1_: ; @_ZN7rocprim17ROCPRIM_400000_NS6detail17trampoline_kernelINS0_14default_configENS1_25transform_config_selectorIN3c107complexIfEELb1EEEZNS1_14transform_implILb1ES3_S8_PS7_SA_NS0_8identityIS7_EEEE10hipError_tT2_T3_mT4_P12ihipStream_tbEUlT_E_NS1_11comp_targetILNS1_3genE0ELNS1_11target_archE4294967295ELNS1_3gpuE0ELNS1_3repE0EEENS1_30default_config_static_selectorELNS0_4arch9wavefront6targetE0EEEvT1_
; %bb.0:
	.section	.rodata,"a",@progbits
	.p2align	6, 0x0
	.amdhsa_kernel _ZN7rocprim17ROCPRIM_400000_NS6detail17trampoline_kernelINS0_14default_configENS1_25transform_config_selectorIN3c107complexIfEELb1EEEZNS1_14transform_implILb1ES3_S8_PS7_SA_NS0_8identityIS7_EEEE10hipError_tT2_T3_mT4_P12ihipStream_tbEUlT_E_NS1_11comp_targetILNS1_3genE0ELNS1_11target_archE4294967295ELNS1_3gpuE0ELNS1_3repE0EEENS1_30default_config_static_selectorELNS0_4arch9wavefront6targetE0EEEvT1_
		.amdhsa_group_segment_fixed_size 0
		.amdhsa_private_segment_fixed_size 0
		.amdhsa_kernarg_size 40
		.amdhsa_user_sgpr_count 6
		.amdhsa_user_sgpr_private_segment_buffer 1
		.amdhsa_user_sgpr_dispatch_ptr 0
		.amdhsa_user_sgpr_queue_ptr 0
		.amdhsa_user_sgpr_kernarg_segment_ptr 1
		.amdhsa_user_sgpr_dispatch_id 0
		.amdhsa_user_sgpr_flat_scratch_init 0
		.amdhsa_user_sgpr_private_segment_size 0
		.amdhsa_wavefront_size32 1
		.amdhsa_uses_dynamic_stack 0
		.amdhsa_system_sgpr_private_segment_wavefront_offset 0
		.amdhsa_system_sgpr_workgroup_id_x 1
		.amdhsa_system_sgpr_workgroup_id_y 0
		.amdhsa_system_sgpr_workgroup_id_z 0
		.amdhsa_system_sgpr_workgroup_info 0
		.amdhsa_system_vgpr_workitem_id 0
		.amdhsa_next_free_vgpr 1
		.amdhsa_next_free_sgpr 1
		.amdhsa_reserve_vcc 0
		.amdhsa_reserve_flat_scratch 0
		.amdhsa_float_round_mode_32 0
		.amdhsa_float_round_mode_16_64 0
		.amdhsa_float_denorm_mode_32 3
		.amdhsa_float_denorm_mode_16_64 3
		.amdhsa_dx10_clamp 1
		.amdhsa_ieee_mode 1
		.amdhsa_fp16_overflow 0
		.amdhsa_workgroup_processor_mode 1
		.amdhsa_memory_ordered 1
		.amdhsa_forward_progress 1
		.amdhsa_shared_vgpr_count 0
		.amdhsa_exception_fp_ieee_invalid_op 0
		.amdhsa_exception_fp_denorm_src 0
		.amdhsa_exception_fp_ieee_div_zero 0
		.amdhsa_exception_fp_ieee_overflow 0
		.amdhsa_exception_fp_ieee_underflow 0
		.amdhsa_exception_fp_ieee_inexact 0
		.amdhsa_exception_int_div_zero 0
	.end_amdhsa_kernel
	.section	.text._ZN7rocprim17ROCPRIM_400000_NS6detail17trampoline_kernelINS0_14default_configENS1_25transform_config_selectorIN3c107complexIfEELb1EEEZNS1_14transform_implILb1ES3_S8_PS7_SA_NS0_8identityIS7_EEEE10hipError_tT2_T3_mT4_P12ihipStream_tbEUlT_E_NS1_11comp_targetILNS1_3genE0ELNS1_11target_archE4294967295ELNS1_3gpuE0ELNS1_3repE0EEENS1_30default_config_static_selectorELNS0_4arch9wavefront6targetE0EEEvT1_,"axG",@progbits,_ZN7rocprim17ROCPRIM_400000_NS6detail17trampoline_kernelINS0_14default_configENS1_25transform_config_selectorIN3c107complexIfEELb1EEEZNS1_14transform_implILb1ES3_S8_PS7_SA_NS0_8identityIS7_EEEE10hipError_tT2_T3_mT4_P12ihipStream_tbEUlT_E_NS1_11comp_targetILNS1_3genE0ELNS1_11target_archE4294967295ELNS1_3gpuE0ELNS1_3repE0EEENS1_30default_config_static_selectorELNS0_4arch9wavefront6targetE0EEEvT1_,comdat
.Lfunc_end273:
	.size	_ZN7rocprim17ROCPRIM_400000_NS6detail17trampoline_kernelINS0_14default_configENS1_25transform_config_selectorIN3c107complexIfEELb1EEEZNS1_14transform_implILb1ES3_S8_PS7_SA_NS0_8identityIS7_EEEE10hipError_tT2_T3_mT4_P12ihipStream_tbEUlT_E_NS1_11comp_targetILNS1_3genE0ELNS1_11target_archE4294967295ELNS1_3gpuE0ELNS1_3repE0EEENS1_30default_config_static_selectorELNS0_4arch9wavefront6targetE0EEEvT1_, .Lfunc_end273-_ZN7rocprim17ROCPRIM_400000_NS6detail17trampoline_kernelINS0_14default_configENS1_25transform_config_selectorIN3c107complexIfEELb1EEEZNS1_14transform_implILb1ES3_S8_PS7_SA_NS0_8identityIS7_EEEE10hipError_tT2_T3_mT4_P12ihipStream_tbEUlT_E_NS1_11comp_targetILNS1_3genE0ELNS1_11target_archE4294967295ELNS1_3gpuE0ELNS1_3repE0EEENS1_30default_config_static_selectorELNS0_4arch9wavefront6targetE0EEEvT1_
                                        ; -- End function
	.set _ZN7rocprim17ROCPRIM_400000_NS6detail17trampoline_kernelINS0_14default_configENS1_25transform_config_selectorIN3c107complexIfEELb1EEEZNS1_14transform_implILb1ES3_S8_PS7_SA_NS0_8identityIS7_EEEE10hipError_tT2_T3_mT4_P12ihipStream_tbEUlT_E_NS1_11comp_targetILNS1_3genE0ELNS1_11target_archE4294967295ELNS1_3gpuE0ELNS1_3repE0EEENS1_30default_config_static_selectorELNS0_4arch9wavefront6targetE0EEEvT1_.num_vgpr, 0
	.set _ZN7rocprim17ROCPRIM_400000_NS6detail17trampoline_kernelINS0_14default_configENS1_25transform_config_selectorIN3c107complexIfEELb1EEEZNS1_14transform_implILb1ES3_S8_PS7_SA_NS0_8identityIS7_EEEE10hipError_tT2_T3_mT4_P12ihipStream_tbEUlT_E_NS1_11comp_targetILNS1_3genE0ELNS1_11target_archE4294967295ELNS1_3gpuE0ELNS1_3repE0EEENS1_30default_config_static_selectorELNS0_4arch9wavefront6targetE0EEEvT1_.num_agpr, 0
	.set _ZN7rocprim17ROCPRIM_400000_NS6detail17trampoline_kernelINS0_14default_configENS1_25transform_config_selectorIN3c107complexIfEELb1EEEZNS1_14transform_implILb1ES3_S8_PS7_SA_NS0_8identityIS7_EEEE10hipError_tT2_T3_mT4_P12ihipStream_tbEUlT_E_NS1_11comp_targetILNS1_3genE0ELNS1_11target_archE4294967295ELNS1_3gpuE0ELNS1_3repE0EEENS1_30default_config_static_selectorELNS0_4arch9wavefront6targetE0EEEvT1_.numbered_sgpr, 0
	.set _ZN7rocprim17ROCPRIM_400000_NS6detail17trampoline_kernelINS0_14default_configENS1_25transform_config_selectorIN3c107complexIfEELb1EEEZNS1_14transform_implILb1ES3_S8_PS7_SA_NS0_8identityIS7_EEEE10hipError_tT2_T3_mT4_P12ihipStream_tbEUlT_E_NS1_11comp_targetILNS1_3genE0ELNS1_11target_archE4294967295ELNS1_3gpuE0ELNS1_3repE0EEENS1_30default_config_static_selectorELNS0_4arch9wavefront6targetE0EEEvT1_.num_named_barrier, 0
	.set _ZN7rocprim17ROCPRIM_400000_NS6detail17trampoline_kernelINS0_14default_configENS1_25transform_config_selectorIN3c107complexIfEELb1EEEZNS1_14transform_implILb1ES3_S8_PS7_SA_NS0_8identityIS7_EEEE10hipError_tT2_T3_mT4_P12ihipStream_tbEUlT_E_NS1_11comp_targetILNS1_3genE0ELNS1_11target_archE4294967295ELNS1_3gpuE0ELNS1_3repE0EEENS1_30default_config_static_selectorELNS0_4arch9wavefront6targetE0EEEvT1_.private_seg_size, 0
	.set _ZN7rocprim17ROCPRIM_400000_NS6detail17trampoline_kernelINS0_14default_configENS1_25transform_config_selectorIN3c107complexIfEELb1EEEZNS1_14transform_implILb1ES3_S8_PS7_SA_NS0_8identityIS7_EEEE10hipError_tT2_T3_mT4_P12ihipStream_tbEUlT_E_NS1_11comp_targetILNS1_3genE0ELNS1_11target_archE4294967295ELNS1_3gpuE0ELNS1_3repE0EEENS1_30default_config_static_selectorELNS0_4arch9wavefront6targetE0EEEvT1_.uses_vcc, 0
	.set _ZN7rocprim17ROCPRIM_400000_NS6detail17trampoline_kernelINS0_14default_configENS1_25transform_config_selectorIN3c107complexIfEELb1EEEZNS1_14transform_implILb1ES3_S8_PS7_SA_NS0_8identityIS7_EEEE10hipError_tT2_T3_mT4_P12ihipStream_tbEUlT_E_NS1_11comp_targetILNS1_3genE0ELNS1_11target_archE4294967295ELNS1_3gpuE0ELNS1_3repE0EEENS1_30default_config_static_selectorELNS0_4arch9wavefront6targetE0EEEvT1_.uses_flat_scratch, 0
	.set _ZN7rocprim17ROCPRIM_400000_NS6detail17trampoline_kernelINS0_14default_configENS1_25transform_config_selectorIN3c107complexIfEELb1EEEZNS1_14transform_implILb1ES3_S8_PS7_SA_NS0_8identityIS7_EEEE10hipError_tT2_T3_mT4_P12ihipStream_tbEUlT_E_NS1_11comp_targetILNS1_3genE0ELNS1_11target_archE4294967295ELNS1_3gpuE0ELNS1_3repE0EEENS1_30default_config_static_selectorELNS0_4arch9wavefront6targetE0EEEvT1_.has_dyn_sized_stack, 0
	.set _ZN7rocprim17ROCPRIM_400000_NS6detail17trampoline_kernelINS0_14default_configENS1_25transform_config_selectorIN3c107complexIfEELb1EEEZNS1_14transform_implILb1ES3_S8_PS7_SA_NS0_8identityIS7_EEEE10hipError_tT2_T3_mT4_P12ihipStream_tbEUlT_E_NS1_11comp_targetILNS1_3genE0ELNS1_11target_archE4294967295ELNS1_3gpuE0ELNS1_3repE0EEENS1_30default_config_static_selectorELNS0_4arch9wavefront6targetE0EEEvT1_.has_recursion, 0
	.set _ZN7rocprim17ROCPRIM_400000_NS6detail17trampoline_kernelINS0_14default_configENS1_25transform_config_selectorIN3c107complexIfEELb1EEEZNS1_14transform_implILb1ES3_S8_PS7_SA_NS0_8identityIS7_EEEE10hipError_tT2_T3_mT4_P12ihipStream_tbEUlT_E_NS1_11comp_targetILNS1_3genE0ELNS1_11target_archE4294967295ELNS1_3gpuE0ELNS1_3repE0EEENS1_30default_config_static_selectorELNS0_4arch9wavefront6targetE0EEEvT1_.has_indirect_call, 0
	.section	.AMDGPU.csdata,"",@progbits
; Kernel info:
; codeLenInByte = 0
; TotalNumSgprs: 0
; NumVgprs: 0
; ScratchSize: 0
; MemoryBound: 0
; FloatMode: 240
; IeeeMode: 1
; LDSByteSize: 0 bytes/workgroup (compile time only)
; SGPRBlocks: 0
; VGPRBlocks: 0
; NumSGPRsForWavesPerEU: 1
; NumVGPRsForWavesPerEU: 1
; Occupancy: 16
; WaveLimiterHint : 0
; COMPUTE_PGM_RSRC2:SCRATCH_EN: 0
; COMPUTE_PGM_RSRC2:USER_SGPR: 6
; COMPUTE_PGM_RSRC2:TRAP_HANDLER: 0
; COMPUTE_PGM_RSRC2:TGID_X_EN: 1
; COMPUTE_PGM_RSRC2:TGID_Y_EN: 0
; COMPUTE_PGM_RSRC2:TGID_Z_EN: 0
; COMPUTE_PGM_RSRC2:TIDIG_COMP_CNT: 0
	.section	.text._ZN7rocprim17ROCPRIM_400000_NS6detail17trampoline_kernelINS0_14default_configENS1_25transform_config_selectorIN3c107complexIfEELb1EEEZNS1_14transform_implILb1ES3_S8_PS7_SA_NS0_8identityIS7_EEEE10hipError_tT2_T3_mT4_P12ihipStream_tbEUlT_E_NS1_11comp_targetILNS1_3genE10ELNS1_11target_archE1201ELNS1_3gpuE5ELNS1_3repE0EEENS1_30default_config_static_selectorELNS0_4arch9wavefront6targetE0EEEvT1_,"axG",@progbits,_ZN7rocprim17ROCPRIM_400000_NS6detail17trampoline_kernelINS0_14default_configENS1_25transform_config_selectorIN3c107complexIfEELb1EEEZNS1_14transform_implILb1ES3_S8_PS7_SA_NS0_8identityIS7_EEEE10hipError_tT2_T3_mT4_P12ihipStream_tbEUlT_E_NS1_11comp_targetILNS1_3genE10ELNS1_11target_archE1201ELNS1_3gpuE5ELNS1_3repE0EEENS1_30default_config_static_selectorELNS0_4arch9wavefront6targetE0EEEvT1_,comdat
	.protected	_ZN7rocprim17ROCPRIM_400000_NS6detail17trampoline_kernelINS0_14default_configENS1_25transform_config_selectorIN3c107complexIfEELb1EEEZNS1_14transform_implILb1ES3_S8_PS7_SA_NS0_8identityIS7_EEEE10hipError_tT2_T3_mT4_P12ihipStream_tbEUlT_E_NS1_11comp_targetILNS1_3genE10ELNS1_11target_archE1201ELNS1_3gpuE5ELNS1_3repE0EEENS1_30default_config_static_selectorELNS0_4arch9wavefront6targetE0EEEvT1_ ; -- Begin function _ZN7rocprim17ROCPRIM_400000_NS6detail17trampoline_kernelINS0_14default_configENS1_25transform_config_selectorIN3c107complexIfEELb1EEEZNS1_14transform_implILb1ES3_S8_PS7_SA_NS0_8identityIS7_EEEE10hipError_tT2_T3_mT4_P12ihipStream_tbEUlT_E_NS1_11comp_targetILNS1_3genE10ELNS1_11target_archE1201ELNS1_3gpuE5ELNS1_3repE0EEENS1_30default_config_static_selectorELNS0_4arch9wavefront6targetE0EEEvT1_
	.globl	_ZN7rocprim17ROCPRIM_400000_NS6detail17trampoline_kernelINS0_14default_configENS1_25transform_config_selectorIN3c107complexIfEELb1EEEZNS1_14transform_implILb1ES3_S8_PS7_SA_NS0_8identityIS7_EEEE10hipError_tT2_T3_mT4_P12ihipStream_tbEUlT_E_NS1_11comp_targetILNS1_3genE10ELNS1_11target_archE1201ELNS1_3gpuE5ELNS1_3repE0EEENS1_30default_config_static_selectorELNS0_4arch9wavefront6targetE0EEEvT1_
	.p2align	8
	.type	_ZN7rocprim17ROCPRIM_400000_NS6detail17trampoline_kernelINS0_14default_configENS1_25transform_config_selectorIN3c107complexIfEELb1EEEZNS1_14transform_implILb1ES3_S8_PS7_SA_NS0_8identityIS7_EEEE10hipError_tT2_T3_mT4_P12ihipStream_tbEUlT_E_NS1_11comp_targetILNS1_3genE10ELNS1_11target_archE1201ELNS1_3gpuE5ELNS1_3repE0EEENS1_30default_config_static_selectorELNS0_4arch9wavefront6targetE0EEEvT1_,@function
_ZN7rocprim17ROCPRIM_400000_NS6detail17trampoline_kernelINS0_14default_configENS1_25transform_config_selectorIN3c107complexIfEELb1EEEZNS1_14transform_implILb1ES3_S8_PS7_SA_NS0_8identityIS7_EEEE10hipError_tT2_T3_mT4_P12ihipStream_tbEUlT_E_NS1_11comp_targetILNS1_3genE10ELNS1_11target_archE1201ELNS1_3gpuE5ELNS1_3repE0EEENS1_30default_config_static_selectorELNS0_4arch9wavefront6targetE0EEEvT1_: ; @_ZN7rocprim17ROCPRIM_400000_NS6detail17trampoline_kernelINS0_14default_configENS1_25transform_config_selectorIN3c107complexIfEELb1EEEZNS1_14transform_implILb1ES3_S8_PS7_SA_NS0_8identityIS7_EEEE10hipError_tT2_T3_mT4_P12ihipStream_tbEUlT_E_NS1_11comp_targetILNS1_3genE10ELNS1_11target_archE1201ELNS1_3gpuE5ELNS1_3repE0EEENS1_30default_config_static_selectorELNS0_4arch9wavefront6targetE0EEEvT1_
; %bb.0:
	.section	.rodata,"a",@progbits
	.p2align	6, 0x0
	.amdhsa_kernel _ZN7rocprim17ROCPRIM_400000_NS6detail17trampoline_kernelINS0_14default_configENS1_25transform_config_selectorIN3c107complexIfEELb1EEEZNS1_14transform_implILb1ES3_S8_PS7_SA_NS0_8identityIS7_EEEE10hipError_tT2_T3_mT4_P12ihipStream_tbEUlT_E_NS1_11comp_targetILNS1_3genE10ELNS1_11target_archE1201ELNS1_3gpuE5ELNS1_3repE0EEENS1_30default_config_static_selectorELNS0_4arch9wavefront6targetE0EEEvT1_
		.amdhsa_group_segment_fixed_size 0
		.amdhsa_private_segment_fixed_size 0
		.amdhsa_kernarg_size 40
		.amdhsa_user_sgpr_count 6
		.amdhsa_user_sgpr_private_segment_buffer 1
		.amdhsa_user_sgpr_dispatch_ptr 0
		.amdhsa_user_sgpr_queue_ptr 0
		.amdhsa_user_sgpr_kernarg_segment_ptr 1
		.amdhsa_user_sgpr_dispatch_id 0
		.amdhsa_user_sgpr_flat_scratch_init 0
		.amdhsa_user_sgpr_private_segment_size 0
		.amdhsa_wavefront_size32 1
		.amdhsa_uses_dynamic_stack 0
		.amdhsa_system_sgpr_private_segment_wavefront_offset 0
		.amdhsa_system_sgpr_workgroup_id_x 1
		.amdhsa_system_sgpr_workgroup_id_y 0
		.amdhsa_system_sgpr_workgroup_id_z 0
		.amdhsa_system_sgpr_workgroup_info 0
		.amdhsa_system_vgpr_workitem_id 0
		.amdhsa_next_free_vgpr 1
		.amdhsa_next_free_sgpr 1
		.amdhsa_reserve_vcc 0
		.amdhsa_reserve_flat_scratch 0
		.amdhsa_float_round_mode_32 0
		.amdhsa_float_round_mode_16_64 0
		.amdhsa_float_denorm_mode_32 3
		.amdhsa_float_denorm_mode_16_64 3
		.amdhsa_dx10_clamp 1
		.amdhsa_ieee_mode 1
		.amdhsa_fp16_overflow 0
		.amdhsa_workgroup_processor_mode 1
		.amdhsa_memory_ordered 1
		.amdhsa_forward_progress 1
		.amdhsa_shared_vgpr_count 0
		.amdhsa_exception_fp_ieee_invalid_op 0
		.amdhsa_exception_fp_denorm_src 0
		.amdhsa_exception_fp_ieee_div_zero 0
		.amdhsa_exception_fp_ieee_overflow 0
		.amdhsa_exception_fp_ieee_underflow 0
		.amdhsa_exception_fp_ieee_inexact 0
		.amdhsa_exception_int_div_zero 0
	.end_amdhsa_kernel
	.section	.text._ZN7rocprim17ROCPRIM_400000_NS6detail17trampoline_kernelINS0_14default_configENS1_25transform_config_selectorIN3c107complexIfEELb1EEEZNS1_14transform_implILb1ES3_S8_PS7_SA_NS0_8identityIS7_EEEE10hipError_tT2_T3_mT4_P12ihipStream_tbEUlT_E_NS1_11comp_targetILNS1_3genE10ELNS1_11target_archE1201ELNS1_3gpuE5ELNS1_3repE0EEENS1_30default_config_static_selectorELNS0_4arch9wavefront6targetE0EEEvT1_,"axG",@progbits,_ZN7rocprim17ROCPRIM_400000_NS6detail17trampoline_kernelINS0_14default_configENS1_25transform_config_selectorIN3c107complexIfEELb1EEEZNS1_14transform_implILb1ES3_S8_PS7_SA_NS0_8identityIS7_EEEE10hipError_tT2_T3_mT4_P12ihipStream_tbEUlT_E_NS1_11comp_targetILNS1_3genE10ELNS1_11target_archE1201ELNS1_3gpuE5ELNS1_3repE0EEENS1_30default_config_static_selectorELNS0_4arch9wavefront6targetE0EEEvT1_,comdat
.Lfunc_end274:
	.size	_ZN7rocprim17ROCPRIM_400000_NS6detail17trampoline_kernelINS0_14default_configENS1_25transform_config_selectorIN3c107complexIfEELb1EEEZNS1_14transform_implILb1ES3_S8_PS7_SA_NS0_8identityIS7_EEEE10hipError_tT2_T3_mT4_P12ihipStream_tbEUlT_E_NS1_11comp_targetILNS1_3genE10ELNS1_11target_archE1201ELNS1_3gpuE5ELNS1_3repE0EEENS1_30default_config_static_selectorELNS0_4arch9wavefront6targetE0EEEvT1_, .Lfunc_end274-_ZN7rocprim17ROCPRIM_400000_NS6detail17trampoline_kernelINS0_14default_configENS1_25transform_config_selectorIN3c107complexIfEELb1EEEZNS1_14transform_implILb1ES3_S8_PS7_SA_NS0_8identityIS7_EEEE10hipError_tT2_T3_mT4_P12ihipStream_tbEUlT_E_NS1_11comp_targetILNS1_3genE10ELNS1_11target_archE1201ELNS1_3gpuE5ELNS1_3repE0EEENS1_30default_config_static_selectorELNS0_4arch9wavefront6targetE0EEEvT1_
                                        ; -- End function
	.set _ZN7rocprim17ROCPRIM_400000_NS6detail17trampoline_kernelINS0_14default_configENS1_25transform_config_selectorIN3c107complexIfEELb1EEEZNS1_14transform_implILb1ES3_S8_PS7_SA_NS0_8identityIS7_EEEE10hipError_tT2_T3_mT4_P12ihipStream_tbEUlT_E_NS1_11comp_targetILNS1_3genE10ELNS1_11target_archE1201ELNS1_3gpuE5ELNS1_3repE0EEENS1_30default_config_static_selectorELNS0_4arch9wavefront6targetE0EEEvT1_.num_vgpr, 0
	.set _ZN7rocprim17ROCPRIM_400000_NS6detail17trampoline_kernelINS0_14default_configENS1_25transform_config_selectorIN3c107complexIfEELb1EEEZNS1_14transform_implILb1ES3_S8_PS7_SA_NS0_8identityIS7_EEEE10hipError_tT2_T3_mT4_P12ihipStream_tbEUlT_E_NS1_11comp_targetILNS1_3genE10ELNS1_11target_archE1201ELNS1_3gpuE5ELNS1_3repE0EEENS1_30default_config_static_selectorELNS0_4arch9wavefront6targetE0EEEvT1_.num_agpr, 0
	.set _ZN7rocprim17ROCPRIM_400000_NS6detail17trampoline_kernelINS0_14default_configENS1_25transform_config_selectorIN3c107complexIfEELb1EEEZNS1_14transform_implILb1ES3_S8_PS7_SA_NS0_8identityIS7_EEEE10hipError_tT2_T3_mT4_P12ihipStream_tbEUlT_E_NS1_11comp_targetILNS1_3genE10ELNS1_11target_archE1201ELNS1_3gpuE5ELNS1_3repE0EEENS1_30default_config_static_selectorELNS0_4arch9wavefront6targetE0EEEvT1_.numbered_sgpr, 0
	.set _ZN7rocprim17ROCPRIM_400000_NS6detail17trampoline_kernelINS0_14default_configENS1_25transform_config_selectorIN3c107complexIfEELb1EEEZNS1_14transform_implILb1ES3_S8_PS7_SA_NS0_8identityIS7_EEEE10hipError_tT2_T3_mT4_P12ihipStream_tbEUlT_E_NS1_11comp_targetILNS1_3genE10ELNS1_11target_archE1201ELNS1_3gpuE5ELNS1_3repE0EEENS1_30default_config_static_selectorELNS0_4arch9wavefront6targetE0EEEvT1_.num_named_barrier, 0
	.set _ZN7rocprim17ROCPRIM_400000_NS6detail17trampoline_kernelINS0_14default_configENS1_25transform_config_selectorIN3c107complexIfEELb1EEEZNS1_14transform_implILb1ES3_S8_PS7_SA_NS0_8identityIS7_EEEE10hipError_tT2_T3_mT4_P12ihipStream_tbEUlT_E_NS1_11comp_targetILNS1_3genE10ELNS1_11target_archE1201ELNS1_3gpuE5ELNS1_3repE0EEENS1_30default_config_static_selectorELNS0_4arch9wavefront6targetE0EEEvT1_.private_seg_size, 0
	.set _ZN7rocprim17ROCPRIM_400000_NS6detail17trampoline_kernelINS0_14default_configENS1_25transform_config_selectorIN3c107complexIfEELb1EEEZNS1_14transform_implILb1ES3_S8_PS7_SA_NS0_8identityIS7_EEEE10hipError_tT2_T3_mT4_P12ihipStream_tbEUlT_E_NS1_11comp_targetILNS1_3genE10ELNS1_11target_archE1201ELNS1_3gpuE5ELNS1_3repE0EEENS1_30default_config_static_selectorELNS0_4arch9wavefront6targetE0EEEvT1_.uses_vcc, 0
	.set _ZN7rocprim17ROCPRIM_400000_NS6detail17trampoline_kernelINS0_14default_configENS1_25transform_config_selectorIN3c107complexIfEELb1EEEZNS1_14transform_implILb1ES3_S8_PS7_SA_NS0_8identityIS7_EEEE10hipError_tT2_T3_mT4_P12ihipStream_tbEUlT_E_NS1_11comp_targetILNS1_3genE10ELNS1_11target_archE1201ELNS1_3gpuE5ELNS1_3repE0EEENS1_30default_config_static_selectorELNS0_4arch9wavefront6targetE0EEEvT1_.uses_flat_scratch, 0
	.set _ZN7rocprim17ROCPRIM_400000_NS6detail17trampoline_kernelINS0_14default_configENS1_25transform_config_selectorIN3c107complexIfEELb1EEEZNS1_14transform_implILb1ES3_S8_PS7_SA_NS0_8identityIS7_EEEE10hipError_tT2_T3_mT4_P12ihipStream_tbEUlT_E_NS1_11comp_targetILNS1_3genE10ELNS1_11target_archE1201ELNS1_3gpuE5ELNS1_3repE0EEENS1_30default_config_static_selectorELNS0_4arch9wavefront6targetE0EEEvT1_.has_dyn_sized_stack, 0
	.set _ZN7rocprim17ROCPRIM_400000_NS6detail17trampoline_kernelINS0_14default_configENS1_25transform_config_selectorIN3c107complexIfEELb1EEEZNS1_14transform_implILb1ES3_S8_PS7_SA_NS0_8identityIS7_EEEE10hipError_tT2_T3_mT4_P12ihipStream_tbEUlT_E_NS1_11comp_targetILNS1_3genE10ELNS1_11target_archE1201ELNS1_3gpuE5ELNS1_3repE0EEENS1_30default_config_static_selectorELNS0_4arch9wavefront6targetE0EEEvT1_.has_recursion, 0
	.set _ZN7rocprim17ROCPRIM_400000_NS6detail17trampoline_kernelINS0_14default_configENS1_25transform_config_selectorIN3c107complexIfEELb1EEEZNS1_14transform_implILb1ES3_S8_PS7_SA_NS0_8identityIS7_EEEE10hipError_tT2_T3_mT4_P12ihipStream_tbEUlT_E_NS1_11comp_targetILNS1_3genE10ELNS1_11target_archE1201ELNS1_3gpuE5ELNS1_3repE0EEENS1_30default_config_static_selectorELNS0_4arch9wavefront6targetE0EEEvT1_.has_indirect_call, 0
	.section	.AMDGPU.csdata,"",@progbits
; Kernel info:
; codeLenInByte = 0
; TotalNumSgprs: 0
; NumVgprs: 0
; ScratchSize: 0
; MemoryBound: 0
; FloatMode: 240
; IeeeMode: 1
; LDSByteSize: 0 bytes/workgroup (compile time only)
; SGPRBlocks: 0
; VGPRBlocks: 0
; NumSGPRsForWavesPerEU: 1
; NumVGPRsForWavesPerEU: 1
; Occupancy: 16
; WaveLimiterHint : 0
; COMPUTE_PGM_RSRC2:SCRATCH_EN: 0
; COMPUTE_PGM_RSRC2:USER_SGPR: 6
; COMPUTE_PGM_RSRC2:TRAP_HANDLER: 0
; COMPUTE_PGM_RSRC2:TGID_X_EN: 1
; COMPUTE_PGM_RSRC2:TGID_Y_EN: 0
; COMPUTE_PGM_RSRC2:TGID_Z_EN: 0
; COMPUTE_PGM_RSRC2:TIDIG_COMP_CNT: 0
	.section	.text._ZN7rocprim17ROCPRIM_400000_NS6detail17trampoline_kernelINS0_14default_configENS1_25transform_config_selectorIN3c107complexIfEELb1EEEZNS1_14transform_implILb1ES3_S8_PS7_SA_NS0_8identityIS7_EEEE10hipError_tT2_T3_mT4_P12ihipStream_tbEUlT_E_NS1_11comp_targetILNS1_3genE5ELNS1_11target_archE942ELNS1_3gpuE9ELNS1_3repE0EEENS1_30default_config_static_selectorELNS0_4arch9wavefront6targetE0EEEvT1_,"axG",@progbits,_ZN7rocprim17ROCPRIM_400000_NS6detail17trampoline_kernelINS0_14default_configENS1_25transform_config_selectorIN3c107complexIfEELb1EEEZNS1_14transform_implILb1ES3_S8_PS7_SA_NS0_8identityIS7_EEEE10hipError_tT2_T3_mT4_P12ihipStream_tbEUlT_E_NS1_11comp_targetILNS1_3genE5ELNS1_11target_archE942ELNS1_3gpuE9ELNS1_3repE0EEENS1_30default_config_static_selectorELNS0_4arch9wavefront6targetE0EEEvT1_,comdat
	.protected	_ZN7rocprim17ROCPRIM_400000_NS6detail17trampoline_kernelINS0_14default_configENS1_25transform_config_selectorIN3c107complexIfEELb1EEEZNS1_14transform_implILb1ES3_S8_PS7_SA_NS0_8identityIS7_EEEE10hipError_tT2_T3_mT4_P12ihipStream_tbEUlT_E_NS1_11comp_targetILNS1_3genE5ELNS1_11target_archE942ELNS1_3gpuE9ELNS1_3repE0EEENS1_30default_config_static_selectorELNS0_4arch9wavefront6targetE0EEEvT1_ ; -- Begin function _ZN7rocprim17ROCPRIM_400000_NS6detail17trampoline_kernelINS0_14default_configENS1_25transform_config_selectorIN3c107complexIfEELb1EEEZNS1_14transform_implILb1ES3_S8_PS7_SA_NS0_8identityIS7_EEEE10hipError_tT2_T3_mT4_P12ihipStream_tbEUlT_E_NS1_11comp_targetILNS1_3genE5ELNS1_11target_archE942ELNS1_3gpuE9ELNS1_3repE0EEENS1_30default_config_static_selectorELNS0_4arch9wavefront6targetE0EEEvT1_
	.globl	_ZN7rocprim17ROCPRIM_400000_NS6detail17trampoline_kernelINS0_14default_configENS1_25transform_config_selectorIN3c107complexIfEELb1EEEZNS1_14transform_implILb1ES3_S8_PS7_SA_NS0_8identityIS7_EEEE10hipError_tT2_T3_mT4_P12ihipStream_tbEUlT_E_NS1_11comp_targetILNS1_3genE5ELNS1_11target_archE942ELNS1_3gpuE9ELNS1_3repE0EEENS1_30default_config_static_selectorELNS0_4arch9wavefront6targetE0EEEvT1_
	.p2align	8
	.type	_ZN7rocprim17ROCPRIM_400000_NS6detail17trampoline_kernelINS0_14default_configENS1_25transform_config_selectorIN3c107complexIfEELb1EEEZNS1_14transform_implILb1ES3_S8_PS7_SA_NS0_8identityIS7_EEEE10hipError_tT2_T3_mT4_P12ihipStream_tbEUlT_E_NS1_11comp_targetILNS1_3genE5ELNS1_11target_archE942ELNS1_3gpuE9ELNS1_3repE0EEENS1_30default_config_static_selectorELNS0_4arch9wavefront6targetE0EEEvT1_,@function
_ZN7rocprim17ROCPRIM_400000_NS6detail17trampoline_kernelINS0_14default_configENS1_25transform_config_selectorIN3c107complexIfEELb1EEEZNS1_14transform_implILb1ES3_S8_PS7_SA_NS0_8identityIS7_EEEE10hipError_tT2_T3_mT4_P12ihipStream_tbEUlT_E_NS1_11comp_targetILNS1_3genE5ELNS1_11target_archE942ELNS1_3gpuE9ELNS1_3repE0EEENS1_30default_config_static_selectorELNS0_4arch9wavefront6targetE0EEEvT1_: ; @_ZN7rocprim17ROCPRIM_400000_NS6detail17trampoline_kernelINS0_14default_configENS1_25transform_config_selectorIN3c107complexIfEELb1EEEZNS1_14transform_implILb1ES3_S8_PS7_SA_NS0_8identityIS7_EEEE10hipError_tT2_T3_mT4_P12ihipStream_tbEUlT_E_NS1_11comp_targetILNS1_3genE5ELNS1_11target_archE942ELNS1_3gpuE9ELNS1_3repE0EEENS1_30default_config_static_selectorELNS0_4arch9wavefront6targetE0EEEvT1_
; %bb.0:
	.section	.rodata,"a",@progbits
	.p2align	6, 0x0
	.amdhsa_kernel _ZN7rocprim17ROCPRIM_400000_NS6detail17trampoline_kernelINS0_14default_configENS1_25transform_config_selectorIN3c107complexIfEELb1EEEZNS1_14transform_implILb1ES3_S8_PS7_SA_NS0_8identityIS7_EEEE10hipError_tT2_T3_mT4_P12ihipStream_tbEUlT_E_NS1_11comp_targetILNS1_3genE5ELNS1_11target_archE942ELNS1_3gpuE9ELNS1_3repE0EEENS1_30default_config_static_selectorELNS0_4arch9wavefront6targetE0EEEvT1_
		.amdhsa_group_segment_fixed_size 0
		.amdhsa_private_segment_fixed_size 0
		.amdhsa_kernarg_size 40
		.amdhsa_user_sgpr_count 6
		.amdhsa_user_sgpr_private_segment_buffer 1
		.amdhsa_user_sgpr_dispatch_ptr 0
		.amdhsa_user_sgpr_queue_ptr 0
		.amdhsa_user_sgpr_kernarg_segment_ptr 1
		.amdhsa_user_sgpr_dispatch_id 0
		.amdhsa_user_sgpr_flat_scratch_init 0
		.amdhsa_user_sgpr_private_segment_size 0
		.amdhsa_wavefront_size32 1
		.amdhsa_uses_dynamic_stack 0
		.amdhsa_system_sgpr_private_segment_wavefront_offset 0
		.amdhsa_system_sgpr_workgroup_id_x 1
		.amdhsa_system_sgpr_workgroup_id_y 0
		.amdhsa_system_sgpr_workgroup_id_z 0
		.amdhsa_system_sgpr_workgroup_info 0
		.amdhsa_system_vgpr_workitem_id 0
		.amdhsa_next_free_vgpr 1
		.amdhsa_next_free_sgpr 1
		.amdhsa_reserve_vcc 0
		.amdhsa_reserve_flat_scratch 0
		.amdhsa_float_round_mode_32 0
		.amdhsa_float_round_mode_16_64 0
		.amdhsa_float_denorm_mode_32 3
		.amdhsa_float_denorm_mode_16_64 3
		.amdhsa_dx10_clamp 1
		.amdhsa_ieee_mode 1
		.amdhsa_fp16_overflow 0
		.amdhsa_workgroup_processor_mode 1
		.amdhsa_memory_ordered 1
		.amdhsa_forward_progress 1
		.amdhsa_shared_vgpr_count 0
		.amdhsa_exception_fp_ieee_invalid_op 0
		.amdhsa_exception_fp_denorm_src 0
		.amdhsa_exception_fp_ieee_div_zero 0
		.amdhsa_exception_fp_ieee_overflow 0
		.amdhsa_exception_fp_ieee_underflow 0
		.amdhsa_exception_fp_ieee_inexact 0
		.amdhsa_exception_int_div_zero 0
	.end_amdhsa_kernel
	.section	.text._ZN7rocprim17ROCPRIM_400000_NS6detail17trampoline_kernelINS0_14default_configENS1_25transform_config_selectorIN3c107complexIfEELb1EEEZNS1_14transform_implILb1ES3_S8_PS7_SA_NS0_8identityIS7_EEEE10hipError_tT2_T3_mT4_P12ihipStream_tbEUlT_E_NS1_11comp_targetILNS1_3genE5ELNS1_11target_archE942ELNS1_3gpuE9ELNS1_3repE0EEENS1_30default_config_static_selectorELNS0_4arch9wavefront6targetE0EEEvT1_,"axG",@progbits,_ZN7rocprim17ROCPRIM_400000_NS6detail17trampoline_kernelINS0_14default_configENS1_25transform_config_selectorIN3c107complexIfEELb1EEEZNS1_14transform_implILb1ES3_S8_PS7_SA_NS0_8identityIS7_EEEE10hipError_tT2_T3_mT4_P12ihipStream_tbEUlT_E_NS1_11comp_targetILNS1_3genE5ELNS1_11target_archE942ELNS1_3gpuE9ELNS1_3repE0EEENS1_30default_config_static_selectorELNS0_4arch9wavefront6targetE0EEEvT1_,comdat
.Lfunc_end275:
	.size	_ZN7rocprim17ROCPRIM_400000_NS6detail17trampoline_kernelINS0_14default_configENS1_25transform_config_selectorIN3c107complexIfEELb1EEEZNS1_14transform_implILb1ES3_S8_PS7_SA_NS0_8identityIS7_EEEE10hipError_tT2_T3_mT4_P12ihipStream_tbEUlT_E_NS1_11comp_targetILNS1_3genE5ELNS1_11target_archE942ELNS1_3gpuE9ELNS1_3repE0EEENS1_30default_config_static_selectorELNS0_4arch9wavefront6targetE0EEEvT1_, .Lfunc_end275-_ZN7rocprim17ROCPRIM_400000_NS6detail17trampoline_kernelINS0_14default_configENS1_25transform_config_selectorIN3c107complexIfEELb1EEEZNS1_14transform_implILb1ES3_S8_PS7_SA_NS0_8identityIS7_EEEE10hipError_tT2_T3_mT4_P12ihipStream_tbEUlT_E_NS1_11comp_targetILNS1_3genE5ELNS1_11target_archE942ELNS1_3gpuE9ELNS1_3repE0EEENS1_30default_config_static_selectorELNS0_4arch9wavefront6targetE0EEEvT1_
                                        ; -- End function
	.set _ZN7rocprim17ROCPRIM_400000_NS6detail17trampoline_kernelINS0_14default_configENS1_25transform_config_selectorIN3c107complexIfEELb1EEEZNS1_14transform_implILb1ES3_S8_PS7_SA_NS0_8identityIS7_EEEE10hipError_tT2_T3_mT4_P12ihipStream_tbEUlT_E_NS1_11comp_targetILNS1_3genE5ELNS1_11target_archE942ELNS1_3gpuE9ELNS1_3repE0EEENS1_30default_config_static_selectorELNS0_4arch9wavefront6targetE0EEEvT1_.num_vgpr, 0
	.set _ZN7rocprim17ROCPRIM_400000_NS6detail17trampoline_kernelINS0_14default_configENS1_25transform_config_selectorIN3c107complexIfEELb1EEEZNS1_14transform_implILb1ES3_S8_PS7_SA_NS0_8identityIS7_EEEE10hipError_tT2_T3_mT4_P12ihipStream_tbEUlT_E_NS1_11comp_targetILNS1_3genE5ELNS1_11target_archE942ELNS1_3gpuE9ELNS1_3repE0EEENS1_30default_config_static_selectorELNS0_4arch9wavefront6targetE0EEEvT1_.num_agpr, 0
	.set _ZN7rocprim17ROCPRIM_400000_NS6detail17trampoline_kernelINS0_14default_configENS1_25transform_config_selectorIN3c107complexIfEELb1EEEZNS1_14transform_implILb1ES3_S8_PS7_SA_NS0_8identityIS7_EEEE10hipError_tT2_T3_mT4_P12ihipStream_tbEUlT_E_NS1_11comp_targetILNS1_3genE5ELNS1_11target_archE942ELNS1_3gpuE9ELNS1_3repE0EEENS1_30default_config_static_selectorELNS0_4arch9wavefront6targetE0EEEvT1_.numbered_sgpr, 0
	.set _ZN7rocprim17ROCPRIM_400000_NS6detail17trampoline_kernelINS0_14default_configENS1_25transform_config_selectorIN3c107complexIfEELb1EEEZNS1_14transform_implILb1ES3_S8_PS7_SA_NS0_8identityIS7_EEEE10hipError_tT2_T3_mT4_P12ihipStream_tbEUlT_E_NS1_11comp_targetILNS1_3genE5ELNS1_11target_archE942ELNS1_3gpuE9ELNS1_3repE0EEENS1_30default_config_static_selectorELNS0_4arch9wavefront6targetE0EEEvT1_.num_named_barrier, 0
	.set _ZN7rocprim17ROCPRIM_400000_NS6detail17trampoline_kernelINS0_14default_configENS1_25transform_config_selectorIN3c107complexIfEELb1EEEZNS1_14transform_implILb1ES3_S8_PS7_SA_NS0_8identityIS7_EEEE10hipError_tT2_T3_mT4_P12ihipStream_tbEUlT_E_NS1_11comp_targetILNS1_3genE5ELNS1_11target_archE942ELNS1_3gpuE9ELNS1_3repE0EEENS1_30default_config_static_selectorELNS0_4arch9wavefront6targetE0EEEvT1_.private_seg_size, 0
	.set _ZN7rocprim17ROCPRIM_400000_NS6detail17trampoline_kernelINS0_14default_configENS1_25transform_config_selectorIN3c107complexIfEELb1EEEZNS1_14transform_implILb1ES3_S8_PS7_SA_NS0_8identityIS7_EEEE10hipError_tT2_T3_mT4_P12ihipStream_tbEUlT_E_NS1_11comp_targetILNS1_3genE5ELNS1_11target_archE942ELNS1_3gpuE9ELNS1_3repE0EEENS1_30default_config_static_selectorELNS0_4arch9wavefront6targetE0EEEvT1_.uses_vcc, 0
	.set _ZN7rocprim17ROCPRIM_400000_NS6detail17trampoline_kernelINS0_14default_configENS1_25transform_config_selectorIN3c107complexIfEELb1EEEZNS1_14transform_implILb1ES3_S8_PS7_SA_NS0_8identityIS7_EEEE10hipError_tT2_T3_mT4_P12ihipStream_tbEUlT_E_NS1_11comp_targetILNS1_3genE5ELNS1_11target_archE942ELNS1_3gpuE9ELNS1_3repE0EEENS1_30default_config_static_selectorELNS0_4arch9wavefront6targetE0EEEvT1_.uses_flat_scratch, 0
	.set _ZN7rocprim17ROCPRIM_400000_NS6detail17trampoline_kernelINS0_14default_configENS1_25transform_config_selectorIN3c107complexIfEELb1EEEZNS1_14transform_implILb1ES3_S8_PS7_SA_NS0_8identityIS7_EEEE10hipError_tT2_T3_mT4_P12ihipStream_tbEUlT_E_NS1_11comp_targetILNS1_3genE5ELNS1_11target_archE942ELNS1_3gpuE9ELNS1_3repE0EEENS1_30default_config_static_selectorELNS0_4arch9wavefront6targetE0EEEvT1_.has_dyn_sized_stack, 0
	.set _ZN7rocprim17ROCPRIM_400000_NS6detail17trampoline_kernelINS0_14default_configENS1_25transform_config_selectorIN3c107complexIfEELb1EEEZNS1_14transform_implILb1ES3_S8_PS7_SA_NS0_8identityIS7_EEEE10hipError_tT2_T3_mT4_P12ihipStream_tbEUlT_E_NS1_11comp_targetILNS1_3genE5ELNS1_11target_archE942ELNS1_3gpuE9ELNS1_3repE0EEENS1_30default_config_static_selectorELNS0_4arch9wavefront6targetE0EEEvT1_.has_recursion, 0
	.set _ZN7rocprim17ROCPRIM_400000_NS6detail17trampoline_kernelINS0_14default_configENS1_25transform_config_selectorIN3c107complexIfEELb1EEEZNS1_14transform_implILb1ES3_S8_PS7_SA_NS0_8identityIS7_EEEE10hipError_tT2_T3_mT4_P12ihipStream_tbEUlT_E_NS1_11comp_targetILNS1_3genE5ELNS1_11target_archE942ELNS1_3gpuE9ELNS1_3repE0EEENS1_30default_config_static_selectorELNS0_4arch9wavefront6targetE0EEEvT1_.has_indirect_call, 0
	.section	.AMDGPU.csdata,"",@progbits
; Kernel info:
; codeLenInByte = 0
; TotalNumSgprs: 0
; NumVgprs: 0
; ScratchSize: 0
; MemoryBound: 0
; FloatMode: 240
; IeeeMode: 1
; LDSByteSize: 0 bytes/workgroup (compile time only)
; SGPRBlocks: 0
; VGPRBlocks: 0
; NumSGPRsForWavesPerEU: 1
; NumVGPRsForWavesPerEU: 1
; Occupancy: 16
; WaveLimiterHint : 0
; COMPUTE_PGM_RSRC2:SCRATCH_EN: 0
; COMPUTE_PGM_RSRC2:USER_SGPR: 6
; COMPUTE_PGM_RSRC2:TRAP_HANDLER: 0
; COMPUTE_PGM_RSRC2:TGID_X_EN: 1
; COMPUTE_PGM_RSRC2:TGID_Y_EN: 0
; COMPUTE_PGM_RSRC2:TGID_Z_EN: 0
; COMPUTE_PGM_RSRC2:TIDIG_COMP_CNT: 0
	.section	.text._ZN7rocprim17ROCPRIM_400000_NS6detail17trampoline_kernelINS0_14default_configENS1_25transform_config_selectorIN3c107complexIfEELb1EEEZNS1_14transform_implILb1ES3_S8_PS7_SA_NS0_8identityIS7_EEEE10hipError_tT2_T3_mT4_P12ihipStream_tbEUlT_E_NS1_11comp_targetILNS1_3genE4ELNS1_11target_archE910ELNS1_3gpuE8ELNS1_3repE0EEENS1_30default_config_static_selectorELNS0_4arch9wavefront6targetE0EEEvT1_,"axG",@progbits,_ZN7rocprim17ROCPRIM_400000_NS6detail17trampoline_kernelINS0_14default_configENS1_25transform_config_selectorIN3c107complexIfEELb1EEEZNS1_14transform_implILb1ES3_S8_PS7_SA_NS0_8identityIS7_EEEE10hipError_tT2_T3_mT4_P12ihipStream_tbEUlT_E_NS1_11comp_targetILNS1_3genE4ELNS1_11target_archE910ELNS1_3gpuE8ELNS1_3repE0EEENS1_30default_config_static_selectorELNS0_4arch9wavefront6targetE0EEEvT1_,comdat
	.protected	_ZN7rocprim17ROCPRIM_400000_NS6detail17trampoline_kernelINS0_14default_configENS1_25transform_config_selectorIN3c107complexIfEELb1EEEZNS1_14transform_implILb1ES3_S8_PS7_SA_NS0_8identityIS7_EEEE10hipError_tT2_T3_mT4_P12ihipStream_tbEUlT_E_NS1_11comp_targetILNS1_3genE4ELNS1_11target_archE910ELNS1_3gpuE8ELNS1_3repE0EEENS1_30default_config_static_selectorELNS0_4arch9wavefront6targetE0EEEvT1_ ; -- Begin function _ZN7rocprim17ROCPRIM_400000_NS6detail17trampoline_kernelINS0_14default_configENS1_25transform_config_selectorIN3c107complexIfEELb1EEEZNS1_14transform_implILb1ES3_S8_PS7_SA_NS0_8identityIS7_EEEE10hipError_tT2_T3_mT4_P12ihipStream_tbEUlT_E_NS1_11comp_targetILNS1_3genE4ELNS1_11target_archE910ELNS1_3gpuE8ELNS1_3repE0EEENS1_30default_config_static_selectorELNS0_4arch9wavefront6targetE0EEEvT1_
	.globl	_ZN7rocprim17ROCPRIM_400000_NS6detail17trampoline_kernelINS0_14default_configENS1_25transform_config_selectorIN3c107complexIfEELb1EEEZNS1_14transform_implILb1ES3_S8_PS7_SA_NS0_8identityIS7_EEEE10hipError_tT2_T3_mT4_P12ihipStream_tbEUlT_E_NS1_11comp_targetILNS1_3genE4ELNS1_11target_archE910ELNS1_3gpuE8ELNS1_3repE0EEENS1_30default_config_static_selectorELNS0_4arch9wavefront6targetE0EEEvT1_
	.p2align	8
	.type	_ZN7rocprim17ROCPRIM_400000_NS6detail17trampoline_kernelINS0_14default_configENS1_25transform_config_selectorIN3c107complexIfEELb1EEEZNS1_14transform_implILb1ES3_S8_PS7_SA_NS0_8identityIS7_EEEE10hipError_tT2_T3_mT4_P12ihipStream_tbEUlT_E_NS1_11comp_targetILNS1_3genE4ELNS1_11target_archE910ELNS1_3gpuE8ELNS1_3repE0EEENS1_30default_config_static_selectorELNS0_4arch9wavefront6targetE0EEEvT1_,@function
_ZN7rocprim17ROCPRIM_400000_NS6detail17trampoline_kernelINS0_14default_configENS1_25transform_config_selectorIN3c107complexIfEELb1EEEZNS1_14transform_implILb1ES3_S8_PS7_SA_NS0_8identityIS7_EEEE10hipError_tT2_T3_mT4_P12ihipStream_tbEUlT_E_NS1_11comp_targetILNS1_3genE4ELNS1_11target_archE910ELNS1_3gpuE8ELNS1_3repE0EEENS1_30default_config_static_selectorELNS0_4arch9wavefront6targetE0EEEvT1_: ; @_ZN7rocprim17ROCPRIM_400000_NS6detail17trampoline_kernelINS0_14default_configENS1_25transform_config_selectorIN3c107complexIfEELb1EEEZNS1_14transform_implILb1ES3_S8_PS7_SA_NS0_8identityIS7_EEEE10hipError_tT2_T3_mT4_P12ihipStream_tbEUlT_E_NS1_11comp_targetILNS1_3genE4ELNS1_11target_archE910ELNS1_3gpuE8ELNS1_3repE0EEENS1_30default_config_static_selectorELNS0_4arch9wavefront6targetE0EEEvT1_
; %bb.0:
	.section	.rodata,"a",@progbits
	.p2align	6, 0x0
	.amdhsa_kernel _ZN7rocprim17ROCPRIM_400000_NS6detail17trampoline_kernelINS0_14default_configENS1_25transform_config_selectorIN3c107complexIfEELb1EEEZNS1_14transform_implILb1ES3_S8_PS7_SA_NS0_8identityIS7_EEEE10hipError_tT2_T3_mT4_P12ihipStream_tbEUlT_E_NS1_11comp_targetILNS1_3genE4ELNS1_11target_archE910ELNS1_3gpuE8ELNS1_3repE0EEENS1_30default_config_static_selectorELNS0_4arch9wavefront6targetE0EEEvT1_
		.amdhsa_group_segment_fixed_size 0
		.amdhsa_private_segment_fixed_size 0
		.amdhsa_kernarg_size 40
		.amdhsa_user_sgpr_count 6
		.amdhsa_user_sgpr_private_segment_buffer 1
		.amdhsa_user_sgpr_dispatch_ptr 0
		.amdhsa_user_sgpr_queue_ptr 0
		.amdhsa_user_sgpr_kernarg_segment_ptr 1
		.amdhsa_user_sgpr_dispatch_id 0
		.amdhsa_user_sgpr_flat_scratch_init 0
		.amdhsa_user_sgpr_private_segment_size 0
		.amdhsa_wavefront_size32 1
		.amdhsa_uses_dynamic_stack 0
		.amdhsa_system_sgpr_private_segment_wavefront_offset 0
		.amdhsa_system_sgpr_workgroup_id_x 1
		.amdhsa_system_sgpr_workgroup_id_y 0
		.amdhsa_system_sgpr_workgroup_id_z 0
		.amdhsa_system_sgpr_workgroup_info 0
		.amdhsa_system_vgpr_workitem_id 0
		.amdhsa_next_free_vgpr 1
		.amdhsa_next_free_sgpr 1
		.amdhsa_reserve_vcc 0
		.amdhsa_reserve_flat_scratch 0
		.amdhsa_float_round_mode_32 0
		.amdhsa_float_round_mode_16_64 0
		.amdhsa_float_denorm_mode_32 3
		.amdhsa_float_denorm_mode_16_64 3
		.amdhsa_dx10_clamp 1
		.amdhsa_ieee_mode 1
		.amdhsa_fp16_overflow 0
		.amdhsa_workgroup_processor_mode 1
		.amdhsa_memory_ordered 1
		.amdhsa_forward_progress 1
		.amdhsa_shared_vgpr_count 0
		.amdhsa_exception_fp_ieee_invalid_op 0
		.amdhsa_exception_fp_denorm_src 0
		.amdhsa_exception_fp_ieee_div_zero 0
		.amdhsa_exception_fp_ieee_overflow 0
		.amdhsa_exception_fp_ieee_underflow 0
		.amdhsa_exception_fp_ieee_inexact 0
		.amdhsa_exception_int_div_zero 0
	.end_amdhsa_kernel
	.section	.text._ZN7rocprim17ROCPRIM_400000_NS6detail17trampoline_kernelINS0_14default_configENS1_25transform_config_selectorIN3c107complexIfEELb1EEEZNS1_14transform_implILb1ES3_S8_PS7_SA_NS0_8identityIS7_EEEE10hipError_tT2_T3_mT4_P12ihipStream_tbEUlT_E_NS1_11comp_targetILNS1_3genE4ELNS1_11target_archE910ELNS1_3gpuE8ELNS1_3repE0EEENS1_30default_config_static_selectorELNS0_4arch9wavefront6targetE0EEEvT1_,"axG",@progbits,_ZN7rocprim17ROCPRIM_400000_NS6detail17trampoline_kernelINS0_14default_configENS1_25transform_config_selectorIN3c107complexIfEELb1EEEZNS1_14transform_implILb1ES3_S8_PS7_SA_NS0_8identityIS7_EEEE10hipError_tT2_T3_mT4_P12ihipStream_tbEUlT_E_NS1_11comp_targetILNS1_3genE4ELNS1_11target_archE910ELNS1_3gpuE8ELNS1_3repE0EEENS1_30default_config_static_selectorELNS0_4arch9wavefront6targetE0EEEvT1_,comdat
.Lfunc_end276:
	.size	_ZN7rocprim17ROCPRIM_400000_NS6detail17trampoline_kernelINS0_14default_configENS1_25transform_config_selectorIN3c107complexIfEELb1EEEZNS1_14transform_implILb1ES3_S8_PS7_SA_NS0_8identityIS7_EEEE10hipError_tT2_T3_mT4_P12ihipStream_tbEUlT_E_NS1_11comp_targetILNS1_3genE4ELNS1_11target_archE910ELNS1_3gpuE8ELNS1_3repE0EEENS1_30default_config_static_selectorELNS0_4arch9wavefront6targetE0EEEvT1_, .Lfunc_end276-_ZN7rocprim17ROCPRIM_400000_NS6detail17trampoline_kernelINS0_14default_configENS1_25transform_config_selectorIN3c107complexIfEELb1EEEZNS1_14transform_implILb1ES3_S8_PS7_SA_NS0_8identityIS7_EEEE10hipError_tT2_T3_mT4_P12ihipStream_tbEUlT_E_NS1_11comp_targetILNS1_3genE4ELNS1_11target_archE910ELNS1_3gpuE8ELNS1_3repE0EEENS1_30default_config_static_selectorELNS0_4arch9wavefront6targetE0EEEvT1_
                                        ; -- End function
	.set _ZN7rocprim17ROCPRIM_400000_NS6detail17trampoline_kernelINS0_14default_configENS1_25transform_config_selectorIN3c107complexIfEELb1EEEZNS1_14transform_implILb1ES3_S8_PS7_SA_NS0_8identityIS7_EEEE10hipError_tT2_T3_mT4_P12ihipStream_tbEUlT_E_NS1_11comp_targetILNS1_3genE4ELNS1_11target_archE910ELNS1_3gpuE8ELNS1_3repE0EEENS1_30default_config_static_selectorELNS0_4arch9wavefront6targetE0EEEvT1_.num_vgpr, 0
	.set _ZN7rocprim17ROCPRIM_400000_NS6detail17trampoline_kernelINS0_14default_configENS1_25transform_config_selectorIN3c107complexIfEELb1EEEZNS1_14transform_implILb1ES3_S8_PS7_SA_NS0_8identityIS7_EEEE10hipError_tT2_T3_mT4_P12ihipStream_tbEUlT_E_NS1_11comp_targetILNS1_3genE4ELNS1_11target_archE910ELNS1_3gpuE8ELNS1_3repE0EEENS1_30default_config_static_selectorELNS0_4arch9wavefront6targetE0EEEvT1_.num_agpr, 0
	.set _ZN7rocprim17ROCPRIM_400000_NS6detail17trampoline_kernelINS0_14default_configENS1_25transform_config_selectorIN3c107complexIfEELb1EEEZNS1_14transform_implILb1ES3_S8_PS7_SA_NS0_8identityIS7_EEEE10hipError_tT2_T3_mT4_P12ihipStream_tbEUlT_E_NS1_11comp_targetILNS1_3genE4ELNS1_11target_archE910ELNS1_3gpuE8ELNS1_3repE0EEENS1_30default_config_static_selectorELNS0_4arch9wavefront6targetE0EEEvT1_.numbered_sgpr, 0
	.set _ZN7rocprim17ROCPRIM_400000_NS6detail17trampoline_kernelINS0_14default_configENS1_25transform_config_selectorIN3c107complexIfEELb1EEEZNS1_14transform_implILb1ES3_S8_PS7_SA_NS0_8identityIS7_EEEE10hipError_tT2_T3_mT4_P12ihipStream_tbEUlT_E_NS1_11comp_targetILNS1_3genE4ELNS1_11target_archE910ELNS1_3gpuE8ELNS1_3repE0EEENS1_30default_config_static_selectorELNS0_4arch9wavefront6targetE0EEEvT1_.num_named_barrier, 0
	.set _ZN7rocprim17ROCPRIM_400000_NS6detail17trampoline_kernelINS0_14default_configENS1_25transform_config_selectorIN3c107complexIfEELb1EEEZNS1_14transform_implILb1ES3_S8_PS7_SA_NS0_8identityIS7_EEEE10hipError_tT2_T3_mT4_P12ihipStream_tbEUlT_E_NS1_11comp_targetILNS1_3genE4ELNS1_11target_archE910ELNS1_3gpuE8ELNS1_3repE0EEENS1_30default_config_static_selectorELNS0_4arch9wavefront6targetE0EEEvT1_.private_seg_size, 0
	.set _ZN7rocprim17ROCPRIM_400000_NS6detail17trampoline_kernelINS0_14default_configENS1_25transform_config_selectorIN3c107complexIfEELb1EEEZNS1_14transform_implILb1ES3_S8_PS7_SA_NS0_8identityIS7_EEEE10hipError_tT2_T3_mT4_P12ihipStream_tbEUlT_E_NS1_11comp_targetILNS1_3genE4ELNS1_11target_archE910ELNS1_3gpuE8ELNS1_3repE0EEENS1_30default_config_static_selectorELNS0_4arch9wavefront6targetE0EEEvT1_.uses_vcc, 0
	.set _ZN7rocprim17ROCPRIM_400000_NS6detail17trampoline_kernelINS0_14default_configENS1_25transform_config_selectorIN3c107complexIfEELb1EEEZNS1_14transform_implILb1ES3_S8_PS7_SA_NS0_8identityIS7_EEEE10hipError_tT2_T3_mT4_P12ihipStream_tbEUlT_E_NS1_11comp_targetILNS1_3genE4ELNS1_11target_archE910ELNS1_3gpuE8ELNS1_3repE0EEENS1_30default_config_static_selectorELNS0_4arch9wavefront6targetE0EEEvT1_.uses_flat_scratch, 0
	.set _ZN7rocprim17ROCPRIM_400000_NS6detail17trampoline_kernelINS0_14default_configENS1_25transform_config_selectorIN3c107complexIfEELb1EEEZNS1_14transform_implILb1ES3_S8_PS7_SA_NS0_8identityIS7_EEEE10hipError_tT2_T3_mT4_P12ihipStream_tbEUlT_E_NS1_11comp_targetILNS1_3genE4ELNS1_11target_archE910ELNS1_3gpuE8ELNS1_3repE0EEENS1_30default_config_static_selectorELNS0_4arch9wavefront6targetE0EEEvT1_.has_dyn_sized_stack, 0
	.set _ZN7rocprim17ROCPRIM_400000_NS6detail17trampoline_kernelINS0_14default_configENS1_25transform_config_selectorIN3c107complexIfEELb1EEEZNS1_14transform_implILb1ES3_S8_PS7_SA_NS0_8identityIS7_EEEE10hipError_tT2_T3_mT4_P12ihipStream_tbEUlT_E_NS1_11comp_targetILNS1_3genE4ELNS1_11target_archE910ELNS1_3gpuE8ELNS1_3repE0EEENS1_30default_config_static_selectorELNS0_4arch9wavefront6targetE0EEEvT1_.has_recursion, 0
	.set _ZN7rocprim17ROCPRIM_400000_NS6detail17trampoline_kernelINS0_14default_configENS1_25transform_config_selectorIN3c107complexIfEELb1EEEZNS1_14transform_implILb1ES3_S8_PS7_SA_NS0_8identityIS7_EEEE10hipError_tT2_T3_mT4_P12ihipStream_tbEUlT_E_NS1_11comp_targetILNS1_3genE4ELNS1_11target_archE910ELNS1_3gpuE8ELNS1_3repE0EEENS1_30default_config_static_selectorELNS0_4arch9wavefront6targetE0EEEvT1_.has_indirect_call, 0
	.section	.AMDGPU.csdata,"",@progbits
; Kernel info:
; codeLenInByte = 0
; TotalNumSgprs: 0
; NumVgprs: 0
; ScratchSize: 0
; MemoryBound: 0
; FloatMode: 240
; IeeeMode: 1
; LDSByteSize: 0 bytes/workgroup (compile time only)
; SGPRBlocks: 0
; VGPRBlocks: 0
; NumSGPRsForWavesPerEU: 1
; NumVGPRsForWavesPerEU: 1
; Occupancy: 16
; WaveLimiterHint : 0
; COMPUTE_PGM_RSRC2:SCRATCH_EN: 0
; COMPUTE_PGM_RSRC2:USER_SGPR: 6
; COMPUTE_PGM_RSRC2:TRAP_HANDLER: 0
; COMPUTE_PGM_RSRC2:TGID_X_EN: 1
; COMPUTE_PGM_RSRC2:TGID_Y_EN: 0
; COMPUTE_PGM_RSRC2:TGID_Z_EN: 0
; COMPUTE_PGM_RSRC2:TIDIG_COMP_CNT: 0
	.section	.text._ZN7rocprim17ROCPRIM_400000_NS6detail17trampoline_kernelINS0_14default_configENS1_25transform_config_selectorIN3c107complexIfEELb1EEEZNS1_14transform_implILb1ES3_S8_PS7_SA_NS0_8identityIS7_EEEE10hipError_tT2_T3_mT4_P12ihipStream_tbEUlT_E_NS1_11comp_targetILNS1_3genE3ELNS1_11target_archE908ELNS1_3gpuE7ELNS1_3repE0EEENS1_30default_config_static_selectorELNS0_4arch9wavefront6targetE0EEEvT1_,"axG",@progbits,_ZN7rocprim17ROCPRIM_400000_NS6detail17trampoline_kernelINS0_14default_configENS1_25transform_config_selectorIN3c107complexIfEELb1EEEZNS1_14transform_implILb1ES3_S8_PS7_SA_NS0_8identityIS7_EEEE10hipError_tT2_T3_mT4_P12ihipStream_tbEUlT_E_NS1_11comp_targetILNS1_3genE3ELNS1_11target_archE908ELNS1_3gpuE7ELNS1_3repE0EEENS1_30default_config_static_selectorELNS0_4arch9wavefront6targetE0EEEvT1_,comdat
	.protected	_ZN7rocprim17ROCPRIM_400000_NS6detail17trampoline_kernelINS0_14default_configENS1_25transform_config_selectorIN3c107complexIfEELb1EEEZNS1_14transform_implILb1ES3_S8_PS7_SA_NS0_8identityIS7_EEEE10hipError_tT2_T3_mT4_P12ihipStream_tbEUlT_E_NS1_11comp_targetILNS1_3genE3ELNS1_11target_archE908ELNS1_3gpuE7ELNS1_3repE0EEENS1_30default_config_static_selectorELNS0_4arch9wavefront6targetE0EEEvT1_ ; -- Begin function _ZN7rocprim17ROCPRIM_400000_NS6detail17trampoline_kernelINS0_14default_configENS1_25transform_config_selectorIN3c107complexIfEELb1EEEZNS1_14transform_implILb1ES3_S8_PS7_SA_NS0_8identityIS7_EEEE10hipError_tT2_T3_mT4_P12ihipStream_tbEUlT_E_NS1_11comp_targetILNS1_3genE3ELNS1_11target_archE908ELNS1_3gpuE7ELNS1_3repE0EEENS1_30default_config_static_selectorELNS0_4arch9wavefront6targetE0EEEvT1_
	.globl	_ZN7rocprim17ROCPRIM_400000_NS6detail17trampoline_kernelINS0_14default_configENS1_25transform_config_selectorIN3c107complexIfEELb1EEEZNS1_14transform_implILb1ES3_S8_PS7_SA_NS0_8identityIS7_EEEE10hipError_tT2_T3_mT4_P12ihipStream_tbEUlT_E_NS1_11comp_targetILNS1_3genE3ELNS1_11target_archE908ELNS1_3gpuE7ELNS1_3repE0EEENS1_30default_config_static_selectorELNS0_4arch9wavefront6targetE0EEEvT1_
	.p2align	8
	.type	_ZN7rocprim17ROCPRIM_400000_NS6detail17trampoline_kernelINS0_14default_configENS1_25transform_config_selectorIN3c107complexIfEELb1EEEZNS1_14transform_implILb1ES3_S8_PS7_SA_NS0_8identityIS7_EEEE10hipError_tT2_T3_mT4_P12ihipStream_tbEUlT_E_NS1_11comp_targetILNS1_3genE3ELNS1_11target_archE908ELNS1_3gpuE7ELNS1_3repE0EEENS1_30default_config_static_selectorELNS0_4arch9wavefront6targetE0EEEvT1_,@function
_ZN7rocprim17ROCPRIM_400000_NS6detail17trampoline_kernelINS0_14default_configENS1_25transform_config_selectorIN3c107complexIfEELb1EEEZNS1_14transform_implILb1ES3_S8_PS7_SA_NS0_8identityIS7_EEEE10hipError_tT2_T3_mT4_P12ihipStream_tbEUlT_E_NS1_11comp_targetILNS1_3genE3ELNS1_11target_archE908ELNS1_3gpuE7ELNS1_3repE0EEENS1_30default_config_static_selectorELNS0_4arch9wavefront6targetE0EEEvT1_: ; @_ZN7rocprim17ROCPRIM_400000_NS6detail17trampoline_kernelINS0_14default_configENS1_25transform_config_selectorIN3c107complexIfEELb1EEEZNS1_14transform_implILb1ES3_S8_PS7_SA_NS0_8identityIS7_EEEE10hipError_tT2_T3_mT4_P12ihipStream_tbEUlT_E_NS1_11comp_targetILNS1_3genE3ELNS1_11target_archE908ELNS1_3gpuE7ELNS1_3repE0EEENS1_30default_config_static_selectorELNS0_4arch9wavefront6targetE0EEEvT1_
; %bb.0:
	.section	.rodata,"a",@progbits
	.p2align	6, 0x0
	.amdhsa_kernel _ZN7rocprim17ROCPRIM_400000_NS6detail17trampoline_kernelINS0_14default_configENS1_25transform_config_selectorIN3c107complexIfEELb1EEEZNS1_14transform_implILb1ES3_S8_PS7_SA_NS0_8identityIS7_EEEE10hipError_tT2_T3_mT4_P12ihipStream_tbEUlT_E_NS1_11comp_targetILNS1_3genE3ELNS1_11target_archE908ELNS1_3gpuE7ELNS1_3repE0EEENS1_30default_config_static_selectorELNS0_4arch9wavefront6targetE0EEEvT1_
		.amdhsa_group_segment_fixed_size 0
		.amdhsa_private_segment_fixed_size 0
		.amdhsa_kernarg_size 40
		.amdhsa_user_sgpr_count 6
		.amdhsa_user_sgpr_private_segment_buffer 1
		.amdhsa_user_sgpr_dispatch_ptr 0
		.amdhsa_user_sgpr_queue_ptr 0
		.amdhsa_user_sgpr_kernarg_segment_ptr 1
		.amdhsa_user_sgpr_dispatch_id 0
		.amdhsa_user_sgpr_flat_scratch_init 0
		.amdhsa_user_sgpr_private_segment_size 0
		.amdhsa_wavefront_size32 1
		.amdhsa_uses_dynamic_stack 0
		.amdhsa_system_sgpr_private_segment_wavefront_offset 0
		.amdhsa_system_sgpr_workgroup_id_x 1
		.amdhsa_system_sgpr_workgroup_id_y 0
		.amdhsa_system_sgpr_workgroup_id_z 0
		.amdhsa_system_sgpr_workgroup_info 0
		.amdhsa_system_vgpr_workitem_id 0
		.amdhsa_next_free_vgpr 1
		.amdhsa_next_free_sgpr 1
		.amdhsa_reserve_vcc 0
		.amdhsa_reserve_flat_scratch 0
		.amdhsa_float_round_mode_32 0
		.amdhsa_float_round_mode_16_64 0
		.amdhsa_float_denorm_mode_32 3
		.amdhsa_float_denorm_mode_16_64 3
		.amdhsa_dx10_clamp 1
		.amdhsa_ieee_mode 1
		.amdhsa_fp16_overflow 0
		.amdhsa_workgroup_processor_mode 1
		.amdhsa_memory_ordered 1
		.amdhsa_forward_progress 1
		.amdhsa_shared_vgpr_count 0
		.amdhsa_exception_fp_ieee_invalid_op 0
		.amdhsa_exception_fp_denorm_src 0
		.amdhsa_exception_fp_ieee_div_zero 0
		.amdhsa_exception_fp_ieee_overflow 0
		.amdhsa_exception_fp_ieee_underflow 0
		.amdhsa_exception_fp_ieee_inexact 0
		.amdhsa_exception_int_div_zero 0
	.end_amdhsa_kernel
	.section	.text._ZN7rocprim17ROCPRIM_400000_NS6detail17trampoline_kernelINS0_14default_configENS1_25transform_config_selectorIN3c107complexIfEELb1EEEZNS1_14transform_implILb1ES3_S8_PS7_SA_NS0_8identityIS7_EEEE10hipError_tT2_T3_mT4_P12ihipStream_tbEUlT_E_NS1_11comp_targetILNS1_3genE3ELNS1_11target_archE908ELNS1_3gpuE7ELNS1_3repE0EEENS1_30default_config_static_selectorELNS0_4arch9wavefront6targetE0EEEvT1_,"axG",@progbits,_ZN7rocprim17ROCPRIM_400000_NS6detail17trampoline_kernelINS0_14default_configENS1_25transform_config_selectorIN3c107complexIfEELb1EEEZNS1_14transform_implILb1ES3_S8_PS7_SA_NS0_8identityIS7_EEEE10hipError_tT2_T3_mT4_P12ihipStream_tbEUlT_E_NS1_11comp_targetILNS1_3genE3ELNS1_11target_archE908ELNS1_3gpuE7ELNS1_3repE0EEENS1_30default_config_static_selectorELNS0_4arch9wavefront6targetE0EEEvT1_,comdat
.Lfunc_end277:
	.size	_ZN7rocprim17ROCPRIM_400000_NS6detail17trampoline_kernelINS0_14default_configENS1_25transform_config_selectorIN3c107complexIfEELb1EEEZNS1_14transform_implILb1ES3_S8_PS7_SA_NS0_8identityIS7_EEEE10hipError_tT2_T3_mT4_P12ihipStream_tbEUlT_E_NS1_11comp_targetILNS1_3genE3ELNS1_11target_archE908ELNS1_3gpuE7ELNS1_3repE0EEENS1_30default_config_static_selectorELNS0_4arch9wavefront6targetE0EEEvT1_, .Lfunc_end277-_ZN7rocprim17ROCPRIM_400000_NS6detail17trampoline_kernelINS0_14default_configENS1_25transform_config_selectorIN3c107complexIfEELb1EEEZNS1_14transform_implILb1ES3_S8_PS7_SA_NS0_8identityIS7_EEEE10hipError_tT2_T3_mT4_P12ihipStream_tbEUlT_E_NS1_11comp_targetILNS1_3genE3ELNS1_11target_archE908ELNS1_3gpuE7ELNS1_3repE0EEENS1_30default_config_static_selectorELNS0_4arch9wavefront6targetE0EEEvT1_
                                        ; -- End function
	.set _ZN7rocprim17ROCPRIM_400000_NS6detail17trampoline_kernelINS0_14default_configENS1_25transform_config_selectorIN3c107complexIfEELb1EEEZNS1_14transform_implILb1ES3_S8_PS7_SA_NS0_8identityIS7_EEEE10hipError_tT2_T3_mT4_P12ihipStream_tbEUlT_E_NS1_11comp_targetILNS1_3genE3ELNS1_11target_archE908ELNS1_3gpuE7ELNS1_3repE0EEENS1_30default_config_static_selectorELNS0_4arch9wavefront6targetE0EEEvT1_.num_vgpr, 0
	.set _ZN7rocprim17ROCPRIM_400000_NS6detail17trampoline_kernelINS0_14default_configENS1_25transform_config_selectorIN3c107complexIfEELb1EEEZNS1_14transform_implILb1ES3_S8_PS7_SA_NS0_8identityIS7_EEEE10hipError_tT2_T3_mT4_P12ihipStream_tbEUlT_E_NS1_11comp_targetILNS1_3genE3ELNS1_11target_archE908ELNS1_3gpuE7ELNS1_3repE0EEENS1_30default_config_static_selectorELNS0_4arch9wavefront6targetE0EEEvT1_.num_agpr, 0
	.set _ZN7rocprim17ROCPRIM_400000_NS6detail17trampoline_kernelINS0_14default_configENS1_25transform_config_selectorIN3c107complexIfEELb1EEEZNS1_14transform_implILb1ES3_S8_PS7_SA_NS0_8identityIS7_EEEE10hipError_tT2_T3_mT4_P12ihipStream_tbEUlT_E_NS1_11comp_targetILNS1_3genE3ELNS1_11target_archE908ELNS1_3gpuE7ELNS1_3repE0EEENS1_30default_config_static_selectorELNS0_4arch9wavefront6targetE0EEEvT1_.numbered_sgpr, 0
	.set _ZN7rocprim17ROCPRIM_400000_NS6detail17trampoline_kernelINS0_14default_configENS1_25transform_config_selectorIN3c107complexIfEELb1EEEZNS1_14transform_implILb1ES3_S8_PS7_SA_NS0_8identityIS7_EEEE10hipError_tT2_T3_mT4_P12ihipStream_tbEUlT_E_NS1_11comp_targetILNS1_3genE3ELNS1_11target_archE908ELNS1_3gpuE7ELNS1_3repE0EEENS1_30default_config_static_selectorELNS0_4arch9wavefront6targetE0EEEvT1_.num_named_barrier, 0
	.set _ZN7rocprim17ROCPRIM_400000_NS6detail17trampoline_kernelINS0_14default_configENS1_25transform_config_selectorIN3c107complexIfEELb1EEEZNS1_14transform_implILb1ES3_S8_PS7_SA_NS0_8identityIS7_EEEE10hipError_tT2_T3_mT4_P12ihipStream_tbEUlT_E_NS1_11comp_targetILNS1_3genE3ELNS1_11target_archE908ELNS1_3gpuE7ELNS1_3repE0EEENS1_30default_config_static_selectorELNS0_4arch9wavefront6targetE0EEEvT1_.private_seg_size, 0
	.set _ZN7rocprim17ROCPRIM_400000_NS6detail17trampoline_kernelINS0_14default_configENS1_25transform_config_selectorIN3c107complexIfEELb1EEEZNS1_14transform_implILb1ES3_S8_PS7_SA_NS0_8identityIS7_EEEE10hipError_tT2_T3_mT4_P12ihipStream_tbEUlT_E_NS1_11comp_targetILNS1_3genE3ELNS1_11target_archE908ELNS1_3gpuE7ELNS1_3repE0EEENS1_30default_config_static_selectorELNS0_4arch9wavefront6targetE0EEEvT1_.uses_vcc, 0
	.set _ZN7rocprim17ROCPRIM_400000_NS6detail17trampoline_kernelINS0_14default_configENS1_25transform_config_selectorIN3c107complexIfEELb1EEEZNS1_14transform_implILb1ES3_S8_PS7_SA_NS0_8identityIS7_EEEE10hipError_tT2_T3_mT4_P12ihipStream_tbEUlT_E_NS1_11comp_targetILNS1_3genE3ELNS1_11target_archE908ELNS1_3gpuE7ELNS1_3repE0EEENS1_30default_config_static_selectorELNS0_4arch9wavefront6targetE0EEEvT1_.uses_flat_scratch, 0
	.set _ZN7rocprim17ROCPRIM_400000_NS6detail17trampoline_kernelINS0_14default_configENS1_25transform_config_selectorIN3c107complexIfEELb1EEEZNS1_14transform_implILb1ES3_S8_PS7_SA_NS0_8identityIS7_EEEE10hipError_tT2_T3_mT4_P12ihipStream_tbEUlT_E_NS1_11comp_targetILNS1_3genE3ELNS1_11target_archE908ELNS1_3gpuE7ELNS1_3repE0EEENS1_30default_config_static_selectorELNS0_4arch9wavefront6targetE0EEEvT1_.has_dyn_sized_stack, 0
	.set _ZN7rocprim17ROCPRIM_400000_NS6detail17trampoline_kernelINS0_14default_configENS1_25transform_config_selectorIN3c107complexIfEELb1EEEZNS1_14transform_implILb1ES3_S8_PS7_SA_NS0_8identityIS7_EEEE10hipError_tT2_T3_mT4_P12ihipStream_tbEUlT_E_NS1_11comp_targetILNS1_3genE3ELNS1_11target_archE908ELNS1_3gpuE7ELNS1_3repE0EEENS1_30default_config_static_selectorELNS0_4arch9wavefront6targetE0EEEvT1_.has_recursion, 0
	.set _ZN7rocprim17ROCPRIM_400000_NS6detail17trampoline_kernelINS0_14default_configENS1_25transform_config_selectorIN3c107complexIfEELb1EEEZNS1_14transform_implILb1ES3_S8_PS7_SA_NS0_8identityIS7_EEEE10hipError_tT2_T3_mT4_P12ihipStream_tbEUlT_E_NS1_11comp_targetILNS1_3genE3ELNS1_11target_archE908ELNS1_3gpuE7ELNS1_3repE0EEENS1_30default_config_static_selectorELNS0_4arch9wavefront6targetE0EEEvT1_.has_indirect_call, 0
	.section	.AMDGPU.csdata,"",@progbits
; Kernel info:
; codeLenInByte = 0
; TotalNumSgprs: 0
; NumVgprs: 0
; ScratchSize: 0
; MemoryBound: 0
; FloatMode: 240
; IeeeMode: 1
; LDSByteSize: 0 bytes/workgroup (compile time only)
; SGPRBlocks: 0
; VGPRBlocks: 0
; NumSGPRsForWavesPerEU: 1
; NumVGPRsForWavesPerEU: 1
; Occupancy: 16
; WaveLimiterHint : 0
; COMPUTE_PGM_RSRC2:SCRATCH_EN: 0
; COMPUTE_PGM_RSRC2:USER_SGPR: 6
; COMPUTE_PGM_RSRC2:TRAP_HANDLER: 0
; COMPUTE_PGM_RSRC2:TGID_X_EN: 1
; COMPUTE_PGM_RSRC2:TGID_Y_EN: 0
; COMPUTE_PGM_RSRC2:TGID_Z_EN: 0
; COMPUTE_PGM_RSRC2:TIDIG_COMP_CNT: 0
	.section	.text._ZN7rocprim17ROCPRIM_400000_NS6detail17trampoline_kernelINS0_14default_configENS1_25transform_config_selectorIN3c107complexIfEELb1EEEZNS1_14transform_implILb1ES3_S8_PS7_SA_NS0_8identityIS7_EEEE10hipError_tT2_T3_mT4_P12ihipStream_tbEUlT_E_NS1_11comp_targetILNS1_3genE2ELNS1_11target_archE906ELNS1_3gpuE6ELNS1_3repE0EEENS1_30default_config_static_selectorELNS0_4arch9wavefront6targetE0EEEvT1_,"axG",@progbits,_ZN7rocprim17ROCPRIM_400000_NS6detail17trampoline_kernelINS0_14default_configENS1_25transform_config_selectorIN3c107complexIfEELb1EEEZNS1_14transform_implILb1ES3_S8_PS7_SA_NS0_8identityIS7_EEEE10hipError_tT2_T3_mT4_P12ihipStream_tbEUlT_E_NS1_11comp_targetILNS1_3genE2ELNS1_11target_archE906ELNS1_3gpuE6ELNS1_3repE0EEENS1_30default_config_static_selectorELNS0_4arch9wavefront6targetE0EEEvT1_,comdat
	.protected	_ZN7rocprim17ROCPRIM_400000_NS6detail17trampoline_kernelINS0_14default_configENS1_25transform_config_selectorIN3c107complexIfEELb1EEEZNS1_14transform_implILb1ES3_S8_PS7_SA_NS0_8identityIS7_EEEE10hipError_tT2_T3_mT4_P12ihipStream_tbEUlT_E_NS1_11comp_targetILNS1_3genE2ELNS1_11target_archE906ELNS1_3gpuE6ELNS1_3repE0EEENS1_30default_config_static_selectorELNS0_4arch9wavefront6targetE0EEEvT1_ ; -- Begin function _ZN7rocprim17ROCPRIM_400000_NS6detail17trampoline_kernelINS0_14default_configENS1_25transform_config_selectorIN3c107complexIfEELb1EEEZNS1_14transform_implILb1ES3_S8_PS7_SA_NS0_8identityIS7_EEEE10hipError_tT2_T3_mT4_P12ihipStream_tbEUlT_E_NS1_11comp_targetILNS1_3genE2ELNS1_11target_archE906ELNS1_3gpuE6ELNS1_3repE0EEENS1_30default_config_static_selectorELNS0_4arch9wavefront6targetE0EEEvT1_
	.globl	_ZN7rocprim17ROCPRIM_400000_NS6detail17trampoline_kernelINS0_14default_configENS1_25transform_config_selectorIN3c107complexIfEELb1EEEZNS1_14transform_implILb1ES3_S8_PS7_SA_NS0_8identityIS7_EEEE10hipError_tT2_T3_mT4_P12ihipStream_tbEUlT_E_NS1_11comp_targetILNS1_3genE2ELNS1_11target_archE906ELNS1_3gpuE6ELNS1_3repE0EEENS1_30default_config_static_selectorELNS0_4arch9wavefront6targetE0EEEvT1_
	.p2align	8
	.type	_ZN7rocprim17ROCPRIM_400000_NS6detail17trampoline_kernelINS0_14default_configENS1_25transform_config_selectorIN3c107complexIfEELb1EEEZNS1_14transform_implILb1ES3_S8_PS7_SA_NS0_8identityIS7_EEEE10hipError_tT2_T3_mT4_P12ihipStream_tbEUlT_E_NS1_11comp_targetILNS1_3genE2ELNS1_11target_archE906ELNS1_3gpuE6ELNS1_3repE0EEENS1_30default_config_static_selectorELNS0_4arch9wavefront6targetE0EEEvT1_,@function
_ZN7rocprim17ROCPRIM_400000_NS6detail17trampoline_kernelINS0_14default_configENS1_25transform_config_selectorIN3c107complexIfEELb1EEEZNS1_14transform_implILb1ES3_S8_PS7_SA_NS0_8identityIS7_EEEE10hipError_tT2_T3_mT4_P12ihipStream_tbEUlT_E_NS1_11comp_targetILNS1_3genE2ELNS1_11target_archE906ELNS1_3gpuE6ELNS1_3repE0EEENS1_30default_config_static_selectorELNS0_4arch9wavefront6targetE0EEEvT1_: ; @_ZN7rocprim17ROCPRIM_400000_NS6detail17trampoline_kernelINS0_14default_configENS1_25transform_config_selectorIN3c107complexIfEELb1EEEZNS1_14transform_implILb1ES3_S8_PS7_SA_NS0_8identityIS7_EEEE10hipError_tT2_T3_mT4_P12ihipStream_tbEUlT_E_NS1_11comp_targetILNS1_3genE2ELNS1_11target_archE906ELNS1_3gpuE6ELNS1_3repE0EEENS1_30default_config_static_selectorELNS0_4arch9wavefront6targetE0EEEvT1_
; %bb.0:
	.section	.rodata,"a",@progbits
	.p2align	6, 0x0
	.amdhsa_kernel _ZN7rocprim17ROCPRIM_400000_NS6detail17trampoline_kernelINS0_14default_configENS1_25transform_config_selectorIN3c107complexIfEELb1EEEZNS1_14transform_implILb1ES3_S8_PS7_SA_NS0_8identityIS7_EEEE10hipError_tT2_T3_mT4_P12ihipStream_tbEUlT_E_NS1_11comp_targetILNS1_3genE2ELNS1_11target_archE906ELNS1_3gpuE6ELNS1_3repE0EEENS1_30default_config_static_selectorELNS0_4arch9wavefront6targetE0EEEvT1_
		.amdhsa_group_segment_fixed_size 0
		.amdhsa_private_segment_fixed_size 0
		.amdhsa_kernarg_size 40
		.amdhsa_user_sgpr_count 6
		.amdhsa_user_sgpr_private_segment_buffer 1
		.amdhsa_user_sgpr_dispatch_ptr 0
		.amdhsa_user_sgpr_queue_ptr 0
		.amdhsa_user_sgpr_kernarg_segment_ptr 1
		.amdhsa_user_sgpr_dispatch_id 0
		.amdhsa_user_sgpr_flat_scratch_init 0
		.amdhsa_user_sgpr_private_segment_size 0
		.amdhsa_wavefront_size32 1
		.amdhsa_uses_dynamic_stack 0
		.amdhsa_system_sgpr_private_segment_wavefront_offset 0
		.amdhsa_system_sgpr_workgroup_id_x 1
		.amdhsa_system_sgpr_workgroup_id_y 0
		.amdhsa_system_sgpr_workgroup_id_z 0
		.amdhsa_system_sgpr_workgroup_info 0
		.amdhsa_system_vgpr_workitem_id 0
		.amdhsa_next_free_vgpr 1
		.amdhsa_next_free_sgpr 1
		.amdhsa_reserve_vcc 0
		.amdhsa_reserve_flat_scratch 0
		.amdhsa_float_round_mode_32 0
		.amdhsa_float_round_mode_16_64 0
		.amdhsa_float_denorm_mode_32 3
		.amdhsa_float_denorm_mode_16_64 3
		.amdhsa_dx10_clamp 1
		.amdhsa_ieee_mode 1
		.amdhsa_fp16_overflow 0
		.amdhsa_workgroup_processor_mode 1
		.amdhsa_memory_ordered 1
		.amdhsa_forward_progress 1
		.amdhsa_shared_vgpr_count 0
		.amdhsa_exception_fp_ieee_invalid_op 0
		.amdhsa_exception_fp_denorm_src 0
		.amdhsa_exception_fp_ieee_div_zero 0
		.amdhsa_exception_fp_ieee_overflow 0
		.amdhsa_exception_fp_ieee_underflow 0
		.amdhsa_exception_fp_ieee_inexact 0
		.amdhsa_exception_int_div_zero 0
	.end_amdhsa_kernel
	.section	.text._ZN7rocprim17ROCPRIM_400000_NS6detail17trampoline_kernelINS0_14default_configENS1_25transform_config_selectorIN3c107complexIfEELb1EEEZNS1_14transform_implILb1ES3_S8_PS7_SA_NS0_8identityIS7_EEEE10hipError_tT2_T3_mT4_P12ihipStream_tbEUlT_E_NS1_11comp_targetILNS1_3genE2ELNS1_11target_archE906ELNS1_3gpuE6ELNS1_3repE0EEENS1_30default_config_static_selectorELNS0_4arch9wavefront6targetE0EEEvT1_,"axG",@progbits,_ZN7rocprim17ROCPRIM_400000_NS6detail17trampoline_kernelINS0_14default_configENS1_25transform_config_selectorIN3c107complexIfEELb1EEEZNS1_14transform_implILb1ES3_S8_PS7_SA_NS0_8identityIS7_EEEE10hipError_tT2_T3_mT4_P12ihipStream_tbEUlT_E_NS1_11comp_targetILNS1_3genE2ELNS1_11target_archE906ELNS1_3gpuE6ELNS1_3repE0EEENS1_30default_config_static_selectorELNS0_4arch9wavefront6targetE0EEEvT1_,comdat
.Lfunc_end278:
	.size	_ZN7rocprim17ROCPRIM_400000_NS6detail17trampoline_kernelINS0_14default_configENS1_25transform_config_selectorIN3c107complexIfEELb1EEEZNS1_14transform_implILb1ES3_S8_PS7_SA_NS0_8identityIS7_EEEE10hipError_tT2_T3_mT4_P12ihipStream_tbEUlT_E_NS1_11comp_targetILNS1_3genE2ELNS1_11target_archE906ELNS1_3gpuE6ELNS1_3repE0EEENS1_30default_config_static_selectorELNS0_4arch9wavefront6targetE0EEEvT1_, .Lfunc_end278-_ZN7rocprim17ROCPRIM_400000_NS6detail17trampoline_kernelINS0_14default_configENS1_25transform_config_selectorIN3c107complexIfEELb1EEEZNS1_14transform_implILb1ES3_S8_PS7_SA_NS0_8identityIS7_EEEE10hipError_tT2_T3_mT4_P12ihipStream_tbEUlT_E_NS1_11comp_targetILNS1_3genE2ELNS1_11target_archE906ELNS1_3gpuE6ELNS1_3repE0EEENS1_30default_config_static_selectorELNS0_4arch9wavefront6targetE0EEEvT1_
                                        ; -- End function
	.set _ZN7rocprim17ROCPRIM_400000_NS6detail17trampoline_kernelINS0_14default_configENS1_25transform_config_selectorIN3c107complexIfEELb1EEEZNS1_14transform_implILb1ES3_S8_PS7_SA_NS0_8identityIS7_EEEE10hipError_tT2_T3_mT4_P12ihipStream_tbEUlT_E_NS1_11comp_targetILNS1_3genE2ELNS1_11target_archE906ELNS1_3gpuE6ELNS1_3repE0EEENS1_30default_config_static_selectorELNS0_4arch9wavefront6targetE0EEEvT1_.num_vgpr, 0
	.set _ZN7rocprim17ROCPRIM_400000_NS6detail17trampoline_kernelINS0_14default_configENS1_25transform_config_selectorIN3c107complexIfEELb1EEEZNS1_14transform_implILb1ES3_S8_PS7_SA_NS0_8identityIS7_EEEE10hipError_tT2_T3_mT4_P12ihipStream_tbEUlT_E_NS1_11comp_targetILNS1_3genE2ELNS1_11target_archE906ELNS1_3gpuE6ELNS1_3repE0EEENS1_30default_config_static_selectorELNS0_4arch9wavefront6targetE0EEEvT1_.num_agpr, 0
	.set _ZN7rocprim17ROCPRIM_400000_NS6detail17trampoline_kernelINS0_14default_configENS1_25transform_config_selectorIN3c107complexIfEELb1EEEZNS1_14transform_implILb1ES3_S8_PS7_SA_NS0_8identityIS7_EEEE10hipError_tT2_T3_mT4_P12ihipStream_tbEUlT_E_NS1_11comp_targetILNS1_3genE2ELNS1_11target_archE906ELNS1_3gpuE6ELNS1_3repE0EEENS1_30default_config_static_selectorELNS0_4arch9wavefront6targetE0EEEvT1_.numbered_sgpr, 0
	.set _ZN7rocprim17ROCPRIM_400000_NS6detail17trampoline_kernelINS0_14default_configENS1_25transform_config_selectorIN3c107complexIfEELb1EEEZNS1_14transform_implILb1ES3_S8_PS7_SA_NS0_8identityIS7_EEEE10hipError_tT2_T3_mT4_P12ihipStream_tbEUlT_E_NS1_11comp_targetILNS1_3genE2ELNS1_11target_archE906ELNS1_3gpuE6ELNS1_3repE0EEENS1_30default_config_static_selectorELNS0_4arch9wavefront6targetE0EEEvT1_.num_named_barrier, 0
	.set _ZN7rocprim17ROCPRIM_400000_NS6detail17trampoline_kernelINS0_14default_configENS1_25transform_config_selectorIN3c107complexIfEELb1EEEZNS1_14transform_implILb1ES3_S8_PS7_SA_NS0_8identityIS7_EEEE10hipError_tT2_T3_mT4_P12ihipStream_tbEUlT_E_NS1_11comp_targetILNS1_3genE2ELNS1_11target_archE906ELNS1_3gpuE6ELNS1_3repE0EEENS1_30default_config_static_selectorELNS0_4arch9wavefront6targetE0EEEvT1_.private_seg_size, 0
	.set _ZN7rocprim17ROCPRIM_400000_NS6detail17trampoline_kernelINS0_14default_configENS1_25transform_config_selectorIN3c107complexIfEELb1EEEZNS1_14transform_implILb1ES3_S8_PS7_SA_NS0_8identityIS7_EEEE10hipError_tT2_T3_mT4_P12ihipStream_tbEUlT_E_NS1_11comp_targetILNS1_3genE2ELNS1_11target_archE906ELNS1_3gpuE6ELNS1_3repE0EEENS1_30default_config_static_selectorELNS0_4arch9wavefront6targetE0EEEvT1_.uses_vcc, 0
	.set _ZN7rocprim17ROCPRIM_400000_NS6detail17trampoline_kernelINS0_14default_configENS1_25transform_config_selectorIN3c107complexIfEELb1EEEZNS1_14transform_implILb1ES3_S8_PS7_SA_NS0_8identityIS7_EEEE10hipError_tT2_T3_mT4_P12ihipStream_tbEUlT_E_NS1_11comp_targetILNS1_3genE2ELNS1_11target_archE906ELNS1_3gpuE6ELNS1_3repE0EEENS1_30default_config_static_selectorELNS0_4arch9wavefront6targetE0EEEvT1_.uses_flat_scratch, 0
	.set _ZN7rocprim17ROCPRIM_400000_NS6detail17trampoline_kernelINS0_14default_configENS1_25transform_config_selectorIN3c107complexIfEELb1EEEZNS1_14transform_implILb1ES3_S8_PS7_SA_NS0_8identityIS7_EEEE10hipError_tT2_T3_mT4_P12ihipStream_tbEUlT_E_NS1_11comp_targetILNS1_3genE2ELNS1_11target_archE906ELNS1_3gpuE6ELNS1_3repE0EEENS1_30default_config_static_selectorELNS0_4arch9wavefront6targetE0EEEvT1_.has_dyn_sized_stack, 0
	.set _ZN7rocprim17ROCPRIM_400000_NS6detail17trampoline_kernelINS0_14default_configENS1_25transform_config_selectorIN3c107complexIfEELb1EEEZNS1_14transform_implILb1ES3_S8_PS7_SA_NS0_8identityIS7_EEEE10hipError_tT2_T3_mT4_P12ihipStream_tbEUlT_E_NS1_11comp_targetILNS1_3genE2ELNS1_11target_archE906ELNS1_3gpuE6ELNS1_3repE0EEENS1_30default_config_static_selectorELNS0_4arch9wavefront6targetE0EEEvT1_.has_recursion, 0
	.set _ZN7rocprim17ROCPRIM_400000_NS6detail17trampoline_kernelINS0_14default_configENS1_25transform_config_selectorIN3c107complexIfEELb1EEEZNS1_14transform_implILb1ES3_S8_PS7_SA_NS0_8identityIS7_EEEE10hipError_tT2_T3_mT4_P12ihipStream_tbEUlT_E_NS1_11comp_targetILNS1_3genE2ELNS1_11target_archE906ELNS1_3gpuE6ELNS1_3repE0EEENS1_30default_config_static_selectorELNS0_4arch9wavefront6targetE0EEEvT1_.has_indirect_call, 0
	.section	.AMDGPU.csdata,"",@progbits
; Kernel info:
; codeLenInByte = 0
; TotalNumSgprs: 0
; NumVgprs: 0
; ScratchSize: 0
; MemoryBound: 0
; FloatMode: 240
; IeeeMode: 1
; LDSByteSize: 0 bytes/workgroup (compile time only)
; SGPRBlocks: 0
; VGPRBlocks: 0
; NumSGPRsForWavesPerEU: 1
; NumVGPRsForWavesPerEU: 1
; Occupancy: 16
; WaveLimiterHint : 0
; COMPUTE_PGM_RSRC2:SCRATCH_EN: 0
; COMPUTE_PGM_RSRC2:USER_SGPR: 6
; COMPUTE_PGM_RSRC2:TRAP_HANDLER: 0
; COMPUTE_PGM_RSRC2:TGID_X_EN: 1
; COMPUTE_PGM_RSRC2:TGID_Y_EN: 0
; COMPUTE_PGM_RSRC2:TGID_Z_EN: 0
; COMPUTE_PGM_RSRC2:TIDIG_COMP_CNT: 0
	.section	.text._ZN7rocprim17ROCPRIM_400000_NS6detail17trampoline_kernelINS0_14default_configENS1_25transform_config_selectorIN3c107complexIfEELb1EEEZNS1_14transform_implILb1ES3_S8_PS7_SA_NS0_8identityIS7_EEEE10hipError_tT2_T3_mT4_P12ihipStream_tbEUlT_E_NS1_11comp_targetILNS1_3genE9ELNS1_11target_archE1100ELNS1_3gpuE3ELNS1_3repE0EEENS1_30default_config_static_selectorELNS0_4arch9wavefront6targetE0EEEvT1_,"axG",@progbits,_ZN7rocprim17ROCPRIM_400000_NS6detail17trampoline_kernelINS0_14default_configENS1_25transform_config_selectorIN3c107complexIfEELb1EEEZNS1_14transform_implILb1ES3_S8_PS7_SA_NS0_8identityIS7_EEEE10hipError_tT2_T3_mT4_P12ihipStream_tbEUlT_E_NS1_11comp_targetILNS1_3genE9ELNS1_11target_archE1100ELNS1_3gpuE3ELNS1_3repE0EEENS1_30default_config_static_selectorELNS0_4arch9wavefront6targetE0EEEvT1_,comdat
	.protected	_ZN7rocprim17ROCPRIM_400000_NS6detail17trampoline_kernelINS0_14default_configENS1_25transform_config_selectorIN3c107complexIfEELb1EEEZNS1_14transform_implILb1ES3_S8_PS7_SA_NS0_8identityIS7_EEEE10hipError_tT2_T3_mT4_P12ihipStream_tbEUlT_E_NS1_11comp_targetILNS1_3genE9ELNS1_11target_archE1100ELNS1_3gpuE3ELNS1_3repE0EEENS1_30default_config_static_selectorELNS0_4arch9wavefront6targetE0EEEvT1_ ; -- Begin function _ZN7rocprim17ROCPRIM_400000_NS6detail17trampoline_kernelINS0_14default_configENS1_25transform_config_selectorIN3c107complexIfEELb1EEEZNS1_14transform_implILb1ES3_S8_PS7_SA_NS0_8identityIS7_EEEE10hipError_tT2_T3_mT4_P12ihipStream_tbEUlT_E_NS1_11comp_targetILNS1_3genE9ELNS1_11target_archE1100ELNS1_3gpuE3ELNS1_3repE0EEENS1_30default_config_static_selectorELNS0_4arch9wavefront6targetE0EEEvT1_
	.globl	_ZN7rocprim17ROCPRIM_400000_NS6detail17trampoline_kernelINS0_14default_configENS1_25transform_config_selectorIN3c107complexIfEELb1EEEZNS1_14transform_implILb1ES3_S8_PS7_SA_NS0_8identityIS7_EEEE10hipError_tT2_T3_mT4_P12ihipStream_tbEUlT_E_NS1_11comp_targetILNS1_3genE9ELNS1_11target_archE1100ELNS1_3gpuE3ELNS1_3repE0EEENS1_30default_config_static_selectorELNS0_4arch9wavefront6targetE0EEEvT1_
	.p2align	8
	.type	_ZN7rocprim17ROCPRIM_400000_NS6detail17trampoline_kernelINS0_14default_configENS1_25transform_config_selectorIN3c107complexIfEELb1EEEZNS1_14transform_implILb1ES3_S8_PS7_SA_NS0_8identityIS7_EEEE10hipError_tT2_T3_mT4_P12ihipStream_tbEUlT_E_NS1_11comp_targetILNS1_3genE9ELNS1_11target_archE1100ELNS1_3gpuE3ELNS1_3repE0EEENS1_30default_config_static_selectorELNS0_4arch9wavefront6targetE0EEEvT1_,@function
_ZN7rocprim17ROCPRIM_400000_NS6detail17trampoline_kernelINS0_14default_configENS1_25transform_config_selectorIN3c107complexIfEELb1EEEZNS1_14transform_implILb1ES3_S8_PS7_SA_NS0_8identityIS7_EEEE10hipError_tT2_T3_mT4_P12ihipStream_tbEUlT_E_NS1_11comp_targetILNS1_3genE9ELNS1_11target_archE1100ELNS1_3gpuE3ELNS1_3repE0EEENS1_30default_config_static_selectorELNS0_4arch9wavefront6targetE0EEEvT1_: ; @_ZN7rocprim17ROCPRIM_400000_NS6detail17trampoline_kernelINS0_14default_configENS1_25transform_config_selectorIN3c107complexIfEELb1EEEZNS1_14transform_implILb1ES3_S8_PS7_SA_NS0_8identityIS7_EEEE10hipError_tT2_T3_mT4_P12ihipStream_tbEUlT_E_NS1_11comp_targetILNS1_3genE9ELNS1_11target_archE1100ELNS1_3gpuE3ELNS1_3repE0EEENS1_30default_config_static_selectorELNS0_4arch9wavefront6targetE0EEEvT1_
; %bb.0:
	.section	.rodata,"a",@progbits
	.p2align	6, 0x0
	.amdhsa_kernel _ZN7rocprim17ROCPRIM_400000_NS6detail17trampoline_kernelINS0_14default_configENS1_25transform_config_selectorIN3c107complexIfEELb1EEEZNS1_14transform_implILb1ES3_S8_PS7_SA_NS0_8identityIS7_EEEE10hipError_tT2_T3_mT4_P12ihipStream_tbEUlT_E_NS1_11comp_targetILNS1_3genE9ELNS1_11target_archE1100ELNS1_3gpuE3ELNS1_3repE0EEENS1_30default_config_static_selectorELNS0_4arch9wavefront6targetE0EEEvT1_
		.amdhsa_group_segment_fixed_size 0
		.amdhsa_private_segment_fixed_size 0
		.amdhsa_kernarg_size 40
		.amdhsa_user_sgpr_count 6
		.amdhsa_user_sgpr_private_segment_buffer 1
		.amdhsa_user_sgpr_dispatch_ptr 0
		.amdhsa_user_sgpr_queue_ptr 0
		.amdhsa_user_sgpr_kernarg_segment_ptr 1
		.amdhsa_user_sgpr_dispatch_id 0
		.amdhsa_user_sgpr_flat_scratch_init 0
		.amdhsa_user_sgpr_private_segment_size 0
		.amdhsa_wavefront_size32 1
		.amdhsa_uses_dynamic_stack 0
		.amdhsa_system_sgpr_private_segment_wavefront_offset 0
		.amdhsa_system_sgpr_workgroup_id_x 1
		.amdhsa_system_sgpr_workgroup_id_y 0
		.amdhsa_system_sgpr_workgroup_id_z 0
		.amdhsa_system_sgpr_workgroup_info 0
		.amdhsa_system_vgpr_workitem_id 0
		.amdhsa_next_free_vgpr 1
		.amdhsa_next_free_sgpr 1
		.amdhsa_reserve_vcc 0
		.amdhsa_reserve_flat_scratch 0
		.amdhsa_float_round_mode_32 0
		.amdhsa_float_round_mode_16_64 0
		.amdhsa_float_denorm_mode_32 3
		.amdhsa_float_denorm_mode_16_64 3
		.amdhsa_dx10_clamp 1
		.amdhsa_ieee_mode 1
		.amdhsa_fp16_overflow 0
		.amdhsa_workgroup_processor_mode 1
		.amdhsa_memory_ordered 1
		.amdhsa_forward_progress 1
		.amdhsa_shared_vgpr_count 0
		.amdhsa_exception_fp_ieee_invalid_op 0
		.amdhsa_exception_fp_denorm_src 0
		.amdhsa_exception_fp_ieee_div_zero 0
		.amdhsa_exception_fp_ieee_overflow 0
		.amdhsa_exception_fp_ieee_underflow 0
		.amdhsa_exception_fp_ieee_inexact 0
		.amdhsa_exception_int_div_zero 0
	.end_amdhsa_kernel
	.section	.text._ZN7rocprim17ROCPRIM_400000_NS6detail17trampoline_kernelINS0_14default_configENS1_25transform_config_selectorIN3c107complexIfEELb1EEEZNS1_14transform_implILb1ES3_S8_PS7_SA_NS0_8identityIS7_EEEE10hipError_tT2_T3_mT4_P12ihipStream_tbEUlT_E_NS1_11comp_targetILNS1_3genE9ELNS1_11target_archE1100ELNS1_3gpuE3ELNS1_3repE0EEENS1_30default_config_static_selectorELNS0_4arch9wavefront6targetE0EEEvT1_,"axG",@progbits,_ZN7rocprim17ROCPRIM_400000_NS6detail17trampoline_kernelINS0_14default_configENS1_25transform_config_selectorIN3c107complexIfEELb1EEEZNS1_14transform_implILb1ES3_S8_PS7_SA_NS0_8identityIS7_EEEE10hipError_tT2_T3_mT4_P12ihipStream_tbEUlT_E_NS1_11comp_targetILNS1_3genE9ELNS1_11target_archE1100ELNS1_3gpuE3ELNS1_3repE0EEENS1_30default_config_static_selectorELNS0_4arch9wavefront6targetE0EEEvT1_,comdat
.Lfunc_end279:
	.size	_ZN7rocprim17ROCPRIM_400000_NS6detail17trampoline_kernelINS0_14default_configENS1_25transform_config_selectorIN3c107complexIfEELb1EEEZNS1_14transform_implILb1ES3_S8_PS7_SA_NS0_8identityIS7_EEEE10hipError_tT2_T3_mT4_P12ihipStream_tbEUlT_E_NS1_11comp_targetILNS1_3genE9ELNS1_11target_archE1100ELNS1_3gpuE3ELNS1_3repE0EEENS1_30default_config_static_selectorELNS0_4arch9wavefront6targetE0EEEvT1_, .Lfunc_end279-_ZN7rocprim17ROCPRIM_400000_NS6detail17trampoline_kernelINS0_14default_configENS1_25transform_config_selectorIN3c107complexIfEELb1EEEZNS1_14transform_implILb1ES3_S8_PS7_SA_NS0_8identityIS7_EEEE10hipError_tT2_T3_mT4_P12ihipStream_tbEUlT_E_NS1_11comp_targetILNS1_3genE9ELNS1_11target_archE1100ELNS1_3gpuE3ELNS1_3repE0EEENS1_30default_config_static_selectorELNS0_4arch9wavefront6targetE0EEEvT1_
                                        ; -- End function
	.set _ZN7rocprim17ROCPRIM_400000_NS6detail17trampoline_kernelINS0_14default_configENS1_25transform_config_selectorIN3c107complexIfEELb1EEEZNS1_14transform_implILb1ES3_S8_PS7_SA_NS0_8identityIS7_EEEE10hipError_tT2_T3_mT4_P12ihipStream_tbEUlT_E_NS1_11comp_targetILNS1_3genE9ELNS1_11target_archE1100ELNS1_3gpuE3ELNS1_3repE0EEENS1_30default_config_static_selectorELNS0_4arch9wavefront6targetE0EEEvT1_.num_vgpr, 0
	.set _ZN7rocprim17ROCPRIM_400000_NS6detail17trampoline_kernelINS0_14default_configENS1_25transform_config_selectorIN3c107complexIfEELb1EEEZNS1_14transform_implILb1ES3_S8_PS7_SA_NS0_8identityIS7_EEEE10hipError_tT2_T3_mT4_P12ihipStream_tbEUlT_E_NS1_11comp_targetILNS1_3genE9ELNS1_11target_archE1100ELNS1_3gpuE3ELNS1_3repE0EEENS1_30default_config_static_selectorELNS0_4arch9wavefront6targetE0EEEvT1_.num_agpr, 0
	.set _ZN7rocprim17ROCPRIM_400000_NS6detail17trampoline_kernelINS0_14default_configENS1_25transform_config_selectorIN3c107complexIfEELb1EEEZNS1_14transform_implILb1ES3_S8_PS7_SA_NS0_8identityIS7_EEEE10hipError_tT2_T3_mT4_P12ihipStream_tbEUlT_E_NS1_11comp_targetILNS1_3genE9ELNS1_11target_archE1100ELNS1_3gpuE3ELNS1_3repE0EEENS1_30default_config_static_selectorELNS0_4arch9wavefront6targetE0EEEvT1_.numbered_sgpr, 0
	.set _ZN7rocprim17ROCPRIM_400000_NS6detail17trampoline_kernelINS0_14default_configENS1_25transform_config_selectorIN3c107complexIfEELb1EEEZNS1_14transform_implILb1ES3_S8_PS7_SA_NS0_8identityIS7_EEEE10hipError_tT2_T3_mT4_P12ihipStream_tbEUlT_E_NS1_11comp_targetILNS1_3genE9ELNS1_11target_archE1100ELNS1_3gpuE3ELNS1_3repE0EEENS1_30default_config_static_selectorELNS0_4arch9wavefront6targetE0EEEvT1_.num_named_barrier, 0
	.set _ZN7rocprim17ROCPRIM_400000_NS6detail17trampoline_kernelINS0_14default_configENS1_25transform_config_selectorIN3c107complexIfEELb1EEEZNS1_14transform_implILb1ES3_S8_PS7_SA_NS0_8identityIS7_EEEE10hipError_tT2_T3_mT4_P12ihipStream_tbEUlT_E_NS1_11comp_targetILNS1_3genE9ELNS1_11target_archE1100ELNS1_3gpuE3ELNS1_3repE0EEENS1_30default_config_static_selectorELNS0_4arch9wavefront6targetE0EEEvT1_.private_seg_size, 0
	.set _ZN7rocprim17ROCPRIM_400000_NS6detail17trampoline_kernelINS0_14default_configENS1_25transform_config_selectorIN3c107complexIfEELb1EEEZNS1_14transform_implILb1ES3_S8_PS7_SA_NS0_8identityIS7_EEEE10hipError_tT2_T3_mT4_P12ihipStream_tbEUlT_E_NS1_11comp_targetILNS1_3genE9ELNS1_11target_archE1100ELNS1_3gpuE3ELNS1_3repE0EEENS1_30default_config_static_selectorELNS0_4arch9wavefront6targetE0EEEvT1_.uses_vcc, 0
	.set _ZN7rocprim17ROCPRIM_400000_NS6detail17trampoline_kernelINS0_14default_configENS1_25transform_config_selectorIN3c107complexIfEELb1EEEZNS1_14transform_implILb1ES3_S8_PS7_SA_NS0_8identityIS7_EEEE10hipError_tT2_T3_mT4_P12ihipStream_tbEUlT_E_NS1_11comp_targetILNS1_3genE9ELNS1_11target_archE1100ELNS1_3gpuE3ELNS1_3repE0EEENS1_30default_config_static_selectorELNS0_4arch9wavefront6targetE0EEEvT1_.uses_flat_scratch, 0
	.set _ZN7rocprim17ROCPRIM_400000_NS6detail17trampoline_kernelINS0_14default_configENS1_25transform_config_selectorIN3c107complexIfEELb1EEEZNS1_14transform_implILb1ES3_S8_PS7_SA_NS0_8identityIS7_EEEE10hipError_tT2_T3_mT4_P12ihipStream_tbEUlT_E_NS1_11comp_targetILNS1_3genE9ELNS1_11target_archE1100ELNS1_3gpuE3ELNS1_3repE0EEENS1_30default_config_static_selectorELNS0_4arch9wavefront6targetE0EEEvT1_.has_dyn_sized_stack, 0
	.set _ZN7rocprim17ROCPRIM_400000_NS6detail17trampoline_kernelINS0_14default_configENS1_25transform_config_selectorIN3c107complexIfEELb1EEEZNS1_14transform_implILb1ES3_S8_PS7_SA_NS0_8identityIS7_EEEE10hipError_tT2_T3_mT4_P12ihipStream_tbEUlT_E_NS1_11comp_targetILNS1_3genE9ELNS1_11target_archE1100ELNS1_3gpuE3ELNS1_3repE0EEENS1_30default_config_static_selectorELNS0_4arch9wavefront6targetE0EEEvT1_.has_recursion, 0
	.set _ZN7rocprim17ROCPRIM_400000_NS6detail17trampoline_kernelINS0_14default_configENS1_25transform_config_selectorIN3c107complexIfEELb1EEEZNS1_14transform_implILb1ES3_S8_PS7_SA_NS0_8identityIS7_EEEE10hipError_tT2_T3_mT4_P12ihipStream_tbEUlT_E_NS1_11comp_targetILNS1_3genE9ELNS1_11target_archE1100ELNS1_3gpuE3ELNS1_3repE0EEENS1_30default_config_static_selectorELNS0_4arch9wavefront6targetE0EEEvT1_.has_indirect_call, 0
	.section	.AMDGPU.csdata,"",@progbits
; Kernel info:
; codeLenInByte = 0
; TotalNumSgprs: 0
; NumVgprs: 0
; ScratchSize: 0
; MemoryBound: 0
; FloatMode: 240
; IeeeMode: 1
; LDSByteSize: 0 bytes/workgroup (compile time only)
; SGPRBlocks: 0
; VGPRBlocks: 0
; NumSGPRsForWavesPerEU: 1
; NumVGPRsForWavesPerEU: 1
; Occupancy: 16
; WaveLimiterHint : 0
; COMPUTE_PGM_RSRC2:SCRATCH_EN: 0
; COMPUTE_PGM_RSRC2:USER_SGPR: 6
; COMPUTE_PGM_RSRC2:TRAP_HANDLER: 0
; COMPUTE_PGM_RSRC2:TGID_X_EN: 1
; COMPUTE_PGM_RSRC2:TGID_Y_EN: 0
; COMPUTE_PGM_RSRC2:TGID_Z_EN: 0
; COMPUTE_PGM_RSRC2:TIDIG_COMP_CNT: 0
	.section	.text._ZN7rocprim17ROCPRIM_400000_NS6detail17trampoline_kernelINS0_14default_configENS1_25transform_config_selectorIN3c107complexIfEELb1EEEZNS1_14transform_implILb1ES3_S8_PS7_SA_NS0_8identityIS7_EEEE10hipError_tT2_T3_mT4_P12ihipStream_tbEUlT_E_NS1_11comp_targetILNS1_3genE8ELNS1_11target_archE1030ELNS1_3gpuE2ELNS1_3repE0EEENS1_30default_config_static_selectorELNS0_4arch9wavefront6targetE0EEEvT1_,"axG",@progbits,_ZN7rocprim17ROCPRIM_400000_NS6detail17trampoline_kernelINS0_14default_configENS1_25transform_config_selectorIN3c107complexIfEELb1EEEZNS1_14transform_implILb1ES3_S8_PS7_SA_NS0_8identityIS7_EEEE10hipError_tT2_T3_mT4_P12ihipStream_tbEUlT_E_NS1_11comp_targetILNS1_3genE8ELNS1_11target_archE1030ELNS1_3gpuE2ELNS1_3repE0EEENS1_30default_config_static_selectorELNS0_4arch9wavefront6targetE0EEEvT1_,comdat
	.protected	_ZN7rocprim17ROCPRIM_400000_NS6detail17trampoline_kernelINS0_14default_configENS1_25transform_config_selectorIN3c107complexIfEELb1EEEZNS1_14transform_implILb1ES3_S8_PS7_SA_NS0_8identityIS7_EEEE10hipError_tT2_T3_mT4_P12ihipStream_tbEUlT_E_NS1_11comp_targetILNS1_3genE8ELNS1_11target_archE1030ELNS1_3gpuE2ELNS1_3repE0EEENS1_30default_config_static_selectorELNS0_4arch9wavefront6targetE0EEEvT1_ ; -- Begin function _ZN7rocprim17ROCPRIM_400000_NS6detail17trampoline_kernelINS0_14default_configENS1_25transform_config_selectorIN3c107complexIfEELb1EEEZNS1_14transform_implILb1ES3_S8_PS7_SA_NS0_8identityIS7_EEEE10hipError_tT2_T3_mT4_P12ihipStream_tbEUlT_E_NS1_11comp_targetILNS1_3genE8ELNS1_11target_archE1030ELNS1_3gpuE2ELNS1_3repE0EEENS1_30default_config_static_selectorELNS0_4arch9wavefront6targetE0EEEvT1_
	.globl	_ZN7rocprim17ROCPRIM_400000_NS6detail17trampoline_kernelINS0_14default_configENS1_25transform_config_selectorIN3c107complexIfEELb1EEEZNS1_14transform_implILb1ES3_S8_PS7_SA_NS0_8identityIS7_EEEE10hipError_tT2_T3_mT4_P12ihipStream_tbEUlT_E_NS1_11comp_targetILNS1_3genE8ELNS1_11target_archE1030ELNS1_3gpuE2ELNS1_3repE0EEENS1_30default_config_static_selectorELNS0_4arch9wavefront6targetE0EEEvT1_
	.p2align	8
	.type	_ZN7rocprim17ROCPRIM_400000_NS6detail17trampoline_kernelINS0_14default_configENS1_25transform_config_selectorIN3c107complexIfEELb1EEEZNS1_14transform_implILb1ES3_S8_PS7_SA_NS0_8identityIS7_EEEE10hipError_tT2_T3_mT4_P12ihipStream_tbEUlT_E_NS1_11comp_targetILNS1_3genE8ELNS1_11target_archE1030ELNS1_3gpuE2ELNS1_3repE0EEENS1_30default_config_static_selectorELNS0_4arch9wavefront6targetE0EEEvT1_,@function
_ZN7rocprim17ROCPRIM_400000_NS6detail17trampoline_kernelINS0_14default_configENS1_25transform_config_selectorIN3c107complexIfEELb1EEEZNS1_14transform_implILb1ES3_S8_PS7_SA_NS0_8identityIS7_EEEE10hipError_tT2_T3_mT4_P12ihipStream_tbEUlT_E_NS1_11comp_targetILNS1_3genE8ELNS1_11target_archE1030ELNS1_3gpuE2ELNS1_3repE0EEENS1_30default_config_static_selectorELNS0_4arch9wavefront6targetE0EEEvT1_: ; @_ZN7rocprim17ROCPRIM_400000_NS6detail17trampoline_kernelINS0_14default_configENS1_25transform_config_selectorIN3c107complexIfEELb1EEEZNS1_14transform_implILb1ES3_S8_PS7_SA_NS0_8identityIS7_EEEE10hipError_tT2_T3_mT4_P12ihipStream_tbEUlT_E_NS1_11comp_targetILNS1_3genE8ELNS1_11target_archE1030ELNS1_3gpuE2ELNS1_3repE0EEENS1_30default_config_static_selectorELNS0_4arch9wavefront6targetE0EEEvT1_
; %bb.0:
	s_clause 0x1
	s_load_dword s0, s[4:5], 0x28
	s_load_dword s1, s[4:5], 0x10
	s_waitcnt lgkmcnt(0)
	s_add_i32 s2, s0, -1
	s_lshl_b32 s0, s6, 10
	s_cmp_lg_u32 s6, s2
	s_cselect_b32 s2, -1, 0
	s_sub_i32 s1, s1, s0
	v_cmp_gt_u32_e32 vcc_lo, s1, v0
	s_or_b32 s1, vcc_lo, s2
	s_and_saveexec_b32 s2, s1
	s_cbranch_execz .LBB280_2
; %bb.1:
	s_clause 0x1
	s_load_dwordx4 s[8:11], s[4:5], 0x0
	s_load_dwordx2 s[2:3], s[4:5], 0x18
	s_mov_b32 s1, 0
	v_lshlrev_b32_e32 v2, 3, v0
	s_waitcnt lgkmcnt(0)
	s_lshl_b64 s[4:5], s[10:11], 3
	s_add_u32 s6, s8, s4
	s_addc_u32 s7, s9, s5
	s_lshl_b64 s[0:1], s[0:1], 3
	s_add_u32 s6, s6, s0
	s_addc_u32 s7, s7, s1
	s_add_u32 s2, s2, s4
	global_load_dwordx2 v[0:1], v2, s[6:7]
	s_addc_u32 s3, s3, s5
	s_add_u32 s0, s2, s0
	s_addc_u32 s1, s3, s1
	s_waitcnt vmcnt(0)
	global_store_dwordx2 v2, v[0:1], s[0:1]
.LBB280_2:
	s_endpgm
	.section	.rodata,"a",@progbits
	.p2align	6, 0x0
	.amdhsa_kernel _ZN7rocprim17ROCPRIM_400000_NS6detail17trampoline_kernelINS0_14default_configENS1_25transform_config_selectorIN3c107complexIfEELb1EEEZNS1_14transform_implILb1ES3_S8_PS7_SA_NS0_8identityIS7_EEEE10hipError_tT2_T3_mT4_P12ihipStream_tbEUlT_E_NS1_11comp_targetILNS1_3genE8ELNS1_11target_archE1030ELNS1_3gpuE2ELNS1_3repE0EEENS1_30default_config_static_selectorELNS0_4arch9wavefront6targetE0EEEvT1_
		.amdhsa_group_segment_fixed_size 0
		.amdhsa_private_segment_fixed_size 0
		.amdhsa_kernarg_size 296
		.amdhsa_user_sgpr_count 6
		.amdhsa_user_sgpr_private_segment_buffer 1
		.amdhsa_user_sgpr_dispatch_ptr 0
		.amdhsa_user_sgpr_queue_ptr 0
		.amdhsa_user_sgpr_kernarg_segment_ptr 1
		.amdhsa_user_sgpr_dispatch_id 0
		.amdhsa_user_sgpr_flat_scratch_init 0
		.amdhsa_user_sgpr_private_segment_size 0
		.amdhsa_wavefront_size32 1
		.amdhsa_uses_dynamic_stack 0
		.amdhsa_system_sgpr_private_segment_wavefront_offset 0
		.amdhsa_system_sgpr_workgroup_id_x 1
		.amdhsa_system_sgpr_workgroup_id_y 0
		.amdhsa_system_sgpr_workgroup_id_z 0
		.amdhsa_system_sgpr_workgroup_info 0
		.amdhsa_system_vgpr_workitem_id 0
		.amdhsa_next_free_vgpr 3
		.amdhsa_next_free_sgpr 12
		.amdhsa_reserve_vcc 1
		.amdhsa_reserve_flat_scratch 0
		.amdhsa_float_round_mode_32 0
		.amdhsa_float_round_mode_16_64 0
		.amdhsa_float_denorm_mode_32 3
		.amdhsa_float_denorm_mode_16_64 3
		.amdhsa_dx10_clamp 1
		.amdhsa_ieee_mode 1
		.amdhsa_fp16_overflow 0
		.amdhsa_workgroup_processor_mode 1
		.amdhsa_memory_ordered 1
		.amdhsa_forward_progress 1
		.amdhsa_shared_vgpr_count 0
		.amdhsa_exception_fp_ieee_invalid_op 0
		.amdhsa_exception_fp_denorm_src 0
		.amdhsa_exception_fp_ieee_div_zero 0
		.amdhsa_exception_fp_ieee_overflow 0
		.amdhsa_exception_fp_ieee_underflow 0
		.amdhsa_exception_fp_ieee_inexact 0
		.amdhsa_exception_int_div_zero 0
	.end_amdhsa_kernel
	.section	.text._ZN7rocprim17ROCPRIM_400000_NS6detail17trampoline_kernelINS0_14default_configENS1_25transform_config_selectorIN3c107complexIfEELb1EEEZNS1_14transform_implILb1ES3_S8_PS7_SA_NS0_8identityIS7_EEEE10hipError_tT2_T3_mT4_P12ihipStream_tbEUlT_E_NS1_11comp_targetILNS1_3genE8ELNS1_11target_archE1030ELNS1_3gpuE2ELNS1_3repE0EEENS1_30default_config_static_selectorELNS0_4arch9wavefront6targetE0EEEvT1_,"axG",@progbits,_ZN7rocprim17ROCPRIM_400000_NS6detail17trampoline_kernelINS0_14default_configENS1_25transform_config_selectorIN3c107complexIfEELb1EEEZNS1_14transform_implILb1ES3_S8_PS7_SA_NS0_8identityIS7_EEEE10hipError_tT2_T3_mT4_P12ihipStream_tbEUlT_E_NS1_11comp_targetILNS1_3genE8ELNS1_11target_archE1030ELNS1_3gpuE2ELNS1_3repE0EEENS1_30default_config_static_selectorELNS0_4arch9wavefront6targetE0EEEvT1_,comdat
.Lfunc_end280:
	.size	_ZN7rocprim17ROCPRIM_400000_NS6detail17trampoline_kernelINS0_14default_configENS1_25transform_config_selectorIN3c107complexIfEELb1EEEZNS1_14transform_implILb1ES3_S8_PS7_SA_NS0_8identityIS7_EEEE10hipError_tT2_T3_mT4_P12ihipStream_tbEUlT_E_NS1_11comp_targetILNS1_3genE8ELNS1_11target_archE1030ELNS1_3gpuE2ELNS1_3repE0EEENS1_30default_config_static_selectorELNS0_4arch9wavefront6targetE0EEEvT1_, .Lfunc_end280-_ZN7rocprim17ROCPRIM_400000_NS6detail17trampoline_kernelINS0_14default_configENS1_25transform_config_selectorIN3c107complexIfEELb1EEEZNS1_14transform_implILb1ES3_S8_PS7_SA_NS0_8identityIS7_EEEE10hipError_tT2_T3_mT4_P12ihipStream_tbEUlT_E_NS1_11comp_targetILNS1_3genE8ELNS1_11target_archE1030ELNS1_3gpuE2ELNS1_3repE0EEENS1_30default_config_static_selectorELNS0_4arch9wavefront6targetE0EEEvT1_
                                        ; -- End function
	.set _ZN7rocprim17ROCPRIM_400000_NS6detail17trampoline_kernelINS0_14default_configENS1_25transform_config_selectorIN3c107complexIfEELb1EEEZNS1_14transform_implILb1ES3_S8_PS7_SA_NS0_8identityIS7_EEEE10hipError_tT2_T3_mT4_P12ihipStream_tbEUlT_E_NS1_11comp_targetILNS1_3genE8ELNS1_11target_archE1030ELNS1_3gpuE2ELNS1_3repE0EEENS1_30default_config_static_selectorELNS0_4arch9wavefront6targetE0EEEvT1_.num_vgpr, 3
	.set _ZN7rocprim17ROCPRIM_400000_NS6detail17trampoline_kernelINS0_14default_configENS1_25transform_config_selectorIN3c107complexIfEELb1EEEZNS1_14transform_implILb1ES3_S8_PS7_SA_NS0_8identityIS7_EEEE10hipError_tT2_T3_mT4_P12ihipStream_tbEUlT_E_NS1_11comp_targetILNS1_3genE8ELNS1_11target_archE1030ELNS1_3gpuE2ELNS1_3repE0EEENS1_30default_config_static_selectorELNS0_4arch9wavefront6targetE0EEEvT1_.num_agpr, 0
	.set _ZN7rocprim17ROCPRIM_400000_NS6detail17trampoline_kernelINS0_14default_configENS1_25transform_config_selectorIN3c107complexIfEELb1EEEZNS1_14transform_implILb1ES3_S8_PS7_SA_NS0_8identityIS7_EEEE10hipError_tT2_T3_mT4_P12ihipStream_tbEUlT_E_NS1_11comp_targetILNS1_3genE8ELNS1_11target_archE1030ELNS1_3gpuE2ELNS1_3repE0EEENS1_30default_config_static_selectorELNS0_4arch9wavefront6targetE0EEEvT1_.numbered_sgpr, 12
	.set _ZN7rocprim17ROCPRIM_400000_NS6detail17trampoline_kernelINS0_14default_configENS1_25transform_config_selectorIN3c107complexIfEELb1EEEZNS1_14transform_implILb1ES3_S8_PS7_SA_NS0_8identityIS7_EEEE10hipError_tT2_T3_mT4_P12ihipStream_tbEUlT_E_NS1_11comp_targetILNS1_3genE8ELNS1_11target_archE1030ELNS1_3gpuE2ELNS1_3repE0EEENS1_30default_config_static_selectorELNS0_4arch9wavefront6targetE0EEEvT1_.num_named_barrier, 0
	.set _ZN7rocprim17ROCPRIM_400000_NS6detail17trampoline_kernelINS0_14default_configENS1_25transform_config_selectorIN3c107complexIfEELb1EEEZNS1_14transform_implILb1ES3_S8_PS7_SA_NS0_8identityIS7_EEEE10hipError_tT2_T3_mT4_P12ihipStream_tbEUlT_E_NS1_11comp_targetILNS1_3genE8ELNS1_11target_archE1030ELNS1_3gpuE2ELNS1_3repE0EEENS1_30default_config_static_selectorELNS0_4arch9wavefront6targetE0EEEvT1_.private_seg_size, 0
	.set _ZN7rocprim17ROCPRIM_400000_NS6detail17trampoline_kernelINS0_14default_configENS1_25transform_config_selectorIN3c107complexIfEELb1EEEZNS1_14transform_implILb1ES3_S8_PS7_SA_NS0_8identityIS7_EEEE10hipError_tT2_T3_mT4_P12ihipStream_tbEUlT_E_NS1_11comp_targetILNS1_3genE8ELNS1_11target_archE1030ELNS1_3gpuE2ELNS1_3repE0EEENS1_30default_config_static_selectorELNS0_4arch9wavefront6targetE0EEEvT1_.uses_vcc, 1
	.set _ZN7rocprim17ROCPRIM_400000_NS6detail17trampoline_kernelINS0_14default_configENS1_25transform_config_selectorIN3c107complexIfEELb1EEEZNS1_14transform_implILb1ES3_S8_PS7_SA_NS0_8identityIS7_EEEE10hipError_tT2_T3_mT4_P12ihipStream_tbEUlT_E_NS1_11comp_targetILNS1_3genE8ELNS1_11target_archE1030ELNS1_3gpuE2ELNS1_3repE0EEENS1_30default_config_static_selectorELNS0_4arch9wavefront6targetE0EEEvT1_.uses_flat_scratch, 0
	.set _ZN7rocprim17ROCPRIM_400000_NS6detail17trampoline_kernelINS0_14default_configENS1_25transform_config_selectorIN3c107complexIfEELb1EEEZNS1_14transform_implILb1ES3_S8_PS7_SA_NS0_8identityIS7_EEEE10hipError_tT2_T3_mT4_P12ihipStream_tbEUlT_E_NS1_11comp_targetILNS1_3genE8ELNS1_11target_archE1030ELNS1_3gpuE2ELNS1_3repE0EEENS1_30default_config_static_selectorELNS0_4arch9wavefront6targetE0EEEvT1_.has_dyn_sized_stack, 0
	.set _ZN7rocprim17ROCPRIM_400000_NS6detail17trampoline_kernelINS0_14default_configENS1_25transform_config_selectorIN3c107complexIfEELb1EEEZNS1_14transform_implILb1ES3_S8_PS7_SA_NS0_8identityIS7_EEEE10hipError_tT2_T3_mT4_P12ihipStream_tbEUlT_E_NS1_11comp_targetILNS1_3genE8ELNS1_11target_archE1030ELNS1_3gpuE2ELNS1_3repE0EEENS1_30default_config_static_selectorELNS0_4arch9wavefront6targetE0EEEvT1_.has_recursion, 0
	.set _ZN7rocprim17ROCPRIM_400000_NS6detail17trampoline_kernelINS0_14default_configENS1_25transform_config_selectorIN3c107complexIfEELb1EEEZNS1_14transform_implILb1ES3_S8_PS7_SA_NS0_8identityIS7_EEEE10hipError_tT2_T3_mT4_P12ihipStream_tbEUlT_E_NS1_11comp_targetILNS1_3genE8ELNS1_11target_archE1030ELNS1_3gpuE2ELNS1_3repE0EEENS1_30default_config_static_selectorELNS0_4arch9wavefront6targetE0EEEvT1_.has_indirect_call, 0
	.section	.AMDGPU.csdata,"",@progbits
; Kernel info:
; codeLenInByte = 156
; TotalNumSgprs: 14
; NumVgprs: 3
; ScratchSize: 0
; MemoryBound: 0
; FloatMode: 240
; IeeeMode: 1
; LDSByteSize: 0 bytes/workgroup (compile time only)
; SGPRBlocks: 0
; VGPRBlocks: 0
; NumSGPRsForWavesPerEU: 14
; NumVGPRsForWavesPerEU: 3
; Occupancy: 16
; WaveLimiterHint : 0
; COMPUTE_PGM_RSRC2:SCRATCH_EN: 0
; COMPUTE_PGM_RSRC2:USER_SGPR: 6
; COMPUTE_PGM_RSRC2:TRAP_HANDLER: 0
; COMPUTE_PGM_RSRC2:TGID_X_EN: 1
; COMPUTE_PGM_RSRC2:TGID_Y_EN: 0
; COMPUTE_PGM_RSRC2:TGID_Z_EN: 0
; COMPUTE_PGM_RSRC2:TIDIG_COMP_CNT: 0
	.section	.text._ZN7rocprim17ROCPRIM_400000_NS6detail17trampoline_kernelINS0_14default_configENS1_20scan_config_selectorIN3c107complexIfEEEEZZNS1_9scan_implILNS1_25lookback_scan_determinismE0ELb0ELb0ES3_PKS7_PS7_S7_ZZZN2at6native31launch_logcumsumexp_cuda_kernelERKNSE_10TensorBaseESI_lENKUlvE_clEvENKUlvE2_clEvEUlS7_S7_E_S7_EEDaPvRmT3_T4_T5_mT6_P12ihipStream_tbENKUlT_T0_E_clISt17integral_constantIbLb0EESZ_EEDaSU_SV_EUlSU_E0_NS1_11comp_targetILNS1_3genE0ELNS1_11target_archE4294967295ELNS1_3gpuE0ELNS1_3repE0EEENS1_30default_config_static_selectorELNS0_4arch9wavefront6targetE0EEEvT1_,"axG",@progbits,_ZN7rocprim17ROCPRIM_400000_NS6detail17trampoline_kernelINS0_14default_configENS1_20scan_config_selectorIN3c107complexIfEEEEZZNS1_9scan_implILNS1_25lookback_scan_determinismE0ELb0ELb0ES3_PKS7_PS7_S7_ZZZN2at6native31launch_logcumsumexp_cuda_kernelERKNSE_10TensorBaseESI_lENKUlvE_clEvENKUlvE2_clEvEUlS7_S7_E_S7_EEDaPvRmT3_T4_T5_mT6_P12ihipStream_tbENKUlT_T0_E_clISt17integral_constantIbLb0EESZ_EEDaSU_SV_EUlSU_E0_NS1_11comp_targetILNS1_3genE0ELNS1_11target_archE4294967295ELNS1_3gpuE0ELNS1_3repE0EEENS1_30default_config_static_selectorELNS0_4arch9wavefront6targetE0EEEvT1_,comdat
	.globl	_ZN7rocprim17ROCPRIM_400000_NS6detail17trampoline_kernelINS0_14default_configENS1_20scan_config_selectorIN3c107complexIfEEEEZZNS1_9scan_implILNS1_25lookback_scan_determinismE0ELb0ELb0ES3_PKS7_PS7_S7_ZZZN2at6native31launch_logcumsumexp_cuda_kernelERKNSE_10TensorBaseESI_lENKUlvE_clEvENKUlvE2_clEvEUlS7_S7_E_S7_EEDaPvRmT3_T4_T5_mT6_P12ihipStream_tbENKUlT_T0_E_clISt17integral_constantIbLb0EESZ_EEDaSU_SV_EUlSU_E0_NS1_11comp_targetILNS1_3genE0ELNS1_11target_archE4294967295ELNS1_3gpuE0ELNS1_3repE0EEENS1_30default_config_static_selectorELNS0_4arch9wavefront6targetE0EEEvT1_ ; -- Begin function _ZN7rocprim17ROCPRIM_400000_NS6detail17trampoline_kernelINS0_14default_configENS1_20scan_config_selectorIN3c107complexIfEEEEZZNS1_9scan_implILNS1_25lookback_scan_determinismE0ELb0ELb0ES3_PKS7_PS7_S7_ZZZN2at6native31launch_logcumsumexp_cuda_kernelERKNSE_10TensorBaseESI_lENKUlvE_clEvENKUlvE2_clEvEUlS7_S7_E_S7_EEDaPvRmT3_T4_T5_mT6_P12ihipStream_tbENKUlT_T0_E_clISt17integral_constantIbLb0EESZ_EEDaSU_SV_EUlSU_E0_NS1_11comp_targetILNS1_3genE0ELNS1_11target_archE4294967295ELNS1_3gpuE0ELNS1_3repE0EEENS1_30default_config_static_selectorELNS0_4arch9wavefront6targetE0EEEvT1_
	.p2align	8
	.type	_ZN7rocprim17ROCPRIM_400000_NS6detail17trampoline_kernelINS0_14default_configENS1_20scan_config_selectorIN3c107complexIfEEEEZZNS1_9scan_implILNS1_25lookback_scan_determinismE0ELb0ELb0ES3_PKS7_PS7_S7_ZZZN2at6native31launch_logcumsumexp_cuda_kernelERKNSE_10TensorBaseESI_lENKUlvE_clEvENKUlvE2_clEvEUlS7_S7_E_S7_EEDaPvRmT3_T4_T5_mT6_P12ihipStream_tbENKUlT_T0_E_clISt17integral_constantIbLb0EESZ_EEDaSU_SV_EUlSU_E0_NS1_11comp_targetILNS1_3genE0ELNS1_11target_archE4294967295ELNS1_3gpuE0ELNS1_3repE0EEENS1_30default_config_static_selectorELNS0_4arch9wavefront6targetE0EEEvT1_,@function
_ZN7rocprim17ROCPRIM_400000_NS6detail17trampoline_kernelINS0_14default_configENS1_20scan_config_selectorIN3c107complexIfEEEEZZNS1_9scan_implILNS1_25lookback_scan_determinismE0ELb0ELb0ES3_PKS7_PS7_S7_ZZZN2at6native31launch_logcumsumexp_cuda_kernelERKNSE_10TensorBaseESI_lENKUlvE_clEvENKUlvE2_clEvEUlS7_S7_E_S7_EEDaPvRmT3_T4_T5_mT6_P12ihipStream_tbENKUlT_T0_E_clISt17integral_constantIbLb0EESZ_EEDaSU_SV_EUlSU_E0_NS1_11comp_targetILNS1_3genE0ELNS1_11target_archE4294967295ELNS1_3gpuE0ELNS1_3repE0EEENS1_30default_config_static_selectorELNS0_4arch9wavefront6targetE0EEEvT1_: ; @_ZN7rocprim17ROCPRIM_400000_NS6detail17trampoline_kernelINS0_14default_configENS1_20scan_config_selectorIN3c107complexIfEEEEZZNS1_9scan_implILNS1_25lookback_scan_determinismE0ELb0ELb0ES3_PKS7_PS7_S7_ZZZN2at6native31launch_logcumsumexp_cuda_kernelERKNSE_10TensorBaseESI_lENKUlvE_clEvENKUlvE2_clEvEUlS7_S7_E_S7_EEDaPvRmT3_T4_T5_mT6_P12ihipStream_tbENKUlT_T0_E_clISt17integral_constantIbLb0EESZ_EEDaSU_SV_EUlSU_E0_NS1_11comp_targetILNS1_3genE0ELNS1_11target_archE4294967295ELNS1_3gpuE0ELNS1_3repE0EEENS1_30default_config_static_selectorELNS0_4arch9wavefront6targetE0EEEvT1_
; %bb.0:
	.section	.rodata,"a",@progbits
	.p2align	6, 0x0
	.amdhsa_kernel _ZN7rocprim17ROCPRIM_400000_NS6detail17trampoline_kernelINS0_14default_configENS1_20scan_config_selectorIN3c107complexIfEEEEZZNS1_9scan_implILNS1_25lookback_scan_determinismE0ELb0ELb0ES3_PKS7_PS7_S7_ZZZN2at6native31launch_logcumsumexp_cuda_kernelERKNSE_10TensorBaseESI_lENKUlvE_clEvENKUlvE2_clEvEUlS7_S7_E_S7_EEDaPvRmT3_T4_T5_mT6_P12ihipStream_tbENKUlT_T0_E_clISt17integral_constantIbLb0EESZ_EEDaSU_SV_EUlSU_E0_NS1_11comp_targetILNS1_3genE0ELNS1_11target_archE4294967295ELNS1_3gpuE0ELNS1_3repE0EEENS1_30default_config_static_selectorELNS0_4arch9wavefront6targetE0EEEvT1_
		.amdhsa_group_segment_fixed_size 0
		.amdhsa_private_segment_fixed_size 0
		.amdhsa_kernarg_size 40
		.amdhsa_user_sgpr_count 6
		.amdhsa_user_sgpr_private_segment_buffer 1
		.amdhsa_user_sgpr_dispatch_ptr 0
		.amdhsa_user_sgpr_queue_ptr 0
		.amdhsa_user_sgpr_kernarg_segment_ptr 1
		.amdhsa_user_sgpr_dispatch_id 0
		.amdhsa_user_sgpr_flat_scratch_init 0
		.amdhsa_user_sgpr_private_segment_size 0
		.amdhsa_wavefront_size32 1
		.amdhsa_uses_dynamic_stack 0
		.amdhsa_system_sgpr_private_segment_wavefront_offset 0
		.amdhsa_system_sgpr_workgroup_id_x 1
		.amdhsa_system_sgpr_workgroup_id_y 0
		.amdhsa_system_sgpr_workgroup_id_z 0
		.amdhsa_system_sgpr_workgroup_info 0
		.amdhsa_system_vgpr_workitem_id 0
		.amdhsa_next_free_vgpr 1
		.amdhsa_next_free_sgpr 1
		.amdhsa_reserve_vcc 0
		.amdhsa_reserve_flat_scratch 0
		.amdhsa_float_round_mode_32 0
		.amdhsa_float_round_mode_16_64 0
		.amdhsa_float_denorm_mode_32 3
		.amdhsa_float_denorm_mode_16_64 3
		.amdhsa_dx10_clamp 1
		.amdhsa_ieee_mode 1
		.amdhsa_fp16_overflow 0
		.amdhsa_workgroup_processor_mode 1
		.amdhsa_memory_ordered 1
		.amdhsa_forward_progress 1
		.amdhsa_shared_vgpr_count 0
		.amdhsa_exception_fp_ieee_invalid_op 0
		.amdhsa_exception_fp_denorm_src 0
		.amdhsa_exception_fp_ieee_div_zero 0
		.amdhsa_exception_fp_ieee_overflow 0
		.amdhsa_exception_fp_ieee_underflow 0
		.amdhsa_exception_fp_ieee_inexact 0
		.amdhsa_exception_int_div_zero 0
	.end_amdhsa_kernel
	.section	.text._ZN7rocprim17ROCPRIM_400000_NS6detail17trampoline_kernelINS0_14default_configENS1_20scan_config_selectorIN3c107complexIfEEEEZZNS1_9scan_implILNS1_25lookback_scan_determinismE0ELb0ELb0ES3_PKS7_PS7_S7_ZZZN2at6native31launch_logcumsumexp_cuda_kernelERKNSE_10TensorBaseESI_lENKUlvE_clEvENKUlvE2_clEvEUlS7_S7_E_S7_EEDaPvRmT3_T4_T5_mT6_P12ihipStream_tbENKUlT_T0_E_clISt17integral_constantIbLb0EESZ_EEDaSU_SV_EUlSU_E0_NS1_11comp_targetILNS1_3genE0ELNS1_11target_archE4294967295ELNS1_3gpuE0ELNS1_3repE0EEENS1_30default_config_static_selectorELNS0_4arch9wavefront6targetE0EEEvT1_,"axG",@progbits,_ZN7rocprim17ROCPRIM_400000_NS6detail17trampoline_kernelINS0_14default_configENS1_20scan_config_selectorIN3c107complexIfEEEEZZNS1_9scan_implILNS1_25lookback_scan_determinismE0ELb0ELb0ES3_PKS7_PS7_S7_ZZZN2at6native31launch_logcumsumexp_cuda_kernelERKNSE_10TensorBaseESI_lENKUlvE_clEvENKUlvE2_clEvEUlS7_S7_E_S7_EEDaPvRmT3_T4_T5_mT6_P12ihipStream_tbENKUlT_T0_E_clISt17integral_constantIbLb0EESZ_EEDaSU_SV_EUlSU_E0_NS1_11comp_targetILNS1_3genE0ELNS1_11target_archE4294967295ELNS1_3gpuE0ELNS1_3repE0EEENS1_30default_config_static_selectorELNS0_4arch9wavefront6targetE0EEEvT1_,comdat
.Lfunc_end281:
	.size	_ZN7rocprim17ROCPRIM_400000_NS6detail17trampoline_kernelINS0_14default_configENS1_20scan_config_selectorIN3c107complexIfEEEEZZNS1_9scan_implILNS1_25lookback_scan_determinismE0ELb0ELb0ES3_PKS7_PS7_S7_ZZZN2at6native31launch_logcumsumexp_cuda_kernelERKNSE_10TensorBaseESI_lENKUlvE_clEvENKUlvE2_clEvEUlS7_S7_E_S7_EEDaPvRmT3_T4_T5_mT6_P12ihipStream_tbENKUlT_T0_E_clISt17integral_constantIbLb0EESZ_EEDaSU_SV_EUlSU_E0_NS1_11comp_targetILNS1_3genE0ELNS1_11target_archE4294967295ELNS1_3gpuE0ELNS1_3repE0EEENS1_30default_config_static_selectorELNS0_4arch9wavefront6targetE0EEEvT1_, .Lfunc_end281-_ZN7rocprim17ROCPRIM_400000_NS6detail17trampoline_kernelINS0_14default_configENS1_20scan_config_selectorIN3c107complexIfEEEEZZNS1_9scan_implILNS1_25lookback_scan_determinismE0ELb0ELb0ES3_PKS7_PS7_S7_ZZZN2at6native31launch_logcumsumexp_cuda_kernelERKNSE_10TensorBaseESI_lENKUlvE_clEvENKUlvE2_clEvEUlS7_S7_E_S7_EEDaPvRmT3_T4_T5_mT6_P12ihipStream_tbENKUlT_T0_E_clISt17integral_constantIbLb0EESZ_EEDaSU_SV_EUlSU_E0_NS1_11comp_targetILNS1_3genE0ELNS1_11target_archE4294967295ELNS1_3gpuE0ELNS1_3repE0EEENS1_30default_config_static_selectorELNS0_4arch9wavefront6targetE0EEEvT1_
                                        ; -- End function
	.set _ZN7rocprim17ROCPRIM_400000_NS6detail17trampoline_kernelINS0_14default_configENS1_20scan_config_selectorIN3c107complexIfEEEEZZNS1_9scan_implILNS1_25lookback_scan_determinismE0ELb0ELb0ES3_PKS7_PS7_S7_ZZZN2at6native31launch_logcumsumexp_cuda_kernelERKNSE_10TensorBaseESI_lENKUlvE_clEvENKUlvE2_clEvEUlS7_S7_E_S7_EEDaPvRmT3_T4_T5_mT6_P12ihipStream_tbENKUlT_T0_E_clISt17integral_constantIbLb0EESZ_EEDaSU_SV_EUlSU_E0_NS1_11comp_targetILNS1_3genE0ELNS1_11target_archE4294967295ELNS1_3gpuE0ELNS1_3repE0EEENS1_30default_config_static_selectorELNS0_4arch9wavefront6targetE0EEEvT1_.num_vgpr, 0
	.set _ZN7rocprim17ROCPRIM_400000_NS6detail17trampoline_kernelINS0_14default_configENS1_20scan_config_selectorIN3c107complexIfEEEEZZNS1_9scan_implILNS1_25lookback_scan_determinismE0ELb0ELb0ES3_PKS7_PS7_S7_ZZZN2at6native31launch_logcumsumexp_cuda_kernelERKNSE_10TensorBaseESI_lENKUlvE_clEvENKUlvE2_clEvEUlS7_S7_E_S7_EEDaPvRmT3_T4_T5_mT6_P12ihipStream_tbENKUlT_T0_E_clISt17integral_constantIbLb0EESZ_EEDaSU_SV_EUlSU_E0_NS1_11comp_targetILNS1_3genE0ELNS1_11target_archE4294967295ELNS1_3gpuE0ELNS1_3repE0EEENS1_30default_config_static_selectorELNS0_4arch9wavefront6targetE0EEEvT1_.num_agpr, 0
	.set _ZN7rocprim17ROCPRIM_400000_NS6detail17trampoline_kernelINS0_14default_configENS1_20scan_config_selectorIN3c107complexIfEEEEZZNS1_9scan_implILNS1_25lookback_scan_determinismE0ELb0ELb0ES3_PKS7_PS7_S7_ZZZN2at6native31launch_logcumsumexp_cuda_kernelERKNSE_10TensorBaseESI_lENKUlvE_clEvENKUlvE2_clEvEUlS7_S7_E_S7_EEDaPvRmT3_T4_T5_mT6_P12ihipStream_tbENKUlT_T0_E_clISt17integral_constantIbLb0EESZ_EEDaSU_SV_EUlSU_E0_NS1_11comp_targetILNS1_3genE0ELNS1_11target_archE4294967295ELNS1_3gpuE0ELNS1_3repE0EEENS1_30default_config_static_selectorELNS0_4arch9wavefront6targetE0EEEvT1_.numbered_sgpr, 0
	.set _ZN7rocprim17ROCPRIM_400000_NS6detail17trampoline_kernelINS0_14default_configENS1_20scan_config_selectorIN3c107complexIfEEEEZZNS1_9scan_implILNS1_25lookback_scan_determinismE0ELb0ELb0ES3_PKS7_PS7_S7_ZZZN2at6native31launch_logcumsumexp_cuda_kernelERKNSE_10TensorBaseESI_lENKUlvE_clEvENKUlvE2_clEvEUlS7_S7_E_S7_EEDaPvRmT3_T4_T5_mT6_P12ihipStream_tbENKUlT_T0_E_clISt17integral_constantIbLb0EESZ_EEDaSU_SV_EUlSU_E0_NS1_11comp_targetILNS1_3genE0ELNS1_11target_archE4294967295ELNS1_3gpuE0ELNS1_3repE0EEENS1_30default_config_static_selectorELNS0_4arch9wavefront6targetE0EEEvT1_.num_named_barrier, 0
	.set _ZN7rocprim17ROCPRIM_400000_NS6detail17trampoline_kernelINS0_14default_configENS1_20scan_config_selectorIN3c107complexIfEEEEZZNS1_9scan_implILNS1_25lookback_scan_determinismE0ELb0ELb0ES3_PKS7_PS7_S7_ZZZN2at6native31launch_logcumsumexp_cuda_kernelERKNSE_10TensorBaseESI_lENKUlvE_clEvENKUlvE2_clEvEUlS7_S7_E_S7_EEDaPvRmT3_T4_T5_mT6_P12ihipStream_tbENKUlT_T0_E_clISt17integral_constantIbLb0EESZ_EEDaSU_SV_EUlSU_E0_NS1_11comp_targetILNS1_3genE0ELNS1_11target_archE4294967295ELNS1_3gpuE0ELNS1_3repE0EEENS1_30default_config_static_selectorELNS0_4arch9wavefront6targetE0EEEvT1_.private_seg_size, 0
	.set _ZN7rocprim17ROCPRIM_400000_NS6detail17trampoline_kernelINS0_14default_configENS1_20scan_config_selectorIN3c107complexIfEEEEZZNS1_9scan_implILNS1_25lookback_scan_determinismE0ELb0ELb0ES3_PKS7_PS7_S7_ZZZN2at6native31launch_logcumsumexp_cuda_kernelERKNSE_10TensorBaseESI_lENKUlvE_clEvENKUlvE2_clEvEUlS7_S7_E_S7_EEDaPvRmT3_T4_T5_mT6_P12ihipStream_tbENKUlT_T0_E_clISt17integral_constantIbLb0EESZ_EEDaSU_SV_EUlSU_E0_NS1_11comp_targetILNS1_3genE0ELNS1_11target_archE4294967295ELNS1_3gpuE0ELNS1_3repE0EEENS1_30default_config_static_selectorELNS0_4arch9wavefront6targetE0EEEvT1_.uses_vcc, 0
	.set _ZN7rocprim17ROCPRIM_400000_NS6detail17trampoline_kernelINS0_14default_configENS1_20scan_config_selectorIN3c107complexIfEEEEZZNS1_9scan_implILNS1_25lookback_scan_determinismE0ELb0ELb0ES3_PKS7_PS7_S7_ZZZN2at6native31launch_logcumsumexp_cuda_kernelERKNSE_10TensorBaseESI_lENKUlvE_clEvENKUlvE2_clEvEUlS7_S7_E_S7_EEDaPvRmT3_T4_T5_mT6_P12ihipStream_tbENKUlT_T0_E_clISt17integral_constantIbLb0EESZ_EEDaSU_SV_EUlSU_E0_NS1_11comp_targetILNS1_3genE0ELNS1_11target_archE4294967295ELNS1_3gpuE0ELNS1_3repE0EEENS1_30default_config_static_selectorELNS0_4arch9wavefront6targetE0EEEvT1_.uses_flat_scratch, 0
	.set _ZN7rocprim17ROCPRIM_400000_NS6detail17trampoline_kernelINS0_14default_configENS1_20scan_config_selectorIN3c107complexIfEEEEZZNS1_9scan_implILNS1_25lookback_scan_determinismE0ELb0ELb0ES3_PKS7_PS7_S7_ZZZN2at6native31launch_logcumsumexp_cuda_kernelERKNSE_10TensorBaseESI_lENKUlvE_clEvENKUlvE2_clEvEUlS7_S7_E_S7_EEDaPvRmT3_T4_T5_mT6_P12ihipStream_tbENKUlT_T0_E_clISt17integral_constantIbLb0EESZ_EEDaSU_SV_EUlSU_E0_NS1_11comp_targetILNS1_3genE0ELNS1_11target_archE4294967295ELNS1_3gpuE0ELNS1_3repE0EEENS1_30default_config_static_selectorELNS0_4arch9wavefront6targetE0EEEvT1_.has_dyn_sized_stack, 0
	.set _ZN7rocprim17ROCPRIM_400000_NS6detail17trampoline_kernelINS0_14default_configENS1_20scan_config_selectorIN3c107complexIfEEEEZZNS1_9scan_implILNS1_25lookback_scan_determinismE0ELb0ELb0ES3_PKS7_PS7_S7_ZZZN2at6native31launch_logcumsumexp_cuda_kernelERKNSE_10TensorBaseESI_lENKUlvE_clEvENKUlvE2_clEvEUlS7_S7_E_S7_EEDaPvRmT3_T4_T5_mT6_P12ihipStream_tbENKUlT_T0_E_clISt17integral_constantIbLb0EESZ_EEDaSU_SV_EUlSU_E0_NS1_11comp_targetILNS1_3genE0ELNS1_11target_archE4294967295ELNS1_3gpuE0ELNS1_3repE0EEENS1_30default_config_static_selectorELNS0_4arch9wavefront6targetE0EEEvT1_.has_recursion, 0
	.set _ZN7rocprim17ROCPRIM_400000_NS6detail17trampoline_kernelINS0_14default_configENS1_20scan_config_selectorIN3c107complexIfEEEEZZNS1_9scan_implILNS1_25lookback_scan_determinismE0ELb0ELb0ES3_PKS7_PS7_S7_ZZZN2at6native31launch_logcumsumexp_cuda_kernelERKNSE_10TensorBaseESI_lENKUlvE_clEvENKUlvE2_clEvEUlS7_S7_E_S7_EEDaPvRmT3_T4_T5_mT6_P12ihipStream_tbENKUlT_T0_E_clISt17integral_constantIbLb0EESZ_EEDaSU_SV_EUlSU_E0_NS1_11comp_targetILNS1_3genE0ELNS1_11target_archE4294967295ELNS1_3gpuE0ELNS1_3repE0EEENS1_30default_config_static_selectorELNS0_4arch9wavefront6targetE0EEEvT1_.has_indirect_call, 0
	.section	.AMDGPU.csdata,"",@progbits
; Kernel info:
; codeLenInByte = 0
; TotalNumSgprs: 0
; NumVgprs: 0
; ScratchSize: 0
; MemoryBound: 0
; FloatMode: 240
; IeeeMode: 1
; LDSByteSize: 0 bytes/workgroup (compile time only)
; SGPRBlocks: 0
; VGPRBlocks: 0
; NumSGPRsForWavesPerEU: 1
; NumVGPRsForWavesPerEU: 1
; Occupancy: 16
; WaveLimiterHint : 0
; COMPUTE_PGM_RSRC2:SCRATCH_EN: 0
; COMPUTE_PGM_RSRC2:USER_SGPR: 6
; COMPUTE_PGM_RSRC2:TRAP_HANDLER: 0
; COMPUTE_PGM_RSRC2:TGID_X_EN: 1
; COMPUTE_PGM_RSRC2:TGID_Y_EN: 0
; COMPUTE_PGM_RSRC2:TGID_Z_EN: 0
; COMPUTE_PGM_RSRC2:TIDIG_COMP_CNT: 0
	.section	.text._ZN7rocprim17ROCPRIM_400000_NS6detail17trampoline_kernelINS0_14default_configENS1_20scan_config_selectorIN3c107complexIfEEEEZZNS1_9scan_implILNS1_25lookback_scan_determinismE0ELb0ELb0ES3_PKS7_PS7_S7_ZZZN2at6native31launch_logcumsumexp_cuda_kernelERKNSE_10TensorBaseESI_lENKUlvE_clEvENKUlvE2_clEvEUlS7_S7_E_S7_EEDaPvRmT3_T4_T5_mT6_P12ihipStream_tbENKUlT_T0_E_clISt17integral_constantIbLb0EESZ_EEDaSU_SV_EUlSU_E0_NS1_11comp_targetILNS1_3genE5ELNS1_11target_archE942ELNS1_3gpuE9ELNS1_3repE0EEENS1_30default_config_static_selectorELNS0_4arch9wavefront6targetE0EEEvT1_,"axG",@progbits,_ZN7rocprim17ROCPRIM_400000_NS6detail17trampoline_kernelINS0_14default_configENS1_20scan_config_selectorIN3c107complexIfEEEEZZNS1_9scan_implILNS1_25lookback_scan_determinismE0ELb0ELb0ES3_PKS7_PS7_S7_ZZZN2at6native31launch_logcumsumexp_cuda_kernelERKNSE_10TensorBaseESI_lENKUlvE_clEvENKUlvE2_clEvEUlS7_S7_E_S7_EEDaPvRmT3_T4_T5_mT6_P12ihipStream_tbENKUlT_T0_E_clISt17integral_constantIbLb0EESZ_EEDaSU_SV_EUlSU_E0_NS1_11comp_targetILNS1_3genE5ELNS1_11target_archE942ELNS1_3gpuE9ELNS1_3repE0EEENS1_30default_config_static_selectorELNS0_4arch9wavefront6targetE0EEEvT1_,comdat
	.globl	_ZN7rocprim17ROCPRIM_400000_NS6detail17trampoline_kernelINS0_14default_configENS1_20scan_config_selectorIN3c107complexIfEEEEZZNS1_9scan_implILNS1_25lookback_scan_determinismE0ELb0ELb0ES3_PKS7_PS7_S7_ZZZN2at6native31launch_logcumsumexp_cuda_kernelERKNSE_10TensorBaseESI_lENKUlvE_clEvENKUlvE2_clEvEUlS7_S7_E_S7_EEDaPvRmT3_T4_T5_mT6_P12ihipStream_tbENKUlT_T0_E_clISt17integral_constantIbLb0EESZ_EEDaSU_SV_EUlSU_E0_NS1_11comp_targetILNS1_3genE5ELNS1_11target_archE942ELNS1_3gpuE9ELNS1_3repE0EEENS1_30default_config_static_selectorELNS0_4arch9wavefront6targetE0EEEvT1_ ; -- Begin function _ZN7rocprim17ROCPRIM_400000_NS6detail17trampoline_kernelINS0_14default_configENS1_20scan_config_selectorIN3c107complexIfEEEEZZNS1_9scan_implILNS1_25lookback_scan_determinismE0ELb0ELb0ES3_PKS7_PS7_S7_ZZZN2at6native31launch_logcumsumexp_cuda_kernelERKNSE_10TensorBaseESI_lENKUlvE_clEvENKUlvE2_clEvEUlS7_S7_E_S7_EEDaPvRmT3_T4_T5_mT6_P12ihipStream_tbENKUlT_T0_E_clISt17integral_constantIbLb0EESZ_EEDaSU_SV_EUlSU_E0_NS1_11comp_targetILNS1_3genE5ELNS1_11target_archE942ELNS1_3gpuE9ELNS1_3repE0EEENS1_30default_config_static_selectorELNS0_4arch9wavefront6targetE0EEEvT1_
	.p2align	8
	.type	_ZN7rocprim17ROCPRIM_400000_NS6detail17trampoline_kernelINS0_14default_configENS1_20scan_config_selectorIN3c107complexIfEEEEZZNS1_9scan_implILNS1_25lookback_scan_determinismE0ELb0ELb0ES3_PKS7_PS7_S7_ZZZN2at6native31launch_logcumsumexp_cuda_kernelERKNSE_10TensorBaseESI_lENKUlvE_clEvENKUlvE2_clEvEUlS7_S7_E_S7_EEDaPvRmT3_T4_T5_mT6_P12ihipStream_tbENKUlT_T0_E_clISt17integral_constantIbLb0EESZ_EEDaSU_SV_EUlSU_E0_NS1_11comp_targetILNS1_3genE5ELNS1_11target_archE942ELNS1_3gpuE9ELNS1_3repE0EEENS1_30default_config_static_selectorELNS0_4arch9wavefront6targetE0EEEvT1_,@function
_ZN7rocprim17ROCPRIM_400000_NS6detail17trampoline_kernelINS0_14default_configENS1_20scan_config_selectorIN3c107complexIfEEEEZZNS1_9scan_implILNS1_25lookback_scan_determinismE0ELb0ELb0ES3_PKS7_PS7_S7_ZZZN2at6native31launch_logcumsumexp_cuda_kernelERKNSE_10TensorBaseESI_lENKUlvE_clEvENKUlvE2_clEvEUlS7_S7_E_S7_EEDaPvRmT3_T4_T5_mT6_P12ihipStream_tbENKUlT_T0_E_clISt17integral_constantIbLb0EESZ_EEDaSU_SV_EUlSU_E0_NS1_11comp_targetILNS1_3genE5ELNS1_11target_archE942ELNS1_3gpuE9ELNS1_3repE0EEENS1_30default_config_static_selectorELNS0_4arch9wavefront6targetE0EEEvT1_: ; @_ZN7rocprim17ROCPRIM_400000_NS6detail17trampoline_kernelINS0_14default_configENS1_20scan_config_selectorIN3c107complexIfEEEEZZNS1_9scan_implILNS1_25lookback_scan_determinismE0ELb0ELb0ES3_PKS7_PS7_S7_ZZZN2at6native31launch_logcumsumexp_cuda_kernelERKNSE_10TensorBaseESI_lENKUlvE_clEvENKUlvE2_clEvEUlS7_S7_E_S7_EEDaPvRmT3_T4_T5_mT6_P12ihipStream_tbENKUlT_T0_E_clISt17integral_constantIbLb0EESZ_EEDaSU_SV_EUlSU_E0_NS1_11comp_targetILNS1_3genE5ELNS1_11target_archE942ELNS1_3gpuE9ELNS1_3repE0EEENS1_30default_config_static_selectorELNS0_4arch9wavefront6targetE0EEEvT1_
; %bb.0:
	.section	.rodata,"a",@progbits
	.p2align	6, 0x0
	.amdhsa_kernel _ZN7rocprim17ROCPRIM_400000_NS6detail17trampoline_kernelINS0_14default_configENS1_20scan_config_selectorIN3c107complexIfEEEEZZNS1_9scan_implILNS1_25lookback_scan_determinismE0ELb0ELb0ES3_PKS7_PS7_S7_ZZZN2at6native31launch_logcumsumexp_cuda_kernelERKNSE_10TensorBaseESI_lENKUlvE_clEvENKUlvE2_clEvEUlS7_S7_E_S7_EEDaPvRmT3_T4_T5_mT6_P12ihipStream_tbENKUlT_T0_E_clISt17integral_constantIbLb0EESZ_EEDaSU_SV_EUlSU_E0_NS1_11comp_targetILNS1_3genE5ELNS1_11target_archE942ELNS1_3gpuE9ELNS1_3repE0EEENS1_30default_config_static_selectorELNS0_4arch9wavefront6targetE0EEEvT1_
		.amdhsa_group_segment_fixed_size 0
		.amdhsa_private_segment_fixed_size 0
		.amdhsa_kernarg_size 40
		.amdhsa_user_sgpr_count 6
		.amdhsa_user_sgpr_private_segment_buffer 1
		.amdhsa_user_sgpr_dispatch_ptr 0
		.amdhsa_user_sgpr_queue_ptr 0
		.amdhsa_user_sgpr_kernarg_segment_ptr 1
		.amdhsa_user_sgpr_dispatch_id 0
		.amdhsa_user_sgpr_flat_scratch_init 0
		.amdhsa_user_sgpr_private_segment_size 0
		.amdhsa_wavefront_size32 1
		.amdhsa_uses_dynamic_stack 0
		.amdhsa_system_sgpr_private_segment_wavefront_offset 0
		.amdhsa_system_sgpr_workgroup_id_x 1
		.amdhsa_system_sgpr_workgroup_id_y 0
		.amdhsa_system_sgpr_workgroup_id_z 0
		.amdhsa_system_sgpr_workgroup_info 0
		.amdhsa_system_vgpr_workitem_id 0
		.amdhsa_next_free_vgpr 1
		.amdhsa_next_free_sgpr 1
		.amdhsa_reserve_vcc 0
		.amdhsa_reserve_flat_scratch 0
		.amdhsa_float_round_mode_32 0
		.amdhsa_float_round_mode_16_64 0
		.amdhsa_float_denorm_mode_32 3
		.amdhsa_float_denorm_mode_16_64 3
		.amdhsa_dx10_clamp 1
		.amdhsa_ieee_mode 1
		.amdhsa_fp16_overflow 0
		.amdhsa_workgroup_processor_mode 1
		.amdhsa_memory_ordered 1
		.amdhsa_forward_progress 1
		.amdhsa_shared_vgpr_count 0
		.amdhsa_exception_fp_ieee_invalid_op 0
		.amdhsa_exception_fp_denorm_src 0
		.amdhsa_exception_fp_ieee_div_zero 0
		.amdhsa_exception_fp_ieee_overflow 0
		.amdhsa_exception_fp_ieee_underflow 0
		.amdhsa_exception_fp_ieee_inexact 0
		.amdhsa_exception_int_div_zero 0
	.end_amdhsa_kernel
	.section	.text._ZN7rocprim17ROCPRIM_400000_NS6detail17trampoline_kernelINS0_14default_configENS1_20scan_config_selectorIN3c107complexIfEEEEZZNS1_9scan_implILNS1_25lookback_scan_determinismE0ELb0ELb0ES3_PKS7_PS7_S7_ZZZN2at6native31launch_logcumsumexp_cuda_kernelERKNSE_10TensorBaseESI_lENKUlvE_clEvENKUlvE2_clEvEUlS7_S7_E_S7_EEDaPvRmT3_T4_T5_mT6_P12ihipStream_tbENKUlT_T0_E_clISt17integral_constantIbLb0EESZ_EEDaSU_SV_EUlSU_E0_NS1_11comp_targetILNS1_3genE5ELNS1_11target_archE942ELNS1_3gpuE9ELNS1_3repE0EEENS1_30default_config_static_selectorELNS0_4arch9wavefront6targetE0EEEvT1_,"axG",@progbits,_ZN7rocprim17ROCPRIM_400000_NS6detail17trampoline_kernelINS0_14default_configENS1_20scan_config_selectorIN3c107complexIfEEEEZZNS1_9scan_implILNS1_25lookback_scan_determinismE0ELb0ELb0ES3_PKS7_PS7_S7_ZZZN2at6native31launch_logcumsumexp_cuda_kernelERKNSE_10TensorBaseESI_lENKUlvE_clEvENKUlvE2_clEvEUlS7_S7_E_S7_EEDaPvRmT3_T4_T5_mT6_P12ihipStream_tbENKUlT_T0_E_clISt17integral_constantIbLb0EESZ_EEDaSU_SV_EUlSU_E0_NS1_11comp_targetILNS1_3genE5ELNS1_11target_archE942ELNS1_3gpuE9ELNS1_3repE0EEENS1_30default_config_static_selectorELNS0_4arch9wavefront6targetE0EEEvT1_,comdat
.Lfunc_end282:
	.size	_ZN7rocprim17ROCPRIM_400000_NS6detail17trampoline_kernelINS0_14default_configENS1_20scan_config_selectorIN3c107complexIfEEEEZZNS1_9scan_implILNS1_25lookback_scan_determinismE0ELb0ELb0ES3_PKS7_PS7_S7_ZZZN2at6native31launch_logcumsumexp_cuda_kernelERKNSE_10TensorBaseESI_lENKUlvE_clEvENKUlvE2_clEvEUlS7_S7_E_S7_EEDaPvRmT3_T4_T5_mT6_P12ihipStream_tbENKUlT_T0_E_clISt17integral_constantIbLb0EESZ_EEDaSU_SV_EUlSU_E0_NS1_11comp_targetILNS1_3genE5ELNS1_11target_archE942ELNS1_3gpuE9ELNS1_3repE0EEENS1_30default_config_static_selectorELNS0_4arch9wavefront6targetE0EEEvT1_, .Lfunc_end282-_ZN7rocprim17ROCPRIM_400000_NS6detail17trampoline_kernelINS0_14default_configENS1_20scan_config_selectorIN3c107complexIfEEEEZZNS1_9scan_implILNS1_25lookback_scan_determinismE0ELb0ELb0ES3_PKS7_PS7_S7_ZZZN2at6native31launch_logcumsumexp_cuda_kernelERKNSE_10TensorBaseESI_lENKUlvE_clEvENKUlvE2_clEvEUlS7_S7_E_S7_EEDaPvRmT3_T4_T5_mT6_P12ihipStream_tbENKUlT_T0_E_clISt17integral_constantIbLb0EESZ_EEDaSU_SV_EUlSU_E0_NS1_11comp_targetILNS1_3genE5ELNS1_11target_archE942ELNS1_3gpuE9ELNS1_3repE0EEENS1_30default_config_static_selectorELNS0_4arch9wavefront6targetE0EEEvT1_
                                        ; -- End function
	.set _ZN7rocprim17ROCPRIM_400000_NS6detail17trampoline_kernelINS0_14default_configENS1_20scan_config_selectorIN3c107complexIfEEEEZZNS1_9scan_implILNS1_25lookback_scan_determinismE0ELb0ELb0ES3_PKS7_PS7_S7_ZZZN2at6native31launch_logcumsumexp_cuda_kernelERKNSE_10TensorBaseESI_lENKUlvE_clEvENKUlvE2_clEvEUlS7_S7_E_S7_EEDaPvRmT3_T4_T5_mT6_P12ihipStream_tbENKUlT_T0_E_clISt17integral_constantIbLb0EESZ_EEDaSU_SV_EUlSU_E0_NS1_11comp_targetILNS1_3genE5ELNS1_11target_archE942ELNS1_3gpuE9ELNS1_3repE0EEENS1_30default_config_static_selectorELNS0_4arch9wavefront6targetE0EEEvT1_.num_vgpr, 0
	.set _ZN7rocprim17ROCPRIM_400000_NS6detail17trampoline_kernelINS0_14default_configENS1_20scan_config_selectorIN3c107complexIfEEEEZZNS1_9scan_implILNS1_25lookback_scan_determinismE0ELb0ELb0ES3_PKS7_PS7_S7_ZZZN2at6native31launch_logcumsumexp_cuda_kernelERKNSE_10TensorBaseESI_lENKUlvE_clEvENKUlvE2_clEvEUlS7_S7_E_S7_EEDaPvRmT3_T4_T5_mT6_P12ihipStream_tbENKUlT_T0_E_clISt17integral_constantIbLb0EESZ_EEDaSU_SV_EUlSU_E0_NS1_11comp_targetILNS1_3genE5ELNS1_11target_archE942ELNS1_3gpuE9ELNS1_3repE0EEENS1_30default_config_static_selectorELNS0_4arch9wavefront6targetE0EEEvT1_.num_agpr, 0
	.set _ZN7rocprim17ROCPRIM_400000_NS6detail17trampoline_kernelINS0_14default_configENS1_20scan_config_selectorIN3c107complexIfEEEEZZNS1_9scan_implILNS1_25lookback_scan_determinismE0ELb0ELb0ES3_PKS7_PS7_S7_ZZZN2at6native31launch_logcumsumexp_cuda_kernelERKNSE_10TensorBaseESI_lENKUlvE_clEvENKUlvE2_clEvEUlS7_S7_E_S7_EEDaPvRmT3_T4_T5_mT6_P12ihipStream_tbENKUlT_T0_E_clISt17integral_constantIbLb0EESZ_EEDaSU_SV_EUlSU_E0_NS1_11comp_targetILNS1_3genE5ELNS1_11target_archE942ELNS1_3gpuE9ELNS1_3repE0EEENS1_30default_config_static_selectorELNS0_4arch9wavefront6targetE0EEEvT1_.numbered_sgpr, 0
	.set _ZN7rocprim17ROCPRIM_400000_NS6detail17trampoline_kernelINS0_14default_configENS1_20scan_config_selectorIN3c107complexIfEEEEZZNS1_9scan_implILNS1_25lookback_scan_determinismE0ELb0ELb0ES3_PKS7_PS7_S7_ZZZN2at6native31launch_logcumsumexp_cuda_kernelERKNSE_10TensorBaseESI_lENKUlvE_clEvENKUlvE2_clEvEUlS7_S7_E_S7_EEDaPvRmT3_T4_T5_mT6_P12ihipStream_tbENKUlT_T0_E_clISt17integral_constantIbLb0EESZ_EEDaSU_SV_EUlSU_E0_NS1_11comp_targetILNS1_3genE5ELNS1_11target_archE942ELNS1_3gpuE9ELNS1_3repE0EEENS1_30default_config_static_selectorELNS0_4arch9wavefront6targetE0EEEvT1_.num_named_barrier, 0
	.set _ZN7rocprim17ROCPRIM_400000_NS6detail17trampoline_kernelINS0_14default_configENS1_20scan_config_selectorIN3c107complexIfEEEEZZNS1_9scan_implILNS1_25lookback_scan_determinismE0ELb0ELb0ES3_PKS7_PS7_S7_ZZZN2at6native31launch_logcumsumexp_cuda_kernelERKNSE_10TensorBaseESI_lENKUlvE_clEvENKUlvE2_clEvEUlS7_S7_E_S7_EEDaPvRmT3_T4_T5_mT6_P12ihipStream_tbENKUlT_T0_E_clISt17integral_constantIbLb0EESZ_EEDaSU_SV_EUlSU_E0_NS1_11comp_targetILNS1_3genE5ELNS1_11target_archE942ELNS1_3gpuE9ELNS1_3repE0EEENS1_30default_config_static_selectorELNS0_4arch9wavefront6targetE0EEEvT1_.private_seg_size, 0
	.set _ZN7rocprim17ROCPRIM_400000_NS6detail17trampoline_kernelINS0_14default_configENS1_20scan_config_selectorIN3c107complexIfEEEEZZNS1_9scan_implILNS1_25lookback_scan_determinismE0ELb0ELb0ES3_PKS7_PS7_S7_ZZZN2at6native31launch_logcumsumexp_cuda_kernelERKNSE_10TensorBaseESI_lENKUlvE_clEvENKUlvE2_clEvEUlS7_S7_E_S7_EEDaPvRmT3_T4_T5_mT6_P12ihipStream_tbENKUlT_T0_E_clISt17integral_constantIbLb0EESZ_EEDaSU_SV_EUlSU_E0_NS1_11comp_targetILNS1_3genE5ELNS1_11target_archE942ELNS1_3gpuE9ELNS1_3repE0EEENS1_30default_config_static_selectorELNS0_4arch9wavefront6targetE0EEEvT1_.uses_vcc, 0
	.set _ZN7rocprim17ROCPRIM_400000_NS6detail17trampoline_kernelINS0_14default_configENS1_20scan_config_selectorIN3c107complexIfEEEEZZNS1_9scan_implILNS1_25lookback_scan_determinismE0ELb0ELb0ES3_PKS7_PS7_S7_ZZZN2at6native31launch_logcumsumexp_cuda_kernelERKNSE_10TensorBaseESI_lENKUlvE_clEvENKUlvE2_clEvEUlS7_S7_E_S7_EEDaPvRmT3_T4_T5_mT6_P12ihipStream_tbENKUlT_T0_E_clISt17integral_constantIbLb0EESZ_EEDaSU_SV_EUlSU_E0_NS1_11comp_targetILNS1_3genE5ELNS1_11target_archE942ELNS1_3gpuE9ELNS1_3repE0EEENS1_30default_config_static_selectorELNS0_4arch9wavefront6targetE0EEEvT1_.uses_flat_scratch, 0
	.set _ZN7rocprim17ROCPRIM_400000_NS6detail17trampoline_kernelINS0_14default_configENS1_20scan_config_selectorIN3c107complexIfEEEEZZNS1_9scan_implILNS1_25lookback_scan_determinismE0ELb0ELb0ES3_PKS7_PS7_S7_ZZZN2at6native31launch_logcumsumexp_cuda_kernelERKNSE_10TensorBaseESI_lENKUlvE_clEvENKUlvE2_clEvEUlS7_S7_E_S7_EEDaPvRmT3_T4_T5_mT6_P12ihipStream_tbENKUlT_T0_E_clISt17integral_constantIbLb0EESZ_EEDaSU_SV_EUlSU_E0_NS1_11comp_targetILNS1_3genE5ELNS1_11target_archE942ELNS1_3gpuE9ELNS1_3repE0EEENS1_30default_config_static_selectorELNS0_4arch9wavefront6targetE0EEEvT1_.has_dyn_sized_stack, 0
	.set _ZN7rocprim17ROCPRIM_400000_NS6detail17trampoline_kernelINS0_14default_configENS1_20scan_config_selectorIN3c107complexIfEEEEZZNS1_9scan_implILNS1_25lookback_scan_determinismE0ELb0ELb0ES3_PKS7_PS7_S7_ZZZN2at6native31launch_logcumsumexp_cuda_kernelERKNSE_10TensorBaseESI_lENKUlvE_clEvENKUlvE2_clEvEUlS7_S7_E_S7_EEDaPvRmT3_T4_T5_mT6_P12ihipStream_tbENKUlT_T0_E_clISt17integral_constantIbLb0EESZ_EEDaSU_SV_EUlSU_E0_NS1_11comp_targetILNS1_3genE5ELNS1_11target_archE942ELNS1_3gpuE9ELNS1_3repE0EEENS1_30default_config_static_selectorELNS0_4arch9wavefront6targetE0EEEvT1_.has_recursion, 0
	.set _ZN7rocprim17ROCPRIM_400000_NS6detail17trampoline_kernelINS0_14default_configENS1_20scan_config_selectorIN3c107complexIfEEEEZZNS1_9scan_implILNS1_25lookback_scan_determinismE0ELb0ELb0ES3_PKS7_PS7_S7_ZZZN2at6native31launch_logcumsumexp_cuda_kernelERKNSE_10TensorBaseESI_lENKUlvE_clEvENKUlvE2_clEvEUlS7_S7_E_S7_EEDaPvRmT3_T4_T5_mT6_P12ihipStream_tbENKUlT_T0_E_clISt17integral_constantIbLb0EESZ_EEDaSU_SV_EUlSU_E0_NS1_11comp_targetILNS1_3genE5ELNS1_11target_archE942ELNS1_3gpuE9ELNS1_3repE0EEENS1_30default_config_static_selectorELNS0_4arch9wavefront6targetE0EEEvT1_.has_indirect_call, 0
	.section	.AMDGPU.csdata,"",@progbits
; Kernel info:
; codeLenInByte = 0
; TotalNumSgprs: 0
; NumVgprs: 0
; ScratchSize: 0
; MemoryBound: 0
; FloatMode: 240
; IeeeMode: 1
; LDSByteSize: 0 bytes/workgroup (compile time only)
; SGPRBlocks: 0
; VGPRBlocks: 0
; NumSGPRsForWavesPerEU: 1
; NumVGPRsForWavesPerEU: 1
; Occupancy: 16
; WaveLimiterHint : 0
; COMPUTE_PGM_RSRC2:SCRATCH_EN: 0
; COMPUTE_PGM_RSRC2:USER_SGPR: 6
; COMPUTE_PGM_RSRC2:TRAP_HANDLER: 0
; COMPUTE_PGM_RSRC2:TGID_X_EN: 1
; COMPUTE_PGM_RSRC2:TGID_Y_EN: 0
; COMPUTE_PGM_RSRC2:TGID_Z_EN: 0
; COMPUTE_PGM_RSRC2:TIDIG_COMP_CNT: 0
	.section	.text._ZN7rocprim17ROCPRIM_400000_NS6detail17trampoline_kernelINS0_14default_configENS1_20scan_config_selectorIN3c107complexIfEEEEZZNS1_9scan_implILNS1_25lookback_scan_determinismE0ELb0ELb0ES3_PKS7_PS7_S7_ZZZN2at6native31launch_logcumsumexp_cuda_kernelERKNSE_10TensorBaseESI_lENKUlvE_clEvENKUlvE2_clEvEUlS7_S7_E_S7_EEDaPvRmT3_T4_T5_mT6_P12ihipStream_tbENKUlT_T0_E_clISt17integral_constantIbLb0EESZ_EEDaSU_SV_EUlSU_E0_NS1_11comp_targetILNS1_3genE4ELNS1_11target_archE910ELNS1_3gpuE8ELNS1_3repE0EEENS1_30default_config_static_selectorELNS0_4arch9wavefront6targetE0EEEvT1_,"axG",@progbits,_ZN7rocprim17ROCPRIM_400000_NS6detail17trampoline_kernelINS0_14default_configENS1_20scan_config_selectorIN3c107complexIfEEEEZZNS1_9scan_implILNS1_25lookback_scan_determinismE0ELb0ELb0ES3_PKS7_PS7_S7_ZZZN2at6native31launch_logcumsumexp_cuda_kernelERKNSE_10TensorBaseESI_lENKUlvE_clEvENKUlvE2_clEvEUlS7_S7_E_S7_EEDaPvRmT3_T4_T5_mT6_P12ihipStream_tbENKUlT_T0_E_clISt17integral_constantIbLb0EESZ_EEDaSU_SV_EUlSU_E0_NS1_11comp_targetILNS1_3genE4ELNS1_11target_archE910ELNS1_3gpuE8ELNS1_3repE0EEENS1_30default_config_static_selectorELNS0_4arch9wavefront6targetE0EEEvT1_,comdat
	.globl	_ZN7rocprim17ROCPRIM_400000_NS6detail17trampoline_kernelINS0_14default_configENS1_20scan_config_selectorIN3c107complexIfEEEEZZNS1_9scan_implILNS1_25lookback_scan_determinismE0ELb0ELb0ES3_PKS7_PS7_S7_ZZZN2at6native31launch_logcumsumexp_cuda_kernelERKNSE_10TensorBaseESI_lENKUlvE_clEvENKUlvE2_clEvEUlS7_S7_E_S7_EEDaPvRmT3_T4_T5_mT6_P12ihipStream_tbENKUlT_T0_E_clISt17integral_constantIbLb0EESZ_EEDaSU_SV_EUlSU_E0_NS1_11comp_targetILNS1_3genE4ELNS1_11target_archE910ELNS1_3gpuE8ELNS1_3repE0EEENS1_30default_config_static_selectorELNS0_4arch9wavefront6targetE0EEEvT1_ ; -- Begin function _ZN7rocprim17ROCPRIM_400000_NS6detail17trampoline_kernelINS0_14default_configENS1_20scan_config_selectorIN3c107complexIfEEEEZZNS1_9scan_implILNS1_25lookback_scan_determinismE0ELb0ELb0ES3_PKS7_PS7_S7_ZZZN2at6native31launch_logcumsumexp_cuda_kernelERKNSE_10TensorBaseESI_lENKUlvE_clEvENKUlvE2_clEvEUlS7_S7_E_S7_EEDaPvRmT3_T4_T5_mT6_P12ihipStream_tbENKUlT_T0_E_clISt17integral_constantIbLb0EESZ_EEDaSU_SV_EUlSU_E0_NS1_11comp_targetILNS1_3genE4ELNS1_11target_archE910ELNS1_3gpuE8ELNS1_3repE0EEENS1_30default_config_static_selectorELNS0_4arch9wavefront6targetE0EEEvT1_
	.p2align	8
	.type	_ZN7rocprim17ROCPRIM_400000_NS6detail17trampoline_kernelINS0_14default_configENS1_20scan_config_selectorIN3c107complexIfEEEEZZNS1_9scan_implILNS1_25lookback_scan_determinismE0ELb0ELb0ES3_PKS7_PS7_S7_ZZZN2at6native31launch_logcumsumexp_cuda_kernelERKNSE_10TensorBaseESI_lENKUlvE_clEvENKUlvE2_clEvEUlS7_S7_E_S7_EEDaPvRmT3_T4_T5_mT6_P12ihipStream_tbENKUlT_T0_E_clISt17integral_constantIbLb0EESZ_EEDaSU_SV_EUlSU_E0_NS1_11comp_targetILNS1_3genE4ELNS1_11target_archE910ELNS1_3gpuE8ELNS1_3repE0EEENS1_30default_config_static_selectorELNS0_4arch9wavefront6targetE0EEEvT1_,@function
_ZN7rocprim17ROCPRIM_400000_NS6detail17trampoline_kernelINS0_14default_configENS1_20scan_config_selectorIN3c107complexIfEEEEZZNS1_9scan_implILNS1_25lookback_scan_determinismE0ELb0ELb0ES3_PKS7_PS7_S7_ZZZN2at6native31launch_logcumsumexp_cuda_kernelERKNSE_10TensorBaseESI_lENKUlvE_clEvENKUlvE2_clEvEUlS7_S7_E_S7_EEDaPvRmT3_T4_T5_mT6_P12ihipStream_tbENKUlT_T0_E_clISt17integral_constantIbLb0EESZ_EEDaSU_SV_EUlSU_E0_NS1_11comp_targetILNS1_3genE4ELNS1_11target_archE910ELNS1_3gpuE8ELNS1_3repE0EEENS1_30default_config_static_selectorELNS0_4arch9wavefront6targetE0EEEvT1_: ; @_ZN7rocprim17ROCPRIM_400000_NS6detail17trampoline_kernelINS0_14default_configENS1_20scan_config_selectorIN3c107complexIfEEEEZZNS1_9scan_implILNS1_25lookback_scan_determinismE0ELb0ELb0ES3_PKS7_PS7_S7_ZZZN2at6native31launch_logcumsumexp_cuda_kernelERKNSE_10TensorBaseESI_lENKUlvE_clEvENKUlvE2_clEvEUlS7_S7_E_S7_EEDaPvRmT3_T4_T5_mT6_P12ihipStream_tbENKUlT_T0_E_clISt17integral_constantIbLb0EESZ_EEDaSU_SV_EUlSU_E0_NS1_11comp_targetILNS1_3genE4ELNS1_11target_archE910ELNS1_3gpuE8ELNS1_3repE0EEENS1_30default_config_static_selectorELNS0_4arch9wavefront6targetE0EEEvT1_
; %bb.0:
	.section	.rodata,"a",@progbits
	.p2align	6, 0x0
	.amdhsa_kernel _ZN7rocprim17ROCPRIM_400000_NS6detail17trampoline_kernelINS0_14default_configENS1_20scan_config_selectorIN3c107complexIfEEEEZZNS1_9scan_implILNS1_25lookback_scan_determinismE0ELb0ELb0ES3_PKS7_PS7_S7_ZZZN2at6native31launch_logcumsumexp_cuda_kernelERKNSE_10TensorBaseESI_lENKUlvE_clEvENKUlvE2_clEvEUlS7_S7_E_S7_EEDaPvRmT3_T4_T5_mT6_P12ihipStream_tbENKUlT_T0_E_clISt17integral_constantIbLb0EESZ_EEDaSU_SV_EUlSU_E0_NS1_11comp_targetILNS1_3genE4ELNS1_11target_archE910ELNS1_3gpuE8ELNS1_3repE0EEENS1_30default_config_static_selectorELNS0_4arch9wavefront6targetE0EEEvT1_
		.amdhsa_group_segment_fixed_size 0
		.amdhsa_private_segment_fixed_size 0
		.amdhsa_kernarg_size 40
		.amdhsa_user_sgpr_count 6
		.amdhsa_user_sgpr_private_segment_buffer 1
		.amdhsa_user_sgpr_dispatch_ptr 0
		.amdhsa_user_sgpr_queue_ptr 0
		.amdhsa_user_sgpr_kernarg_segment_ptr 1
		.amdhsa_user_sgpr_dispatch_id 0
		.amdhsa_user_sgpr_flat_scratch_init 0
		.amdhsa_user_sgpr_private_segment_size 0
		.amdhsa_wavefront_size32 1
		.amdhsa_uses_dynamic_stack 0
		.amdhsa_system_sgpr_private_segment_wavefront_offset 0
		.amdhsa_system_sgpr_workgroup_id_x 1
		.amdhsa_system_sgpr_workgroup_id_y 0
		.amdhsa_system_sgpr_workgroup_id_z 0
		.amdhsa_system_sgpr_workgroup_info 0
		.amdhsa_system_vgpr_workitem_id 0
		.amdhsa_next_free_vgpr 1
		.amdhsa_next_free_sgpr 1
		.amdhsa_reserve_vcc 0
		.amdhsa_reserve_flat_scratch 0
		.amdhsa_float_round_mode_32 0
		.amdhsa_float_round_mode_16_64 0
		.amdhsa_float_denorm_mode_32 3
		.amdhsa_float_denorm_mode_16_64 3
		.amdhsa_dx10_clamp 1
		.amdhsa_ieee_mode 1
		.amdhsa_fp16_overflow 0
		.amdhsa_workgroup_processor_mode 1
		.amdhsa_memory_ordered 1
		.amdhsa_forward_progress 1
		.amdhsa_shared_vgpr_count 0
		.amdhsa_exception_fp_ieee_invalid_op 0
		.amdhsa_exception_fp_denorm_src 0
		.amdhsa_exception_fp_ieee_div_zero 0
		.amdhsa_exception_fp_ieee_overflow 0
		.amdhsa_exception_fp_ieee_underflow 0
		.amdhsa_exception_fp_ieee_inexact 0
		.amdhsa_exception_int_div_zero 0
	.end_amdhsa_kernel
	.section	.text._ZN7rocprim17ROCPRIM_400000_NS6detail17trampoline_kernelINS0_14default_configENS1_20scan_config_selectorIN3c107complexIfEEEEZZNS1_9scan_implILNS1_25lookback_scan_determinismE0ELb0ELb0ES3_PKS7_PS7_S7_ZZZN2at6native31launch_logcumsumexp_cuda_kernelERKNSE_10TensorBaseESI_lENKUlvE_clEvENKUlvE2_clEvEUlS7_S7_E_S7_EEDaPvRmT3_T4_T5_mT6_P12ihipStream_tbENKUlT_T0_E_clISt17integral_constantIbLb0EESZ_EEDaSU_SV_EUlSU_E0_NS1_11comp_targetILNS1_3genE4ELNS1_11target_archE910ELNS1_3gpuE8ELNS1_3repE0EEENS1_30default_config_static_selectorELNS0_4arch9wavefront6targetE0EEEvT1_,"axG",@progbits,_ZN7rocprim17ROCPRIM_400000_NS6detail17trampoline_kernelINS0_14default_configENS1_20scan_config_selectorIN3c107complexIfEEEEZZNS1_9scan_implILNS1_25lookback_scan_determinismE0ELb0ELb0ES3_PKS7_PS7_S7_ZZZN2at6native31launch_logcumsumexp_cuda_kernelERKNSE_10TensorBaseESI_lENKUlvE_clEvENKUlvE2_clEvEUlS7_S7_E_S7_EEDaPvRmT3_T4_T5_mT6_P12ihipStream_tbENKUlT_T0_E_clISt17integral_constantIbLb0EESZ_EEDaSU_SV_EUlSU_E0_NS1_11comp_targetILNS1_3genE4ELNS1_11target_archE910ELNS1_3gpuE8ELNS1_3repE0EEENS1_30default_config_static_selectorELNS0_4arch9wavefront6targetE0EEEvT1_,comdat
.Lfunc_end283:
	.size	_ZN7rocprim17ROCPRIM_400000_NS6detail17trampoline_kernelINS0_14default_configENS1_20scan_config_selectorIN3c107complexIfEEEEZZNS1_9scan_implILNS1_25lookback_scan_determinismE0ELb0ELb0ES3_PKS7_PS7_S7_ZZZN2at6native31launch_logcumsumexp_cuda_kernelERKNSE_10TensorBaseESI_lENKUlvE_clEvENKUlvE2_clEvEUlS7_S7_E_S7_EEDaPvRmT3_T4_T5_mT6_P12ihipStream_tbENKUlT_T0_E_clISt17integral_constantIbLb0EESZ_EEDaSU_SV_EUlSU_E0_NS1_11comp_targetILNS1_3genE4ELNS1_11target_archE910ELNS1_3gpuE8ELNS1_3repE0EEENS1_30default_config_static_selectorELNS0_4arch9wavefront6targetE0EEEvT1_, .Lfunc_end283-_ZN7rocprim17ROCPRIM_400000_NS6detail17trampoline_kernelINS0_14default_configENS1_20scan_config_selectorIN3c107complexIfEEEEZZNS1_9scan_implILNS1_25lookback_scan_determinismE0ELb0ELb0ES3_PKS7_PS7_S7_ZZZN2at6native31launch_logcumsumexp_cuda_kernelERKNSE_10TensorBaseESI_lENKUlvE_clEvENKUlvE2_clEvEUlS7_S7_E_S7_EEDaPvRmT3_T4_T5_mT6_P12ihipStream_tbENKUlT_T0_E_clISt17integral_constantIbLb0EESZ_EEDaSU_SV_EUlSU_E0_NS1_11comp_targetILNS1_3genE4ELNS1_11target_archE910ELNS1_3gpuE8ELNS1_3repE0EEENS1_30default_config_static_selectorELNS0_4arch9wavefront6targetE0EEEvT1_
                                        ; -- End function
	.set _ZN7rocprim17ROCPRIM_400000_NS6detail17trampoline_kernelINS0_14default_configENS1_20scan_config_selectorIN3c107complexIfEEEEZZNS1_9scan_implILNS1_25lookback_scan_determinismE0ELb0ELb0ES3_PKS7_PS7_S7_ZZZN2at6native31launch_logcumsumexp_cuda_kernelERKNSE_10TensorBaseESI_lENKUlvE_clEvENKUlvE2_clEvEUlS7_S7_E_S7_EEDaPvRmT3_T4_T5_mT6_P12ihipStream_tbENKUlT_T0_E_clISt17integral_constantIbLb0EESZ_EEDaSU_SV_EUlSU_E0_NS1_11comp_targetILNS1_3genE4ELNS1_11target_archE910ELNS1_3gpuE8ELNS1_3repE0EEENS1_30default_config_static_selectorELNS0_4arch9wavefront6targetE0EEEvT1_.num_vgpr, 0
	.set _ZN7rocprim17ROCPRIM_400000_NS6detail17trampoline_kernelINS0_14default_configENS1_20scan_config_selectorIN3c107complexIfEEEEZZNS1_9scan_implILNS1_25lookback_scan_determinismE0ELb0ELb0ES3_PKS7_PS7_S7_ZZZN2at6native31launch_logcumsumexp_cuda_kernelERKNSE_10TensorBaseESI_lENKUlvE_clEvENKUlvE2_clEvEUlS7_S7_E_S7_EEDaPvRmT3_T4_T5_mT6_P12ihipStream_tbENKUlT_T0_E_clISt17integral_constantIbLb0EESZ_EEDaSU_SV_EUlSU_E0_NS1_11comp_targetILNS1_3genE4ELNS1_11target_archE910ELNS1_3gpuE8ELNS1_3repE0EEENS1_30default_config_static_selectorELNS0_4arch9wavefront6targetE0EEEvT1_.num_agpr, 0
	.set _ZN7rocprim17ROCPRIM_400000_NS6detail17trampoline_kernelINS0_14default_configENS1_20scan_config_selectorIN3c107complexIfEEEEZZNS1_9scan_implILNS1_25lookback_scan_determinismE0ELb0ELb0ES3_PKS7_PS7_S7_ZZZN2at6native31launch_logcumsumexp_cuda_kernelERKNSE_10TensorBaseESI_lENKUlvE_clEvENKUlvE2_clEvEUlS7_S7_E_S7_EEDaPvRmT3_T4_T5_mT6_P12ihipStream_tbENKUlT_T0_E_clISt17integral_constantIbLb0EESZ_EEDaSU_SV_EUlSU_E0_NS1_11comp_targetILNS1_3genE4ELNS1_11target_archE910ELNS1_3gpuE8ELNS1_3repE0EEENS1_30default_config_static_selectorELNS0_4arch9wavefront6targetE0EEEvT1_.numbered_sgpr, 0
	.set _ZN7rocprim17ROCPRIM_400000_NS6detail17trampoline_kernelINS0_14default_configENS1_20scan_config_selectorIN3c107complexIfEEEEZZNS1_9scan_implILNS1_25lookback_scan_determinismE0ELb0ELb0ES3_PKS7_PS7_S7_ZZZN2at6native31launch_logcumsumexp_cuda_kernelERKNSE_10TensorBaseESI_lENKUlvE_clEvENKUlvE2_clEvEUlS7_S7_E_S7_EEDaPvRmT3_T4_T5_mT6_P12ihipStream_tbENKUlT_T0_E_clISt17integral_constantIbLb0EESZ_EEDaSU_SV_EUlSU_E0_NS1_11comp_targetILNS1_3genE4ELNS1_11target_archE910ELNS1_3gpuE8ELNS1_3repE0EEENS1_30default_config_static_selectorELNS0_4arch9wavefront6targetE0EEEvT1_.num_named_barrier, 0
	.set _ZN7rocprim17ROCPRIM_400000_NS6detail17trampoline_kernelINS0_14default_configENS1_20scan_config_selectorIN3c107complexIfEEEEZZNS1_9scan_implILNS1_25lookback_scan_determinismE0ELb0ELb0ES3_PKS7_PS7_S7_ZZZN2at6native31launch_logcumsumexp_cuda_kernelERKNSE_10TensorBaseESI_lENKUlvE_clEvENKUlvE2_clEvEUlS7_S7_E_S7_EEDaPvRmT3_T4_T5_mT6_P12ihipStream_tbENKUlT_T0_E_clISt17integral_constantIbLb0EESZ_EEDaSU_SV_EUlSU_E0_NS1_11comp_targetILNS1_3genE4ELNS1_11target_archE910ELNS1_3gpuE8ELNS1_3repE0EEENS1_30default_config_static_selectorELNS0_4arch9wavefront6targetE0EEEvT1_.private_seg_size, 0
	.set _ZN7rocprim17ROCPRIM_400000_NS6detail17trampoline_kernelINS0_14default_configENS1_20scan_config_selectorIN3c107complexIfEEEEZZNS1_9scan_implILNS1_25lookback_scan_determinismE0ELb0ELb0ES3_PKS7_PS7_S7_ZZZN2at6native31launch_logcumsumexp_cuda_kernelERKNSE_10TensorBaseESI_lENKUlvE_clEvENKUlvE2_clEvEUlS7_S7_E_S7_EEDaPvRmT3_T4_T5_mT6_P12ihipStream_tbENKUlT_T0_E_clISt17integral_constantIbLb0EESZ_EEDaSU_SV_EUlSU_E0_NS1_11comp_targetILNS1_3genE4ELNS1_11target_archE910ELNS1_3gpuE8ELNS1_3repE0EEENS1_30default_config_static_selectorELNS0_4arch9wavefront6targetE0EEEvT1_.uses_vcc, 0
	.set _ZN7rocprim17ROCPRIM_400000_NS6detail17trampoline_kernelINS0_14default_configENS1_20scan_config_selectorIN3c107complexIfEEEEZZNS1_9scan_implILNS1_25lookback_scan_determinismE0ELb0ELb0ES3_PKS7_PS7_S7_ZZZN2at6native31launch_logcumsumexp_cuda_kernelERKNSE_10TensorBaseESI_lENKUlvE_clEvENKUlvE2_clEvEUlS7_S7_E_S7_EEDaPvRmT3_T4_T5_mT6_P12ihipStream_tbENKUlT_T0_E_clISt17integral_constantIbLb0EESZ_EEDaSU_SV_EUlSU_E0_NS1_11comp_targetILNS1_3genE4ELNS1_11target_archE910ELNS1_3gpuE8ELNS1_3repE0EEENS1_30default_config_static_selectorELNS0_4arch9wavefront6targetE0EEEvT1_.uses_flat_scratch, 0
	.set _ZN7rocprim17ROCPRIM_400000_NS6detail17trampoline_kernelINS0_14default_configENS1_20scan_config_selectorIN3c107complexIfEEEEZZNS1_9scan_implILNS1_25lookback_scan_determinismE0ELb0ELb0ES3_PKS7_PS7_S7_ZZZN2at6native31launch_logcumsumexp_cuda_kernelERKNSE_10TensorBaseESI_lENKUlvE_clEvENKUlvE2_clEvEUlS7_S7_E_S7_EEDaPvRmT3_T4_T5_mT6_P12ihipStream_tbENKUlT_T0_E_clISt17integral_constantIbLb0EESZ_EEDaSU_SV_EUlSU_E0_NS1_11comp_targetILNS1_3genE4ELNS1_11target_archE910ELNS1_3gpuE8ELNS1_3repE0EEENS1_30default_config_static_selectorELNS0_4arch9wavefront6targetE0EEEvT1_.has_dyn_sized_stack, 0
	.set _ZN7rocprim17ROCPRIM_400000_NS6detail17trampoline_kernelINS0_14default_configENS1_20scan_config_selectorIN3c107complexIfEEEEZZNS1_9scan_implILNS1_25lookback_scan_determinismE0ELb0ELb0ES3_PKS7_PS7_S7_ZZZN2at6native31launch_logcumsumexp_cuda_kernelERKNSE_10TensorBaseESI_lENKUlvE_clEvENKUlvE2_clEvEUlS7_S7_E_S7_EEDaPvRmT3_T4_T5_mT6_P12ihipStream_tbENKUlT_T0_E_clISt17integral_constantIbLb0EESZ_EEDaSU_SV_EUlSU_E0_NS1_11comp_targetILNS1_3genE4ELNS1_11target_archE910ELNS1_3gpuE8ELNS1_3repE0EEENS1_30default_config_static_selectorELNS0_4arch9wavefront6targetE0EEEvT1_.has_recursion, 0
	.set _ZN7rocprim17ROCPRIM_400000_NS6detail17trampoline_kernelINS0_14default_configENS1_20scan_config_selectorIN3c107complexIfEEEEZZNS1_9scan_implILNS1_25lookback_scan_determinismE0ELb0ELb0ES3_PKS7_PS7_S7_ZZZN2at6native31launch_logcumsumexp_cuda_kernelERKNSE_10TensorBaseESI_lENKUlvE_clEvENKUlvE2_clEvEUlS7_S7_E_S7_EEDaPvRmT3_T4_T5_mT6_P12ihipStream_tbENKUlT_T0_E_clISt17integral_constantIbLb0EESZ_EEDaSU_SV_EUlSU_E0_NS1_11comp_targetILNS1_3genE4ELNS1_11target_archE910ELNS1_3gpuE8ELNS1_3repE0EEENS1_30default_config_static_selectorELNS0_4arch9wavefront6targetE0EEEvT1_.has_indirect_call, 0
	.section	.AMDGPU.csdata,"",@progbits
; Kernel info:
; codeLenInByte = 0
; TotalNumSgprs: 0
; NumVgprs: 0
; ScratchSize: 0
; MemoryBound: 0
; FloatMode: 240
; IeeeMode: 1
; LDSByteSize: 0 bytes/workgroup (compile time only)
; SGPRBlocks: 0
; VGPRBlocks: 0
; NumSGPRsForWavesPerEU: 1
; NumVGPRsForWavesPerEU: 1
; Occupancy: 16
; WaveLimiterHint : 0
; COMPUTE_PGM_RSRC2:SCRATCH_EN: 0
; COMPUTE_PGM_RSRC2:USER_SGPR: 6
; COMPUTE_PGM_RSRC2:TRAP_HANDLER: 0
; COMPUTE_PGM_RSRC2:TGID_X_EN: 1
; COMPUTE_PGM_RSRC2:TGID_Y_EN: 0
; COMPUTE_PGM_RSRC2:TGID_Z_EN: 0
; COMPUTE_PGM_RSRC2:TIDIG_COMP_CNT: 0
	.section	.text._ZN7rocprim17ROCPRIM_400000_NS6detail17trampoline_kernelINS0_14default_configENS1_20scan_config_selectorIN3c107complexIfEEEEZZNS1_9scan_implILNS1_25lookback_scan_determinismE0ELb0ELb0ES3_PKS7_PS7_S7_ZZZN2at6native31launch_logcumsumexp_cuda_kernelERKNSE_10TensorBaseESI_lENKUlvE_clEvENKUlvE2_clEvEUlS7_S7_E_S7_EEDaPvRmT3_T4_T5_mT6_P12ihipStream_tbENKUlT_T0_E_clISt17integral_constantIbLb0EESZ_EEDaSU_SV_EUlSU_E0_NS1_11comp_targetILNS1_3genE3ELNS1_11target_archE908ELNS1_3gpuE7ELNS1_3repE0EEENS1_30default_config_static_selectorELNS0_4arch9wavefront6targetE0EEEvT1_,"axG",@progbits,_ZN7rocprim17ROCPRIM_400000_NS6detail17trampoline_kernelINS0_14default_configENS1_20scan_config_selectorIN3c107complexIfEEEEZZNS1_9scan_implILNS1_25lookback_scan_determinismE0ELb0ELb0ES3_PKS7_PS7_S7_ZZZN2at6native31launch_logcumsumexp_cuda_kernelERKNSE_10TensorBaseESI_lENKUlvE_clEvENKUlvE2_clEvEUlS7_S7_E_S7_EEDaPvRmT3_T4_T5_mT6_P12ihipStream_tbENKUlT_T0_E_clISt17integral_constantIbLb0EESZ_EEDaSU_SV_EUlSU_E0_NS1_11comp_targetILNS1_3genE3ELNS1_11target_archE908ELNS1_3gpuE7ELNS1_3repE0EEENS1_30default_config_static_selectorELNS0_4arch9wavefront6targetE0EEEvT1_,comdat
	.globl	_ZN7rocprim17ROCPRIM_400000_NS6detail17trampoline_kernelINS0_14default_configENS1_20scan_config_selectorIN3c107complexIfEEEEZZNS1_9scan_implILNS1_25lookback_scan_determinismE0ELb0ELb0ES3_PKS7_PS7_S7_ZZZN2at6native31launch_logcumsumexp_cuda_kernelERKNSE_10TensorBaseESI_lENKUlvE_clEvENKUlvE2_clEvEUlS7_S7_E_S7_EEDaPvRmT3_T4_T5_mT6_P12ihipStream_tbENKUlT_T0_E_clISt17integral_constantIbLb0EESZ_EEDaSU_SV_EUlSU_E0_NS1_11comp_targetILNS1_3genE3ELNS1_11target_archE908ELNS1_3gpuE7ELNS1_3repE0EEENS1_30default_config_static_selectorELNS0_4arch9wavefront6targetE0EEEvT1_ ; -- Begin function _ZN7rocprim17ROCPRIM_400000_NS6detail17trampoline_kernelINS0_14default_configENS1_20scan_config_selectorIN3c107complexIfEEEEZZNS1_9scan_implILNS1_25lookback_scan_determinismE0ELb0ELb0ES3_PKS7_PS7_S7_ZZZN2at6native31launch_logcumsumexp_cuda_kernelERKNSE_10TensorBaseESI_lENKUlvE_clEvENKUlvE2_clEvEUlS7_S7_E_S7_EEDaPvRmT3_T4_T5_mT6_P12ihipStream_tbENKUlT_T0_E_clISt17integral_constantIbLb0EESZ_EEDaSU_SV_EUlSU_E0_NS1_11comp_targetILNS1_3genE3ELNS1_11target_archE908ELNS1_3gpuE7ELNS1_3repE0EEENS1_30default_config_static_selectorELNS0_4arch9wavefront6targetE0EEEvT1_
	.p2align	8
	.type	_ZN7rocprim17ROCPRIM_400000_NS6detail17trampoline_kernelINS0_14default_configENS1_20scan_config_selectorIN3c107complexIfEEEEZZNS1_9scan_implILNS1_25lookback_scan_determinismE0ELb0ELb0ES3_PKS7_PS7_S7_ZZZN2at6native31launch_logcumsumexp_cuda_kernelERKNSE_10TensorBaseESI_lENKUlvE_clEvENKUlvE2_clEvEUlS7_S7_E_S7_EEDaPvRmT3_T4_T5_mT6_P12ihipStream_tbENKUlT_T0_E_clISt17integral_constantIbLb0EESZ_EEDaSU_SV_EUlSU_E0_NS1_11comp_targetILNS1_3genE3ELNS1_11target_archE908ELNS1_3gpuE7ELNS1_3repE0EEENS1_30default_config_static_selectorELNS0_4arch9wavefront6targetE0EEEvT1_,@function
_ZN7rocprim17ROCPRIM_400000_NS6detail17trampoline_kernelINS0_14default_configENS1_20scan_config_selectorIN3c107complexIfEEEEZZNS1_9scan_implILNS1_25lookback_scan_determinismE0ELb0ELb0ES3_PKS7_PS7_S7_ZZZN2at6native31launch_logcumsumexp_cuda_kernelERKNSE_10TensorBaseESI_lENKUlvE_clEvENKUlvE2_clEvEUlS7_S7_E_S7_EEDaPvRmT3_T4_T5_mT6_P12ihipStream_tbENKUlT_T0_E_clISt17integral_constantIbLb0EESZ_EEDaSU_SV_EUlSU_E0_NS1_11comp_targetILNS1_3genE3ELNS1_11target_archE908ELNS1_3gpuE7ELNS1_3repE0EEENS1_30default_config_static_selectorELNS0_4arch9wavefront6targetE0EEEvT1_: ; @_ZN7rocprim17ROCPRIM_400000_NS6detail17trampoline_kernelINS0_14default_configENS1_20scan_config_selectorIN3c107complexIfEEEEZZNS1_9scan_implILNS1_25lookback_scan_determinismE0ELb0ELb0ES3_PKS7_PS7_S7_ZZZN2at6native31launch_logcumsumexp_cuda_kernelERKNSE_10TensorBaseESI_lENKUlvE_clEvENKUlvE2_clEvEUlS7_S7_E_S7_EEDaPvRmT3_T4_T5_mT6_P12ihipStream_tbENKUlT_T0_E_clISt17integral_constantIbLb0EESZ_EEDaSU_SV_EUlSU_E0_NS1_11comp_targetILNS1_3genE3ELNS1_11target_archE908ELNS1_3gpuE7ELNS1_3repE0EEENS1_30default_config_static_selectorELNS0_4arch9wavefront6targetE0EEEvT1_
; %bb.0:
	.section	.rodata,"a",@progbits
	.p2align	6, 0x0
	.amdhsa_kernel _ZN7rocprim17ROCPRIM_400000_NS6detail17trampoline_kernelINS0_14default_configENS1_20scan_config_selectorIN3c107complexIfEEEEZZNS1_9scan_implILNS1_25lookback_scan_determinismE0ELb0ELb0ES3_PKS7_PS7_S7_ZZZN2at6native31launch_logcumsumexp_cuda_kernelERKNSE_10TensorBaseESI_lENKUlvE_clEvENKUlvE2_clEvEUlS7_S7_E_S7_EEDaPvRmT3_T4_T5_mT6_P12ihipStream_tbENKUlT_T0_E_clISt17integral_constantIbLb0EESZ_EEDaSU_SV_EUlSU_E0_NS1_11comp_targetILNS1_3genE3ELNS1_11target_archE908ELNS1_3gpuE7ELNS1_3repE0EEENS1_30default_config_static_selectorELNS0_4arch9wavefront6targetE0EEEvT1_
		.amdhsa_group_segment_fixed_size 0
		.amdhsa_private_segment_fixed_size 0
		.amdhsa_kernarg_size 40
		.amdhsa_user_sgpr_count 6
		.amdhsa_user_sgpr_private_segment_buffer 1
		.amdhsa_user_sgpr_dispatch_ptr 0
		.amdhsa_user_sgpr_queue_ptr 0
		.amdhsa_user_sgpr_kernarg_segment_ptr 1
		.amdhsa_user_sgpr_dispatch_id 0
		.amdhsa_user_sgpr_flat_scratch_init 0
		.amdhsa_user_sgpr_private_segment_size 0
		.amdhsa_wavefront_size32 1
		.amdhsa_uses_dynamic_stack 0
		.amdhsa_system_sgpr_private_segment_wavefront_offset 0
		.amdhsa_system_sgpr_workgroup_id_x 1
		.amdhsa_system_sgpr_workgroup_id_y 0
		.amdhsa_system_sgpr_workgroup_id_z 0
		.amdhsa_system_sgpr_workgroup_info 0
		.amdhsa_system_vgpr_workitem_id 0
		.amdhsa_next_free_vgpr 1
		.amdhsa_next_free_sgpr 1
		.amdhsa_reserve_vcc 0
		.amdhsa_reserve_flat_scratch 0
		.amdhsa_float_round_mode_32 0
		.amdhsa_float_round_mode_16_64 0
		.amdhsa_float_denorm_mode_32 3
		.amdhsa_float_denorm_mode_16_64 3
		.amdhsa_dx10_clamp 1
		.amdhsa_ieee_mode 1
		.amdhsa_fp16_overflow 0
		.amdhsa_workgroup_processor_mode 1
		.amdhsa_memory_ordered 1
		.amdhsa_forward_progress 1
		.amdhsa_shared_vgpr_count 0
		.amdhsa_exception_fp_ieee_invalid_op 0
		.amdhsa_exception_fp_denorm_src 0
		.amdhsa_exception_fp_ieee_div_zero 0
		.amdhsa_exception_fp_ieee_overflow 0
		.amdhsa_exception_fp_ieee_underflow 0
		.amdhsa_exception_fp_ieee_inexact 0
		.amdhsa_exception_int_div_zero 0
	.end_amdhsa_kernel
	.section	.text._ZN7rocprim17ROCPRIM_400000_NS6detail17trampoline_kernelINS0_14default_configENS1_20scan_config_selectorIN3c107complexIfEEEEZZNS1_9scan_implILNS1_25lookback_scan_determinismE0ELb0ELb0ES3_PKS7_PS7_S7_ZZZN2at6native31launch_logcumsumexp_cuda_kernelERKNSE_10TensorBaseESI_lENKUlvE_clEvENKUlvE2_clEvEUlS7_S7_E_S7_EEDaPvRmT3_T4_T5_mT6_P12ihipStream_tbENKUlT_T0_E_clISt17integral_constantIbLb0EESZ_EEDaSU_SV_EUlSU_E0_NS1_11comp_targetILNS1_3genE3ELNS1_11target_archE908ELNS1_3gpuE7ELNS1_3repE0EEENS1_30default_config_static_selectorELNS0_4arch9wavefront6targetE0EEEvT1_,"axG",@progbits,_ZN7rocprim17ROCPRIM_400000_NS6detail17trampoline_kernelINS0_14default_configENS1_20scan_config_selectorIN3c107complexIfEEEEZZNS1_9scan_implILNS1_25lookback_scan_determinismE0ELb0ELb0ES3_PKS7_PS7_S7_ZZZN2at6native31launch_logcumsumexp_cuda_kernelERKNSE_10TensorBaseESI_lENKUlvE_clEvENKUlvE2_clEvEUlS7_S7_E_S7_EEDaPvRmT3_T4_T5_mT6_P12ihipStream_tbENKUlT_T0_E_clISt17integral_constantIbLb0EESZ_EEDaSU_SV_EUlSU_E0_NS1_11comp_targetILNS1_3genE3ELNS1_11target_archE908ELNS1_3gpuE7ELNS1_3repE0EEENS1_30default_config_static_selectorELNS0_4arch9wavefront6targetE0EEEvT1_,comdat
.Lfunc_end284:
	.size	_ZN7rocprim17ROCPRIM_400000_NS6detail17trampoline_kernelINS0_14default_configENS1_20scan_config_selectorIN3c107complexIfEEEEZZNS1_9scan_implILNS1_25lookback_scan_determinismE0ELb0ELb0ES3_PKS7_PS7_S7_ZZZN2at6native31launch_logcumsumexp_cuda_kernelERKNSE_10TensorBaseESI_lENKUlvE_clEvENKUlvE2_clEvEUlS7_S7_E_S7_EEDaPvRmT3_T4_T5_mT6_P12ihipStream_tbENKUlT_T0_E_clISt17integral_constantIbLb0EESZ_EEDaSU_SV_EUlSU_E0_NS1_11comp_targetILNS1_3genE3ELNS1_11target_archE908ELNS1_3gpuE7ELNS1_3repE0EEENS1_30default_config_static_selectorELNS0_4arch9wavefront6targetE0EEEvT1_, .Lfunc_end284-_ZN7rocprim17ROCPRIM_400000_NS6detail17trampoline_kernelINS0_14default_configENS1_20scan_config_selectorIN3c107complexIfEEEEZZNS1_9scan_implILNS1_25lookback_scan_determinismE0ELb0ELb0ES3_PKS7_PS7_S7_ZZZN2at6native31launch_logcumsumexp_cuda_kernelERKNSE_10TensorBaseESI_lENKUlvE_clEvENKUlvE2_clEvEUlS7_S7_E_S7_EEDaPvRmT3_T4_T5_mT6_P12ihipStream_tbENKUlT_T0_E_clISt17integral_constantIbLb0EESZ_EEDaSU_SV_EUlSU_E0_NS1_11comp_targetILNS1_3genE3ELNS1_11target_archE908ELNS1_3gpuE7ELNS1_3repE0EEENS1_30default_config_static_selectorELNS0_4arch9wavefront6targetE0EEEvT1_
                                        ; -- End function
	.set _ZN7rocprim17ROCPRIM_400000_NS6detail17trampoline_kernelINS0_14default_configENS1_20scan_config_selectorIN3c107complexIfEEEEZZNS1_9scan_implILNS1_25lookback_scan_determinismE0ELb0ELb0ES3_PKS7_PS7_S7_ZZZN2at6native31launch_logcumsumexp_cuda_kernelERKNSE_10TensorBaseESI_lENKUlvE_clEvENKUlvE2_clEvEUlS7_S7_E_S7_EEDaPvRmT3_T4_T5_mT6_P12ihipStream_tbENKUlT_T0_E_clISt17integral_constantIbLb0EESZ_EEDaSU_SV_EUlSU_E0_NS1_11comp_targetILNS1_3genE3ELNS1_11target_archE908ELNS1_3gpuE7ELNS1_3repE0EEENS1_30default_config_static_selectorELNS0_4arch9wavefront6targetE0EEEvT1_.num_vgpr, 0
	.set _ZN7rocprim17ROCPRIM_400000_NS6detail17trampoline_kernelINS0_14default_configENS1_20scan_config_selectorIN3c107complexIfEEEEZZNS1_9scan_implILNS1_25lookback_scan_determinismE0ELb0ELb0ES3_PKS7_PS7_S7_ZZZN2at6native31launch_logcumsumexp_cuda_kernelERKNSE_10TensorBaseESI_lENKUlvE_clEvENKUlvE2_clEvEUlS7_S7_E_S7_EEDaPvRmT3_T4_T5_mT6_P12ihipStream_tbENKUlT_T0_E_clISt17integral_constantIbLb0EESZ_EEDaSU_SV_EUlSU_E0_NS1_11comp_targetILNS1_3genE3ELNS1_11target_archE908ELNS1_3gpuE7ELNS1_3repE0EEENS1_30default_config_static_selectorELNS0_4arch9wavefront6targetE0EEEvT1_.num_agpr, 0
	.set _ZN7rocprim17ROCPRIM_400000_NS6detail17trampoline_kernelINS0_14default_configENS1_20scan_config_selectorIN3c107complexIfEEEEZZNS1_9scan_implILNS1_25lookback_scan_determinismE0ELb0ELb0ES3_PKS7_PS7_S7_ZZZN2at6native31launch_logcumsumexp_cuda_kernelERKNSE_10TensorBaseESI_lENKUlvE_clEvENKUlvE2_clEvEUlS7_S7_E_S7_EEDaPvRmT3_T4_T5_mT6_P12ihipStream_tbENKUlT_T0_E_clISt17integral_constantIbLb0EESZ_EEDaSU_SV_EUlSU_E0_NS1_11comp_targetILNS1_3genE3ELNS1_11target_archE908ELNS1_3gpuE7ELNS1_3repE0EEENS1_30default_config_static_selectorELNS0_4arch9wavefront6targetE0EEEvT1_.numbered_sgpr, 0
	.set _ZN7rocprim17ROCPRIM_400000_NS6detail17trampoline_kernelINS0_14default_configENS1_20scan_config_selectorIN3c107complexIfEEEEZZNS1_9scan_implILNS1_25lookback_scan_determinismE0ELb0ELb0ES3_PKS7_PS7_S7_ZZZN2at6native31launch_logcumsumexp_cuda_kernelERKNSE_10TensorBaseESI_lENKUlvE_clEvENKUlvE2_clEvEUlS7_S7_E_S7_EEDaPvRmT3_T4_T5_mT6_P12ihipStream_tbENKUlT_T0_E_clISt17integral_constantIbLb0EESZ_EEDaSU_SV_EUlSU_E0_NS1_11comp_targetILNS1_3genE3ELNS1_11target_archE908ELNS1_3gpuE7ELNS1_3repE0EEENS1_30default_config_static_selectorELNS0_4arch9wavefront6targetE0EEEvT1_.num_named_barrier, 0
	.set _ZN7rocprim17ROCPRIM_400000_NS6detail17trampoline_kernelINS0_14default_configENS1_20scan_config_selectorIN3c107complexIfEEEEZZNS1_9scan_implILNS1_25lookback_scan_determinismE0ELb0ELb0ES3_PKS7_PS7_S7_ZZZN2at6native31launch_logcumsumexp_cuda_kernelERKNSE_10TensorBaseESI_lENKUlvE_clEvENKUlvE2_clEvEUlS7_S7_E_S7_EEDaPvRmT3_T4_T5_mT6_P12ihipStream_tbENKUlT_T0_E_clISt17integral_constantIbLb0EESZ_EEDaSU_SV_EUlSU_E0_NS1_11comp_targetILNS1_3genE3ELNS1_11target_archE908ELNS1_3gpuE7ELNS1_3repE0EEENS1_30default_config_static_selectorELNS0_4arch9wavefront6targetE0EEEvT1_.private_seg_size, 0
	.set _ZN7rocprim17ROCPRIM_400000_NS6detail17trampoline_kernelINS0_14default_configENS1_20scan_config_selectorIN3c107complexIfEEEEZZNS1_9scan_implILNS1_25lookback_scan_determinismE0ELb0ELb0ES3_PKS7_PS7_S7_ZZZN2at6native31launch_logcumsumexp_cuda_kernelERKNSE_10TensorBaseESI_lENKUlvE_clEvENKUlvE2_clEvEUlS7_S7_E_S7_EEDaPvRmT3_T4_T5_mT6_P12ihipStream_tbENKUlT_T0_E_clISt17integral_constantIbLb0EESZ_EEDaSU_SV_EUlSU_E0_NS1_11comp_targetILNS1_3genE3ELNS1_11target_archE908ELNS1_3gpuE7ELNS1_3repE0EEENS1_30default_config_static_selectorELNS0_4arch9wavefront6targetE0EEEvT1_.uses_vcc, 0
	.set _ZN7rocprim17ROCPRIM_400000_NS6detail17trampoline_kernelINS0_14default_configENS1_20scan_config_selectorIN3c107complexIfEEEEZZNS1_9scan_implILNS1_25lookback_scan_determinismE0ELb0ELb0ES3_PKS7_PS7_S7_ZZZN2at6native31launch_logcumsumexp_cuda_kernelERKNSE_10TensorBaseESI_lENKUlvE_clEvENKUlvE2_clEvEUlS7_S7_E_S7_EEDaPvRmT3_T4_T5_mT6_P12ihipStream_tbENKUlT_T0_E_clISt17integral_constantIbLb0EESZ_EEDaSU_SV_EUlSU_E0_NS1_11comp_targetILNS1_3genE3ELNS1_11target_archE908ELNS1_3gpuE7ELNS1_3repE0EEENS1_30default_config_static_selectorELNS0_4arch9wavefront6targetE0EEEvT1_.uses_flat_scratch, 0
	.set _ZN7rocprim17ROCPRIM_400000_NS6detail17trampoline_kernelINS0_14default_configENS1_20scan_config_selectorIN3c107complexIfEEEEZZNS1_9scan_implILNS1_25lookback_scan_determinismE0ELb0ELb0ES3_PKS7_PS7_S7_ZZZN2at6native31launch_logcumsumexp_cuda_kernelERKNSE_10TensorBaseESI_lENKUlvE_clEvENKUlvE2_clEvEUlS7_S7_E_S7_EEDaPvRmT3_T4_T5_mT6_P12ihipStream_tbENKUlT_T0_E_clISt17integral_constantIbLb0EESZ_EEDaSU_SV_EUlSU_E0_NS1_11comp_targetILNS1_3genE3ELNS1_11target_archE908ELNS1_3gpuE7ELNS1_3repE0EEENS1_30default_config_static_selectorELNS0_4arch9wavefront6targetE0EEEvT1_.has_dyn_sized_stack, 0
	.set _ZN7rocprim17ROCPRIM_400000_NS6detail17trampoline_kernelINS0_14default_configENS1_20scan_config_selectorIN3c107complexIfEEEEZZNS1_9scan_implILNS1_25lookback_scan_determinismE0ELb0ELb0ES3_PKS7_PS7_S7_ZZZN2at6native31launch_logcumsumexp_cuda_kernelERKNSE_10TensorBaseESI_lENKUlvE_clEvENKUlvE2_clEvEUlS7_S7_E_S7_EEDaPvRmT3_T4_T5_mT6_P12ihipStream_tbENKUlT_T0_E_clISt17integral_constantIbLb0EESZ_EEDaSU_SV_EUlSU_E0_NS1_11comp_targetILNS1_3genE3ELNS1_11target_archE908ELNS1_3gpuE7ELNS1_3repE0EEENS1_30default_config_static_selectorELNS0_4arch9wavefront6targetE0EEEvT1_.has_recursion, 0
	.set _ZN7rocprim17ROCPRIM_400000_NS6detail17trampoline_kernelINS0_14default_configENS1_20scan_config_selectorIN3c107complexIfEEEEZZNS1_9scan_implILNS1_25lookback_scan_determinismE0ELb0ELb0ES3_PKS7_PS7_S7_ZZZN2at6native31launch_logcumsumexp_cuda_kernelERKNSE_10TensorBaseESI_lENKUlvE_clEvENKUlvE2_clEvEUlS7_S7_E_S7_EEDaPvRmT3_T4_T5_mT6_P12ihipStream_tbENKUlT_T0_E_clISt17integral_constantIbLb0EESZ_EEDaSU_SV_EUlSU_E0_NS1_11comp_targetILNS1_3genE3ELNS1_11target_archE908ELNS1_3gpuE7ELNS1_3repE0EEENS1_30default_config_static_selectorELNS0_4arch9wavefront6targetE0EEEvT1_.has_indirect_call, 0
	.section	.AMDGPU.csdata,"",@progbits
; Kernel info:
; codeLenInByte = 0
; TotalNumSgprs: 0
; NumVgprs: 0
; ScratchSize: 0
; MemoryBound: 0
; FloatMode: 240
; IeeeMode: 1
; LDSByteSize: 0 bytes/workgroup (compile time only)
; SGPRBlocks: 0
; VGPRBlocks: 0
; NumSGPRsForWavesPerEU: 1
; NumVGPRsForWavesPerEU: 1
; Occupancy: 16
; WaveLimiterHint : 0
; COMPUTE_PGM_RSRC2:SCRATCH_EN: 0
; COMPUTE_PGM_RSRC2:USER_SGPR: 6
; COMPUTE_PGM_RSRC2:TRAP_HANDLER: 0
; COMPUTE_PGM_RSRC2:TGID_X_EN: 1
; COMPUTE_PGM_RSRC2:TGID_Y_EN: 0
; COMPUTE_PGM_RSRC2:TGID_Z_EN: 0
; COMPUTE_PGM_RSRC2:TIDIG_COMP_CNT: 0
	.section	.text._ZN7rocprim17ROCPRIM_400000_NS6detail17trampoline_kernelINS0_14default_configENS1_20scan_config_selectorIN3c107complexIfEEEEZZNS1_9scan_implILNS1_25lookback_scan_determinismE0ELb0ELb0ES3_PKS7_PS7_S7_ZZZN2at6native31launch_logcumsumexp_cuda_kernelERKNSE_10TensorBaseESI_lENKUlvE_clEvENKUlvE2_clEvEUlS7_S7_E_S7_EEDaPvRmT3_T4_T5_mT6_P12ihipStream_tbENKUlT_T0_E_clISt17integral_constantIbLb0EESZ_EEDaSU_SV_EUlSU_E0_NS1_11comp_targetILNS1_3genE2ELNS1_11target_archE906ELNS1_3gpuE6ELNS1_3repE0EEENS1_30default_config_static_selectorELNS0_4arch9wavefront6targetE0EEEvT1_,"axG",@progbits,_ZN7rocprim17ROCPRIM_400000_NS6detail17trampoline_kernelINS0_14default_configENS1_20scan_config_selectorIN3c107complexIfEEEEZZNS1_9scan_implILNS1_25lookback_scan_determinismE0ELb0ELb0ES3_PKS7_PS7_S7_ZZZN2at6native31launch_logcumsumexp_cuda_kernelERKNSE_10TensorBaseESI_lENKUlvE_clEvENKUlvE2_clEvEUlS7_S7_E_S7_EEDaPvRmT3_T4_T5_mT6_P12ihipStream_tbENKUlT_T0_E_clISt17integral_constantIbLb0EESZ_EEDaSU_SV_EUlSU_E0_NS1_11comp_targetILNS1_3genE2ELNS1_11target_archE906ELNS1_3gpuE6ELNS1_3repE0EEENS1_30default_config_static_selectorELNS0_4arch9wavefront6targetE0EEEvT1_,comdat
	.globl	_ZN7rocprim17ROCPRIM_400000_NS6detail17trampoline_kernelINS0_14default_configENS1_20scan_config_selectorIN3c107complexIfEEEEZZNS1_9scan_implILNS1_25lookback_scan_determinismE0ELb0ELb0ES3_PKS7_PS7_S7_ZZZN2at6native31launch_logcumsumexp_cuda_kernelERKNSE_10TensorBaseESI_lENKUlvE_clEvENKUlvE2_clEvEUlS7_S7_E_S7_EEDaPvRmT3_T4_T5_mT6_P12ihipStream_tbENKUlT_T0_E_clISt17integral_constantIbLb0EESZ_EEDaSU_SV_EUlSU_E0_NS1_11comp_targetILNS1_3genE2ELNS1_11target_archE906ELNS1_3gpuE6ELNS1_3repE0EEENS1_30default_config_static_selectorELNS0_4arch9wavefront6targetE0EEEvT1_ ; -- Begin function _ZN7rocprim17ROCPRIM_400000_NS6detail17trampoline_kernelINS0_14default_configENS1_20scan_config_selectorIN3c107complexIfEEEEZZNS1_9scan_implILNS1_25lookback_scan_determinismE0ELb0ELb0ES3_PKS7_PS7_S7_ZZZN2at6native31launch_logcumsumexp_cuda_kernelERKNSE_10TensorBaseESI_lENKUlvE_clEvENKUlvE2_clEvEUlS7_S7_E_S7_EEDaPvRmT3_T4_T5_mT6_P12ihipStream_tbENKUlT_T0_E_clISt17integral_constantIbLb0EESZ_EEDaSU_SV_EUlSU_E0_NS1_11comp_targetILNS1_3genE2ELNS1_11target_archE906ELNS1_3gpuE6ELNS1_3repE0EEENS1_30default_config_static_selectorELNS0_4arch9wavefront6targetE0EEEvT1_
	.p2align	8
	.type	_ZN7rocprim17ROCPRIM_400000_NS6detail17trampoline_kernelINS0_14default_configENS1_20scan_config_selectorIN3c107complexIfEEEEZZNS1_9scan_implILNS1_25lookback_scan_determinismE0ELb0ELb0ES3_PKS7_PS7_S7_ZZZN2at6native31launch_logcumsumexp_cuda_kernelERKNSE_10TensorBaseESI_lENKUlvE_clEvENKUlvE2_clEvEUlS7_S7_E_S7_EEDaPvRmT3_T4_T5_mT6_P12ihipStream_tbENKUlT_T0_E_clISt17integral_constantIbLb0EESZ_EEDaSU_SV_EUlSU_E0_NS1_11comp_targetILNS1_3genE2ELNS1_11target_archE906ELNS1_3gpuE6ELNS1_3repE0EEENS1_30default_config_static_selectorELNS0_4arch9wavefront6targetE0EEEvT1_,@function
_ZN7rocprim17ROCPRIM_400000_NS6detail17trampoline_kernelINS0_14default_configENS1_20scan_config_selectorIN3c107complexIfEEEEZZNS1_9scan_implILNS1_25lookback_scan_determinismE0ELb0ELb0ES3_PKS7_PS7_S7_ZZZN2at6native31launch_logcumsumexp_cuda_kernelERKNSE_10TensorBaseESI_lENKUlvE_clEvENKUlvE2_clEvEUlS7_S7_E_S7_EEDaPvRmT3_T4_T5_mT6_P12ihipStream_tbENKUlT_T0_E_clISt17integral_constantIbLb0EESZ_EEDaSU_SV_EUlSU_E0_NS1_11comp_targetILNS1_3genE2ELNS1_11target_archE906ELNS1_3gpuE6ELNS1_3repE0EEENS1_30default_config_static_selectorELNS0_4arch9wavefront6targetE0EEEvT1_: ; @_ZN7rocprim17ROCPRIM_400000_NS6detail17trampoline_kernelINS0_14default_configENS1_20scan_config_selectorIN3c107complexIfEEEEZZNS1_9scan_implILNS1_25lookback_scan_determinismE0ELb0ELb0ES3_PKS7_PS7_S7_ZZZN2at6native31launch_logcumsumexp_cuda_kernelERKNSE_10TensorBaseESI_lENKUlvE_clEvENKUlvE2_clEvEUlS7_S7_E_S7_EEDaPvRmT3_T4_T5_mT6_P12ihipStream_tbENKUlT_T0_E_clISt17integral_constantIbLb0EESZ_EEDaSU_SV_EUlSU_E0_NS1_11comp_targetILNS1_3genE2ELNS1_11target_archE906ELNS1_3gpuE6ELNS1_3repE0EEENS1_30default_config_static_selectorELNS0_4arch9wavefront6targetE0EEEvT1_
; %bb.0:
	.section	.rodata,"a",@progbits
	.p2align	6, 0x0
	.amdhsa_kernel _ZN7rocprim17ROCPRIM_400000_NS6detail17trampoline_kernelINS0_14default_configENS1_20scan_config_selectorIN3c107complexIfEEEEZZNS1_9scan_implILNS1_25lookback_scan_determinismE0ELb0ELb0ES3_PKS7_PS7_S7_ZZZN2at6native31launch_logcumsumexp_cuda_kernelERKNSE_10TensorBaseESI_lENKUlvE_clEvENKUlvE2_clEvEUlS7_S7_E_S7_EEDaPvRmT3_T4_T5_mT6_P12ihipStream_tbENKUlT_T0_E_clISt17integral_constantIbLb0EESZ_EEDaSU_SV_EUlSU_E0_NS1_11comp_targetILNS1_3genE2ELNS1_11target_archE906ELNS1_3gpuE6ELNS1_3repE0EEENS1_30default_config_static_selectorELNS0_4arch9wavefront6targetE0EEEvT1_
		.amdhsa_group_segment_fixed_size 0
		.amdhsa_private_segment_fixed_size 0
		.amdhsa_kernarg_size 40
		.amdhsa_user_sgpr_count 6
		.amdhsa_user_sgpr_private_segment_buffer 1
		.amdhsa_user_sgpr_dispatch_ptr 0
		.amdhsa_user_sgpr_queue_ptr 0
		.amdhsa_user_sgpr_kernarg_segment_ptr 1
		.amdhsa_user_sgpr_dispatch_id 0
		.amdhsa_user_sgpr_flat_scratch_init 0
		.amdhsa_user_sgpr_private_segment_size 0
		.amdhsa_wavefront_size32 1
		.amdhsa_uses_dynamic_stack 0
		.amdhsa_system_sgpr_private_segment_wavefront_offset 0
		.amdhsa_system_sgpr_workgroup_id_x 1
		.amdhsa_system_sgpr_workgroup_id_y 0
		.amdhsa_system_sgpr_workgroup_id_z 0
		.amdhsa_system_sgpr_workgroup_info 0
		.amdhsa_system_vgpr_workitem_id 0
		.amdhsa_next_free_vgpr 1
		.amdhsa_next_free_sgpr 1
		.amdhsa_reserve_vcc 0
		.amdhsa_reserve_flat_scratch 0
		.amdhsa_float_round_mode_32 0
		.amdhsa_float_round_mode_16_64 0
		.amdhsa_float_denorm_mode_32 3
		.amdhsa_float_denorm_mode_16_64 3
		.amdhsa_dx10_clamp 1
		.amdhsa_ieee_mode 1
		.amdhsa_fp16_overflow 0
		.amdhsa_workgroup_processor_mode 1
		.amdhsa_memory_ordered 1
		.amdhsa_forward_progress 1
		.amdhsa_shared_vgpr_count 0
		.amdhsa_exception_fp_ieee_invalid_op 0
		.amdhsa_exception_fp_denorm_src 0
		.amdhsa_exception_fp_ieee_div_zero 0
		.amdhsa_exception_fp_ieee_overflow 0
		.amdhsa_exception_fp_ieee_underflow 0
		.amdhsa_exception_fp_ieee_inexact 0
		.amdhsa_exception_int_div_zero 0
	.end_amdhsa_kernel
	.section	.text._ZN7rocprim17ROCPRIM_400000_NS6detail17trampoline_kernelINS0_14default_configENS1_20scan_config_selectorIN3c107complexIfEEEEZZNS1_9scan_implILNS1_25lookback_scan_determinismE0ELb0ELb0ES3_PKS7_PS7_S7_ZZZN2at6native31launch_logcumsumexp_cuda_kernelERKNSE_10TensorBaseESI_lENKUlvE_clEvENKUlvE2_clEvEUlS7_S7_E_S7_EEDaPvRmT3_T4_T5_mT6_P12ihipStream_tbENKUlT_T0_E_clISt17integral_constantIbLb0EESZ_EEDaSU_SV_EUlSU_E0_NS1_11comp_targetILNS1_3genE2ELNS1_11target_archE906ELNS1_3gpuE6ELNS1_3repE0EEENS1_30default_config_static_selectorELNS0_4arch9wavefront6targetE0EEEvT1_,"axG",@progbits,_ZN7rocprim17ROCPRIM_400000_NS6detail17trampoline_kernelINS0_14default_configENS1_20scan_config_selectorIN3c107complexIfEEEEZZNS1_9scan_implILNS1_25lookback_scan_determinismE0ELb0ELb0ES3_PKS7_PS7_S7_ZZZN2at6native31launch_logcumsumexp_cuda_kernelERKNSE_10TensorBaseESI_lENKUlvE_clEvENKUlvE2_clEvEUlS7_S7_E_S7_EEDaPvRmT3_T4_T5_mT6_P12ihipStream_tbENKUlT_T0_E_clISt17integral_constantIbLb0EESZ_EEDaSU_SV_EUlSU_E0_NS1_11comp_targetILNS1_3genE2ELNS1_11target_archE906ELNS1_3gpuE6ELNS1_3repE0EEENS1_30default_config_static_selectorELNS0_4arch9wavefront6targetE0EEEvT1_,comdat
.Lfunc_end285:
	.size	_ZN7rocprim17ROCPRIM_400000_NS6detail17trampoline_kernelINS0_14default_configENS1_20scan_config_selectorIN3c107complexIfEEEEZZNS1_9scan_implILNS1_25lookback_scan_determinismE0ELb0ELb0ES3_PKS7_PS7_S7_ZZZN2at6native31launch_logcumsumexp_cuda_kernelERKNSE_10TensorBaseESI_lENKUlvE_clEvENKUlvE2_clEvEUlS7_S7_E_S7_EEDaPvRmT3_T4_T5_mT6_P12ihipStream_tbENKUlT_T0_E_clISt17integral_constantIbLb0EESZ_EEDaSU_SV_EUlSU_E0_NS1_11comp_targetILNS1_3genE2ELNS1_11target_archE906ELNS1_3gpuE6ELNS1_3repE0EEENS1_30default_config_static_selectorELNS0_4arch9wavefront6targetE0EEEvT1_, .Lfunc_end285-_ZN7rocprim17ROCPRIM_400000_NS6detail17trampoline_kernelINS0_14default_configENS1_20scan_config_selectorIN3c107complexIfEEEEZZNS1_9scan_implILNS1_25lookback_scan_determinismE0ELb0ELb0ES3_PKS7_PS7_S7_ZZZN2at6native31launch_logcumsumexp_cuda_kernelERKNSE_10TensorBaseESI_lENKUlvE_clEvENKUlvE2_clEvEUlS7_S7_E_S7_EEDaPvRmT3_T4_T5_mT6_P12ihipStream_tbENKUlT_T0_E_clISt17integral_constantIbLb0EESZ_EEDaSU_SV_EUlSU_E0_NS1_11comp_targetILNS1_3genE2ELNS1_11target_archE906ELNS1_3gpuE6ELNS1_3repE0EEENS1_30default_config_static_selectorELNS0_4arch9wavefront6targetE0EEEvT1_
                                        ; -- End function
	.set _ZN7rocprim17ROCPRIM_400000_NS6detail17trampoline_kernelINS0_14default_configENS1_20scan_config_selectorIN3c107complexIfEEEEZZNS1_9scan_implILNS1_25lookback_scan_determinismE0ELb0ELb0ES3_PKS7_PS7_S7_ZZZN2at6native31launch_logcumsumexp_cuda_kernelERKNSE_10TensorBaseESI_lENKUlvE_clEvENKUlvE2_clEvEUlS7_S7_E_S7_EEDaPvRmT3_T4_T5_mT6_P12ihipStream_tbENKUlT_T0_E_clISt17integral_constantIbLb0EESZ_EEDaSU_SV_EUlSU_E0_NS1_11comp_targetILNS1_3genE2ELNS1_11target_archE906ELNS1_3gpuE6ELNS1_3repE0EEENS1_30default_config_static_selectorELNS0_4arch9wavefront6targetE0EEEvT1_.num_vgpr, 0
	.set _ZN7rocprim17ROCPRIM_400000_NS6detail17trampoline_kernelINS0_14default_configENS1_20scan_config_selectorIN3c107complexIfEEEEZZNS1_9scan_implILNS1_25lookback_scan_determinismE0ELb0ELb0ES3_PKS7_PS7_S7_ZZZN2at6native31launch_logcumsumexp_cuda_kernelERKNSE_10TensorBaseESI_lENKUlvE_clEvENKUlvE2_clEvEUlS7_S7_E_S7_EEDaPvRmT3_T4_T5_mT6_P12ihipStream_tbENKUlT_T0_E_clISt17integral_constantIbLb0EESZ_EEDaSU_SV_EUlSU_E0_NS1_11comp_targetILNS1_3genE2ELNS1_11target_archE906ELNS1_3gpuE6ELNS1_3repE0EEENS1_30default_config_static_selectorELNS0_4arch9wavefront6targetE0EEEvT1_.num_agpr, 0
	.set _ZN7rocprim17ROCPRIM_400000_NS6detail17trampoline_kernelINS0_14default_configENS1_20scan_config_selectorIN3c107complexIfEEEEZZNS1_9scan_implILNS1_25lookback_scan_determinismE0ELb0ELb0ES3_PKS7_PS7_S7_ZZZN2at6native31launch_logcumsumexp_cuda_kernelERKNSE_10TensorBaseESI_lENKUlvE_clEvENKUlvE2_clEvEUlS7_S7_E_S7_EEDaPvRmT3_T4_T5_mT6_P12ihipStream_tbENKUlT_T0_E_clISt17integral_constantIbLb0EESZ_EEDaSU_SV_EUlSU_E0_NS1_11comp_targetILNS1_3genE2ELNS1_11target_archE906ELNS1_3gpuE6ELNS1_3repE0EEENS1_30default_config_static_selectorELNS0_4arch9wavefront6targetE0EEEvT1_.numbered_sgpr, 0
	.set _ZN7rocprim17ROCPRIM_400000_NS6detail17trampoline_kernelINS0_14default_configENS1_20scan_config_selectorIN3c107complexIfEEEEZZNS1_9scan_implILNS1_25lookback_scan_determinismE0ELb0ELb0ES3_PKS7_PS7_S7_ZZZN2at6native31launch_logcumsumexp_cuda_kernelERKNSE_10TensorBaseESI_lENKUlvE_clEvENKUlvE2_clEvEUlS7_S7_E_S7_EEDaPvRmT3_T4_T5_mT6_P12ihipStream_tbENKUlT_T0_E_clISt17integral_constantIbLb0EESZ_EEDaSU_SV_EUlSU_E0_NS1_11comp_targetILNS1_3genE2ELNS1_11target_archE906ELNS1_3gpuE6ELNS1_3repE0EEENS1_30default_config_static_selectorELNS0_4arch9wavefront6targetE0EEEvT1_.num_named_barrier, 0
	.set _ZN7rocprim17ROCPRIM_400000_NS6detail17trampoline_kernelINS0_14default_configENS1_20scan_config_selectorIN3c107complexIfEEEEZZNS1_9scan_implILNS1_25lookback_scan_determinismE0ELb0ELb0ES3_PKS7_PS7_S7_ZZZN2at6native31launch_logcumsumexp_cuda_kernelERKNSE_10TensorBaseESI_lENKUlvE_clEvENKUlvE2_clEvEUlS7_S7_E_S7_EEDaPvRmT3_T4_T5_mT6_P12ihipStream_tbENKUlT_T0_E_clISt17integral_constantIbLb0EESZ_EEDaSU_SV_EUlSU_E0_NS1_11comp_targetILNS1_3genE2ELNS1_11target_archE906ELNS1_3gpuE6ELNS1_3repE0EEENS1_30default_config_static_selectorELNS0_4arch9wavefront6targetE0EEEvT1_.private_seg_size, 0
	.set _ZN7rocprim17ROCPRIM_400000_NS6detail17trampoline_kernelINS0_14default_configENS1_20scan_config_selectorIN3c107complexIfEEEEZZNS1_9scan_implILNS1_25lookback_scan_determinismE0ELb0ELb0ES3_PKS7_PS7_S7_ZZZN2at6native31launch_logcumsumexp_cuda_kernelERKNSE_10TensorBaseESI_lENKUlvE_clEvENKUlvE2_clEvEUlS7_S7_E_S7_EEDaPvRmT3_T4_T5_mT6_P12ihipStream_tbENKUlT_T0_E_clISt17integral_constantIbLb0EESZ_EEDaSU_SV_EUlSU_E0_NS1_11comp_targetILNS1_3genE2ELNS1_11target_archE906ELNS1_3gpuE6ELNS1_3repE0EEENS1_30default_config_static_selectorELNS0_4arch9wavefront6targetE0EEEvT1_.uses_vcc, 0
	.set _ZN7rocprim17ROCPRIM_400000_NS6detail17trampoline_kernelINS0_14default_configENS1_20scan_config_selectorIN3c107complexIfEEEEZZNS1_9scan_implILNS1_25lookback_scan_determinismE0ELb0ELb0ES3_PKS7_PS7_S7_ZZZN2at6native31launch_logcumsumexp_cuda_kernelERKNSE_10TensorBaseESI_lENKUlvE_clEvENKUlvE2_clEvEUlS7_S7_E_S7_EEDaPvRmT3_T4_T5_mT6_P12ihipStream_tbENKUlT_T0_E_clISt17integral_constantIbLb0EESZ_EEDaSU_SV_EUlSU_E0_NS1_11comp_targetILNS1_3genE2ELNS1_11target_archE906ELNS1_3gpuE6ELNS1_3repE0EEENS1_30default_config_static_selectorELNS0_4arch9wavefront6targetE0EEEvT1_.uses_flat_scratch, 0
	.set _ZN7rocprim17ROCPRIM_400000_NS6detail17trampoline_kernelINS0_14default_configENS1_20scan_config_selectorIN3c107complexIfEEEEZZNS1_9scan_implILNS1_25lookback_scan_determinismE0ELb0ELb0ES3_PKS7_PS7_S7_ZZZN2at6native31launch_logcumsumexp_cuda_kernelERKNSE_10TensorBaseESI_lENKUlvE_clEvENKUlvE2_clEvEUlS7_S7_E_S7_EEDaPvRmT3_T4_T5_mT6_P12ihipStream_tbENKUlT_T0_E_clISt17integral_constantIbLb0EESZ_EEDaSU_SV_EUlSU_E0_NS1_11comp_targetILNS1_3genE2ELNS1_11target_archE906ELNS1_3gpuE6ELNS1_3repE0EEENS1_30default_config_static_selectorELNS0_4arch9wavefront6targetE0EEEvT1_.has_dyn_sized_stack, 0
	.set _ZN7rocprim17ROCPRIM_400000_NS6detail17trampoline_kernelINS0_14default_configENS1_20scan_config_selectorIN3c107complexIfEEEEZZNS1_9scan_implILNS1_25lookback_scan_determinismE0ELb0ELb0ES3_PKS7_PS7_S7_ZZZN2at6native31launch_logcumsumexp_cuda_kernelERKNSE_10TensorBaseESI_lENKUlvE_clEvENKUlvE2_clEvEUlS7_S7_E_S7_EEDaPvRmT3_T4_T5_mT6_P12ihipStream_tbENKUlT_T0_E_clISt17integral_constantIbLb0EESZ_EEDaSU_SV_EUlSU_E0_NS1_11comp_targetILNS1_3genE2ELNS1_11target_archE906ELNS1_3gpuE6ELNS1_3repE0EEENS1_30default_config_static_selectorELNS0_4arch9wavefront6targetE0EEEvT1_.has_recursion, 0
	.set _ZN7rocprim17ROCPRIM_400000_NS6detail17trampoline_kernelINS0_14default_configENS1_20scan_config_selectorIN3c107complexIfEEEEZZNS1_9scan_implILNS1_25lookback_scan_determinismE0ELb0ELb0ES3_PKS7_PS7_S7_ZZZN2at6native31launch_logcumsumexp_cuda_kernelERKNSE_10TensorBaseESI_lENKUlvE_clEvENKUlvE2_clEvEUlS7_S7_E_S7_EEDaPvRmT3_T4_T5_mT6_P12ihipStream_tbENKUlT_T0_E_clISt17integral_constantIbLb0EESZ_EEDaSU_SV_EUlSU_E0_NS1_11comp_targetILNS1_3genE2ELNS1_11target_archE906ELNS1_3gpuE6ELNS1_3repE0EEENS1_30default_config_static_selectorELNS0_4arch9wavefront6targetE0EEEvT1_.has_indirect_call, 0
	.section	.AMDGPU.csdata,"",@progbits
; Kernel info:
; codeLenInByte = 0
; TotalNumSgprs: 0
; NumVgprs: 0
; ScratchSize: 0
; MemoryBound: 0
; FloatMode: 240
; IeeeMode: 1
; LDSByteSize: 0 bytes/workgroup (compile time only)
; SGPRBlocks: 0
; VGPRBlocks: 0
; NumSGPRsForWavesPerEU: 1
; NumVGPRsForWavesPerEU: 1
; Occupancy: 16
; WaveLimiterHint : 0
; COMPUTE_PGM_RSRC2:SCRATCH_EN: 0
; COMPUTE_PGM_RSRC2:USER_SGPR: 6
; COMPUTE_PGM_RSRC2:TRAP_HANDLER: 0
; COMPUTE_PGM_RSRC2:TGID_X_EN: 1
; COMPUTE_PGM_RSRC2:TGID_Y_EN: 0
; COMPUTE_PGM_RSRC2:TGID_Z_EN: 0
; COMPUTE_PGM_RSRC2:TIDIG_COMP_CNT: 0
	.section	.text._ZN7rocprim17ROCPRIM_400000_NS6detail17trampoline_kernelINS0_14default_configENS1_20scan_config_selectorIN3c107complexIfEEEEZZNS1_9scan_implILNS1_25lookback_scan_determinismE0ELb0ELb0ES3_PKS7_PS7_S7_ZZZN2at6native31launch_logcumsumexp_cuda_kernelERKNSE_10TensorBaseESI_lENKUlvE_clEvENKUlvE2_clEvEUlS7_S7_E_S7_EEDaPvRmT3_T4_T5_mT6_P12ihipStream_tbENKUlT_T0_E_clISt17integral_constantIbLb0EESZ_EEDaSU_SV_EUlSU_E0_NS1_11comp_targetILNS1_3genE10ELNS1_11target_archE1201ELNS1_3gpuE5ELNS1_3repE0EEENS1_30default_config_static_selectorELNS0_4arch9wavefront6targetE0EEEvT1_,"axG",@progbits,_ZN7rocprim17ROCPRIM_400000_NS6detail17trampoline_kernelINS0_14default_configENS1_20scan_config_selectorIN3c107complexIfEEEEZZNS1_9scan_implILNS1_25lookback_scan_determinismE0ELb0ELb0ES3_PKS7_PS7_S7_ZZZN2at6native31launch_logcumsumexp_cuda_kernelERKNSE_10TensorBaseESI_lENKUlvE_clEvENKUlvE2_clEvEUlS7_S7_E_S7_EEDaPvRmT3_T4_T5_mT6_P12ihipStream_tbENKUlT_T0_E_clISt17integral_constantIbLb0EESZ_EEDaSU_SV_EUlSU_E0_NS1_11comp_targetILNS1_3genE10ELNS1_11target_archE1201ELNS1_3gpuE5ELNS1_3repE0EEENS1_30default_config_static_selectorELNS0_4arch9wavefront6targetE0EEEvT1_,comdat
	.globl	_ZN7rocprim17ROCPRIM_400000_NS6detail17trampoline_kernelINS0_14default_configENS1_20scan_config_selectorIN3c107complexIfEEEEZZNS1_9scan_implILNS1_25lookback_scan_determinismE0ELb0ELb0ES3_PKS7_PS7_S7_ZZZN2at6native31launch_logcumsumexp_cuda_kernelERKNSE_10TensorBaseESI_lENKUlvE_clEvENKUlvE2_clEvEUlS7_S7_E_S7_EEDaPvRmT3_T4_T5_mT6_P12ihipStream_tbENKUlT_T0_E_clISt17integral_constantIbLb0EESZ_EEDaSU_SV_EUlSU_E0_NS1_11comp_targetILNS1_3genE10ELNS1_11target_archE1201ELNS1_3gpuE5ELNS1_3repE0EEENS1_30default_config_static_selectorELNS0_4arch9wavefront6targetE0EEEvT1_ ; -- Begin function _ZN7rocprim17ROCPRIM_400000_NS6detail17trampoline_kernelINS0_14default_configENS1_20scan_config_selectorIN3c107complexIfEEEEZZNS1_9scan_implILNS1_25lookback_scan_determinismE0ELb0ELb0ES3_PKS7_PS7_S7_ZZZN2at6native31launch_logcumsumexp_cuda_kernelERKNSE_10TensorBaseESI_lENKUlvE_clEvENKUlvE2_clEvEUlS7_S7_E_S7_EEDaPvRmT3_T4_T5_mT6_P12ihipStream_tbENKUlT_T0_E_clISt17integral_constantIbLb0EESZ_EEDaSU_SV_EUlSU_E0_NS1_11comp_targetILNS1_3genE10ELNS1_11target_archE1201ELNS1_3gpuE5ELNS1_3repE0EEENS1_30default_config_static_selectorELNS0_4arch9wavefront6targetE0EEEvT1_
	.p2align	8
	.type	_ZN7rocprim17ROCPRIM_400000_NS6detail17trampoline_kernelINS0_14default_configENS1_20scan_config_selectorIN3c107complexIfEEEEZZNS1_9scan_implILNS1_25lookback_scan_determinismE0ELb0ELb0ES3_PKS7_PS7_S7_ZZZN2at6native31launch_logcumsumexp_cuda_kernelERKNSE_10TensorBaseESI_lENKUlvE_clEvENKUlvE2_clEvEUlS7_S7_E_S7_EEDaPvRmT3_T4_T5_mT6_P12ihipStream_tbENKUlT_T0_E_clISt17integral_constantIbLb0EESZ_EEDaSU_SV_EUlSU_E0_NS1_11comp_targetILNS1_3genE10ELNS1_11target_archE1201ELNS1_3gpuE5ELNS1_3repE0EEENS1_30default_config_static_selectorELNS0_4arch9wavefront6targetE0EEEvT1_,@function
_ZN7rocprim17ROCPRIM_400000_NS6detail17trampoline_kernelINS0_14default_configENS1_20scan_config_selectorIN3c107complexIfEEEEZZNS1_9scan_implILNS1_25lookback_scan_determinismE0ELb0ELb0ES3_PKS7_PS7_S7_ZZZN2at6native31launch_logcumsumexp_cuda_kernelERKNSE_10TensorBaseESI_lENKUlvE_clEvENKUlvE2_clEvEUlS7_S7_E_S7_EEDaPvRmT3_T4_T5_mT6_P12ihipStream_tbENKUlT_T0_E_clISt17integral_constantIbLb0EESZ_EEDaSU_SV_EUlSU_E0_NS1_11comp_targetILNS1_3genE10ELNS1_11target_archE1201ELNS1_3gpuE5ELNS1_3repE0EEENS1_30default_config_static_selectorELNS0_4arch9wavefront6targetE0EEEvT1_: ; @_ZN7rocprim17ROCPRIM_400000_NS6detail17trampoline_kernelINS0_14default_configENS1_20scan_config_selectorIN3c107complexIfEEEEZZNS1_9scan_implILNS1_25lookback_scan_determinismE0ELb0ELb0ES3_PKS7_PS7_S7_ZZZN2at6native31launch_logcumsumexp_cuda_kernelERKNSE_10TensorBaseESI_lENKUlvE_clEvENKUlvE2_clEvEUlS7_S7_E_S7_EEDaPvRmT3_T4_T5_mT6_P12ihipStream_tbENKUlT_T0_E_clISt17integral_constantIbLb0EESZ_EEDaSU_SV_EUlSU_E0_NS1_11comp_targetILNS1_3genE10ELNS1_11target_archE1201ELNS1_3gpuE5ELNS1_3repE0EEENS1_30default_config_static_selectorELNS0_4arch9wavefront6targetE0EEEvT1_
; %bb.0:
	.section	.rodata,"a",@progbits
	.p2align	6, 0x0
	.amdhsa_kernel _ZN7rocprim17ROCPRIM_400000_NS6detail17trampoline_kernelINS0_14default_configENS1_20scan_config_selectorIN3c107complexIfEEEEZZNS1_9scan_implILNS1_25lookback_scan_determinismE0ELb0ELb0ES3_PKS7_PS7_S7_ZZZN2at6native31launch_logcumsumexp_cuda_kernelERKNSE_10TensorBaseESI_lENKUlvE_clEvENKUlvE2_clEvEUlS7_S7_E_S7_EEDaPvRmT3_T4_T5_mT6_P12ihipStream_tbENKUlT_T0_E_clISt17integral_constantIbLb0EESZ_EEDaSU_SV_EUlSU_E0_NS1_11comp_targetILNS1_3genE10ELNS1_11target_archE1201ELNS1_3gpuE5ELNS1_3repE0EEENS1_30default_config_static_selectorELNS0_4arch9wavefront6targetE0EEEvT1_
		.amdhsa_group_segment_fixed_size 0
		.amdhsa_private_segment_fixed_size 0
		.amdhsa_kernarg_size 40
		.amdhsa_user_sgpr_count 6
		.amdhsa_user_sgpr_private_segment_buffer 1
		.amdhsa_user_sgpr_dispatch_ptr 0
		.amdhsa_user_sgpr_queue_ptr 0
		.amdhsa_user_sgpr_kernarg_segment_ptr 1
		.amdhsa_user_sgpr_dispatch_id 0
		.amdhsa_user_sgpr_flat_scratch_init 0
		.amdhsa_user_sgpr_private_segment_size 0
		.amdhsa_wavefront_size32 1
		.amdhsa_uses_dynamic_stack 0
		.amdhsa_system_sgpr_private_segment_wavefront_offset 0
		.amdhsa_system_sgpr_workgroup_id_x 1
		.amdhsa_system_sgpr_workgroup_id_y 0
		.amdhsa_system_sgpr_workgroup_id_z 0
		.amdhsa_system_sgpr_workgroup_info 0
		.amdhsa_system_vgpr_workitem_id 0
		.amdhsa_next_free_vgpr 1
		.amdhsa_next_free_sgpr 1
		.amdhsa_reserve_vcc 0
		.amdhsa_reserve_flat_scratch 0
		.amdhsa_float_round_mode_32 0
		.amdhsa_float_round_mode_16_64 0
		.amdhsa_float_denorm_mode_32 3
		.amdhsa_float_denorm_mode_16_64 3
		.amdhsa_dx10_clamp 1
		.amdhsa_ieee_mode 1
		.amdhsa_fp16_overflow 0
		.amdhsa_workgroup_processor_mode 1
		.amdhsa_memory_ordered 1
		.amdhsa_forward_progress 1
		.amdhsa_shared_vgpr_count 0
		.amdhsa_exception_fp_ieee_invalid_op 0
		.amdhsa_exception_fp_denorm_src 0
		.amdhsa_exception_fp_ieee_div_zero 0
		.amdhsa_exception_fp_ieee_overflow 0
		.amdhsa_exception_fp_ieee_underflow 0
		.amdhsa_exception_fp_ieee_inexact 0
		.amdhsa_exception_int_div_zero 0
	.end_amdhsa_kernel
	.section	.text._ZN7rocprim17ROCPRIM_400000_NS6detail17trampoline_kernelINS0_14default_configENS1_20scan_config_selectorIN3c107complexIfEEEEZZNS1_9scan_implILNS1_25lookback_scan_determinismE0ELb0ELb0ES3_PKS7_PS7_S7_ZZZN2at6native31launch_logcumsumexp_cuda_kernelERKNSE_10TensorBaseESI_lENKUlvE_clEvENKUlvE2_clEvEUlS7_S7_E_S7_EEDaPvRmT3_T4_T5_mT6_P12ihipStream_tbENKUlT_T0_E_clISt17integral_constantIbLb0EESZ_EEDaSU_SV_EUlSU_E0_NS1_11comp_targetILNS1_3genE10ELNS1_11target_archE1201ELNS1_3gpuE5ELNS1_3repE0EEENS1_30default_config_static_selectorELNS0_4arch9wavefront6targetE0EEEvT1_,"axG",@progbits,_ZN7rocprim17ROCPRIM_400000_NS6detail17trampoline_kernelINS0_14default_configENS1_20scan_config_selectorIN3c107complexIfEEEEZZNS1_9scan_implILNS1_25lookback_scan_determinismE0ELb0ELb0ES3_PKS7_PS7_S7_ZZZN2at6native31launch_logcumsumexp_cuda_kernelERKNSE_10TensorBaseESI_lENKUlvE_clEvENKUlvE2_clEvEUlS7_S7_E_S7_EEDaPvRmT3_T4_T5_mT6_P12ihipStream_tbENKUlT_T0_E_clISt17integral_constantIbLb0EESZ_EEDaSU_SV_EUlSU_E0_NS1_11comp_targetILNS1_3genE10ELNS1_11target_archE1201ELNS1_3gpuE5ELNS1_3repE0EEENS1_30default_config_static_selectorELNS0_4arch9wavefront6targetE0EEEvT1_,comdat
.Lfunc_end286:
	.size	_ZN7rocprim17ROCPRIM_400000_NS6detail17trampoline_kernelINS0_14default_configENS1_20scan_config_selectorIN3c107complexIfEEEEZZNS1_9scan_implILNS1_25lookback_scan_determinismE0ELb0ELb0ES3_PKS7_PS7_S7_ZZZN2at6native31launch_logcumsumexp_cuda_kernelERKNSE_10TensorBaseESI_lENKUlvE_clEvENKUlvE2_clEvEUlS7_S7_E_S7_EEDaPvRmT3_T4_T5_mT6_P12ihipStream_tbENKUlT_T0_E_clISt17integral_constantIbLb0EESZ_EEDaSU_SV_EUlSU_E0_NS1_11comp_targetILNS1_3genE10ELNS1_11target_archE1201ELNS1_3gpuE5ELNS1_3repE0EEENS1_30default_config_static_selectorELNS0_4arch9wavefront6targetE0EEEvT1_, .Lfunc_end286-_ZN7rocprim17ROCPRIM_400000_NS6detail17trampoline_kernelINS0_14default_configENS1_20scan_config_selectorIN3c107complexIfEEEEZZNS1_9scan_implILNS1_25lookback_scan_determinismE0ELb0ELb0ES3_PKS7_PS7_S7_ZZZN2at6native31launch_logcumsumexp_cuda_kernelERKNSE_10TensorBaseESI_lENKUlvE_clEvENKUlvE2_clEvEUlS7_S7_E_S7_EEDaPvRmT3_T4_T5_mT6_P12ihipStream_tbENKUlT_T0_E_clISt17integral_constantIbLb0EESZ_EEDaSU_SV_EUlSU_E0_NS1_11comp_targetILNS1_3genE10ELNS1_11target_archE1201ELNS1_3gpuE5ELNS1_3repE0EEENS1_30default_config_static_selectorELNS0_4arch9wavefront6targetE0EEEvT1_
                                        ; -- End function
	.set _ZN7rocprim17ROCPRIM_400000_NS6detail17trampoline_kernelINS0_14default_configENS1_20scan_config_selectorIN3c107complexIfEEEEZZNS1_9scan_implILNS1_25lookback_scan_determinismE0ELb0ELb0ES3_PKS7_PS7_S7_ZZZN2at6native31launch_logcumsumexp_cuda_kernelERKNSE_10TensorBaseESI_lENKUlvE_clEvENKUlvE2_clEvEUlS7_S7_E_S7_EEDaPvRmT3_T4_T5_mT6_P12ihipStream_tbENKUlT_T0_E_clISt17integral_constantIbLb0EESZ_EEDaSU_SV_EUlSU_E0_NS1_11comp_targetILNS1_3genE10ELNS1_11target_archE1201ELNS1_3gpuE5ELNS1_3repE0EEENS1_30default_config_static_selectorELNS0_4arch9wavefront6targetE0EEEvT1_.num_vgpr, 0
	.set _ZN7rocprim17ROCPRIM_400000_NS6detail17trampoline_kernelINS0_14default_configENS1_20scan_config_selectorIN3c107complexIfEEEEZZNS1_9scan_implILNS1_25lookback_scan_determinismE0ELb0ELb0ES3_PKS7_PS7_S7_ZZZN2at6native31launch_logcumsumexp_cuda_kernelERKNSE_10TensorBaseESI_lENKUlvE_clEvENKUlvE2_clEvEUlS7_S7_E_S7_EEDaPvRmT3_T4_T5_mT6_P12ihipStream_tbENKUlT_T0_E_clISt17integral_constantIbLb0EESZ_EEDaSU_SV_EUlSU_E0_NS1_11comp_targetILNS1_3genE10ELNS1_11target_archE1201ELNS1_3gpuE5ELNS1_3repE0EEENS1_30default_config_static_selectorELNS0_4arch9wavefront6targetE0EEEvT1_.num_agpr, 0
	.set _ZN7rocprim17ROCPRIM_400000_NS6detail17trampoline_kernelINS0_14default_configENS1_20scan_config_selectorIN3c107complexIfEEEEZZNS1_9scan_implILNS1_25lookback_scan_determinismE0ELb0ELb0ES3_PKS7_PS7_S7_ZZZN2at6native31launch_logcumsumexp_cuda_kernelERKNSE_10TensorBaseESI_lENKUlvE_clEvENKUlvE2_clEvEUlS7_S7_E_S7_EEDaPvRmT3_T4_T5_mT6_P12ihipStream_tbENKUlT_T0_E_clISt17integral_constantIbLb0EESZ_EEDaSU_SV_EUlSU_E0_NS1_11comp_targetILNS1_3genE10ELNS1_11target_archE1201ELNS1_3gpuE5ELNS1_3repE0EEENS1_30default_config_static_selectorELNS0_4arch9wavefront6targetE0EEEvT1_.numbered_sgpr, 0
	.set _ZN7rocprim17ROCPRIM_400000_NS6detail17trampoline_kernelINS0_14default_configENS1_20scan_config_selectorIN3c107complexIfEEEEZZNS1_9scan_implILNS1_25lookback_scan_determinismE0ELb0ELb0ES3_PKS7_PS7_S7_ZZZN2at6native31launch_logcumsumexp_cuda_kernelERKNSE_10TensorBaseESI_lENKUlvE_clEvENKUlvE2_clEvEUlS7_S7_E_S7_EEDaPvRmT3_T4_T5_mT6_P12ihipStream_tbENKUlT_T0_E_clISt17integral_constantIbLb0EESZ_EEDaSU_SV_EUlSU_E0_NS1_11comp_targetILNS1_3genE10ELNS1_11target_archE1201ELNS1_3gpuE5ELNS1_3repE0EEENS1_30default_config_static_selectorELNS0_4arch9wavefront6targetE0EEEvT1_.num_named_barrier, 0
	.set _ZN7rocprim17ROCPRIM_400000_NS6detail17trampoline_kernelINS0_14default_configENS1_20scan_config_selectorIN3c107complexIfEEEEZZNS1_9scan_implILNS1_25lookback_scan_determinismE0ELb0ELb0ES3_PKS7_PS7_S7_ZZZN2at6native31launch_logcumsumexp_cuda_kernelERKNSE_10TensorBaseESI_lENKUlvE_clEvENKUlvE2_clEvEUlS7_S7_E_S7_EEDaPvRmT3_T4_T5_mT6_P12ihipStream_tbENKUlT_T0_E_clISt17integral_constantIbLb0EESZ_EEDaSU_SV_EUlSU_E0_NS1_11comp_targetILNS1_3genE10ELNS1_11target_archE1201ELNS1_3gpuE5ELNS1_3repE0EEENS1_30default_config_static_selectorELNS0_4arch9wavefront6targetE0EEEvT1_.private_seg_size, 0
	.set _ZN7rocprim17ROCPRIM_400000_NS6detail17trampoline_kernelINS0_14default_configENS1_20scan_config_selectorIN3c107complexIfEEEEZZNS1_9scan_implILNS1_25lookback_scan_determinismE0ELb0ELb0ES3_PKS7_PS7_S7_ZZZN2at6native31launch_logcumsumexp_cuda_kernelERKNSE_10TensorBaseESI_lENKUlvE_clEvENKUlvE2_clEvEUlS7_S7_E_S7_EEDaPvRmT3_T4_T5_mT6_P12ihipStream_tbENKUlT_T0_E_clISt17integral_constantIbLb0EESZ_EEDaSU_SV_EUlSU_E0_NS1_11comp_targetILNS1_3genE10ELNS1_11target_archE1201ELNS1_3gpuE5ELNS1_3repE0EEENS1_30default_config_static_selectorELNS0_4arch9wavefront6targetE0EEEvT1_.uses_vcc, 0
	.set _ZN7rocprim17ROCPRIM_400000_NS6detail17trampoline_kernelINS0_14default_configENS1_20scan_config_selectorIN3c107complexIfEEEEZZNS1_9scan_implILNS1_25lookback_scan_determinismE0ELb0ELb0ES3_PKS7_PS7_S7_ZZZN2at6native31launch_logcumsumexp_cuda_kernelERKNSE_10TensorBaseESI_lENKUlvE_clEvENKUlvE2_clEvEUlS7_S7_E_S7_EEDaPvRmT3_T4_T5_mT6_P12ihipStream_tbENKUlT_T0_E_clISt17integral_constantIbLb0EESZ_EEDaSU_SV_EUlSU_E0_NS1_11comp_targetILNS1_3genE10ELNS1_11target_archE1201ELNS1_3gpuE5ELNS1_3repE0EEENS1_30default_config_static_selectorELNS0_4arch9wavefront6targetE0EEEvT1_.uses_flat_scratch, 0
	.set _ZN7rocprim17ROCPRIM_400000_NS6detail17trampoline_kernelINS0_14default_configENS1_20scan_config_selectorIN3c107complexIfEEEEZZNS1_9scan_implILNS1_25lookback_scan_determinismE0ELb0ELb0ES3_PKS7_PS7_S7_ZZZN2at6native31launch_logcumsumexp_cuda_kernelERKNSE_10TensorBaseESI_lENKUlvE_clEvENKUlvE2_clEvEUlS7_S7_E_S7_EEDaPvRmT3_T4_T5_mT6_P12ihipStream_tbENKUlT_T0_E_clISt17integral_constantIbLb0EESZ_EEDaSU_SV_EUlSU_E0_NS1_11comp_targetILNS1_3genE10ELNS1_11target_archE1201ELNS1_3gpuE5ELNS1_3repE0EEENS1_30default_config_static_selectorELNS0_4arch9wavefront6targetE0EEEvT1_.has_dyn_sized_stack, 0
	.set _ZN7rocprim17ROCPRIM_400000_NS6detail17trampoline_kernelINS0_14default_configENS1_20scan_config_selectorIN3c107complexIfEEEEZZNS1_9scan_implILNS1_25lookback_scan_determinismE0ELb0ELb0ES3_PKS7_PS7_S7_ZZZN2at6native31launch_logcumsumexp_cuda_kernelERKNSE_10TensorBaseESI_lENKUlvE_clEvENKUlvE2_clEvEUlS7_S7_E_S7_EEDaPvRmT3_T4_T5_mT6_P12ihipStream_tbENKUlT_T0_E_clISt17integral_constantIbLb0EESZ_EEDaSU_SV_EUlSU_E0_NS1_11comp_targetILNS1_3genE10ELNS1_11target_archE1201ELNS1_3gpuE5ELNS1_3repE0EEENS1_30default_config_static_selectorELNS0_4arch9wavefront6targetE0EEEvT1_.has_recursion, 0
	.set _ZN7rocprim17ROCPRIM_400000_NS6detail17trampoline_kernelINS0_14default_configENS1_20scan_config_selectorIN3c107complexIfEEEEZZNS1_9scan_implILNS1_25lookback_scan_determinismE0ELb0ELb0ES3_PKS7_PS7_S7_ZZZN2at6native31launch_logcumsumexp_cuda_kernelERKNSE_10TensorBaseESI_lENKUlvE_clEvENKUlvE2_clEvEUlS7_S7_E_S7_EEDaPvRmT3_T4_T5_mT6_P12ihipStream_tbENKUlT_T0_E_clISt17integral_constantIbLb0EESZ_EEDaSU_SV_EUlSU_E0_NS1_11comp_targetILNS1_3genE10ELNS1_11target_archE1201ELNS1_3gpuE5ELNS1_3repE0EEENS1_30default_config_static_selectorELNS0_4arch9wavefront6targetE0EEEvT1_.has_indirect_call, 0
	.section	.AMDGPU.csdata,"",@progbits
; Kernel info:
; codeLenInByte = 0
; TotalNumSgprs: 0
; NumVgprs: 0
; ScratchSize: 0
; MemoryBound: 0
; FloatMode: 240
; IeeeMode: 1
; LDSByteSize: 0 bytes/workgroup (compile time only)
; SGPRBlocks: 0
; VGPRBlocks: 0
; NumSGPRsForWavesPerEU: 1
; NumVGPRsForWavesPerEU: 1
; Occupancy: 16
; WaveLimiterHint : 0
; COMPUTE_PGM_RSRC2:SCRATCH_EN: 0
; COMPUTE_PGM_RSRC2:USER_SGPR: 6
; COMPUTE_PGM_RSRC2:TRAP_HANDLER: 0
; COMPUTE_PGM_RSRC2:TGID_X_EN: 1
; COMPUTE_PGM_RSRC2:TGID_Y_EN: 0
; COMPUTE_PGM_RSRC2:TGID_Z_EN: 0
; COMPUTE_PGM_RSRC2:TIDIG_COMP_CNT: 0
	.section	.text._ZN7rocprim17ROCPRIM_400000_NS6detail17trampoline_kernelINS0_14default_configENS1_20scan_config_selectorIN3c107complexIfEEEEZZNS1_9scan_implILNS1_25lookback_scan_determinismE0ELb0ELb0ES3_PKS7_PS7_S7_ZZZN2at6native31launch_logcumsumexp_cuda_kernelERKNSE_10TensorBaseESI_lENKUlvE_clEvENKUlvE2_clEvEUlS7_S7_E_S7_EEDaPvRmT3_T4_T5_mT6_P12ihipStream_tbENKUlT_T0_E_clISt17integral_constantIbLb0EESZ_EEDaSU_SV_EUlSU_E0_NS1_11comp_targetILNS1_3genE10ELNS1_11target_archE1200ELNS1_3gpuE4ELNS1_3repE0EEENS1_30default_config_static_selectorELNS0_4arch9wavefront6targetE0EEEvT1_,"axG",@progbits,_ZN7rocprim17ROCPRIM_400000_NS6detail17trampoline_kernelINS0_14default_configENS1_20scan_config_selectorIN3c107complexIfEEEEZZNS1_9scan_implILNS1_25lookback_scan_determinismE0ELb0ELb0ES3_PKS7_PS7_S7_ZZZN2at6native31launch_logcumsumexp_cuda_kernelERKNSE_10TensorBaseESI_lENKUlvE_clEvENKUlvE2_clEvEUlS7_S7_E_S7_EEDaPvRmT3_T4_T5_mT6_P12ihipStream_tbENKUlT_T0_E_clISt17integral_constantIbLb0EESZ_EEDaSU_SV_EUlSU_E0_NS1_11comp_targetILNS1_3genE10ELNS1_11target_archE1200ELNS1_3gpuE4ELNS1_3repE0EEENS1_30default_config_static_selectorELNS0_4arch9wavefront6targetE0EEEvT1_,comdat
	.globl	_ZN7rocprim17ROCPRIM_400000_NS6detail17trampoline_kernelINS0_14default_configENS1_20scan_config_selectorIN3c107complexIfEEEEZZNS1_9scan_implILNS1_25lookback_scan_determinismE0ELb0ELb0ES3_PKS7_PS7_S7_ZZZN2at6native31launch_logcumsumexp_cuda_kernelERKNSE_10TensorBaseESI_lENKUlvE_clEvENKUlvE2_clEvEUlS7_S7_E_S7_EEDaPvRmT3_T4_T5_mT6_P12ihipStream_tbENKUlT_T0_E_clISt17integral_constantIbLb0EESZ_EEDaSU_SV_EUlSU_E0_NS1_11comp_targetILNS1_3genE10ELNS1_11target_archE1200ELNS1_3gpuE4ELNS1_3repE0EEENS1_30default_config_static_selectorELNS0_4arch9wavefront6targetE0EEEvT1_ ; -- Begin function _ZN7rocprim17ROCPRIM_400000_NS6detail17trampoline_kernelINS0_14default_configENS1_20scan_config_selectorIN3c107complexIfEEEEZZNS1_9scan_implILNS1_25lookback_scan_determinismE0ELb0ELb0ES3_PKS7_PS7_S7_ZZZN2at6native31launch_logcumsumexp_cuda_kernelERKNSE_10TensorBaseESI_lENKUlvE_clEvENKUlvE2_clEvEUlS7_S7_E_S7_EEDaPvRmT3_T4_T5_mT6_P12ihipStream_tbENKUlT_T0_E_clISt17integral_constantIbLb0EESZ_EEDaSU_SV_EUlSU_E0_NS1_11comp_targetILNS1_3genE10ELNS1_11target_archE1200ELNS1_3gpuE4ELNS1_3repE0EEENS1_30default_config_static_selectorELNS0_4arch9wavefront6targetE0EEEvT1_
	.p2align	8
	.type	_ZN7rocprim17ROCPRIM_400000_NS6detail17trampoline_kernelINS0_14default_configENS1_20scan_config_selectorIN3c107complexIfEEEEZZNS1_9scan_implILNS1_25lookback_scan_determinismE0ELb0ELb0ES3_PKS7_PS7_S7_ZZZN2at6native31launch_logcumsumexp_cuda_kernelERKNSE_10TensorBaseESI_lENKUlvE_clEvENKUlvE2_clEvEUlS7_S7_E_S7_EEDaPvRmT3_T4_T5_mT6_P12ihipStream_tbENKUlT_T0_E_clISt17integral_constantIbLb0EESZ_EEDaSU_SV_EUlSU_E0_NS1_11comp_targetILNS1_3genE10ELNS1_11target_archE1200ELNS1_3gpuE4ELNS1_3repE0EEENS1_30default_config_static_selectorELNS0_4arch9wavefront6targetE0EEEvT1_,@function
_ZN7rocprim17ROCPRIM_400000_NS6detail17trampoline_kernelINS0_14default_configENS1_20scan_config_selectorIN3c107complexIfEEEEZZNS1_9scan_implILNS1_25lookback_scan_determinismE0ELb0ELb0ES3_PKS7_PS7_S7_ZZZN2at6native31launch_logcumsumexp_cuda_kernelERKNSE_10TensorBaseESI_lENKUlvE_clEvENKUlvE2_clEvEUlS7_S7_E_S7_EEDaPvRmT3_T4_T5_mT6_P12ihipStream_tbENKUlT_T0_E_clISt17integral_constantIbLb0EESZ_EEDaSU_SV_EUlSU_E0_NS1_11comp_targetILNS1_3genE10ELNS1_11target_archE1200ELNS1_3gpuE4ELNS1_3repE0EEENS1_30default_config_static_selectorELNS0_4arch9wavefront6targetE0EEEvT1_: ; @_ZN7rocprim17ROCPRIM_400000_NS6detail17trampoline_kernelINS0_14default_configENS1_20scan_config_selectorIN3c107complexIfEEEEZZNS1_9scan_implILNS1_25lookback_scan_determinismE0ELb0ELb0ES3_PKS7_PS7_S7_ZZZN2at6native31launch_logcumsumexp_cuda_kernelERKNSE_10TensorBaseESI_lENKUlvE_clEvENKUlvE2_clEvEUlS7_S7_E_S7_EEDaPvRmT3_T4_T5_mT6_P12ihipStream_tbENKUlT_T0_E_clISt17integral_constantIbLb0EESZ_EEDaSU_SV_EUlSU_E0_NS1_11comp_targetILNS1_3genE10ELNS1_11target_archE1200ELNS1_3gpuE4ELNS1_3repE0EEENS1_30default_config_static_selectorELNS0_4arch9wavefront6targetE0EEEvT1_
; %bb.0:
	.section	.rodata,"a",@progbits
	.p2align	6, 0x0
	.amdhsa_kernel _ZN7rocprim17ROCPRIM_400000_NS6detail17trampoline_kernelINS0_14default_configENS1_20scan_config_selectorIN3c107complexIfEEEEZZNS1_9scan_implILNS1_25lookback_scan_determinismE0ELb0ELb0ES3_PKS7_PS7_S7_ZZZN2at6native31launch_logcumsumexp_cuda_kernelERKNSE_10TensorBaseESI_lENKUlvE_clEvENKUlvE2_clEvEUlS7_S7_E_S7_EEDaPvRmT3_T4_T5_mT6_P12ihipStream_tbENKUlT_T0_E_clISt17integral_constantIbLb0EESZ_EEDaSU_SV_EUlSU_E0_NS1_11comp_targetILNS1_3genE10ELNS1_11target_archE1200ELNS1_3gpuE4ELNS1_3repE0EEENS1_30default_config_static_selectorELNS0_4arch9wavefront6targetE0EEEvT1_
		.amdhsa_group_segment_fixed_size 0
		.amdhsa_private_segment_fixed_size 0
		.amdhsa_kernarg_size 40
		.amdhsa_user_sgpr_count 6
		.amdhsa_user_sgpr_private_segment_buffer 1
		.amdhsa_user_sgpr_dispatch_ptr 0
		.amdhsa_user_sgpr_queue_ptr 0
		.amdhsa_user_sgpr_kernarg_segment_ptr 1
		.amdhsa_user_sgpr_dispatch_id 0
		.amdhsa_user_sgpr_flat_scratch_init 0
		.amdhsa_user_sgpr_private_segment_size 0
		.amdhsa_wavefront_size32 1
		.amdhsa_uses_dynamic_stack 0
		.amdhsa_system_sgpr_private_segment_wavefront_offset 0
		.amdhsa_system_sgpr_workgroup_id_x 1
		.amdhsa_system_sgpr_workgroup_id_y 0
		.amdhsa_system_sgpr_workgroup_id_z 0
		.amdhsa_system_sgpr_workgroup_info 0
		.amdhsa_system_vgpr_workitem_id 0
		.amdhsa_next_free_vgpr 1
		.amdhsa_next_free_sgpr 1
		.amdhsa_reserve_vcc 0
		.amdhsa_reserve_flat_scratch 0
		.amdhsa_float_round_mode_32 0
		.amdhsa_float_round_mode_16_64 0
		.amdhsa_float_denorm_mode_32 3
		.amdhsa_float_denorm_mode_16_64 3
		.amdhsa_dx10_clamp 1
		.amdhsa_ieee_mode 1
		.amdhsa_fp16_overflow 0
		.amdhsa_workgroup_processor_mode 1
		.amdhsa_memory_ordered 1
		.amdhsa_forward_progress 1
		.amdhsa_shared_vgpr_count 0
		.amdhsa_exception_fp_ieee_invalid_op 0
		.amdhsa_exception_fp_denorm_src 0
		.amdhsa_exception_fp_ieee_div_zero 0
		.amdhsa_exception_fp_ieee_overflow 0
		.amdhsa_exception_fp_ieee_underflow 0
		.amdhsa_exception_fp_ieee_inexact 0
		.amdhsa_exception_int_div_zero 0
	.end_amdhsa_kernel
	.section	.text._ZN7rocprim17ROCPRIM_400000_NS6detail17trampoline_kernelINS0_14default_configENS1_20scan_config_selectorIN3c107complexIfEEEEZZNS1_9scan_implILNS1_25lookback_scan_determinismE0ELb0ELb0ES3_PKS7_PS7_S7_ZZZN2at6native31launch_logcumsumexp_cuda_kernelERKNSE_10TensorBaseESI_lENKUlvE_clEvENKUlvE2_clEvEUlS7_S7_E_S7_EEDaPvRmT3_T4_T5_mT6_P12ihipStream_tbENKUlT_T0_E_clISt17integral_constantIbLb0EESZ_EEDaSU_SV_EUlSU_E0_NS1_11comp_targetILNS1_3genE10ELNS1_11target_archE1200ELNS1_3gpuE4ELNS1_3repE0EEENS1_30default_config_static_selectorELNS0_4arch9wavefront6targetE0EEEvT1_,"axG",@progbits,_ZN7rocprim17ROCPRIM_400000_NS6detail17trampoline_kernelINS0_14default_configENS1_20scan_config_selectorIN3c107complexIfEEEEZZNS1_9scan_implILNS1_25lookback_scan_determinismE0ELb0ELb0ES3_PKS7_PS7_S7_ZZZN2at6native31launch_logcumsumexp_cuda_kernelERKNSE_10TensorBaseESI_lENKUlvE_clEvENKUlvE2_clEvEUlS7_S7_E_S7_EEDaPvRmT3_T4_T5_mT6_P12ihipStream_tbENKUlT_T0_E_clISt17integral_constantIbLb0EESZ_EEDaSU_SV_EUlSU_E0_NS1_11comp_targetILNS1_3genE10ELNS1_11target_archE1200ELNS1_3gpuE4ELNS1_3repE0EEENS1_30default_config_static_selectorELNS0_4arch9wavefront6targetE0EEEvT1_,comdat
.Lfunc_end287:
	.size	_ZN7rocprim17ROCPRIM_400000_NS6detail17trampoline_kernelINS0_14default_configENS1_20scan_config_selectorIN3c107complexIfEEEEZZNS1_9scan_implILNS1_25lookback_scan_determinismE0ELb0ELb0ES3_PKS7_PS7_S7_ZZZN2at6native31launch_logcumsumexp_cuda_kernelERKNSE_10TensorBaseESI_lENKUlvE_clEvENKUlvE2_clEvEUlS7_S7_E_S7_EEDaPvRmT3_T4_T5_mT6_P12ihipStream_tbENKUlT_T0_E_clISt17integral_constantIbLb0EESZ_EEDaSU_SV_EUlSU_E0_NS1_11comp_targetILNS1_3genE10ELNS1_11target_archE1200ELNS1_3gpuE4ELNS1_3repE0EEENS1_30default_config_static_selectorELNS0_4arch9wavefront6targetE0EEEvT1_, .Lfunc_end287-_ZN7rocprim17ROCPRIM_400000_NS6detail17trampoline_kernelINS0_14default_configENS1_20scan_config_selectorIN3c107complexIfEEEEZZNS1_9scan_implILNS1_25lookback_scan_determinismE0ELb0ELb0ES3_PKS7_PS7_S7_ZZZN2at6native31launch_logcumsumexp_cuda_kernelERKNSE_10TensorBaseESI_lENKUlvE_clEvENKUlvE2_clEvEUlS7_S7_E_S7_EEDaPvRmT3_T4_T5_mT6_P12ihipStream_tbENKUlT_T0_E_clISt17integral_constantIbLb0EESZ_EEDaSU_SV_EUlSU_E0_NS1_11comp_targetILNS1_3genE10ELNS1_11target_archE1200ELNS1_3gpuE4ELNS1_3repE0EEENS1_30default_config_static_selectorELNS0_4arch9wavefront6targetE0EEEvT1_
                                        ; -- End function
	.set _ZN7rocprim17ROCPRIM_400000_NS6detail17trampoline_kernelINS0_14default_configENS1_20scan_config_selectorIN3c107complexIfEEEEZZNS1_9scan_implILNS1_25lookback_scan_determinismE0ELb0ELb0ES3_PKS7_PS7_S7_ZZZN2at6native31launch_logcumsumexp_cuda_kernelERKNSE_10TensorBaseESI_lENKUlvE_clEvENKUlvE2_clEvEUlS7_S7_E_S7_EEDaPvRmT3_T4_T5_mT6_P12ihipStream_tbENKUlT_T0_E_clISt17integral_constantIbLb0EESZ_EEDaSU_SV_EUlSU_E0_NS1_11comp_targetILNS1_3genE10ELNS1_11target_archE1200ELNS1_3gpuE4ELNS1_3repE0EEENS1_30default_config_static_selectorELNS0_4arch9wavefront6targetE0EEEvT1_.num_vgpr, 0
	.set _ZN7rocprim17ROCPRIM_400000_NS6detail17trampoline_kernelINS0_14default_configENS1_20scan_config_selectorIN3c107complexIfEEEEZZNS1_9scan_implILNS1_25lookback_scan_determinismE0ELb0ELb0ES3_PKS7_PS7_S7_ZZZN2at6native31launch_logcumsumexp_cuda_kernelERKNSE_10TensorBaseESI_lENKUlvE_clEvENKUlvE2_clEvEUlS7_S7_E_S7_EEDaPvRmT3_T4_T5_mT6_P12ihipStream_tbENKUlT_T0_E_clISt17integral_constantIbLb0EESZ_EEDaSU_SV_EUlSU_E0_NS1_11comp_targetILNS1_3genE10ELNS1_11target_archE1200ELNS1_3gpuE4ELNS1_3repE0EEENS1_30default_config_static_selectorELNS0_4arch9wavefront6targetE0EEEvT1_.num_agpr, 0
	.set _ZN7rocprim17ROCPRIM_400000_NS6detail17trampoline_kernelINS0_14default_configENS1_20scan_config_selectorIN3c107complexIfEEEEZZNS1_9scan_implILNS1_25lookback_scan_determinismE0ELb0ELb0ES3_PKS7_PS7_S7_ZZZN2at6native31launch_logcumsumexp_cuda_kernelERKNSE_10TensorBaseESI_lENKUlvE_clEvENKUlvE2_clEvEUlS7_S7_E_S7_EEDaPvRmT3_T4_T5_mT6_P12ihipStream_tbENKUlT_T0_E_clISt17integral_constantIbLb0EESZ_EEDaSU_SV_EUlSU_E0_NS1_11comp_targetILNS1_3genE10ELNS1_11target_archE1200ELNS1_3gpuE4ELNS1_3repE0EEENS1_30default_config_static_selectorELNS0_4arch9wavefront6targetE0EEEvT1_.numbered_sgpr, 0
	.set _ZN7rocprim17ROCPRIM_400000_NS6detail17trampoline_kernelINS0_14default_configENS1_20scan_config_selectorIN3c107complexIfEEEEZZNS1_9scan_implILNS1_25lookback_scan_determinismE0ELb0ELb0ES3_PKS7_PS7_S7_ZZZN2at6native31launch_logcumsumexp_cuda_kernelERKNSE_10TensorBaseESI_lENKUlvE_clEvENKUlvE2_clEvEUlS7_S7_E_S7_EEDaPvRmT3_T4_T5_mT6_P12ihipStream_tbENKUlT_T0_E_clISt17integral_constantIbLb0EESZ_EEDaSU_SV_EUlSU_E0_NS1_11comp_targetILNS1_3genE10ELNS1_11target_archE1200ELNS1_3gpuE4ELNS1_3repE0EEENS1_30default_config_static_selectorELNS0_4arch9wavefront6targetE0EEEvT1_.num_named_barrier, 0
	.set _ZN7rocprim17ROCPRIM_400000_NS6detail17trampoline_kernelINS0_14default_configENS1_20scan_config_selectorIN3c107complexIfEEEEZZNS1_9scan_implILNS1_25lookback_scan_determinismE0ELb0ELb0ES3_PKS7_PS7_S7_ZZZN2at6native31launch_logcumsumexp_cuda_kernelERKNSE_10TensorBaseESI_lENKUlvE_clEvENKUlvE2_clEvEUlS7_S7_E_S7_EEDaPvRmT3_T4_T5_mT6_P12ihipStream_tbENKUlT_T0_E_clISt17integral_constantIbLb0EESZ_EEDaSU_SV_EUlSU_E0_NS1_11comp_targetILNS1_3genE10ELNS1_11target_archE1200ELNS1_3gpuE4ELNS1_3repE0EEENS1_30default_config_static_selectorELNS0_4arch9wavefront6targetE0EEEvT1_.private_seg_size, 0
	.set _ZN7rocprim17ROCPRIM_400000_NS6detail17trampoline_kernelINS0_14default_configENS1_20scan_config_selectorIN3c107complexIfEEEEZZNS1_9scan_implILNS1_25lookback_scan_determinismE0ELb0ELb0ES3_PKS7_PS7_S7_ZZZN2at6native31launch_logcumsumexp_cuda_kernelERKNSE_10TensorBaseESI_lENKUlvE_clEvENKUlvE2_clEvEUlS7_S7_E_S7_EEDaPvRmT3_T4_T5_mT6_P12ihipStream_tbENKUlT_T0_E_clISt17integral_constantIbLb0EESZ_EEDaSU_SV_EUlSU_E0_NS1_11comp_targetILNS1_3genE10ELNS1_11target_archE1200ELNS1_3gpuE4ELNS1_3repE0EEENS1_30default_config_static_selectorELNS0_4arch9wavefront6targetE0EEEvT1_.uses_vcc, 0
	.set _ZN7rocprim17ROCPRIM_400000_NS6detail17trampoline_kernelINS0_14default_configENS1_20scan_config_selectorIN3c107complexIfEEEEZZNS1_9scan_implILNS1_25lookback_scan_determinismE0ELb0ELb0ES3_PKS7_PS7_S7_ZZZN2at6native31launch_logcumsumexp_cuda_kernelERKNSE_10TensorBaseESI_lENKUlvE_clEvENKUlvE2_clEvEUlS7_S7_E_S7_EEDaPvRmT3_T4_T5_mT6_P12ihipStream_tbENKUlT_T0_E_clISt17integral_constantIbLb0EESZ_EEDaSU_SV_EUlSU_E0_NS1_11comp_targetILNS1_3genE10ELNS1_11target_archE1200ELNS1_3gpuE4ELNS1_3repE0EEENS1_30default_config_static_selectorELNS0_4arch9wavefront6targetE0EEEvT1_.uses_flat_scratch, 0
	.set _ZN7rocprim17ROCPRIM_400000_NS6detail17trampoline_kernelINS0_14default_configENS1_20scan_config_selectorIN3c107complexIfEEEEZZNS1_9scan_implILNS1_25lookback_scan_determinismE0ELb0ELb0ES3_PKS7_PS7_S7_ZZZN2at6native31launch_logcumsumexp_cuda_kernelERKNSE_10TensorBaseESI_lENKUlvE_clEvENKUlvE2_clEvEUlS7_S7_E_S7_EEDaPvRmT3_T4_T5_mT6_P12ihipStream_tbENKUlT_T0_E_clISt17integral_constantIbLb0EESZ_EEDaSU_SV_EUlSU_E0_NS1_11comp_targetILNS1_3genE10ELNS1_11target_archE1200ELNS1_3gpuE4ELNS1_3repE0EEENS1_30default_config_static_selectorELNS0_4arch9wavefront6targetE0EEEvT1_.has_dyn_sized_stack, 0
	.set _ZN7rocprim17ROCPRIM_400000_NS6detail17trampoline_kernelINS0_14default_configENS1_20scan_config_selectorIN3c107complexIfEEEEZZNS1_9scan_implILNS1_25lookback_scan_determinismE0ELb0ELb0ES3_PKS7_PS7_S7_ZZZN2at6native31launch_logcumsumexp_cuda_kernelERKNSE_10TensorBaseESI_lENKUlvE_clEvENKUlvE2_clEvEUlS7_S7_E_S7_EEDaPvRmT3_T4_T5_mT6_P12ihipStream_tbENKUlT_T0_E_clISt17integral_constantIbLb0EESZ_EEDaSU_SV_EUlSU_E0_NS1_11comp_targetILNS1_3genE10ELNS1_11target_archE1200ELNS1_3gpuE4ELNS1_3repE0EEENS1_30default_config_static_selectorELNS0_4arch9wavefront6targetE0EEEvT1_.has_recursion, 0
	.set _ZN7rocprim17ROCPRIM_400000_NS6detail17trampoline_kernelINS0_14default_configENS1_20scan_config_selectorIN3c107complexIfEEEEZZNS1_9scan_implILNS1_25lookback_scan_determinismE0ELb0ELb0ES3_PKS7_PS7_S7_ZZZN2at6native31launch_logcumsumexp_cuda_kernelERKNSE_10TensorBaseESI_lENKUlvE_clEvENKUlvE2_clEvEUlS7_S7_E_S7_EEDaPvRmT3_T4_T5_mT6_P12ihipStream_tbENKUlT_T0_E_clISt17integral_constantIbLb0EESZ_EEDaSU_SV_EUlSU_E0_NS1_11comp_targetILNS1_3genE10ELNS1_11target_archE1200ELNS1_3gpuE4ELNS1_3repE0EEENS1_30default_config_static_selectorELNS0_4arch9wavefront6targetE0EEEvT1_.has_indirect_call, 0
	.section	.AMDGPU.csdata,"",@progbits
; Kernel info:
; codeLenInByte = 0
; TotalNumSgprs: 0
; NumVgprs: 0
; ScratchSize: 0
; MemoryBound: 0
; FloatMode: 240
; IeeeMode: 1
; LDSByteSize: 0 bytes/workgroup (compile time only)
; SGPRBlocks: 0
; VGPRBlocks: 0
; NumSGPRsForWavesPerEU: 1
; NumVGPRsForWavesPerEU: 1
; Occupancy: 16
; WaveLimiterHint : 0
; COMPUTE_PGM_RSRC2:SCRATCH_EN: 0
; COMPUTE_PGM_RSRC2:USER_SGPR: 6
; COMPUTE_PGM_RSRC2:TRAP_HANDLER: 0
; COMPUTE_PGM_RSRC2:TGID_X_EN: 1
; COMPUTE_PGM_RSRC2:TGID_Y_EN: 0
; COMPUTE_PGM_RSRC2:TGID_Z_EN: 0
; COMPUTE_PGM_RSRC2:TIDIG_COMP_CNT: 0
	.section	.text._ZN7rocprim17ROCPRIM_400000_NS6detail17trampoline_kernelINS0_14default_configENS1_20scan_config_selectorIN3c107complexIfEEEEZZNS1_9scan_implILNS1_25lookback_scan_determinismE0ELb0ELb0ES3_PKS7_PS7_S7_ZZZN2at6native31launch_logcumsumexp_cuda_kernelERKNSE_10TensorBaseESI_lENKUlvE_clEvENKUlvE2_clEvEUlS7_S7_E_S7_EEDaPvRmT3_T4_T5_mT6_P12ihipStream_tbENKUlT_T0_E_clISt17integral_constantIbLb0EESZ_EEDaSU_SV_EUlSU_E0_NS1_11comp_targetILNS1_3genE9ELNS1_11target_archE1100ELNS1_3gpuE3ELNS1_3repE0EEENS1_30default_config_static_selectorELNS0_4arch9wavefront6targetE0EEEvT1_,"axG",@progbits,_ZN7rocprim17ROCPRIM_400000_NS6detail17trampoline_kernelINS0_14default_configENS1_20scan_config_selectorIN3c107complexIfEEEEZZNS1_9scan_implILNS1_25lookback_scan_determinismE0ELb0ELb0ES3_PKS7_PS7_S7_ZZZN2at6native31launch_logcumsumexp_cuda_kernelERKNSE_10TensorBaseESI_lENKUlvE_clEvENKUlvE2_clEvEUlS7_S7_E_S7_EEDaPvRmT3_T4_T5_mT6_P12ihipStream_tbENKUlT_T0_E_clISt17integral_constantIbLb0EESZ_EEDaSU_SV_EUlSU_E0_NS1_11comp_targetILNS1_3genE9ELNS1_11target_archE1100ELNS1_3gpuE3ELNS1_3repE0EEENS1_30default_config_static_selectorELNS0_4arch9wavefront6targetE0EEEvT1_,comdat
	.globl	_ZN7rocprim17ROCPRIM_400000_NS6detail17trampoline_kernelINS0_14default_configENS1_20scan_config_selectorIN3c107complexIfEEEEZZNS1_9scan_implILNS1_25lookback_scan_determinismE0ELb0ELb0ES3_PKS7_PS7_S7_ZZZN2at6native31launch_logcumsumexp_cuda_kernelERKNSE_10TensorBaseESI_lENKUlvE_clEvENKUlvE2_clEvEUlS7_S7_E_S7_EEDaPvRmT3_T4_T5_mT6_P12ihipStream_tbENKUlT_T0_E_clISt17integral_constantIbLb0EESZ_EEDaSU_SV_EUlSU_E0_NS1_11comp_targetILNS1_3genE9ELNS1_11target_archE1100ELNS1_3gpuE3ELNS1_3repE0EEENS1_30default_config_static_selectorELNS0_4arch9wavefront6targetE0EEEvT1_ ; -- Begin function _ZN7rocprim17ROCPRIM_400000_NS6detail17trampoline_kernelINS0_14default_configENS1_20scan_config_selectorIN3c107complexIfEEEEZZNS1_9scan_implILNS1_25lookback_scan_determinismE0ELb0ELb0ES3_PKS7_PS7_S7_ZZZN2at6native31launch_logcumsumexp_cuda_kernelERKNSE_10TensorBaseESI_lENKUlvE_clEvENKUlvE2_clEvEUlS7_S7_E_S7_EEDaPvRmT3_T4_T5_mT6_P12ihipStream_tbENKUlT_T0_E_clISt17integral_constantIbLb0EESZ_EEDaSU_SV_EUlSU_E0_NS1_11comp_targetILNS1_3genE9ELNS1_11target_archE1100ELNS1_3gpuE3ELNS1_3repE0EEENS1_30default_config_static_selectorELNS0_4arch9wavefront6targetE0EEEvT1_
	.p2align	8
	.type	_ZN7rocprim17ROCPRIM_400000_NS6detail17trampoline_kernelINS0_14default_configENS1_20scan_config_selectorIN3c107complexIfEEEEZZNS1_9scan_implILNS1_25lookback_scan_determinismE0ELb0ELb0ES3_PKS7_PS7_S7_ZZZN2at6native31launch_logcumsumexp_cuda_kernelERKNSE_10TensorBaseESI_lENKUlvE_clEvENKUlvE2_clEvEUlS7_S7_E_S7_EEDaPvRmT3_T4_T5_mT6_P12ihipStream_tbENKUlT_T0_E_clISt17integral_constantIbLb0EESZ_EEDaSU_SV_EUlSU_E0_NS1_11comp_targetILNS1_3genE9ELNS1_11target_archE1100ELNS1_3gpuE3ELNS1_3repE0EEENS1_30default_config_static_selectorELNS0_4arch9wavefront6targetE0EEEvT1_,@function
_ZN7rocprim17ROCPRIM_400000_NS6detail17trampoline_kernelINS0_14default_configENS1_20scan_config_selectorIN3c107complexIfEEEEZZNS1_9scan_implILNS1_25lookback_scan_determinismE0ELb0ELb0ES3_PKS7_PS7_S7_ZZZN2at6native31launch_logcumsumexp_cuda_kernelERKNSE_10TensorBaseESI_lENKUlvE_clEvENKUlvE2_clEvEUlS7_S7_E_S7_EEDaPvRmT3_T4_T5_mT6_P12ihipStream_tbENKUlT_T0_E_clISt17integral_constantIbLb0EESZ_EEDaSU_SV_EUlSU_E0_NS1_11comp_targetILNS1_3genE9ELNS1_11target_archE1100ELNS1_3gpuE3ELNS1_3repE0EEENS1_30default_config_static_selectorELNS0_4arch9wavefront6targetE0EEEvT1_: ; @_ZN7rocprim17ROCPRIM_400000_NS6detail17trampoline_kernelINS0_14default_configENS1_20scan_config_selectorIN3c107complexIfEEEEZZNS1_9scan_implILNS1_25lookback_scan_determinismE0ELb0ELb0ES3_PKS7_PS7_S7_ZZZN2at6native31launch_logcumsumexp_cuda_kernelERKNSE_10TensorBaseESI_lENKUlvE_clEvENKUlvE2_clEvEUlS7_S7_E_S7_EEDaPvRmT3_T4_T5_mT6_P12ihipStream_tbENKUlT_T0_E_clISt17integral_constantIbLb0EESZ_EEDaSU_SV_EUlSU_E0_NS1_11comp_targetILNS1_3genE9ELNS1_11target_archE1100ELNS1_3gpuE3ELNS1_3repE0EEENS1_30default_config_static_selectorELNS0_4arch9wavefront6targetE0EEEvT1_
; %bb.0:
	.section	.rodata,"a",@progbits
	.p2align	6, 0x0
	.amdhsa_kernel _ZN7rocprim17ROCPRIM_400000_NS6detail17trampoline_kernelINS0_14default_configENS1_20scan_config_selectorIN3c107complexIfEEEEZZNS1_9scan_implILNS1_25lookback_scan_determinismE0ELb0ELb0ES3_PKS7_PS7_S7_ZZZN2at6native31launch_logcumsumexp_cuda_kernelERKNSE_10TensorBaseESI_lENKUlvE_clEvENKUlvE2_clEvEUlS7_S7_E_S7_EEDaPvRmT3_T4_T5_mT6_P12ihipStream_tbENKUlT_T0_E_clISt17integral_constantIbLb0EESZ_EEDaSU_SV_EUlSU_E0_NS1_11comp_targetILNS1_3genE9ELNS1_11target_archE1100ELNS1_3gpuE3ELNS1_3repE0EEENS1_30default_config_static_selectorELNS0_4arch9wavefront6targetE0EEEvT1_
		.amdhsa_group_segment_fixed_size 0
		.amdhsa_private_segment_fixed_size 0
		.amdhsa_kernarg_size 40
		.amdhsa_user_sgpr_count 6
		.amdhsa_user_sgpr_private_segment_buffer 1
		.amdhsa_user_sgpr_dispatch_ptr 0
		.amdhsa_user_sgpr_queue_ptr 0
		.amdhsa_user_sgpr_kernarg_segment_ptr 1
		.amdhsa_user_sgpr_dispatch_id 0
		.amdhsa_user_sgpr_flat_scratch_init 0
		.amdhsa_user_sgpr_private_segment_size 0
		.amdhsa_wavefront_size32 1
		.amdhsa_uses_dynamic_stack 0
		.amdhsa_system_sgpr_private_segment_wavefront_offset 0
		.amdhsa_system_sgpr_workgroup_id_x 1
		.amdhsa_system_sgpr_workgroup_id_y 0
		.amdhsa_system_sgpr_workgroup_id_z 0
		.amdhsa_system_sgpr_workgroup_info 0
		.amdhsa_system_vgpr_workitem_id 0
		.amdhsa_next_free_vgpr 1
		.amdhsa_next_free_sgpr 1
		.amdhsa_reserve_vcc 0
		.amdhsa_reserve_flat_scratch 0
		.amdhsa_float_round_mode_32 0
		.amdhsa_float_round_mode_16_64 0
		.amdhsa_float_denorm_mode_32 3
		.amdhsa_float_denorm_mode_16_64 3
		.amdhsa_dx10_clamp 1
		.amdhsa_ieee_mode 1
		.amdhsa_fp16_overflow 0
		.amdhsa_workgroup_processor_mode 1
		.amdhsa_memory_ordered 1
		.amdhsa_forward_progress 1
		.amdhsa_shared_vgpr_count 0
		.amdhsa_exception_fp_ieee_invalid_op 0
		.amdhsa_exception_fp_denorm_src 0
		.amdhsa_exception_fp_ieee_div_zero 0
		.amdhsa_exception_fp_ieee_overflow 0
		.amdhsa_exception_fp_ieee_underflow 0
		.amdhsa_exception_fp_ieee_inexact 0
		.amdhsa_exception_int_div_zero 0
	.end_amdhsa_kernel
	.section	.text._ZN7rocprim17ROCPRIM_400000_NS6detail17trampoline_kernelINS0_14default_configENS1_20scan_config_selectorIN3c107complexIfEEEEZZNS1_9scan_implILNS1_25lookback_scan_determinismE0ELb0ELb0ES3_PKS7_PS7_S7_ZZZN2at6native31launch_logcumsumexp_cuda_kernelERKNSE_10TensorBaseESI_lENKUlvE_clEvENKUlvE2_clEvEUlS7_S7_E_S7_EEDaPvRmT3_T4_T5_mT6_P12ihipStream_tbENKUlT_T0_E_clISt17integral_constantIbLb0EESZ_EEDaSU_SV_EUlSU_E0_NS1_11comp_targetILNS1_3genE9ELNS1_11target_archE1100ELNS1_3gpuE3ELNS1_3repE0EEENS1_30default_config_static_selectorELNS0_4arch9wavefront6targetE0EEEvT1_,"axG",@progbits,_ZN7rocprim17ROCPRIM_400000_NS6detail17trampoline_kernelINS0_14default_configENS1_20scan_config_selectorIN3c107complexIfEEEEZZNS1_9scan_implILNS1_25lookback_scan_determinismE0ELb0ELb0ES3_PKS7_PS7_S7_ZZZN2at6native31launch_logcumsumexp_cuda_kernelERKNSE_10TensorBaseESI_lENKUlvE_clEvENKUlvE2_clEvEUlS7_S7_E_S7_EEDaPvRmT3_T4_T5_mT6_P12ihipStream_tbENKUlT_T0_E_clISt17integral_constantIbLb0EESZ_EEDaSU_SV_EUlSU_E0_NS1_11comp_targetILNS1_3genE9ELNS1_11target_archE1100ELNS1_3gpuE3ELNS1_3repE0EEENS1_30default_config_static_selectorELNS0_4arch9wavefront6targetE0EEEvT1_,comdat
.Lfunc_end288:
	.size	_ZN7rocprim17ROCPRIM_400000_NS6detail17trampoline_kernelINS0_14default_configENS1_20scan_config_selectorIN3c107complexIfEEEEZZNS1_9scan_implILNS1_25lookback_scan_determinismE0ELb0ELb0ES3_PKS7_PS7_S7_ZZZN2at6native31launch_logcumsumexp_cuda_kernelERKNSE_10TensorBaseESI_lENKUlvE_clEvENKUlvE2_clEvEUlS7_S7_E_S7_EEDaPvRmT3_T4_T5_mT6_P12ihipStream_tbENKUlT_T0_E_clISt17integral_constantIbLb0EESZ_EEDaSU_SV_EUlSU_E0_NS1_11comp_targetILNS1_3genE9ELNS1_11target_archE1100ELNS1_3gpuE3ELNS1_3repE0EEENS1_30default_config_static_selectorELNS0_4arch9wavefront6targetE0EEEvT1_, .Lfunc_end288-_ZN7rocprim17ROCPRIM_400000_NS6detail17trampoline_kernelINS0_14default_configENS1_20scan_config_selectorIN3c107complexIfEEEEZZNS1_9scan_implILNS1_25lookback_scan_determinismE0ELb0ELb0ES3_PKS7_PS7_S7_ZZZN2at6native31launch_logcumsumexp_cuda_kernelERKNSE_10TensorBaseESI_lENKUlvE_clEvENKUlvE2_clEvEUlS7_S7_E_S7_EEDaPvRmT3_T4_T5_mT6_P12ihipStream_tbENKUlT_T0_E_clISt17integral_constantIbLb0EESZ_EEDaSU_SV_EUlSU_E0_NS1_11comp_targetILNS1_3genE9ELNS1_11target_archE1100ELNS1_3gpuE3ELNS1_3repE0EEENS1_30default_config_static_selectorELNS0_4arch9wavefront6targetE0EEEvT1_
                                        ; -- End function
	.set _ZN7rocprim17ROCPRIM_400000_NS6detail17trampoline_kernelINS0_14default_configENS1_20scan_config_selectorIN3c107complexIfEEEEZZNS1_9scan_implILNS1_25lookback_scan_determinismE0ELb0ELb0ES3_PKS7_PS7_S7_ZZZN2at6native31launch_logcumsumexp_cuda_kernelERKNSE_10TensorBaseESI_lENKUlvE_clEvENKUlvE2_clEvEUlS7_S7_E_S7_EEDaPvRmT3_T4_T5_mT6_P12ihipStream_tbENKUlT_T0_E_clISt17integral_constantIbLb0EESZ_EEDaSU_SV_EUlSU_E0_NS1_11comp_targetILNS1_3genE9ELNS1_11target_archE1100ELNS1_3gpuE3ELNS1_3repE0EEENS1_30default_config_static_selectorELNS0_4arch9wavefront6targetE0EEEvT1_.num_vgpr, 0
	.set _ZN7rocprim17ROCPRIM_400000_NS6detail17trampoline_kernelINS0_14default_configENS1_20scan_config_selectorIN3c107complexIfEEEEZZNS1_9scan_implILNS1_25lookback_scan_determinismE0ELb0ELb0ES3_PKS7_PS7_S7_ZZZN2at6native31launch_logcumsumexp_cuda_kernelERKNSE_10TensorBaseESI_lENKUlvE_clEvENKUlvE2_clEvEUlS7_S7_E_S7_EEDaPvRmT3_T4_T5_mT6_P12ihipStream_tbENKUlT_T0_E_clISt17integral_constantIbLb0EESZ_EEDaSU_SV_EUlSU_E0_NS1_11comp_targetILNS1_3genE9ELNS1_11target_archE1100ELNS1_3gpuE3ELNS1_3repE0EEENS1_30default_config_static_selectorELNS0_4arch9wavefront6targetE0EEEvT1_.num_agpr, 0
	.set _ZN7rocprim17ROCPRIM_400000_NS6detail17trampoline_kernelINS0_14default_configENS1_20scan_config_selectorIN3c107complexIfEEEEZZNS1_9scan_implILNS1_25lookback_scan_determinismE0ELb0ELb0ES3_PKS7_PS7_S7_ZZZN2at6native31launch_logcumsumexp_cuda_kernelERKNSE_10TensorBaseESI_lENKUlvE_clEvENKUlvE2_clEvEUlS7_S7_E_S7_EEDaPvRmT3_T4_T5_mT6_P12ihipStream_tbENKUlT_T0_E_clISt17integral_constantIbLb0EESZ_EEDaSU_SV_EUlSU_E0_NS1_11comp_targetILNS1_3genE9ELNS1_11target_archE1100ELNS1_3gpuE3ELNS1_3repE0EEENS1_30default_config_static_selectorELNS0_4arch9wavefront6targetE0EEEvT1_.numbered_sgpr, 0
	.set _ZN7rocprim17ROCPRIM_400000_NS6detail17trampoline_kernelINS0_14default_configENS1_20scan_config_selectorIN3c107complexIfEEEEZZNS1_9scan_implILNS1_25lookback_scan_determinismE0ELb0ELb0ES3_PKS7_PS7_S7_ZZZN2at6native31launch_logcumsumexp_cuda_kernelERKNSE_10TensorBaseESI_lENKUlvE_clEvENKUlvE2_clEvEUlS7_S7_E_S7_EEDaPvRmT3_T4_T5_mT6_P12ihipStream_tbENKUlT_T0_E_clISt17integral_constantIbLb0EESZ_EEDaSU_SV_EUlSU_E0_NS1_11comp_targetILNS1_3genE9ELNS1_11target_archE1100ELNS1_3gpuE3ELNS1_3repE0EEENS1_30default_config_static_selectorELNS0_4arch9wavefront6targetE0EEEvT1_.num_named_barrier, 0
	.set _ZN7rocprim17ROCPRIM_400000_NS6detail17trampoline_kernelINS0_14default_configENS1_20scan_config_selectorIN3c107complexIfEEEEZZNS1_9scan_implILNS1_25lookback_scan_determinismE0ELb0ELb0ES3_PKS7_PS7_S7_ZZZN2at6native31launch_logcumsumexp_cuda_kernelERKNSE_10TensorBaseESI_lENKUlvE_clEvENKUlvE2_clEvEUlS7_S7_E_S7_EEDaPvRmT3_T4_T5_mT6_P12ihipStream_tbENKUlT_T0_E_clISt17integral_constantIbLb0EESZ_EEDaSU_SV_EUlSU_E0_NS1_11comp_targetILNS1_3genE9ELNS1_11target_archE1100ELNS1_3gpuE3ELNS1_3repE0EEENS1_30default_config_static_selectorELNS0_4arch9wavefront6targetE0EEEvT1_.private_seg_size, 0
	.set _ZN7rocprim17ROCPRIM_400000_NS6detail17trampoline_kernelINS0_14default_configENS1_20scan_config_selectorIN3c107complexIfEEEEZZNS1_9scan_implILNS1_25lookback_scan_determinismE0ELb0ELb0ES3_PKS7_PS7_S7_ZZZN2at6native31launch_logcumsumexp_cuda_kernelERKNSE_10TensorBaseESI_lENKUlvE_clEvENKUlvE2_clEvEUlS7_S7_E_S7_EEDaPvRmT3_T4_T5_mT6_P12ihipStream_tbENKUlT_T0_E_clISt17integral_constantIbLb0EESZ_EEDaSU_SV_EUlSU_E0_NS1_11comp_targetILNS1_3genE9ELNS1_11target_archE1100ELNS1_3gpuE3ELNS1_3repE0EEENS1_30default_config_static_selectorELNS0_4arch9wavefront6targetE0EEEvT1_.uses_vcc, 0
	.set _ZN7rocprim17ROCPRIM_400000_NS6detail17trampoline_kernelINS0_14default_configENS1_20scan_config_selectorIN3c107complexIfEEEEZZNS1_9scan_implILNS1_25lookback_scan_determinismE0ELb0ELb0ES3_PKS7_PS7_S7_ZZZN2at6native31launch_logcumsumexp_cuda_kernelERKNSE_10TensorBaseESI_lENKUlvE_clEvENKUlvE2_clEvEUlS7_S7_E_S7_EEDaPvRmT3_T4_T5_mT6_P12ihipStream_tbENKUlT_T0_E_clISt17integral_constantIbLb0EESZ_EEDaSU_SV_EUlSU_E0_NS1_11comp_targetILNS1_3genE9ELNS1_11target_archE1100ELNS1_3gpuE3ELNS1_3repE0EEENS1_30default_config_static_selectorELNS0_4arch9wavefront6targetE0EEEvT1_.uses_flat_scratch, 0
	.set _ZN7rocprim17ROCPRIM_400000_NS6detail17trampoline_kernelINS0_14default_configENS1_20scan_config_selectorIN3c107complexIfEEEEZZNS1_9scan_implILNS1_25lookback_scan_determinismE0ELb0ELb0ES3_PKS7_PS7_S7_ZZZN2at6native31launch_logcumsumexp_cuda_kernelERKNSE_10TensorBaseESI_lENKUlvE_clEvENKUlvE2_clEvEUlS7_S7_E_S7_EEDaPvRmT3_T4_T5_mT6_P12ihipStream_tbENKUlT_T0_E_clISt17integral_constantIbLb0EESZ_EEDaSU_SV_EUlSU_E0_NS1_11comp_targetILNS1_3genE9ELNS1_11target_archE1100ELNS1_3gpuE3ELNS1_3repE0EEENS1_30default_config_static_selectorELNS0_4arch9wavefront6targetE0EEEvT1_.has_dyn_sized_stack, 0
	.set _ZN7rocprim17ROCPRIM_400000_NS6detail17trampoline_kernelINS0_14default_configENS1_20scan_config_selectorIN3c107complexIfEEEEZZNS1_9scan_implILNS1_25lookback_scan_determinismE0ELb0ELb0ES3_PKS7_PS7_S7_ZZZN2at6native31launch_logcumsumexp_cuda_kernelERKNSE_10TensorBaseESI_lENKUlvE_clEvENKUlvE2_clEvEUlS7_S7_E_S7_EEDaPvRmT3_T4_T5_mT6_P12ihipStream_tbENKUlT_T0_E_clISt17integral_constantIbLb0EESZ_EEDaSU_SV_EUlSU_E0_NS1_11comp_targetILNS1_3genE9ELNS1_11target_archE1100ELNS1_3gpuE3ELNS1_3repE0EEENS1_30default_config_static_selectorELNS0_4arch9wavefront6targetE0EEEvT1_.has_recursion, 0
	.set _ZN7rocprim17ROCPRIM_400000_NS6detail17trampoline_kernelINS0_14default_configENS1_20scan_config_selectorIN3c107complexIfEEEEZZNS1_9scan_implILNS1_25lookback_scan_determinismE0ELb0ELb0ES3_PKS7_PS7_S7_ZZZN2at6native31launch_logcumsumexp_cuda_kernelERKNSE_10TensorBaseESI_lENKUlvE_clEvENKUlvE2_clEvEUlS7_S7_E_S7_EEDaPvRmT3_T4_T5_mT6_P12ihipStream_tbENKUlT_T0_E_clISt17integral_constantIbLb0EESZ_EEDaSU_SV_EUlSU_E0_NS1_11comp_targetILNS1_3genE9ELNS1_11target_archE1100ELNS1_3gpuE3ELNS1_3repE0EEENS1_30default_config_static_selectorELNS0_4arch9wavefront6targetE0EEEvT1_.has_indirect_call, 0
	.section	.AMDGPU.csdata,"",@progbits
; Kernel info:
; codeLenInByte = 0
; TotalNumSgprs: 0
; NumVgprs: 0
; ScratchSize: 0
; MemoryBound: 0
; FloatMode: 240
; IeeeMode: 1
; LDSByteSize: 0 bytes/workgroup (compile time only)
; SGPRBlocks: 0
; VGPRBlocks: 0
; NumSGPRsForWavesPerEU: 1
; NumVGPRsForWavesPerEU: 1
; Occupancy: 16
; WaveLimiterHint : 0
; COMPUTE_PGM_RSRC2:SCRATCH_EN: 0
; COMPUTE_PGM_RSRC2:USER_SGPR: 6
; COMPUTE_PGM_RSRC2:TRAP_HANDLER: 0
; COMPUTE_PGM_RSRC2:TGID_X_EN: 1
; COMPUTE_PGM_RSRC2:TGID_Y_EN: 0
; COMPUTE_PGM_RSRC2:TGID_Z_EN: 0
; COMPUTE_PGM_RSRC2:TIDIG_COMP_CNT: 0
	.section	.text._ZN7rocprim17ROCPRIM_400000_NS6detail17trampoline_kernelINS0_14default_configENS1_20scan_config_selectorIN3c107complexIfEEEEZZNS1_9scan_implILNS1_25lookback_scan_determinismE0ELb0ELb0ES3_PKS7_PS7_S7_ZZZN2at6native31launch_logcumsumexp_cuda_kernelERKNSE_10TensorBaseESI_lENKUlvE_clEvENKUlvE2_clEvEUlS7_S7_E_S7_EEDaPvRmT3_T4_T5_mT6_P12ihipStream_tbENKUlT_T0_E_clISt17integral_constantIbLb0EESZ_EEDaSU_SV_EUlSU_E0_NS1_11comp_targetILNS1_3genE8ELNS1_11target_archE1030ELNS1_3gpuE2ELNS1_3repE0EEENS1_30default_config_static_selectorELNS0_4arch9wavefront6targetE0EEEvT1_,"axG",@progbits,_ZN7rocprim17ROCPRIM_400000_NS6detail17trampoline_kernelINS0_14default_configENS1_20scan_config_selectorIN3c107complexIfEEEEZZNS1_9scan_implILNS1_25lookback_scan_determinismE0ELb0ELb0ES3_PKS7_PS7_S7_ZZZN2at6native31launch_logcumsumexp_cuda_kernelERKNSE_10TensorBaseESI_lENKUlvE_clEvENKUlvE2_clEvEUlS7_S7_E_S7_EEDaPvRmT3_T4_T5_mT6_P12ihipStream_tbENKUlT_T0_E_clISt17integral_constantIbLb0EESZ_EEDaSU_SV_EUlSU_E0_NS1_11comp_targetILNS1_3genE8ELNS1_11target_archE1030ELNS1_3gpuE2ELNS1_3repE0EEENS1_30default_config_static_selectorELNS0_4arch9wavefront6targetE0EEEvT1_,comdat
	.globl	_ZN7rocprim17ROCPRIM_400000_NS6detail17trampoline_kernelINS0_14default_configENS1_20scan_config_selectorIN3c107complexIfEEEEZZNS1_9scan_implILNS1_25lookback_scan_determinismE0ELb0ELb0ES3_PKS7_PS7_S7_ZZZN2at6native31launch_logcumsumexp_cuda_kernelERKNSE_10TensorBaseESI_lENKUlvE_clEvENKUlvE2_clEvEUlS7_S7_E_S7_EEDaPvRmT3_T4_T5_mT6_P12ihipStream_tbENKUlT_T0_E_clISt17integral_constantIbLb0EESZ_EEDaSU_SV_EUlSU_E0_NS1_11comp_targetILNS1_3genE8ELNS1_11target_archE1030ELNS1_3gpuE2ELNS1_3repE0EEENS1_30default_config_static_selectorELNS0_4arch9wavefront6targetE0EEEvT1_ ; -- Begin function _ZN7rocprim17ROCPRIM_400000_NS6detail17trampoline_kernelINS0_14default_configENS1_20scan_config_selectorIN3c107complexIfEEEEZZNS1_9scan_implILNS1_25lookback_scan_determinismE0ELb0ELb0ES3_PKS7_PS7_S7_ZZZN2at6native31launch_logcumsumexp_cuda_kernelERKNSE_10TensorBaseESI_lENKUlvE_clEvENKUlvE2_clEvEUlS7_S7_E_S7_EEDaPvRmT3_T4_T5_mT6_P12ihipStream_tbENKUlT_T0_E_clISt17integral_constantIbLb0EESZ_EEDaSU_SV_EUlSU_E0_NS1_11comp_targetILNS1_3genE8ELNS1_11target_archE1030ELNS1_3gpuE2ELNS1_3repE0EEENS1_30default_config_static_selectorELNS0_4arch9wavefront6targetE0EEEvT1_
	.p2align	8
	.type	_ZN7rocprim17ROCPRIM_400000_NS6detail17trampoline_kernelINS0_14default_configENS1_20scan_config_selectorIN3c107complexIfEEEEZZNS1_9scan_implILNS1_25lookback_scan_determinismE0ELb0ELb0ES3_PKS7_PS7_S7_ZZZN2at6native31launch_logcumsumexp_cuda_kernelERKNSE_10TensorBaseESI_lENKUlvE_clEvENKUlvE2_clEvEUlS7_S7_E_S7_EEDaPvRmT3_T4_T5_mT6_P12ihipStream_tbENKUlT_T0_E_clISt17integral_constantIbLb0EESZ_EEDaSU_SV_EUlSU_E0_NS1_11comp_targetILNS1_3genE8ELNS1_11target_archE1030ELNS1_3gpuE2ELNS1_3repE0EEENS1_30default_config_static_selectorELNS0_4arch9wavefront6targetE0EEEvT1_,@function
_ZN7rocprim17ROCPRIM_400000_NS6detail17trampoline_kernelINS0_14default_configENS1_20scan_config_selectorIN3c107complexIfEEEEZZNS1_9scan_implILNS1_25lookback_scan_determinismE0ELb0ELb0ES3_PKS7_PS7_S7_ZZZN2at6native31launch_logcumsumexp_cuda_kernelERKNSE_10TensorBaseESI_lENKUlvE_clEvENKUlvE2_clEvEUlS7_S7_E_S7_EEDaPvRmT3_T4_T5_mT6_P12ihipStream_tbENKUlT_T0_E_clISt17integral_constantIbLb0EESZ_EEDaSU_SV_EUlSU_E0_NS1_11comp_targetILNS1_3genE8ELNS1_11target_archE1030ELNS1_3gpuE2ELNS1_3repE0EEENS1_30default_config_static_selectorELNS0_4arch9wavefront6targetE0EEEvT1_: ; @_ZN7rocprim17ROCPRIM_400000_NS6detail17trampoline_kernelINS0_14default_configENS1_20scan_config_selectorIN3c107complexIfEEEEZZNS1_9scan_implILNS1_25lookback_scan_determinismE0ELb0ELb0ES3_PKS7_PS7_S7_ZZZN2at6native31launch_logcumsumexp_cuda_kernelERKNSE_10TensorBaseESI_lENKUlvE_clEvENKUlvE2_clEvEUlS7_S7_E_S7_EEDaPvRmT3_T4_T5_mT6_P12ihipStream_tbENKUlT_T0_E_clISt17integral_constantIbLb0EESZ_EEDaSU_SV_EUlSU_E0_NS1_11comp_targetILNS1_3genE8ELNS1_11target_archE1030ELNS1_3gpuE2ELNS1_3repE0EEENS1_30default_config_static_selectorELNS0_4arch9wavefront6targetE0EEEvT1_
; %bb.0:
	s_load_dwordx4 s[8:11], s[4:5], 0x0
	s_add_u32 s0, s0, s7
	v_mov_b32_e32 v36, v0
	s_addc_u32 s1, s1, 0
	s_mov_b32 s32, 0
	v_lshlrev_b32_e32 v43, 3, v36
	s_waitcnt lgkmcnt(0)
	s_load_dwordx2 s[6:7], s[8:9], 0x0
	v_cmp_gt_u32_e64 s11, s10, v36
	s_waitcnt lgkmcnt(0)
	v_mov_b32_e32 v1, s7
	v_mov_b32_e32 v0, s6
	s_and_saveexec_b32 s12, s11
	s_cbranch_execz .LBB289_2
; %bb.1:
	global_load_dwordx2 v[0:1], v43, s[8:9]
.LBB289_2:
	s_or_b32 exec_lo, exec_lo, s12
	v_or_b32_e32 v8, 0x100, v36
	v_mov_b32_e32 v3, s7
	v_mov_b32_e32 v2, s6
	v_cmp_gt_u32_e64 s12, s10, v8
	s_and_saveexec_b32 s13, s12
	s_cbranch_execz .LBB289_4
; %bb.3:
	v_lshlrev_b32_e32 v2, 3, v8
	global_load_dwordx2 v[2:3], v2, s[8:9]
.LBB289_4:
	s_or_b32 exec_lo, exec_lo, s13
	v_or_b32_e32 v9, 0x200, v36
	v_mov_b32_e32 v5, s7
	v_mov_b32_e32 v4, s6
	v_cmp_gt_u32_e64 s13, s10, v9
	s_and_saveexec_b32 s14, s13
	s_cbranch_execz .LBB289_6
; %bb.5:
	v_lshlrev_b32_e32 v4, 3, v9
	global_load_dwordx2 v[4:5], v4, s[8:9]
.LBB289_6:
	;; [unrolled: 11-line block ×3, first 2 shown]
	s_or_b32 exec_lo, exec_lo, s6
	v_lshrrev_b32_e32 v8, 2, v8
	v_lshrrev_b32_e32 v11, 2, v36
	;; [unrolled: 1-line block ×4, first 2 shown]
	v_and_b32_e32 v12, 0xf8, v36
	v_and_b32_e32 v8, 0x78, v8
	;; [unrolled: 1-line block ×5, first 2 shown]
	s_load_dwordx2 s[16:17], s[4:5], 0x20
	v_add_nc_u32_e32 v45, v8, v43
	v_lshlrev_b32_e32 v8, 5, v36
	v_add_nc_u32_e32 v44, v11, v43
	v_add_nc_u32_e32 v47, v10, v43
	;; [unrolled: 1-line block ×3, first 2 shown]
	s_waitcnt vmcnt(0)
	ds_write_b64 v44, v[0:1]
	ds_write_b64 v45, v[2:3] offset:2048
	ds_write_b64 v46, v[4:5] offset:4096
	v_add_nc_u32_e32 v48, v12, v8
	ds_write_b64 v47, v[6:7] offset:6144
	s_waitcnt lgkmcnt(0)
	s_barrier
	buffer_gl0_inv
	ds_read2_b64 v[22:25], v48 offset1:1
	ds_read2_b64 v[26:29], v48 offset0:2 offset1:3
	s_getpc_b64 s[18:19]
	s_add_u32 s18, s18, _ZZZZN2at6native31launch_logcumsumexp_cuda_kernelERKNS_10TensorBaseES3_lENKUlvE_clEvENKUlvE2_clEvENKUlN3c107complexIfEES8_E_clES8_S8_@rel32@lo+4
	s_addc_u32 s19, s19, _ZZZZN2at6native31launch_logcumsumexp_cuda_kernelERKNS_10TensorBaseES3_lENKUlvE_clEvENKUlvE2_clEvENKUlN3c107complexIfEES8_E_clES8_S8_@rel32@hi+12
	s_waitcnt lgkmcnt(0)
	s_barrier
	buffer_gl0_inv
	v_mov_b32_e32 v0, v22
	v_mov_b32_e32 v1, v23
	v_mov_b32_e32 v2, v24
	v_mov_b32_e32 v3, v25
	s_swappc_b64 s[30:31], s[18:19]
	v_mov_b32_e32 v2, v26
	v_mov_b32_e32 v3, v27
	v_mov_b32_e32 v37, v0
	v_mov_b32_e32 v38, v1
	s_swappc_b64 s[30:31], s[18:19]
	;; [unrolled: 5-line block ×3, first 2 shown]
	v_mov_b32_e32 v32, v0
	v_mov_b32_e32 v33, v1
	s_mov_b32 s15, exec_lo
	ds_write_b64 v44, v[32:33]
	s_waitcnt lgkmcnt(0)
	s_waitcnt_vscnt null, 0x0
	s_barrier
	buffer_gl0_inv
	v_cmpx_gt_u32_e32 32, v36
	s_cbranch_execz .LBB289_20
; %bb.9:
	v_lshlrev_b32_e32 v0, 1, v36
	v_lshlrev_b32_e32 v1, 6, v36
	v_and_b32_e32 v0, 0x1f8, v0
	v_add_nc_u32_e32 v49, v0, v1
	ds_read_b64 v[34:35], v49
	ds_read2_b64 v[39:42], v49 offset0:1 offset1:2
	s_waitcnt lgkmcnt(1)
	v_mov_b32_e32 v0, v34
	v_mov_b32_e32 v1, v35
	s_waitcnt lgkmcnt(0)
	v_mov_b32_e32 v2, v39
	v_mov_b32_e32 v3, v40
	s_swappc_b64 s[30:31], s[18:19]
	v_mov_b32_e32 v2, v41
	v_mov_b32_e32 v3, v42
	s_swappc_b64 s[30:31], s[18:19]
	ds_read2_b64 v[39:42], v49 offset0:3 offset1:4
	s_waitcnt lgkmcnt(0)
	v_mov_b32_e32 v2, v39
	v_mov_b32_e32 v3, v40
	s_swappc_b64 s[30:31], s[18:19]
	v_mov_b32_e32 v2, v41
	v_mov_b32_e32 v3, v42
	s_swappc_b64 s[30:31], s[18:19]
	ds_read2_b64 v[39:42], v49 offset0:5 offset1:6
	s_waitcnt lgkmcnt(0)
	v_mov_b32_e32 v2, v39
	v_mov_b32_e32 v3, v40
	s_swappc_b64 s[30:31], s[18:19]
	v_mov_b32_e32 v2, v41
	v_mov_b32_e32 v3, v42
	s_swappc_b64 s[30:31], s[18:19]
	ds_read_b64 v[2:3], v49 offset:56
	s_swappc_b64 s[30:31], s[18:19]
	v_mov_b32_e32 v2, v0
	v_mov_b32_e32 v3, v1
	v_mbcnt_lo_u32_b32 v39, -1, 0
	s_mov_b32 s18, exec_lo
	v_mov_b32_dpp v0, v2 row_shr:1 row_mask:0xf bank_mask:0xf
	v_mov_b32_dpp v1, v3 row_shr:1 row_mask:0xf bank_mask:0xf
	v_and_b32_e32 v40, 15, v39
	v_cmpx_ne_u32_e32 0, v40
	s_cbranch_execz .LBB289_11
; %bb.10:
	s_getpc_b64 s[4:5]
	s_add_u32 s4, s4, _ZZZZN2at6native31launch_logcumsumexp_cuda_kernelERKNS_10TensorBaseES3_lENKUlvE_clEvENKUlvE2_clEvENKUlN3c107complexIfEES8_E_clES8_S8_@rel32@lo+4
	s_addc_u32 s5, s5, _ZZZZN2at6native31launch_logcumsumexp_cuda_kernelERKNS_10TensorBaseES3_lENKUlvE_clEvENKUlvE2_clEvENKUlN3c107complexIfEES8_E_clES8_S8_@rel32@hi+12
	s_swappc_b64 s[30:31], s[4:5]
	v_mov_b32_e32 v2, v0
	v_mov_b32_e32 v3, v1
.LBB289_11:
	s_or_b32 exec_lo, exec_lo, s18
	v_mov_b32_dpp v0, v2 row_shr:2 row_mask:0xf bank_mask:0xf
	v_mov_b32_dpp v1, v3 row_shr:2 row_mask:0xf bank_mask:0xf
	s_mov_b32 s18, exec_lo
	v_cmpx_lt_u32_e32 1, v40
	s_cbranch_execz .LBB289_13
; %bb.12:
	s_getpc_b64 s[4:5]
	s_add_u32 s4, s4, _ZZZZN2at6native31launch_logcumsumexp_cuda_kernelERKNS_10TensorBaseES3_lENKUlvE_clEvENKUlvE2_clEvENKUlN3c107complexIfEES8_E_clES8_S8_@rel32@lo+4
	s_addc_u32 s5, s5, _ZZZZN2at6native31launch_logcumsumexp_cuda_kernelERKNS_10TensorBaseES3_lENKUlvE_clEvENKUlvE2_clEvENKUlN3c107complexIfEES8_E_clES8_S8_@rel32@hi+12
	s_swappc_b64 s[30:31], s[4:5]
	v_mov_b32_e32 v2, v0
	v_mov_b32_e32 v3, v1
.LBB289_13:
	s_or_b32 exec_lo, exec_lo, s18
	v_mov_b32_dpp v0, v2 row_shr:4 row_mask:0xf bank_mask:0xf
	v_mov_b32_dpp v1, v3 row_shr:4 row_mask:0xf bank_mask:0xf
	s_mov_b32 s18, exec_lo
	v_cmpx_lt_u32_e32 3, v40
	;; [unrolled: 14-line block ×3, first 2 shown]
	s_cbranch_execz .LBB289_17
; %bb.16:
	s_getpc_b64 s[4:5]
	s_add_u32 s4, s4, _ZZZZN2at6native31launch_logcumsumexp_cuda_kernelERKNS_10TensorBaseES3_lENKUlvE_clEvENKUlvE2_clEvENKUlN3c107complexIfEES8_E_clES8_S8_@rel32@lo+4
	s_addc_u32 s5, s5, _ZZZZN2at6native31launch_logcumsumexp_cuda_kernelERKNS_10TensorBaseES3_lENKUlvE_clEvENKUlvE2_clEvENKUlN3c107complexIfEES8_E_clES8_S8_@rel32@hi+12
	s_swappc_b64 s[30:31], s[4:5]
	v_mov_b32_e32 v2, v0
	v_mov_b32_e32 v3, v1
.LBB289_17:
	s_or_b32 exec_lo, exec_lo, s18
	ds_swizzle_b32 v0, v2 offset:swizzle(BROADCAST,32,15)
	ds_swizzle_b32 v1, v3 offset:swizzle(BROADCAST,32,15)
	v_and_b32_e32 v4, 16, v39
	s_mov_b32 s18, exec_lo
	v_cmpx_ne_u32_e32 0, v4
	s_cbranch_execz .LBB289_19
; %bb.18:
	s_getpc_b64 s[4:5]
	s_add_u32 s4, s4, _ZZZZN2at6native31launch_logcumsumexp_cuda_kernelERKNS_10TensorBaseES3_lENKUlvE_clEvENKUlvE2_clEvENKUlN3c107complexIfEES8_E_clES8_S8_@rel32@lo+4
	s_addc_u32 s5, s5, _ZZZZN2at6native31launch_logcumsumexp_cuda_kernelERKNS_10TensorBaseES3_lENKUlvE_clEvENKUlvE2_clEvENKUlN3c107complexIfEES8_E_clES8_S8_@rel32@hi+12
	s_swappc_b64 s[30:31], s[4:5]
	v_mov_b32_e32 v2, v0
	v_mov_b32_e32 v3, v1
.LBB289_19:
	s_or_b32 exec_lo, exec_lo, s18
	s_waitcnt lgkmcnt(1)
	v_add_nc_u32_e32 v0, -1, v39
	s_getpc_b64 s[18:19]
	s_add_u32 s18, s18, _ZZZZN2at6native31launch_logcumsumexp_cuda_kernelERKNS_10TensorBaseES3_lENKUlvE_clEvENKUlvE2_clEvENKUlN3c107complexIfEES8_E_clES8_S8_@rel32@lo+4
	s_addc_u32 s19, s19, _ZZZZN2at6native31launch_logcumsumexp_cuda_kernelERKNS_10TensorBaseES3_lENKUlvE_clEvENKUlvE2_clEvENKUlN3c107complexIfEES8_E_clES8_S8_@rel32@hi+12
	v_cmp_gt_i32_e32 vcc_lo, 0, v0
	v_cndmask_b32_e32 v0, v0, v39, vcc_lo
	s_waitcnt lgkmcnt(0)
	v_lshlrev_b32_e32 v1, 2, v0
	ds_bpermute_b32 v0, v1, v2
	ds_bpermute_b32 v1, v1, v3
	v_mov_b32_e32 v2, v34
	v_mov_b32_e32 v3, v35
	s_swappc_b64 s[30:31], s[18:19]
	v_cmp_eq_u32_e32 vcc_lo, 0, v36
	; wave barrier
	v_cndmask_b32_e32 v0, v0, v32, vcc_lo
	v_cndmask_b32_e32 v1, v1, v33, vcc_lo
	ds_write_b64 v49, v[0:1]
	; wave barrier
	ds_read2_b64 v[39:42], v49 offset0:1 offset1:2
	s_waitcnt lgkmcnt(0)
	v_mov_b32_e32 v2, v39
	v_mov_b32_e32 v3, v40
	s_swappc_b64 s[30:31], s[18:19]
	v_mov_b32_e32 v2, v41
	v_mov_b32_e32 v3, v42
	;; [unrolled: 1-line block ×4, first 2 shown]
	s_swappc_b64 s[30:31], s[18:19]
	ds_read2_b64 v[39:42], v49 offset0:3 offset1:4
	ds_write2_b64 v49, v[34:35], v[0:1] offset0:1 offset1:2
	s_waitcnt lgkmcnt(1)
	v_mov_b32_e32 v2, v39
	v_mov_b32_e32 v3, v40
	s_swappc_b64 s[30:31], s[18:19]
	v_mov_b32_e32 v2, v41
	v_mov_b32_e32 v3, v42
	;; [unrolled: 1-line block ×4, first 2 shown]
	s_swappc_b64 s[30:31], s[18:19]
	ds_read2_b64 v[39:42], v49 offset0:5 offset1:6
	ds_write2_b64 v49, v[34:35], v[0:1] offset0:3 offset1:4
	s_waitcnt lgkmcnt(1)
	v_mov_b32_e32 v2, v39
	v_mov_b32_e32 v3, v40
	s_swappc_b64 s[30:31], s[18:19]
	v_mov_b32_e32 v2, v41
	v_mov_b32_e32 v3, v42
	;; [unrolled: 1-line block ×4, first 2 shown]
	s_swappc_b64 s[30:31], s[18:19]
	ds_read_b64 v[2:3], v49 offset:56
	ds_write2_b64 v49, v[34:35], v[0:1] offset0:5 offset1:6
	s_swappc_b64 s[30:31], s[18:19]
	ds_write_b64 v49, v[0:1] offset:56
.LBB289_20:
	s_or_b32 exec_lo, exec_lo, s15
	s_mov_b32 s15, exec_lo
	s_waitcnt lgkmcnt(0)
	s_waitcnt_vscnt null, 0x0
	s_barrier
	buffer_gl0_inv
	v_cmpx_ne_u32_e32 0, v36
	s_cbranch_execz .LBB289_22
; %bb.21:
	v_add_nc_u32_e32 v0, -1, v36
	v_mov_b32_e32 v2, v22
	v_mov_b32_e32 v3, v23
	s_getpc_b64 s[18:19]
	s_add_u32 s18, s18, _ZZZZN2at6native31launch_logcumsumexp_cuda_kernelERKNS_10TensorBaseES3_lENKUlvE_clEvENKUlvE2_clEvENKUlN3c107complexIfEES8_E_clES8_S8_@rel32@lo+4
	s_addc_u32 s19, s19, _ZZZZN2at6native31launch_logcumsumexp_cuda_kernelERKNS_10TensorBaseES3_lENKUlvE_clEvENKUlvE2_clEvENKUlN3c107complexIfEES8_E_clES8_S8_@rel32@hi+12
	v_lshrrev_b32_e32 v1, 2, v0
	v_and_b32_e32 v1, 0x3ffffff8, v1
	v_lshl_add_u32 v0, v0, 3, v1
	ds_read_b64 v[0:1], v0
	s_swappc_b64 s[30:31], s[18:19]
	v_mov_b32_e32 v2, v24
	v_mov_b32_e32 v3, v25
	;; [unrolled: 1-line block ×4, first 2 shown]
	;;#ASMSTART
	;;#ASMEND
	s_swappc_b64 s[30:31], s[18:19]
	v_mov_b32_e32 v2, v26
	v_mov_b32_e32 v3, v27
	;; [unrolled: 1-line block ×4, first 2 shown]
	s_swappc_b64 s[30:31], s[18:19]
	v_mov_b32_e32 v2, v28
	v_mov_b32_e32 v3, v29
	;; [unrolled: 1-line block ×4, first 2 shown]
	s_swappc_b64 s[30:31], s[18:19]
	v_mov_b32_e32 v32, v0
	v_mov_b32_e32 v33, v1
.LBB289_22:
	s_or_b32 exec_lo, exec_lo, s15
	v_mov_b32_e32 v0, v37
	v_mov_b32_e32 v1, v38
	s_waitcnt_vscnt null, 0x0
	s_barrier
	buffer_gl0_inv
	ds_write2_b64 v48, v[22:23], v[0:1] offset1:1
	ds_write2_b64 v48, v[30:31], v[32:33] offset0:2 offset1:3
	s_waitcnt lgkmcnt(0)
	s_barrier
	buffer_gl0_inv
	ds_read_b64 v[6:7], v45 offset:2048
	ds_read_b64 v[4:5], v46 offset:4096
	;; [unrolled: 1-line block ×3, first 2 shown]
	v_add_co_u32 v2, s4, s16, v43
	v_add_co_ci_u32_e64 v3, null, s17, 0, s4
	s_and_saveexec_b32 s4, s11
	s_cbranch_execnz .LBB289_27
; %bb.23:
	s_or_b32 exec_lo, exec_lo, s4
	s_and_saveexec_b32 s4, s12
	s_cbranch_execnz .LBB289_28
.LBB289_24:
	s_or_b32 exec_lo, exec_lo, s4
	s_and_saveexec_b32 s4, s13
	s_cbranch_execnz .LBB289_29
.LBB289_25:
	s_or_b32 exec_lo, exec_lo, s4
	s_and_saveexec_b32 s4, s14
	s_cbranch_execnz .LBB289_30
.LBB289_26:
	s_endpgm
.LBB289_27:
	ds_read_b64 v[8:9], v44
	s_waitcnt lgkmcnt(0)
	global_store_dwordx2 v[2:3], v[8:9], off
	s_or_b32 exec_lo, exec_lo, s4
	s_and_saveexec_b32 s4, s12
	s_cbranch_execz .LBB289_24
.LBB289_28:
	v_add_co_u32 v8, vcc_lo, 0x800, v2
	v_add_co_ci_u32_e64 v9, null, 0, v3, vcc_lo
	s_waitcnt lgkmcnt(2)
	global_store_dwordx2 v[8:9], v[6:7], off
	s_or_b32 exec_lo, exec_lo, s4
	s_and_saveexec_b32 s4, s13
	s_cbranch_execz .LBB289_25
.LBB289_29:
	s_waitcnt lgkmcnt(2)
	v_add_co_u32 v6, vcc_lo, 0x1000, v2
	v_add_co_ci_u32_e64 v7, null, 0, v3, vcc_lo
	s_waitcnt lgkmcnt(1)
	global_store_dwordx2 v[6:7], v[4:5], off
	s_or_b32 exec_lo, exec_lo, s4
	s_and_saveexec_b32 s4, s14
	s_cbranch_execz .LBB289_26
.LBB289_30:
	v_add_co_u32 v2, vcc_lo, 0x1800, v2
	v_add_co_ci_u32_e64 v3, null, 0, v3, vcc_lo
	s_waitcnt lgkmcnt(0)
	global_store_dwordx2 v[2:3], v[0:1], off
	s_endpgm
	.section	.rodata,"a",@progbits
	.p2align	6, 0x0
	.amdhsa_kernel _ZN7rocprim17ROCPRIM_400000_NS6detail17trampoline_kernelINS0_14default_configENS1_20scan_config_selectorIN3c107complexIfEEEEZZNS1_9scan_implILNS1_25lookback_scan_determinismE0ELb0ELb0ES3_PKS7_PS7_S7_ZZZN2at6native31launch_logcumsumexp_cuda_kernelERKNSE_10TensorBaseESI_lENKUlvE_clEvENKUlvE2_clEvEUlS7_S7_E_S7_EEDaPvRmT3_T4_T5_mT6_P12ihipStream_tbENKUlT_T0_E_clISt17integral_constantIbLb0EESZ_EEDaSU_SV_EUlSU_E0_NS1_11comp_targetILNS1_3genE8ELNS1_11target_archE1030ELNS1_3gpuE2ELNS1_3repE0EEENS1_30default_config_static_selectorELNS0_4arch9wavefront6targetE0EEEvT1_
		.amdhsa_group_segment_fixed_size 8448
		.amdhsa_private_segment_fixed_size 0
		.amdhsa_kernarg_size 40
		.amdhsa_user_sgpr_count 6
		.amdhsa_user_sgpr_private_segment_buffer 1
		.amdhsa_user_sgpr_dispatch_ptr 0
		.amdhsa_user_sgpr_queue_ptr 0
		.amdhsa_user_sgpr_kernarg_segment_ptr 1
		.amdhsa_user_sgpr_dispatch_id 0
		.amdhsa_user_sgpr_flat_scratch_init 0
		.amdhsa_user_sgpr_private_segment_size 0
		.amdhsa_wavefront_size32 1
		.amdhsa_uses_dynamic_stack 0
		.amdhsa_system_sgpr_private_segment_wavefront_offset 0
		.amdhsa_system_sgpr_workgroup_id_x 1
		.amdhsa_system_sgpr_workgroup_id_y 0
		.amdhsa_system_sgpr_workgroup_id_z 0
		.amdhsa_system_sgpr_workgroup_info 0
		.amdhsa_system_vgpr_workitem_id 0
		.amdhsa_next_free_vgpr 50
		.amdhsa_next_free_sgpr 33
		.amdhsa_reserve_vcc 1
		.amdhsa_reserve_flat_scratch 0
		.amdhsa_float_round_mode_32 0
		.amdhsa_float_round_mode_16_64 0
		.amdhsa_float_denorm_mode_32 3
		.amdhsa_float_denorm_mode_16_64 3
		.amdhsa_dx10_clamp 1
		.amdhsa_ieee_mode 1
		.amdhsa_fp16_overflow 0
		.amdhsa_workgroup_processor_mode 1
		.amdhsa_memory_ordered 1
		.amdhsa_forward_progress 1
		.amdhsa_shared_vgpr_count 0
		.amdhsa_exception_fp_ieee_invalid_op 0
		.amdhsa_exception_fp_denorm_src 0
		.amdhsa_exception_fp_ieee_div_zero 0
		.amdhsa_exception_fp_ieee_overflow 0
		.amdhsa_exception_fp_ieee_underflow 0
		.amdhsa_exception_fp_ieee_inexact 0
		.amdhsa_exception_int_div_zero 0
	.end_amdhsa_kernel
	.section	.text._ZN7rocprim17ROCPRIM_400000_NS6detail17trampoline_kernelINS0_14default_configENS1_20scan_config_selectorIN3c107complexIfEEEEZZNS1_9scan_implILNS1_25lookback_scan_determinismE0ELb0ELb0ES3_PKS7_PS7_S7_ZZZN2at6native31launch_logcumsumexp_cuda_kernelERKNSE_10TensorBaseESI_lENKUlvE_clEvENKUlvE2_clEvEUlS7_S7_E_S7_EEDaPvRmT3_T4_T5_mT6_P12ihipStream_tbENKUlT_T0_E_clISt17integral_constantIbLb0EESZ_EEDaSU_SV_EUlSU_E0_NS1_11comp_targetILNS1_3genE8ELNS1_11target_archE1030ELNS1_3gpuE2ELNS1_3repE0EEENS1_30default_config_static_selectorELNS0_4arch9wavefront6targetE0EEEvT1_,"axG",@progbits,_ZN7rocprim17ROCPRIM_400000_NS6detail17trampoline_kernelINS0_14default_configENS1_20scan_config_selectorIN3c107complexIfEEEEZZNS1_9scan_implILNS1_25lookback_scan_determinismE0ELb0ELb0ES3_PKS7_PS7_S7_ZZZN2at6native31launch_logcumsumexp_cuda_kernelERKNSE_10TensorBaseESI_lENKUlvE_clEvENKUlvE2_clEvEUlS7_S7_E_S7_EEDaPvRmT3_T4_T5_mT6_P12ihipStream_tbENKUlT_T0_E_clISt17integral_constantIbLb0EESZ_EEDaSU_SV_EUlSU_E0_NS1_11comp_targetILNS1_3genE8ELNS1_11target_archE1030ELNS1_3gpuE2ELNS1_3repE0EEENS1_30default_config_static_selectorELNS0_4arch9wavefront6targetE0EEEvT1_,comdat
.Lfunc_end289:
	.size	_ZN7rocprim17ROCPRIM_400000_NS6detail17trampoline_kernelINS0_14default_configENS1_20scan_config_selectorIN3c107complexIfEEEEZZNS1_9scan_implILNS1_25lookback_scan_determinismE0ELb0ELb0ES3_PKS7_PS7_S7_ZZZN2at6native31launch_logcumsumexp_cuda_kernelERKNSE_10TensorBaseESI_lENKUlvE_clEvENKUlvE2_clEvEUlS7_S7_E_S7_EEDaPvRmT3_T4_T5_mT6_P12ihipStream_tbENKUlT_T0_E_clISt17integral_constantIbLb0EESZ_EEDaSU_SV_EUlSU_E0_NS1_11comp_targetILNS1_3genE8ELNS1_11target_archE1030ELNS1_3gpuE2ELNS1_3repE0EEENS1_30default_config_static_selectorELNS0_4arch9wavefront6targetE0EEEvT1_, .Lfunc_end289-_ZN7rocprim17ROCPRIM_400000_NS6detail17trampoline_kernelINS0_14default_configENS1_20scan_config_selectorIN3c107complexIfEEEEZZNS1_9scan_implILNS1_25lookback_scan_determinismE0ELb0ELb0ES3_PKS7_PS7_S7_ZZZN2at6native31launch_logcumsumexp_cuda_kernelERKNSE_10TensorBaseESI_lENKUlvE_clEvENKUlvE2_clEvEUlS7_S7_E_S7_EEDaPvRmT3_T4_T5_mT6_P12ihipStream_tbENKUlT_T0_E_clISt17integral_constantIbLb0EESZ_EEDaSU_SV_EUlSU_E0_NS1_11comp_targetILNS1_3genE8ELNS1_11target_archE1030ELNS1_3gpuE2ELNS1_3repE0EEENS1_30default_config_static_selectorELNS0_4arch9wavefront6targetE0EEEvT1_
                                        ; -- End function
	.set _ZN7rocprim17ROCPRIM_400000_NS6detail17trampoline_kernelINS0_14default_configENS1_20scan_config_selectorIN3c107complexIfEEEEZZNS1_9scan_implILNS1_25lookback_scan_determinismE0ELb0ELb0ES3_PKS7_PS7_S7_ZZZN2at6native31launch_logcumsumexp_cuda_kernelERKNSE_10TensorBaseESI_lENKUlvE_clEvENKUlvE2_clEvEUlS7_S7_E_S7_EEDaPvRmT3_T4_T5_mT6_P12ihipStream_tbENKUlT_T0_E_clISt17integral_constantIbLb0EESZ_EEDaSU_SV_EUlSU_E0_NS1_11comp_targetILNS1_3genE8ELNS1_11target_archE1030ELNS1_3gpuE2ELNS1_3repE0EEENS1_30default_config_static_selectorELNS0_4arch9wavefront6targetE0EEEvT1_.num_vgpr, max(50, .L_ZZZZN2at6native31launch_logcumsumexp_cuda_kernelERKNS_10TensorBaseES3_lENKUlvE_clEvENKUlvE2_clEvENKUlN3c107complexIfEES8_E_clES8_S8_.num_vgpr)
	.set _ZN7rocprim17ROCPRIM_400000_NS6detail17trampoline_kernelINS0_14default_configENS1_20scan_config_selectorIN3c107complexIfEEEEZZNS1_9scan_implILNS1_25lookback_scan_determinismE0ELb0ELb0ES3_PKS7_PS7_S7_ZZZN2at6native31launch_logcumsumexp_cuda_kernelERKNSE_10TensorBaseESI_lENKUlvE_clEvENKUlvE2_clEvEUlS7_S7_E_S7_EEDaPvRmT3_T4_T5_mT6_P12ihipStream_tbENKUlT_T0_E_clISt17integral_constantIbLb0EESZ_EEDaSU_SV_EUlSU_E0_NS1_11comp_targetILNS1_3genE8ELNS1_11target_archE1030ELNS1_3gpuE2ELNS1_3repE0EEENS1_30default_config_static_selectorELNS0_4arch9wavefront6targetE0EEEvT1_.num_agpr, max(0, .L_ZZZZN2at6native31launch_logcumsumexp_cuda_kernelERKNS_10TensorBaseES3_lENKUlvE_clEvENKUlvE2_clEvENKUlN3c107complexIfEES8_E_clES8_S8_.num_agpr)
	.set _ZN7rocprim17ROCPRIM_400000_NS6detail17trampoline_kernelINS0_14default_configENS1_20scan_config_selectorIN3c107complexIfEEEEZZNS1_9scan_implILNS1_25lookback_scan_determinismE0ELb0ELb0ES3_PKS7_PS7_S7_ZZZN2at6native31launch_logcumsumexp_cuda_kernelERKNSE_10TensorBaseESI_lENKUlvE_clEvENKUlvE2_clEvEUlS7_S7_E_S7_EEDaPvRmT3_T4_T5_mT6_P12ihipStream_tbENKUlT_T0_E_clISt17integral_constantIbLb0EESZ_EEDaSU_SV_EUlSU_E0_NS1_11comp_targetILNS1_3genE8ELNS1_11target_archE1030ELNS1_3gpuE2ELNS1_3repE0EEENS1_30default_config_static_selectorELNS0_4arch9wavefront6targetE0EEEvT1_.numbered_sgpr, max(33, .L_ZZZZN2at6native31launch_logcumsumexp_cuda_kernelERKNS_10TensorBaseES3_lENKUlvE_clEvENKUlvE2_clEvENKUlN3c107complexIfEES8_E_clES8_S8_.numbered_sgpr)
	.set _ZN7rocprim17ROCPRIM_400000_NS6detail17trampoline_kernelINS0_14default_configENS1_20scan_config_selectorIN3c107complexIfEEEEZZNS1_9scan_implILNS1_25lookback_scan_determinismE0ELb0ELb0ES3_PKS7_PS7_S7_ZZZN2at6native31launch_logcumsumexp_cuda_kernelERKNSE_10TensorBaseESI_lENKUlvE_clEvENKUlvE2_clEvEUlS7_S7_E_S7_EEDaPvRmT3_T4_T5_mT6_P12ihipStream_tbENKUlT_T0_E_clISt17integral_constantIbLb0EESZ_EEDaSU_SV_EUlSU_E0_NS1_11comp_targetILNS1_3genE8ELNS1_11target_archE1030ELNS1_3gpuE2ELNS1_3repE0EEENS1_30default_config_static_selectorELNS0_4arch9wavefront6targetE0EEEvT1_.num_named_barrier, max(0, .L_ZZZZN2at6native31launch_logcumsumexp_cuda_kernelERKNS_10TensorBaseES3_lENKUlvE_clEvENKUlvE2_clEvENKUlN3c107complexIfEES8_E_clES8_S8_.num_named_barrier)
	.set _ZN7rocprim17ROCPRIM_400000_NS6detail17trampoline_kernelINS0_14default_configENS1_20scan_config_selectorIN3c107complexIfEEEEZZNS1_9scan_implILNS1_25lookback_scan_determinismE0ELb0ELb0ES3_PKS7_PS7_S7_ZZZN2at6native31launch_logcumsumexp_cuda_kernelERKNSE_10TensorBaseESI_lENKUlvE_clEvENKUlvE2_clEvEUlS7_S7_E_S7_EEDaPvRmT3_T4_T5_mT6_P12ihipStream_tbENKUlT_T0_E_clISt17integral_constantIbLb0EESZ_EEDaSU_SV_EUlSU_E0_NS1_11comp_targetILNS1_3genE8ELNS1_11target_archE1030ELNS1_3gpuE2ELNS1_3repE0EEENS1_30default_config_static_selectorELNS0_4arch9wavefront6targetE0EEEvT1_.private_seg_size, 0+max(.L_ZZZZN2at6native31launch_logcumsumexp_cuda_kernelERKNS_10TensorBaseES3_lENKUlvE_clEvENKUlvE2_clEvENKUlN3c107complexIfEES8_E_clES8_S8_.private_seg_size)
	.set _ZN7rocprim17ROCPRIM_400000_NS6detail17trampoline_kernelINS0_14default_configENS1_20scan_config_selectorIN3c107complexIfEEEEZZNS1_9scan_implILNS1_25lookback_scan_determinismE0ELb0ELb0ES3_PKS7_PS7_S7_ZZZN2at6native31launch_logcumsumexp_cuda_kernelERKNSE_10TensorBaseESI_lENKUlvE_clEvENKUlvE2_clEvEUlS7_S7_E_S7_EEDaPvRmT3_T4_T5_mT6_P12ihipStream_tbENKUlT_T0_E_clISt17integral_constantIbLb0EESZ_EEDaSU_SV_EUlSU_E0_NS1_11comp_targetILNS1_3genE8ELNS1_11target_archE1030ELNS1_3gpuE2ELNS1_3repE0EEENS1_30default_config_static_selectorELNS0_4arch9wavefront6targetE0EEEvT1_.uses_vcc, or(1, .L_ZZZZN2at6native31launch_logcumsumexp_cuda_kernelERKNS_10TensorBaseES3_lENKUlvE_clEvENKUlvE2_clEvENKUlN3c107complexIfEES8_E_clES8_S8_.uses_vcc)
	.set _ZN7rocprim17ROCPRIM_400000_NS6detail17trampoline_kernelINS0_14default_configENS1_20scan_config_selectorIN3c107complexIfEEEEZZNS1_9scan_implILNS1_25lookback_scan_determinismE0ELb0ELb0ES3_PKS7_PS7_S7_ZZZN2at6native31launch_logcumsumexp_cuda_kernelERKNSE_10TensorBaseESI_lENKUlvE_clEvENKUlvE2_clEvEUlS7_S7_E_S7_EEDaPvRmT3_T4_T5_mT6_P12ihipStream_tbENKUlT_T0_E_clISt17integral_constantIbLb0EESZ_EEDaSU_SV_EUlSU_E0_NS1_11comp_targetILNS1_3genE8ELNS1_11target_archE1030ELNS1_3gpuE2ELNS1_3repE0EEENS1_30default_config_static_selectorELNS0_4arch9wavefront6targetE0EEEvT1_.uses_flat_scratch, or(0, .L_ZZZZN2at6native31launch_logcumsumexp_cuda_kernelERKNS_10TensorBaseES3_lENKUlvE_clEvENKUlvE2_clEvENKUlN3c107complexIfEES8_E_clES8_S8_.uses_flat_scratch)
	.set _ZN7rocprim17ROCPRIM_400000_NS6detail17trampoline_kernelINS0_14default_configENS1_20scan_config_selectorIN3c107complexIfEEEEZZNS1_9scan_implILNS1_25lookback_scan_determinismE0ELb0ELb0ES3_PKS7_PS7_S7_ZZZN2at6native31launch_logcumsumexp_cuda_kernelERKNSE_10TensorBaseESI_lENKUlvE_clEvENKUlvE2_clEvEUlS7_S7_E_S7_EEDaPvRmT3_T4_T5_mT6_P12ihipStream_tbENKUlT_T0_E_clISt17integral_constantIbLb0EESZ_EEDaSU_SV_EUlSU_E0_NS1_11comp_targetILNS1_3genE8ELNS1_11target_archE1030ELNS1_3gpuE2ELNS1_3repE0EEENS1_30default_config_static_selectorELNS0_4arch9wavefront6targetE0EEEvT1_.has_dyn_sized_stack, or(0, .L_ZZZZN2at6native31launch_logcumsumexp_cuda_kernelERKNS_10TensorBaseES3_lENKUlvE_clEvENKUlvE2_clEvENKUlN3c107complexIfEES8_E_clES8_S8_.has_dyn_sized_stack)
	.set _ZN7rocprim17ROCPRIM_400000_NS6detail17trampoline_kernelINS0_14default_configENS1_20scan_config_selectorIN3c107complexIfEEEEZZNS1_9scan_implILNS1_25lookback_scan_determinismE0ELb0ELb0ES3_PKS7_PS7_S7_ZZZN2at6native31launch_logcumsumexp_cuda_kernelERKNSE_10TensorBaseESI_lENKUlvE_clEvENKUlvE2_clEvEUlS7_S7_E_S7_EEDaPvRmT3_T4_T5_mT6_P12ihipStream_tbENKUlT_T0_E_clISt17integral_constantIbLb0EESZ_EEDaSU_SV_EUlSU_E0_NS1_11comp_targetILNS1_3genE8ELNS1_11target_archE1030ELNS1_3gpuE2ELNS1_3repE0EEENS1_30default_config_static_selectorELNS0_4arch9wavefront6targetE0EEEvT1_.has_recursion, or(0, .L_ZZZZN2at6native31launch_logcumsumexp_cuda_kernelERKNS_10TensorBaseES3_lENKUlvE_clEvENKUlvE2_clEvENKUlN3c107complexIfEES8_E_clES8_S8_.has_recursion)
	.set _ZN7rocprim17ROCPRIM_400000_NS6detail17trampoline_kernelINS0_14default_configENS1_20scan_config_selectorIN3c107complexIfEEEEZZNS1_9scan_implILNS1_25lookback_scan_determinismE0ELb0ELb0ES3_PKS7_PS7_S7_ZZZN2at6native31launch_logcumsumexp_cuda_kernelERKNSE_10TensorBaseESI_lENKUlvE_clEvENKUlvE2_clEvEUlS7_S7_E_S7_EEDaPvRmT3_T4_T5_mT6_P12ihipStream_tbENKUlT_T0_E_clISt17integral_constantIbLb0EESZ_EEDaSU_SV_EUlSU_E0_NS1_11comp_targetILNS1_3genE8ELNS1_11target_archE1030ELNS1_3gpuE2ELNS1_3repE0EEENS1_30default_config_static_selectorELNS0_4arch9wavefront6targetE0EEEvT1_.has_indirect_call, or(0, .L_ZZZZN2at6native31launch_logcumsumexp_cuda_kernelERKNS_10TensorBaseES3_lENKUlvE_clEvENKUlvE2_clEvENKUlN3c107complexIfEES8_E_clES8_S8_.has_indirect_call)
	.section	.AMDGPU.csdata,"",@progbits
; Kernel info:
; codeLenInByte = 1768
; TotalNumSgprs: 35
; NumVgprs: 50
; ScratchSize: 0
; MemoryBound: 0
; FloatMode: 240
; IeeeMode: 1
; LDSByteSize: 8448 bytes/workgroup (compile time only)
; SGPRBlocks: 0
; VGPRBlocks: 6
; NumSGPRsForWavesPerEU: 35
; NumVGPRsForWavesPerEU: 50
; Occupancy: 16
; WaveLimiterHint : 0
; COMPUTE_PGM_RSRC2:SCRATCH_EN: 0
; COMPUTE_PGM_RSRC2:USER_SGPR: 6
; COMPUTE_PGM_RSRC2:TRAP_HANDLER: 0
; COMPUTE_PGM_RSRC2:TGID_X_EN: 1
; COMPUTE_PGM_RSRC2:TGID_Y_EN: 0
; COMPUTE_PGM_RSRC2:TGID_Z_EN: 0
; COMPUTE_PGM_RSRC2:TIDIG_COMP_CNT: 0
	.section	.text._ZN7rocprim17ROCPRIM_400000_NS6detail31init_lookback_scan_state_kernelINS1_19lookback_scan_stateIN3c107complexIfEELb1ELb1EEENS1_16block_id_wrapperIjLb1EEEEEvT_jT0_jPNSA_10value_typeE,"axG",@progbits,_ZN7rocprim17ROCPRIM_400000_NS6detail31init_lookback_scan_state_kernelINS1_19lookback_scan_stateIN3c107complexIfEELb1ELb1EEENS1_16block_id_wrapperIjLb1EEEEEvT_jT0_jPNSA_10value_typeE,comdat
	.protected	_ZN7rocprim17ROCPRIM_400000_NS6detail31init_lookback_scan_state_kernelINS1_19lookback_scan_stateIN3c107complexIfEELb1ELb1EEENS1_16block_id_wrapperIjLb1EEEEEvT_jT0_jPNSA_10value_typeE ; -- Begin function _ZN7rocprim17ROCPRIM_400000_NS6detail31init_lookback_scan_state_kernelINS1_19lookback_scan_stateIN3c107complexIfEELb1ELb1EEENS1_16block_id_wrapperIjLb1EEEEEvT_jT0_jPNSA_10value_typeE
	.globl	_ZN7rocprim17ROCPRIM_400000_NS6detail31init_lookback_scan_state_kernelINS1_19lookback_scan_stateIN3c107complexIfEELb1ELb1EEENS1_16block_id_wrapperIjLb1EEEEEvT_jT0_jPNSA_10value_typeE
	.p2align	8
	.type	_ZN7rocprim17ROCPRIM_400000_NS6detail31init_lookback_scan_state_kernelINS1_19lookback_scan_stateIN3c107complexIfEELb1ELb1EEENS1_16block_id_wrapperIjLb1EEEEEvT_jT0_jPNSA_10value_typeE,@function
_ZN7rocprim17ROCPRIM_400000_NS6detail31init_lookback_scan_state_kernelINS1_19lookback_scan_stateIN3c107complexIfEELb1ELb1EEENS1_16block_id_wrapperIjLb1EEEEEvT_jT0_jPNSA_10value_typeE: ; @_ZN7rocprim17ROCPRIM_400000_NS6detail31init_lookback_scan_state_kernelINS1_19lookback_scan_stateIN3c107complexIfEELb1ELb1EEENS1_16block_id_wrapperIjLb1EEEEEvT_jT0_jPNSA_10value_typeE
; %bb.0:
	s_clause 0x3
	s_load_dword s7, s[4:5], 0x34
	s_load_dwordx2 s[2:3], s[4:5], 0x20
	s_load_dwordx2 s[0:1], s[4:5], 0x0
	s_load_dword s8, s[4:5], 0x8
	s_waitcnt lgkmcnt(0)
	s_and_b32 s7, s7, 0xffff
	s_cmp_eq_u64 s[2:3], 0
	v_mad_u64_u32 v[0:1], null, s6, s7, v[0:1]
	s_cbranch_scc1 .LBB290_10
; %bb.1:
	s_load_dword s6, s[4:5], 0x18
	s_waitcnt lgkmcnt(0)
	s_cmp_lt_u32 s6, s8
	s_cselect_b32 s7, s6, 0
	v_cmp_eq_u32_e32 vcc_lo, s7, v0
	s_mov_b32 s7, 0
	s_and_saveexec_b32 s9, vcc_lo
	s_cbranch_execz .LBB290_9
; %bb.2:
	s_add_i32 s6, s6, 32
	v_mov_b32_e32 v5, 0
	s_lshl_b64 s[6:7], s[6:7], 4
	s_mov_b32 s10, exec_lo
	s_add_u32 s6, s0, s6
	s_addc_u32 s7, s1, s7
	v_mov_b32_e32 v1, s6
	v_mov_b32_e32 v2, s7
	;;#ASMSTART
	global_load_dwordx4 v[1:4], v[1:2] off glc dlc	
s_waitcnt vmcnt(0)
	;;#ASMEND
	v_and_b32_e32 v4, 0xff, v3
	v_cmpx_eq_u64_e32 0, v[4:5]
	s_cbranch_execz .LBB290_8
; %bb.3:
	v_mov_b32_e32 v6, s6
	v_mov_b32_e32 v7, s7
	s_mov_b32 s7, 1
	s_mov_b32 s6, 0
	.p2align	6
.LBB290_4:                              ; =>This Loop Header: Depth=1
                                        ;     Child Loop BB290_5 Depth 2
	s_mov_b32 s11, s7
.LBB290_5:                              ;   Parent Loop BB290_4 Depth=1
                                        ; =>  This Inner Loop Header: Depth=2
	s_add_i32 s11, s11, -1
	s_sleep 1
	s_cmp_eq_u32 s11, 0
	s_cbranch_scc0 .LBB290_5
; %bb.6:                                ;   in Loop: Header=BB290_4 Depth=1
	;;#ASMSTART
	global_load_dwordx4 v[1:4], v[6:7] off glc dlc	
s_waitcnt vmcnt(0)
	;;#ASMEND
	v_and_b32_e32 v4, 0xff, v3
	s_cmp_lt_u32 s7, 32
	s_cselect_b32 s11, -1, 0
	s_cmp_lg_u32 s11, 0
	v_cmp_ne_u64_e32 vcc_lo, 0, v[4:5]
	s_addc_u32 s7, s7, 0
	s_or_b32 s6, vcc_lo, s6
	s_andn2_b32 exec_lo, exec_lo, s6
	s_cbranch_execnz .LBB290_4
; %bb.7:
	s_or_b32 exec_lo, exec_lo, s6
.LBB290_8:
	s_or_b32 exec_lo, exec_lo, s10
	v_mov_b32_e32 v3, 0
	global_store_dwordx2 v3, v[1:2], s[2:3]
.LBB290_9:
	s_or_b32 exec_lo, exec_lo, s9
.LBB290_10:
	s_mov_b32 s2, exec_lo
	v_cmpx_eq_u32_e32 0, v0
	s_cbranch_execz .LBB290_12
; %bb.11:
	s_load_dwordx2 s[4:5], s[4:5], 0x10
	v_mov_b32_e32 v1, 0
	s_waitcnt lgkmcnt(0)
	global_store_dword v1, v1, s[4:5]
.LBB290_12:
	s_or_b32 exec_lo, exec_lo, s2
	s_mov_b32 s2, exec_lo
	v_cmpx_gt_u32_e64 s8, v0
	s_cbranch_execz .LBB290_14
; %bb.13:
	v_add_nc_u32_e32 v1, 32, v0
	v_mov_b32_e32 v2, 0
	v_lshlrev_b64 v[4:5], 4, v[1:2]
	v_mov_b32_e32 v1, v2
	v_mov_b32_e32 v3, v2
	v_add_co_u32 v6, vcc_lo, s0, v4
	v_add_co_ci_u32_e64 v7, null, s1, v5, vcc_lo
	v_mov_b32_e32 v4, v2
	global_store_dwordx4 v[6:7], v[1:4], off
.LBB290_14:
	s_or_b32 exec_lo, exec_lo, s2
	s_mov_b32 s2, exec_lo
	v_cmpx_gt_u32_e32 32, v0
	s_cbranch_execz .LBB290_16
; %bb.15:
	v_mov_b32_e32 v1, 0
	v_mov_b32_e32 v2, 0xff
	v_lshlrev_b64 v[3:4], 4, v[0:1]
	v_mov_b32_e32 v0, v1
	v_add_co_u32 v5, vcc_lo, s0, v3
	v_add_co_ci_u32_e64 v6, null, s1, v4, vcc_lo
	v_mov_b32_e32 v3, v1
	global_store_dwordx4 v[5:6], v[0:3], off
.LBB290_16:
	s_endpgm
	.section	.rodata,"a",@progbits
	.p2align	6, 0x0
	.amdhsa_kernel _ZN7rocprim17ROCPRIM_400000_NS6detail31init_lookback_scan_state_kernelINS1_19lookback_scan_stateIN3c107complexIfEELb1ELb1EEENS1_16block_id_wrapperIjLb1EEEEEvT_jT0_jPNSA_10value_typeE
		.amdhsa_group_segment_fixed_size 0
		.amdhsa_private_segment_fixed_size 0
		.amdhsa_kernarg_size 296
		.amdhsa_user_sgpr_count 6
		.amdhsa_user_sgpr_private_segment_buffer 1
		.amdhsa_user_sgpr_dispatch_ptr 0
		.amdhsa_user_sgpr_queue_ptr 0
		.amdhsa_user_sgpr_kernarg_segment_ptr 1
		.amdhsa_user_sgpr_dispatch_id 0
		.amdhsa_user_sgpr_flat_scratch_init 0
		.amdhsa_user_sgpr_private_segment_size 0
		.amdhsa_wavefront_size32 1
		.amdhsa_uses_dynamic_stack 0
		.amdhsa_system_sgpr_private_segment_wavefront_offset 0
		.amdhsa_system_sgpr_workgroup_id_x 1
		.amdhsa_system_sgpr_workgroup_id_y 0
		.amdhsa_system_sgpr_workgroup_id_z 0
		.amdhsa_system_sgpr_workgroup_info 0
		.amdhsa_system_vgpr_workitem_id 0
		.amdhsa_next_free_vgpr 8
		.amdhsa_next_free_sgpr 12
		.amdhsa_reserve_vcc 1
		.amdhsa_reserve_flat_scratch 0
		.amdhsa_float_round_mode_32 0
		.amdhsa_float_round_mode_16_64 0
		.amdhsa_float_denorm_mode_32 3
		.amdhsa_float_denorm_mode_16_64 3
		.amdhsa_dx10_clamp 1
		.amdhsa_ieee_mode 1
		.amdhsa_fp16_overflow 0
		.amdhsa_workgroup_processor_mode 1
		.amdhsa_memory_ordered 1
		.amdhsa_forward_progress 1
		.amdhsa_shared_vgpr_count 0
		.amdhsa_exception_fp_ieee_invalid_op 0
		.amdhsa_exception_fp_denorm_src 0
		.amdhsa_exception_fp_ieee_div_zero 0
		.amdhsa_exception_fp_ieee_overflow 0
		.amdhsa_exception_fp_ieee_underflow 0
		.amdhsa_exception_fp_ieee_inexact 0
		.amdhsa_exception_int_div_zero 0
	.end_amdhsa_kernel
	.section	.text._ZN7rocprim17ROCPRIM_400000_NS6detail31init_lookback_scan_state_kernelINS1_19lookback_scan_stateIN3c107complexIfEELb1ELb1EEENS1_16block_id_wrapperIjLb1EEEEEvT_jT0_jPNSA_10value_typeE,"axG",@progbits,_ZN7rocprim17ROCPRIM_400000_NS6detail31init_lookback_scan_state_kernelINS1_19lookback_scan_stateIN3c107complexIfEELb1ELb1EEENS1_16block_id_wrapperIjLb1EEEEEvT_jT0_jPNSA_10value_typeE,comdat
.Lfunc_end290:
	.size	_ZN7rocprim17ROCPRIM_400000_NS6detail31init_lookback_scan_state_kernelINS1_19lookback_scan_stateIN3c107complexIfEELb1ELb1EEENS1_16block_id_wrapperIjLb1EEEEEvT_jT0_jPNSA_10value_typeE, .Lfunc_end290-_ZN7rocprim17ROCPRIM_400000_NS6detail31init_lookback_scan_state_kernelINS1_19lookback_scan_stateIN3c107complexIfEELb1ELb1EEENS1_16block_id_wrapperIjLb1EEEEEvT_jT0_jPNSA_10value_typeE
                                        ; -- End function
	.set _ZN7rocprim17ROCPRIM_400000_NS6detail31init_lookback_scan_state_kernelINS1_19lookback_scan_stateIN3c107complexIfEELb1ELb1EEENS1_16block_id_wrapperIjLb1EEEEEvT_jT0_jPNSA_10value_typeE.num_vgpr, 8
	.set _ZN7rocprim17ROCPRIM_400000_NS6detail31init_lookback_scan_state_kernelINS1_19lookback_scan_stateIN3c107complexIfEELb1ELb1EEENS1_16block_id_wrapperIjLb1EEEEEvT_jT0_jPNSA_10value_typeE.num_agpr, 0
	.set _ZN7rocprim17ROCPRIM_400000_NS6detail31init_lookback_scan_state_kernelINS1_19lookback_scan_stateIN3c107complexIfEELb1ELb1EEENS1_16block_id_wrapperIjLb1EEEEEvT_jT0_jPNSA_10value_typeE.numbered_sgpr, 12
	.set _ZN7rocprim17ROCPRIM_400000_NS6detail31init_lookback_scan_state_kernelINS1_19lookback_scan_stateIN3c107complexIfEELb1ELb1EEENS1_16block_id_wrapperIjLb1EEEEEvT_jT0_jPNSA_10value_typeE.num_named_barrier, 0
	.set _ZN7rocprim17ROCPRIM_400000_NS6detail31init_lookback_scan_state_kernelINS1_19lookback_scan_stateIN3c107complexIfEELb1ELb1EEENS1_16block_id_wrapperIjLb1EEEEEvT_jT0_jPNSA_10value_typeE.private_seg_size, 0
	.set _ZN7rocprim17ROCPRIM_400000_NS6detail31init_lookback_scan_state_kernelINS1_19lookback_scan_stateIN3c107complexIfEELb1ELb1EEENS1_16block_id_wrapperIjLb1EEEEEvT_jT0_jPNSA_10value_typeE.uses_vcc, 1
	.set _ZN7rocprim17ROCPRIM_400000_NS6detail31init_lookback_scan_state_kernelINS1_19lookback_scan_stateIN3c107complexIfEELb1ELb1EEENS1_16block_id_wrapperIjLb1EEEEEvT_jT0_jPNSA_10value_typeE.uses_flat_scratch, 0
	.set _ZN7rocprim17ROCPRIM_400000_NS6detail31init_lookback_scan_state_kernelINS1_19lookback_scan_stateIN3c107complexIfEELb1ELb1EEENS1_16block_id_wrapperIjLb1EEEEEvT_jT0_jPNSA_10value_typeE.has_dyn_sized_stack, 0
	.set _ZN7rocprim17ROCPRIM_400000_NS6detail31init_lookback_scan_state_kernelINS1_19lookback_scan_stateIN3c107complexIfEELb1ELb1EEENS1_16block_id_wrapperIjLb1EEEEEvT_jT0_jPNSA_10value_typeE.has_recursion, 0
	.set _ZN7rocprim17ROCPRIM_400000_NS6detail31init_lookback_scan_state_kernelINS1_19lookback_scan_stateIN3c107complexIfEELb1ELb1EEENS1_16block_id_wrapperIjLb1EEEEEvT_jT0_jPNSA_10value_typeE.has_indirect_call, 0
	.section	.AMDGPU.csdata,"",@progbits
; Kernel info:
; codeLenInByte = 560
; TotalNumSgprs: 14
; NumVgprs: 8
; ScratchSize: 0
; MemoryBound: 0
; FloatMode: 240
; IeeeMode: 1
; LDSByteSize: 0 bytes/workgroup (compile time only)
; SGPRBlocks: 0
; VGPRBlocks: 0
; NumSGPRsForWavesPerEU: 14
; NumVGPRsForWavesPerEU: 8
; Occupancy: 16
; WaveLimiterHint : 0
; COMPUTE_PGM_RSRC2:SCRATCH_EN: 0
; COMPUTE_PGM_RSRC2:USER_SGPR: 6
; COMPUTE_PGM_RSRC2:TRAP_HANDLER: 0
; COMPUTE_PGM_RSRC2:TGID_X_EN: 1
; COMPUTE_PGM_RSRC2:TGID_Y_EN: 0
; COMPUTE_PGM_RSRC2:TGID_Z_EN: 0
; COMPUTE_PGM_RSRC2:TIDIG_COMP_CNT: 0
	.section	.text._ZN7rocprim17ROCPRIM_400000_NS6detail17trampoline_kernelINS0_14default_configENS1_20scan_config_selectorIN3c107complexIfEEEEZZNS1_9scan_implILNS1_25lookback_scan_determinismE0ELb0ELb0ES3_PKS7_PS7_S7_ZZZN2at6native31launch_logcumsumexp_cuda_kernelERKNSE_10TensorBaseESI_lENKUlvE_clEvENKUlvE2_clEvEUlS7_S7_E_S7_EEDaPvRmT3_T4_T5_mT6_P12ihipStream_tbENKUlT_T0_E_clISt17integral_constantIbLb1EESZ_EEDaSU_SV_EUlSU_E_NS1_11comp_targetILNS1_3genE0ELNS1_11target_archE4294967295ELNS1_3gpuE0ELNS1_3repE0EEENS1_30default_config_static_selectorELNS0_4arch9wavefront6targetE0EEEvT1_,"axG",@progbits,_ZN7rocprim17ROCPRIM_400000_NS6detail17trampoline_kernelINS0_14default_configENS1_20scan_config_selectorIN3c107complexIfEEEEZZNS1_9scan_implILNS1_25lookback_scan_determinismE0ELb0ELb0ES3_PKS7_PS7_S7_ZZZN2at6native31launch_logcumsumexp_cuda_kernelERKNSE_10TensorBaseESI_lENKUlvE_clEvENKUlvE2_clEvEUlS7_S7_E_S7_EEDaPvRmT3_T4_T5_mT6_P12ihipStream_tbENKUlT_T0_E_clISt17integral_constantIbLb1EESZ_EEDaSU_SV_EUlSU_E_NS1_11comp_targetILNS1_3genE0ELNS1_11target_archE4294967295ELNS1_3gpuE0ELNS1_3repE0EEENS1_30default_config_static_selectorELNS0_4arch9wavefront6targetE0EEEvT1_,comdat
	.globl	_ZN7rocprim17ROCPRIM_400000_NS6detail17trampoline_kernelINS0_14default_configENS1_20scan_config_selectorIN3c107complexIfEEEEZZNS1_9scan_implILNS1_25lookback_scan_determinismE0ELb0ELb0ES3_PKS7_PS7_S7_ZZZN2at6native31launch_logcumsumexp_cuda_kernelERKNSE_10TensorBaseESI_lENKUlvE_clEvENKUlvE2_clEvEUlS7_S7_E_S7_EEDaPvRmT3_T4_T5_mT6_P12ihipStream_tbENKUlT_T0_E_clISt17integral_constantIbLb1EESZ_EEDaSU_SV_EUlSU_E_NS1_11comp_targetILNS1_3genE0ELNS1_11target_archE4294967295ELNS1_3gpuE0ELNS1_3repE0EEENS1_30default_config_static_selectorELNS0_4arch9wavefront6targetE0EEEvT1_ ; -- Begin function _ZN7rocprim17ROCPRIM_400000_NS6detail17trampoline_kernelINS0_14default_configENS1_20scan_config_selectorIN3c107complexIfEEEEZZNS1_9scan_implILNS1_25lookback_scan_determinismE0ELb0ELb0ES3_PKS7_PS7_S7_ZZZN2at6native31launch_logcumsumexp_cuda_kernelERKNSE_10TensorBaseESI_lENKUlvE_clEvENKUlvE2_clEvEUlS7_S7_E_S7_EEDaPvRmT3_T4_T5_mT6_P12ihipStream_tbENKUlT_T0_E_clISt17integral_constantIbLb1EESZ_EEDaSU_SV_EUlSU_E_NS1_11comp_targetILNS1_3genE0ELNS1_11target_archE4294967295ELNS1_3gpuE0ELNS1_3repE0EEENS1_30default_config_static_selectorELNS0_4arch9wavefront6targetE0EEEvT1_
	.p2align	8
	.type	_ZN7rocprim17ROCPRIM_400000_NS6detail17trampoline_kernelINS0_14default_configENS1_20scan_config_selectorIN3c107complexIfEEEEZZNS1_9scan_implILNS1_25lookback_scan_determinismE0ELb0ELb0ES3_PKS7_PS7_S7_ZZZN2at6native31launch_logcumsumexp_cuda_kernelERKNSE_10TensorBaseESI_lENKUlvE_clEvENKUlvE2_clEvEUlS7_S7_E_S7_EEDaPvRmT3_T4_T5_mT6_P12ihipStream_tbENKUlT_T0_E_clISt17integral_constantIbLb1EESZ_EEDaSU_SV_EUlSU_E_NS1_11comp_targetILNS1_3genE0ELNS1_11target_archE4294967295ELNS1_3gpuE0ELNS1_3repE0EEENS1_30default_config_static_selectorELNS0_4arch9wavefront6targetE0EEEvT1_,@function
_ZN7rocprim17ROCPRIM_400000_NS6detail17trampoline_kernelINS0_14default_configENS1_20scan_config_selectorIN3c107complexIfEEEEZZNS1_9scan_implILNS1_25lookback_scan_determinismE0ELb0ELb0ES3_PKS7_PS7_S7_ZZZN2at6native31launch_logcumsumexp_cuda_kernelERKNSE_10TensorBaseESI_lENKUlvE_clEvENKUlvE2_clEvEUlS7_S7_E_S7_EEDaPvRmT3_T4_T5_mT6_P12ihipStream_tbENKUlT_T0_E_clISt17integral_constantIbLb1EESZ_EEDaSU_SV_EUlSU_E_NS1_11comp_targetILNS1_3genE0ELNS1_11target_archE4294967295ELNS1_3gpuE0ELNS1_3repE0EEENS1_30default_config_static_selectorELNS0_4arch9wavefront6targetE0EEEvT1_: ; @_ZN7rocprim17ROCPRIM_400000_NS6detail17trampoline_kernelINS0_14default_configENS1_20scan_config_selectorIN3c107complexIfEEEEZZNS1_9scan_implILNS1_25lookback_scan_determinismE0ELb0ELb0ES3_PKS7_PS7_S7_ZZZN2at6native31launch_logcumsumexp_cuda_kernelERKNSE_10TensorBaseESI_lENKUlvE_clEvENKUlvE2_clEvEUlS7_S7_E_S7_EEDaPvRmT3_T4_T5_mT6_P12ihipStream_tbENKUlT_T0_E_clISt17integral_constantIbLb1EESZ_EEDaSU_SV_EUlSU_E_NS1_11comp_targetILNS1_3genE0ELNS1_11target_archE4294967295ELNS1_3gpuE0ELNS1_3repE0EEENS1_30default_config_static_selectorELNS0_4arch9wavefront6targetE0EEEvT1_
; %bb.0:
	.section	.rodata,"a",@progbits
	.p2align	6, 0x0
	.amdhsa_kernel _ZN7rocprim17ROCPRIM_400000_NS6detail17trampoline_kernelINS0_14default_configENS1_20scan_config_selectorIN3c107complexIfEEEEZZNS1_9scan_implILNS1_25lookback_scan_determinismE0ELb0ELb0ES3_PKS7_PS7_S7_ZZZN2at6native31launch_logcumsumexp_cuda_kernelERKNSE_10TensorBaseESI_lENKUlvE_clEvENKUlvE2_clEvEUlS7_S7_E_S7_EEDaPvRmT3_T4_T5_mT6_P12ihipStream_tbENKUlT_T0_E_clISt17integral_constantIbLb1EESZ_EEDaSU_SV_EUlSU_E_NS1_11comp_targetILNS1_3genE0ELNS1_11target_archE4294967295ELNS1_3gpuE0ELNS1_3repE0EEENS1_30default_config_static_selectorELNS0_4arch9wavefront6targetE0EEEvT1_
		.amdhsa_group_segment_fixed_size 0
		.amdhsa_private_segment_fixed_size 0
		.amdhsa_kernarg_size 104
		.amdhsa_user_sgpr_count 6
		.amdhsa_user_sgpr_private_segment_buffer 1
		.amdhsa_user_sgpr_dispatch_ptr 0
		.amdhsa_user_sgpr_queue_ptr 0
		.amdhsa_user_sgpr_kernarg_segment_ptr 1
		.amdhsa_user_sgpr_dispatch_id 0
		.amdhsa_user_sgpr_flat_scratch_init 0
		.amdhsa_user_sgpr_private_segment_size 0
		.amdhsa_wavefront_size32 1
		.amdhsa_uses_dynamic_stack 0
		.amdhsa_system_sgpr_private_segment_wavefront_offset 0
		.amdhsa_system_sgpr_workgroup_id_x 1
		.amdhsa_system_sgpr_workgroup_id_y 0
		.amdhsa_system_sgpr_workgroup_id_z 0
		.amdhsa_system_sgpr_workgroup_info 0
		.amdhsa_system_vgpr_workitem_id 0
		.amdhsa_next_free_vgpr 1
		.amdhsa_next_free_sgpr 1
		.amdhsa_reserve_vcc 0
		.amdhsa_reserve_flat_scratch 0
		.amdhsa_float_round_mode_32 0
		.amdhsa_float_round_mode_16_64 0
		.amdhsa_float_denorm_mode_32 3
		.amdhsa_float_denorm_mode_16_64 3
		.amdhsa_dx10_clamp 1
		.amdhsa_ieee_mode 1
		.amdhsa_fp16_overflow 0
		.amdhsa_workgroup_processor_mode 1
		.amdhsa_memory_ordered 1
		.amdhsa_forward_progress 1
		.amdhsa_shared_vgpr_count 0
		.amdhsa_exception_fp_ieee_invalid_op 0
		.amdhsa_exception_fp_denorm_src 0
		.amdhsa_exception_fp_ieee_div_zero 0
		.amdhsa_exception_fp_ieee_overflow 0
		.amdhsa_exception_fp_ieee_underflow 0
		.amdhsa_exception_fp_ieee_inexact 0
		.amdhsa_exception_int_div_zero 0
	.end_amdhsa_kernel
	.section	.text._ZN7rocprim17ROCPRIM_400000_NS6detail17trampoline_kernelINS0_14default_configENS1_20scan_config_selectorIN3c107complexIfEEEEZZNS1_9scan_implILNS1_25lookback_scan_determinismE0ELb0ELb0ES3_PKS7_PS7_S7_ZZZN2at6native31launch_logcumsumexp_cuda_kernelERKNSE_10TensorBaseESI_lENKUlvE_clEvENKUlvE2_clEvEUlS7_S7_E_S7_EEDaPvRmT3_T4_T5_mT6_P12ihipStream_tbENKUlT_T0_E_clISt17integral_constantIbLb1EESZ_EEDaSU_SV_EUlSU_E_NS1_11comp_targetILNS1_3genE0ELNS1_11target_archE4294967295ELNS1_3gpuE0ELNS1_3repE0EEENS1_30default_config_static_selectorELNS0_4arch9wavefront6targetE0EEEvT1_,"axG",@progbits,_ZN7rocprim17ROCPRIM_400000_NS6detail17trampoline_kernelINS0_14default_configENS1_20scan_config_selectorIN3c107complexIfEEEEZZNS1_9scan_implILNS1_25lookback_scan_determinismE0ELb0ELb0ES3_PKS7_PS7_S7_ZZZN2at6native31launch_logcumsumexp_cuda_kernelERKNSE_10TensorBaseESI_lENKUlvE_clEvENKUlvE2_clEvEUlS7_S7_E_S7_EEDaPvRmT3_T4_T5_mT6_P12ihipStream_tbENKUlT_T0_E_clISt17integral_constantIbLb1EESZ_EEDaSU_SV_EUlSU_E_NS1_11comp_targetILNS1_3genE0ELNS1_11target_archE4294967295ELNS1_3gpuE0ELNS1_3repE0EEENS1_30default_config_static_selectorELNS0_4arch9wavefront6targetE0EEEvT1_,comdat
.Lfunc_end291:
	.size	_ZN7rocprim17ROCPRIM_400000_NS6detail17trampoline_kernelINS0_14default_configENS1_20scan_config_selectorIN3c107complexIfEEEEZZNS1_9scan_implILNS1_25lookback_scan_determinismE0ELb0ELb0ES3_PKS7_PS7_S7_ZZZN2at6native31launch_logcumsumexp_cuda_kernelERKNSE_10TensorBaseESI_lENKUlvE_clEvENKUlvE2_clEvEUlS7_S7_E_S7_EEDaPvRmT3_T4_T5_mT6_P12ihipStream_tbENKUlT_T0_E_clISt17integral_constantIbLb1EESZ_EEDaSU_SV_EUlSU_E_NS1_11comp_targetILNS1_3genE0ELNS1_11target_archE4294967295ELNS1_3gpuE0ELNS1_3repE0EEENS1_30default_config_static_selectorELNS0_4arch9wavefront6targetE0EEEvT1_, .Lfunc_end291-_ZN7rocprim17ROCPRIM_400000_NS6detail17trampoline_kernelINS0_14default_configENS1_20scan_config_selectorIN3c107complexIfEEEEZZNS1_9scan_implILNS1_25lookback_scan_determinismE0ELb0ELb0ES3_PKS7_PS7_S7_ZZZN2at6native31launch_logcumsumexp_cuda_kernelERKNSE_10TensorBaseESI_lENKUlvE_clEvENKUlvE2_clEvEUlS7_S7_E_S7_EEDaPvRmT3_T4_T5_mT6_P12ihipStream_tbENKUlT_T0_E_clISt17integral_constantIbLb1EESZ_EEDaSU_SV_EUlSU_E_NS1_11comp_targetILNS1_3genE0ELNS1_11target_archE4294967295ELNS1_3gpuE0ELNS1_3repE0EEENS1_30default_config_static_selectorELNS0_4arch9wavefront6targetE0EEEvT1_
                                        ; -- End function
	.set _ZN7rocprim17ROCPRIM_400000_NS6detail17trampoline_kernelINS0_14default_configENS1_20scan_config_selectorIN3c107complexIfEEEEZZNS1_9scan_implILNS1_25lookback_scan_determinismE0ELb0ELb0ES3_PKS7_PS7_S7_ZZZN2at6native31launch_logcumsumexp_cuda_kernelERKNSE_10TensorBaseESI_lENKUlvE_clEvENKUlvE2_clEvEUlS7_S7_E_S7_EEDaPvRmT3_T4_T5_mT6_P12ihipStream_tbENKUlT_T0_E_clISt17integral_constantIbLb1EESZ_EEDaSU_SV_EUlSU_E_NS1_11comp_targetILNS1_3genE0ELNS1_11target_archE4294967295ELNS1_3gpuE0ELNS1_3repE0EEENS1_30default_config_static_selectorELNS0_4arch9wavefront6targetE0EEEvT1_.num_vgpr, 0
	.set _ZN7rocprim17ROCPRIM_400000_NS6detail17trampoline_kernelINS0_14default_configENS1_20scan_config_selectorIN3c107complexIfEEEEZZNS1_9scan_implILNS1_25lookback_scan_determinismE0ELb0ELb0ES3_PKS7_PS7_S7_ZZZN2at6native31launch_logcumsumexp_cuda_kernelERKNSE_10TensorBaseESI_lENKUlvE_clEvENKUlvE2_clEvEUlS7_S7_E_S7_EEDaPvRmT3_T4_T5_mT6_P12ihipStream_tbENKUlT_T0_E_clISt17integral_constantIbLb1EESZ_EEDaSU_SV_EUlSU_E_NS1_11comp_targetILNS1_3genE0ELNS1_11target_archE4294967295ELNS1_3gpuE0ELNS1_3repE0EEENS1_30default_config_static_selectorELNS0_4arch9wavefront6targetE0EEEvT1_.num_agpr, 0
	.set _ZN7rocprim17ROCPRIM_400000_NS6detail17trampoline_kernelINS0_14default_configENS1_20scan_config_selectorIN3c107complexIfEEEEZZNS1_9scan_implILNS1_25lookback_scan_determinismE0ELb0ELb0ES3_PKS7_PS7_S7_ZZZN2at6native31launch_logcumsumexp_cuda_kernelERKNSE_10TensorBaseESI_lENKUlvE_clEvENKUlvE2_clEvEUlS7_S7_E_S7_EEDaPvRmT3_T4_T5_mT6_P12ihipStream_tbENKUlT_T0_E_clISt17integral_constantIbLb1EESZ_EEDaSU_SV_EUlSU_E_NS1_11comp_targetILNS1_3genE0ELNS1_11target_archE4294967295ELNS1_3gpuE0ELNS1_3repE0EEENS1_30default_config_static_selectorELNS0_4arch9wavefront6targetE0EEEvT1_.numbered_sgpr, 0
	.set _ZN7rocprim17ROCPRIM_400000_NS6detail17trampoline_kernelINS0_14default_configENS1_20scan_config_selectorIN3c107complexIfEEEEZZNS1_9scan_implILNS1_25lookback_scan_determinismE0ELb0ELb0ES3_PKS7_PS7_S7_ZZZN2at6native31launch_logcumsumexp_cuda_kernelERKNSE_10TensorBaseESI_lENKUlvE_clEvENKUlvE2_clEvEUlS7_S7_E_S7_EEDaPvRmT3_T4_T5_mT6_P12ihipStream_tbENKUlT_T0_E_clISt17integral_constantIbLb1EESZ_EEDaSU_SV_EUlSU_E_NS1_11comp_targetILNS1_3genE0ELNS1_11target_archE4294967295ELNS1_3gpuE0ELNS1_3repE0EEENS1_30default_config_static_selectorELNS0_4arch9wavefront6targetE0EEEvT1_.num_named_barrier, 0
	.set _ZN7rocprim17ROCPRIM_400000_NS6detail17trampoline_kernelINS0_14default_configENS1_20scan_config_selectorIN3c107complexIfEEEEZZNS1_9scan_implILNS1_25lookback_scan_determinismE0ELb0ELb0ES3_PKS7_PS7_S7_ZZZN2at6native31launch_logcumsumexp_cuda_kernelERKNSE_10TensorBaseESI_lENKUlvE_clEvENKUlvE2_clEvEUlS7_S7_E_S7_EEDaPvRmT3_T4_T5_mT6_P12ihipStream_tbENKUlT_T0_E_clISt17integral_constantIbLb1EESZ_EEDaSU_SV_EUlSU_E_NS1_11comp_targetILNS1_3genE0ELNS1_11target_archE4294967295ELNS1_3gpuE0ELNS1_3repE0EEENS1_30default_config_static_selectorELNS0_4arch9wavefront6targetE0EEEvT1_.private_seg_size, 0
	.set _ZN7rocprim17ROCPRIM_400000_NS6detail17trampoline_kernelINS0_14default_configENS1_20scan_config_selectorIN3c107complexIfEEEEZZNS1_9scan_implILNS1_25lookback_scan_determinismE0ELb0ELb0ES3_PKS7_PS7_S7_ZZZN2at6native31launch_logcumsumexp_cuda_kernelERKNSE_10TensorBaseESI_lENKUlvE_clEvENKUlvE2_clEvEUlS7_S7_E_S7_EEDaPvRmT3_T4_T5_mT6_P12ihipStream_tbENKUlT_T0_E_clISt17integral_constantIbLb1EESZ_EEDaSU_SV_EUlSU_E_NS1_11comp_targetILNS1_3genE0ELNS1_11target_archE4294967295ELNS1_3gpuE0ELNS1_3repE0EEENS1_30default_config_static_selectorELNS0_4arch9wavefront6targetE0EEEvT1_.uses_vcc, 0
	.set _ZN7rocprim17ROCPRIM_400000_NS6detail17trampoline_kernelINS0_14default_configENS1_20scan_config_selectorIN3c107complexIfEEEEZZNS1_9scan_implILNS1_25lookback_scan_determinismE0ELb0ELb0ES3_PKS7_PS7_S7_ZZZN2at6native31launch_logcumsumexp_cuda_kernelERKNSE_10TensorBaseESI_lENKUlvE_clEvENKUlvE2_clEvEUlS7_S7_E_S7_EEDaPvRmT3_T4_T5_mT6_P12ihipStream_tbENKUlT_T0_E_clISt17integral_constantIbLb1EESZ_EEDaSU_SV_EUlSU_E_NS1_11comp_targetILNS1_3genE0ELNS1_11target_archE4294967295ELNS1_3gpuE0ELNS1_3repE0EEENS1_30default_config_static_selectorELNS0_4arch9wavefront6targetE0EEEvT1_.uses_flat_scratch, 0
	.set _ZN7rocprim17ROCPRIM_400000_NS6detail17trampoline_kernelINS0_14default_configENS1_20scan_config_selectorIN3c107complexIfEEEEZZNS1_9scan_implILNS1_25lookback_scan_determinismE0ELb0ELb0ES3_PKS7_PS7_S7_ZZZN2at6native31launch_logcumsumexp_cuda_kernelERKNSE_10TensorBaseESI_lENKUlvE_clEvENKUlvE2_clEvEUlS7_S7_E_S7_EEDaPvRmT3_T4_T5_mT6_P12ihipStream_tbENKUlT_T0_E_clISt17integral_constantIbLb1EESZ_EEDaSU_SV_EUlSU_E_NS1_11comp_targetILNS1_3genE0ELNS1_11target_archE4294967295ELNS1_3gpuE0ELNS1_3repE0EEENS1_30default_config_static_selectorELNS0_4arch9wavefront6targetE0EEEvT1_.has_dyn_sized_stack, 0
	.set _ZN7rocprim17ROCPRIM_400000_NS6detail17trampoline_kernelINS0_14default_configENS1_20scan_config_selectorIN3c107complexIfEEEEZZNS1_9scan_implILNS1_25lookback_scan_determinismE0ELb0ELb0ES3_PKS7_PS7_S7_ZZZN2at6native31launch_logcumsumexp_cuda_kernelERKNSE_10TensorBaseESI_lENKUlvE_clEvENKUlvE2_clEvEUlS7_S7_E_S7_EEDaPvRmT3_T4_T5_mT6_P12ihipStream_tbENKUlT_T0_E_clISt17integral_constantIbLb1EESZ_EEDaSU_SV_EUlSU_E_NS1_11comp_targetILNS1_3genE0ELNS1_11target_archE4294967295ELNS1_3gpuE0ELNS1_3repE0EEENS1_30default_config_static_selectorELNS0_4arch9wavefront6targetE0EEEvT1_.has_recursion, 0
	.set _ZN7rocprim17ROCPRIM_400000_NS6detail17trampoline_kernelINS0_14default_configENS1_20scan_config_selectorIN3c107complexIfEEEEZZNS1_9scan_implILNS1_25lookback_scan_determinismE0ELb0ELb0ES3_PKS7_PS7_S7_ZZZN2at6native31launch_logcumsumexp_cuda_kernelERKNSE_10TensorBaseESI_lENKUlvE_clEvENKUlvE2_clEvEUlS7_S7_E_S7_EEDaPvRmT3_T4_T5_mT6_P12ihipStream_tbENKUlT_T0_E_clISt17integral_constantIbLb1EESZ_EEDaSU_SV_EUlSU_E_NS1_11comp_targetILNS1_3genE0ELNS1_11target_archE4294967295ELNS1_3gpuE0ELNS1_3repE0EEENS1_30default_config_static_selectorELNS0_4arch9wavefront6targetE0EEEvT1_.has_indirect_call, 0
	.section	.AMDGPU.csdata,"",@progbits
; Kernel info:
; codeLenInByte = 0
; TotalNumSgprs: 0
; NumVgprs: 0
; ScratchSize: 0
; MemoryBound: 0
; FloatMode: 240
; IeeeMode: 1
; LDSByteSize: 0 bytes/workgroup (compile time only)
; SGPRBlocks: 0
; VGPRBlocks: 0
; NumSGPRsForWavesPerEU: 1
; NumVGPRsForWavesPerEU: 1
; Occupancy: 16
; WaveLimiterHint : 0
; COMPUTE_PGM_RSRC2:SCRATCH_EN: 0
; COMPUTE_PGM_RSRC2:USER_SGPR: 6
; COMPUTE_PGM_RSRC2:TRAP_HANDLER: 0
; COMPUTE_PGM_RSRC2:TGID_X_EN: 1
; COMPUTE_PGM_RSRC2:TGID_Y_EN: 0
; COMPUTE_PGM_RSRC2:TGID_Z_EN: 0
; COMPUTE_PGM_RSRC2:TIDIG_COMP_CNT: 0
	.section	.text._ZN7rocprim17ROCPRIM_400000_NS6detail17trampoline_kernelINS0_14default_configENS1_20scan_config_selectorIN3c107complexIfEEEEZZNS1_9scan_implILNS1_25lookback_scan_determinismE0ELb0ELb0ES3_PKS7_PS7_S7_ZZZN2at6native31launch_logcumsumexp_cuda_kernelERKNSE_10TensorBaseESI_lENKUlvE_clEvENKUlvE2_clEvEUlS7_S7_E_S7_EEDaPvRmT3_T4_T5_mT6_P12ihipStream_tbENKUlT_T0_E_clISt17integral_constantIbLb1EESZ_EEDaSU_SV_EUlSU_E_NS1_11comp_targetILNS1_3genE5ELNS1_11target_archE942ELNS1_3gpuE9ELNS1_3repE0EEENS1_30default_config_static_selectorELNS0_4arch9wavefront6targetE0EEEvT1_,"axG",@progbits,_ZN7rocprim17ROCPRIM_400000_NS6detail17trampoline_kernelINS0_14default_configENS1_20scan_config_selectorIN3c107complexIfEEEEZZNS1_9scan_implILNS1_25lookback_scan_determinismE0ELb0ELb0ES3_PKS7_PS7_S7_ZZZN2at6native31launch_logcumsumexp_cuda_kernelERKNSE_10TensorBaseESI_lENKUlvE_clEvENKUlvE2_clEvEUlS7_S7_E_S7_EEDaPvRmT3_T4_T5_mT6_P12ihipStream_tbENKUlT_T0_E_clISt17integral_constantIbLb1EESZ_EEDaSU_SV_EUlSU_E_NS1_11comp_targetILNS1_3genE5ELNS1_11target_archE942ELNS1_3gpuE9ELNS1_3repE0EEENS1_30default_config_static_selectorELNS0_4arch9wavefront6targetE0EEEvT1_,comdat
	.globl	_ZN7rocprim17ROCPRIM_400000_NS6detail17trampoline_kernelINS0_14default_configENS1_20scan_config_selectorIN3c107complexIfEEEEZZNS1_9scan_implILNS1_25lookback_scan_determinismE0ELb0ELb0ES3_PKS7_PS7_S7_ZZZN2at6native31launch_logcumsumexp_cuda_kernelERKNSE_10TensorBaseESI_lENKUlvE_clEvENKUlvE2_clEvEUlS7_S7_E_S7_EEDaPvRmT3_T4_T5_mT6_P12ihipStream_tbENKUlT_T0_E_clISt17integral_constantIbLb1EESZ_EEDaSU_SV_EUlSU_E_NS1_11comp_targetILNS1_3genE5ELNS1_11target_archE942ELNS1_3gpuE9ELNS1_3repE0EEENS1_30default_config_static_selectorELNS0_4arch9wavefront6targetE0EEEvT1_ ; -- Begin function _ZN7rocprim17ROCPRIM_400000_NS6detail17trampoline_kernelINS0_14default_configENS1_20scan_config_selectorIN3c107complexIfEEEEZZNS1_9scan_implILNS1_25lookback_scan_determinismE0ELb0ELb0ES3_PKS7_PS7_S7_ZZZN2at6native31launch_logcumsumexp_cuda_kernelERKNSE_10TensorBaseESI_lENKUlvE_clEvENKUlvE2_clEvEUlS7_S7_E_S7_EEDaPvRmT3_T4_T5_mT6_P12ihipStream_tbENKUlT_T0_E_clISt17integral_constantIbLb1EESZ_EEDaSU_SV_EUlSU_E_NS1_11comp_targetILNS1_3genE5ELNS1_11target_archE942ELNS1_3gpuE9ELNS1_3repE0EEENS1_30default_config_static_selectorELNS0_4arch9wavefront6targetE0EEEvT1_
	.p2align	8
	.type	_ZN7rocprim17ROCPRIM_400000_NS6detail17trampoline_kernelINS0_14default_configENS1_20scan_config_selectorIN3c107complexIfEEEEZZNS1_9scan_implILNS1_25lookback_scan_determinismE0ELb0ELb0ES3_PKS7_PS7_S7_ZZZN2at6native31launch_logcumsumexp_cuda_kernelERKNSE_10TensorBaseESI_lENKUlvE_clEvENKUlvE2_clEvEUlS7_S7_E_S7_EEDaPvRmT3_T4_T5_mT6_P12ihipStream_tbENKUlT_T0_E_clISt17integral_constantIbLb1EESZ_EEDaSU_SV_EUlSU_E_NS1_11comp_targetILNS1_3genE5ELNS1_11target_archE942ELNS1_3gpuE9ELNS1_3repE0EEENS1_30default_config_static_selectorELNS0_4arch9wavefront6targetE0EEEvT1_,@function
_ZN7rocprim17ROCPRIM_400000_NS6detail17trampoline_kernelINS0_14default_configENS1_20scan_config_selectorIN3c107complexIfEEEEZZNS1_9scan_implILNS1_25lookback_scan_determinismE0ELb0ELb0ES3_PKS7_PS7_S7_ZZZN2at6native31launch_logcumsumexp_cuda_kernelERKNSE_10TensorBaseESI_lENKUlvE_clEvENKUlvE2_clEvEUlS7_S7_E_S7_EEDaPvRmT3_T4_T5_mT6_P12ihipStream_tbENKUlT_T0_E_clISt17integral_constantIbLb1EESZ_EEDaSU_SV_EUlSU_E_NS1_11comp_targetILNS1_3genE5ELNS1_11target_archE942ELNS1_3gpuE9ELNS1_3repE0EEENS1_30default_config_static_selectorELNS0_4arch9wavefront6targetE0EEEvT1_: ; @_ZN7rocprim17ROCPRIM_400000_NS6detail17trampoline_kernelINS0_14default_configENS1_20scan_config_selectorIN3c107complexIfEEEEZZNS1_9scan_implILNS1_25lookback_scan_determinismE0ELb0ELb0ES3_PKS7_PS7_S7_ZZZN2at6native31launch_logcumsumexp_cuda_kernelERKNSE_10TensorBaseESI_lENKUlvE_clEvENKUlvE2_clEvEUlS7_S7_E_S7_EEDaPvRmT3_T4_T5_mT6_P12ihipStream_tbENKUlT_T0_E_clISt17integral_constantIbLb1EESZ_EEDaSU_SV_EUlSU_E_NS1_11comp_targetILNS1_3genE5ELNS1_11target_archE942ELNS1_3gpuE9ELNS1_3repE0EEENS1_30default_config_static_selectorELNS0_4arch9wavefront6targetE0EEEvT1_
; %bb.0:
	.section	.rodata,"a",@progbits
	.p2align	6, 0x0
	.amdhsa_kernel _ZN7rocprim17ROCPRIM_400000_NS6detail17trampoline_kernelINS0_14default_configENS1_20scan_config_selectorIN3c107complexIfEEEEZZNS1_9scan_implILNS1_25lookback_scan_determinismE0ELb0ELb0ES3_PKS7_PS7_S7_ZZZN2at6native31launch_logcumsumexp_cuda_kernelERKNSE_10TensorBaseESI_lENKUlvE_clEvENKUlvE2_clEvEUlS7_S7_E_S7_EEDaPvRmT3_T4_T5_mT6_P12ihipStream_tbENKUlT_T0_E_clISt17integral_constantIbLb1EESZ_EEDaSU_SV_EUlSU_E_NS1_11comp_targetILNS1_3genE5ELNS1_11target_archE942ELNS1_3gpuE9ELNS1_3repE0EEENS1_30default_config_static_selectorELNS0_4arch9wavefront6targetE0EEEvT1_
		.amdhsa_group_segment_fixed_size 0
		.amdhsa_private_segment_fixed_size 0
		.amdhsa_kernarg_size 104
		.amdhsa_user_sgpr_count 6
		.amdhsa_user_sgpr_private_segment_buffer 1
		.amdhsa_user_sgpr_dispatch_ptr 0
		.amdhsa_user_sgpr_queue_ptr 0
		.amdhsa_user_sgpr_kernarg_segment_ptr 1
		.amdhsa_user_sgpr_dispatch_id 0
		.amdhsa_user_sgpr_flat_scratch_init 0
		.amdhsa_user_sgpr_private_segment_size 0
		.amdhsa_wavefront_size32 1
		.amdhsa_uses_dynamic_stack 0
		.amdhsa_system_sgpr_private_segment_wavefront_offset 0
		.amdhsa_system_sgpr_workgroup_id_x 1
		.amdhsa_system_sgpr_workgroup_id_y 0
		.amdhsa_system_sgpr_workgroup_id_z 0
		.amdhsa_system_sgpr_workgroup_info 0
		.amdhsa_system_vgpr_workitem_id 0
		.amdhsa_next_free_vgpr 1
		.amdhsa_next_free_sgpr 1
		.amdhsa_reserve_vcc 0
		.amdhsa_reserve_flat_scratch 0
		.amdhsa_float_round_mode_32 0
		.amdhsa_float_round_mode_16_64 0
		.amdhsa_float_denorm_mode_32 3
		.amdhsa_float_denorm_mode_16_64 3
		.amdhsa_dx10_clamp 1
		.amdhsa_ieee_mode 1
		.amdhsa_fp16_overflow 0
		.amdhsa_workgroup_processor_mode 1
		.amdhsa_memory_ordered 1
		.amdhsa_forward_progress 1
		.amdhsa_shared_vgpr_count 0
		.amdhsa_exception_fp_ieee_invalid_op 0
		.amdhsa_exception_fp_denorm_src 0
		.amdhsa_exception_fp_ieee_div_zero 0
		.amdhsa_exception_fp_ieee_overflow 0
		.amdhsa_exception_fp_ieee_underflow 0
		.amdhsa_exception_fp_ieee_inexact 0
		.amdhsa_exception_int_div_zero 0
	.end_amdhsa_kernel
	.section	.text._ZN7rocprim17ROCPRIM_400000_NS6detail17trampoline_kernelINS0_14default_configENS1_20scan_config_selectorIN3c107complexIfEEEEZZNS1_9scan_implILNS1_25lookback_scan_determinismE0ELb0ELb0ES3_PKS7_PS7_S7_ZZZN2at6native31launch_logcumsumexp_cuda_kernelERKNSE_10TensorBaseESI_lENKUlvE_clEvENKUlvE2_clEvEUlS7_S7_E_S7_EEDaPvRmT3_T4_T5_mT6_P12ihipStream_tbENKUlT_T0_E_clISt17integral_constantIbLb1EESZ_EEDaSU_SV_EUlSU_E_NS1_11comp_targetILNS1_3genE5ELNS1_11target_archE942ELNS1_3gpuE9ELNS1_3repE0EEENS1_30default_config_static_selectorELNS0_4arch9wavefront6targetE0EEEvT1_,"axG",@progbits,_ZN7rocprim17ROCPRIM_400000_NS6detail17trampoline_kernelINS0_14default_configENS1_20scan_config_selectorIN3c107complexIfEEEEZZNS1_9scan_implILNS1_25lookback_scan_determinismE0ELb0ELb0ES3_PKS7_PS7_S7_ZZZN2at6native31launch_logcumsumexp_cuda_kernelERKNSE_10TensorBaseESI_lENKUlvE_clEvENKUlvE2_clEvEUlS7_S7_E_S7_EEDaPvRmT3_T4_T5_mT6_P12ihipStream_tbENKUlT_T0_E_clISt17integral_constantIbLb1EESZ_EEDaSU_SV_EUlSU_E_NS1_11comp_targetILNS1_3genE5ELNS1_11target_archE942ELNS1_3gpuE9ELNS1_3repE0EEENS1_30default_config_static_selectorELNS0_4arch9wavefront6targetE0EEEvT1_,comdat
.Lfunc_end292:
	.size	_ZN7rocprim17ROCPRIM_400000_NS6detail17trampoline_kernelINS0_14default_configENS1_20scan_config_selectorIN3c107complexIfEEEEZZNS1_9scan_implILNS1_25lookback_scan_determinismE0ELb0ELb0ES3_PKS7_PS7_S7_ZZZN2at6native31launch_logcumsumexp_cuda_kernelERKNSE_10TensorBaseESI_lENKUlvE_clEvENKUlvE2_clEvEUlS7_S7_E_S7_EEDaPvRmT3_T4_T5_mT6_P12ihipStream_tbENKUlT_T0_E_clISt17integral_constantIbLb1EESZ_EEDaSU_SV_EUlSU_E_NS1_11comp_targetILNS1_3genE5ELNS1_11target_archE942ELNS1_3gpuE9ELNS1_3repE0EEENS1_30default_config_static_selectorELNS0_4arch9wavefront6targetE0EEEvT1_, .Lfunc_end292-_ZN7rocprim17ROCPRIM_400000_NS6detail17trampoline_kernelINS0_14default_configENS1_20scan_config_selectorIN3c107complexIfEEEEZZNS1_9scan_implILNS1_25lookback_scan_determinismE0ELb0ELb0ES3_PKS7_PS7_S7_ZZZN2at6native31launch_logcumsumexp_cuda_kernelERKNSE_10TensorBaseESI_lENKUlvE_clEvENKUlvE2_clEvEUlS7_S7_E_S7_EEDaPvRmT3_T4_T5_mT6_P12ihipStream_tbENKUlT_T0_E_clISt17integral_constantIbLb1EESZ_EEDaSU_SV_EUlSU_E_NS1_11comp_targetILNS1_3genE5ELNS1_11target_archE942ELNS1_3gpuE9ELNS1_3repE0EEENS1_30default_config_static_selectorELNS0_4arch9wavefront6targetE0EEEvT1_
                                        ; -- End function
	.set _ZN7rocprim17ROCPRIM_400000_NS6detail17trampoline_kernelINS0_14default_configENS1_20scan_config_selectorIN3c107complexIfEEEEZZNS1_9scan_implILNS1_25lookback_scan_determinismE0ELb0ELb0ES3_PKS7_PS7_S7_ZZZN2at6native31launch_logcumsumexp_cuda_kernelERKNSE_10TensorBaseESI_lENKUlvE_clEvENKUlvE2_clEvEUlS7_S7_E_S7_EEDaPvRmT3_T4_T5_mT6_P12ihipStream_tbENKUlT_T0_E_clISt17integral_constantIbLb1EESZ_EEDaSU_SV_EUlSU_E_NS1_11comp_targetILNS1_3genE5ELNS1_11target_archE942ELNS1_3gpuE9ELNS1_3repE0EEENS1_30default_config_static_selectorELNS0_4arch9wavefront6targetE0EEEvT1_.num_vgpr, 0
	.set _ZN7rocprim17ROCPRIM_400000_NS6detail17trampoline_kernelINS0_14default_configENS1_20scan_config_selectorIN3c107complexIfEEEEZZNS1_9scan_implILNS1_25lookback_scan_determinismE0ELb0ELb0ES3_PKS7_PS7_S7_ZZZN2at6native31launch_logcumsumexp_cuda_kernelERKNSE_10TensorBaseESI_lENKUlvE_clEvENKUlvE2_clEvEUlS7_S7_E_S7_EEDaPvRmT3_T4_T5_mT6_P12ihipStream_tbENKUlT_T0_E_clISt17integral_constantIbLb1EESZ_EEDaSU_SV_EUlSU_E_NS1_11comp_targetILNS1_3genE5ELNS1_11target_archE942ELNS1_3gpuE9ELNS1_3repE0EEENS1_30default_config_static_selectorELNS0_4arch9wavefront6targetE0EEEvT1_.num_agpr, 0
	.set _ZN7rocprim17ROCPRIM_400000_NS6detail17trampoline_kernelINS0_14default_configENS1_20scan_config_selectorIN3c107complexIfEEEEZZNS1_9scan_implILNS1_25lookback_scan_determinismE0ELb0ELb0ES3_PKS7_PS7_S7_ZZZN2at6native31launch_logcumsumexp_cuda_kernelERKNSE_10TensorBaseESI_lENKUlvE_clEvENKUlvE2_clEvEUlS7_S7_E_S7_EEDaPvRmT3_T4_T5_mT6_P12ihipStream_tbENKUlT_T0_E_clISt17integral_constantIbLb1EESZ_EEDaSU_SV_EUlSU_E_NS1_11comp_targetILNS1_3genE5ELNS1_11target_archE942ELNS1_3gpuE9ELNS1_3repE0EEENS1_30default_config_static_selectorELNS0_4arch9wavefront6targetE0EEEvT1_.numbered_sgpr, 0
	.set _ZN7rocprim17ROCPRIM_400000_NS6detail17trampoline_kernelINS0_14default_configENS1_20scan_config_selectorIN3c107complexIfEEEEZZNS1_9scan_implILNS1_25lookback_scan_determinismE0ELb0ELb0ES3_PKS7_PS7_S7_ZZZN2at6native31launch_logcumsumexp_cuda_kernelERKNSE_10TensorBaseESI_lENKUlvE_clEvENKUlvE2_clEvEUlS7_S7_E_S7_EEDaPvRmT3_T4_T5_mT6_P12ihipStream_tbENKUlT_T0_E_clISt17integral_constantIbLb1EESZ_EEDaSU_SV_EUlSU_E_NS1_11comp_targetILNS1_3genE5ELNS1_11target_archE942ELNS1_3gpuE9ELNS1_3repE0EEENS1_30default_config_static_selectorELNS0_4arch9wavefront6targetE0EEEvT1_.num_named_barrier, 0
	.set _ZN7rocprim17ROCPRIM_400000_NS6detail17trampoline_kernelINS0_14default_configENS1_20scan_config_selectorIN3c107complexIfEEEEZZNS1_9scan_implILNS1_25lookback_scan_determinismE0ELb0ELb0ES3_PKS7_PS7_S7_ZZZN2at6native31launch_logcumsumexp_cuda_kernelERKNSE_10TensorBaseESI_lENKUlvE_clEvENKUlvE2_clEvEUlS7_S7_E_S7_EEDaPvRmT3_T4_T5_mT6_P12ihipStream_tbENKUlT_T0_E_clISt17integral_constantIbLb1EESZ_EEDaSU_SV_EUlSU_E_NS1_11comp_targetILNS1_3genE5ELNS1_11target_archE942ELNS1_3gpuE9ELNS1_3repE0EEENS1_30default_config_static_selectorELNS0_4arch9wavefront6targetE0EEEvT1_.private_seg_size, 0
	.set _ZN7rocprim17ROCPRIM_400000_NS6detail17trampoline_kernelINS0_14default_configENS1_20scan_config_selectorIN3c107complexIfEEEEZZNS1_9scan_implILNS1_25lookback_scan_determinismE0ELb0ELb0ES3_PKS7_PS7_S7_ZZZN2at6native31launch_logcumsumexp_cuda_kernelERKNSE_10TensorBaseESI_lENKUlvE_clEvENKUlvE2_clEvEUlS7_S7_E_S7_EEDaPvRmT3_T4_T5_mT6_P12ihipStream_tbENKUlT_T0_E_clISt17integral_constantIbLb1EESZ_EEDaSU_SV_EUlSU_E_NS1_11comp_targetILNS1_3genE5ELNS1_11target_archE942ELNS1_3gpuE9ELNS1_3repE0EEENS1_30default_config_static_selectorELNS0_4arch9wavefront6targetE0EEEvT1_.uses_vcc, 0
	.set _ZN7rocprim17ROCPRIM_400000_NS6detail17trampoline_kernelINS0_14default_configENS1_20scan_config_selectorIN3c107complexIfEEEEZZNS1_9scan_implILNS1_25lookback_scan_determinismE0ELb0ELb0ES3_PKS7_PS7_S7_ZZZN2at6native31launch_logcumsumexp_cuda_kernelERKNSE_10TensorBaseESI_lENKUlvE_clEvENKUlvE2_clEvEUlS7_S7_E_S7_EEDaPvRmT3_T4_T5_mT6_P12ihipStream_tbENKUlT_T0_E_clISt17integral_constantIbLb1EESZ_EEDaSU_SV_EUlSU_E_NS1_11comp_targetILNS1_3genE5ELNS1_11target_archE942ELNS1_3gpuE9ELNS1_3repE0EEENS1_30default_config_static_selectorELNS0_4arch9wavefront6targetE0EEEvT1_.uses_flat_scratch, 0
	.set _ZN7rocprim17ROCPRIM_400000_NS6detail17trampoline_kernelINS0_14default_configENS1_20scan_config_selectorIN3c107complexIfEEEEZZNS1_9scan_implILNS1_25lookback_scan_determinismE0ELb0ELb0ES3_PKS7_PS7_S7_ZZZN2at6native31launch_logcumsumexp_cuda_kernelERKNSE_10TensorBaseESI_lENKUlvE_clEvENKUlvE2_clEvEUlS7_S7_E_S7_EEDaPvRmT3_T4_T5_mT6_P12ihipStream_tbENKUlT_T0_E_clISt17integral_constantIbLb1EESZ_EEDaSU_SV_EUlSU_E_NS1_11comp_targetILNS1_3genE5ELNS1_11target_archE942ELNS1_3gpuE9ELNS1_3repE0EEENS1_30default_config_static_selectorELNS0_4arch9wavefront6targetE0EEEvT1_.has_dyn_sized_stack, 0
	.set _ZN7rocprim17ROCPRIM_400000_NS6detail17trampoline_kernelINS0_14default_configENS1_20scan_config_selectorIN3c107complexIfEEEEZZNS1_9scan_implILNS1_25lookback_scan_determinismE0ELb0ELb0ES3_PKS7_PS7_S7_ZZZN2at6native31launch_logcumsumexp_cuda_kernelERKNSE_10TensorBaseESI_lENKUlvE_clEvENKUlvE2_clEvEUlS7_S7_E_S7_EEDaPvRmT3_T4_T5_mT6_P12ihipStream_tbENKUlT_T0_E_clISt17integral_constantIbLb1EESZ_EEDaSU_SV_EUlSU_E_NS1_11comp_targetILNS1_3genE5ELNS1_11target_archE942ELNS1_3gpuE9ELNS1_3repE0EEENS1_30default_config_static_selectorELNS0_4arch9wavefront6targetE0EEEvT1_.has_recursion, 0
	.set _ZN7rocprim17ROCPRIM_400000_NS6detail17trampoline_kernelINS0_14default_configENS1_20scan_config_selectorIN3c107complexIfEEEEZZNS1_9scan_implILNS1_25lookback_scan_determinismE0ELb0ELb0ES3_PKS7_PS7_S7_ZZZN2at6native31launch_logcumsumexp_cuda_kernelERKNSE_10TensorBaseESI_lENKUlvE_clEvENKUlvE2_clEvEUlS7_S7_E_S7_EEDaPvRmT3_T4_T5_mT6_P12ihipStream_tbENKUlT_T0_E_clISt17integral_constantIbLb1EESZ_EEDaSU_SV_EUlSU_E_NS1_11comp_targetILNS1_3genE5ELNS1_11target_archE942ELNS1_3gpuE9ELNS1_3repE0EEENS1_30default_config_static_selectorELNS0_4arch9wavefront6targetE0EEEvT1_.has_indirect_call, 0
	.section	.AMDGPU.csdata,"",@progbits
; Kernel info:
; codeLenInByte = 0
; TotalNumSgprs: 0
; NumVgprs: 0
; ScratchSize: 0
; MemoryBound: 0
; FloatMode: 240
; IeeeMode: 1
; LDSByteSize: 0 bytes/workgroup (compile time only)
; SGPRBlocks: 0
; VGPRBlocks: 0
; NumSGPRsForWavesPerEU: 1
; NumVGPRsForWavesPerEU: 1
; Occupancy: 16
; WaveLimiterHint : 0
; COMPUTE_PGM_RSRC2:SCRATCH_EN: 0
; COMPUTE_PGM_RSRC2:USER_SGPR: 6
; COMPUTE_PGM_RSRC2:TRAP_HANDLER: 0
; COMPUTE_PGM_RSRC2:TGID_X_EN: 1
; COMPUTE_PGM_RSRC2:TGID_Y_EN: 0
; COMPUTE_PGM_RSRC2:TGID_Z_EN: 0
; COMPUTE_PGM_RSRC2:TIDIG_COMP_CNT: 0
	.section	.text._ZN7rocprim17ROCPRIM_400000_NS6detail17trampoline_kernelINS0_14default_configENS1_20scan_config_selectorIN3c107complexIfEEEEZZNS1_9scan_implILNS1_25lookback_scan_determinismE0ELb0ELb0ES3_PKS7_PS7_S7_ZZZN2at6native31launch_logcumsumexp_cuda_kernelERKNSE_10TensorBaseESI_lENKUlvE_clEvENKUlvE2_clEvEUlS7_S7_E_S7_EEDaPvRmT3_T4_T5_mT6_P12ihipStream_tbENKUlT_T0_E_clISt17integral_constantIbLb1EESZ_EEDaSU_SV_EUlSU_E_NS1_11comp_targetILNS1_3genE4ELNS1_11target_archE910ELNS1_3gpuE8ELNS1_3repE0EEENS1_30default_config_static_selectorELNS0_4arch9wavefront6targetE0EEEvT1_,"axG",@progbits,_ZN7rocprim17ROCPRIM_400000_NS6detail17trampoline_kernelINS0_14default_configENS1_20scan_config_selectorIN3c107complexIfEEEEZZNS1_9scan_implILNS1_25lookback_scan_determinismE0ELb0ELb0ES3_PKS7_PS7_S7_ZZZN2at6native31launch_logcumsumexp_cuda_kernelERKNSE_10TensorBaseESI_lENKUlvE_clEvENKUlvE2_clEvEUlS7_S7_E_S7_EEDaPvRmT3_T4_T5_mT6_P12ihipStream_tbENKUlT_T0_E_clISt17integral_constantIbLb1EESZ_EEDaSU_SV_EUlSU_E_NS1_11comp_targetILNS1_3genE4ELNS1_11target_archE910ELNS1_3gpuE8ELNS1_3repE0EEENS1_30default_config_static_selectorELNS0_4arch9wavefront6targetE0EEEvT1_,comdat
	.globl	_ZN7rocprim17ROCPRIM_400000_NS6detail17trampoline_kernelINS0_14default_configENS1_20scan_config_selectorIN3c107complexIfEEEEZZNS1_9scan_implILNS1_25lookback_scan_determinismE0ELb0ELb0ES3_PKS7_PS7_S7_ZZZN2at6native31launch_logcumsumexp_cuda_kernelERKNSE_10TensorBaseESI_lENKUlvE_clEvENKUlvE2_clEvEUlS7_S7_E_S7_EEDaPvRmT3_T4_T5_mT6_P12ihipStream_tbENKUlT_T0_E_clISt17integral_constantIbLb1EESZ_EEDaSU_SV_EUlSU_E_NS1_11comp_targetILNS1_3genE4ELNS1_11target_archE910ELNS1_3gpuE8ELNS1_3repE0EEENS1_30default_config_static_selectorELNS0_4arch9wavefront6targetE0EEEvT1_ ; -- Begin function _ZN7rocprim17ROCPRIM_400000_NS6detail17trampoline_kernelINS0_14default_configENS1_20scan_config_selectorIN3c107complexIfEEEEZZNS1_9scan_implILNS1_25lookback_scan_determinismE0ELb0ELb0ES3_PKS7_PS7_S7_ZZZN2at6native31launch_logcumsumexp_cuda_kernelERKNSE_10TensorBaseESI_lENKUlvE_clEvENKUlvE2_clEvEUlS7_S7_E_S7_EEDaPvRmT3_T4_T5_mT6_P12ihipStream_tbENKUlT_T0_E_clISt17integral_constantIbLb1EESZ_EEDaSU_SV_EUlSU_E_NS1_11comp_targetILNS1_3genE4ELNS1_11target_archE910ELNS1_3gpuE8ELNS1_3repE0EEENS1_30default_config_static_selectorELNS0_4arch9wavefront6targetE0EEEvT1_
	.p2align	8
	.type	_ZN7rocprim17ROCPRIM_400000_NS6detail17trampoline_kernelINS0_14default_configENS1_20scan_config_selectorIN3c107complexIfEEEEZZNS1_9scan_implILNS1_25lookback_scan_determinismE0ELb0ELb0ES3_PKS7_PS7_S7_ZZZN2at6native31launch_logcumsumexp_cuda_kernelERKNSE_10TensorBaseESI_lENKUlvE_clEvENKUlvE2_clEvEUlS7_S7_E_S7_EEDaPvRmT3_T4_T5_mT6_P12ihipStream_tbENKUlT_T0_E_clISt17integral_constantIbLb1EESZ_EEDaSU_SV_EUlSU_E_NS1_11comp_targetILNS1_3genE4ELNS1_11target_archE910ELNS1_3gpuE8ELNS1_3repE0EEENS1_30default_config_static_selectorELNS0_4arch9wavefront6targetE0EEEvT1_,@function
_ZN7rocprim17ROCPRIM_400000_NS6detail17trampoline_kernelINS0_14default_configENS1_20scan_config_selectorIN3c107complexIfEEEEZZNS1_9scan_implILNS1_25lookback_scan_determinismE0ELb0ELb0ES3_PKS7_PS7_S7_ZZZN2at6native31launch_logcumsumexp_cuda_kernelERKNSE_10TensorBaseESI_lENKUlvE_clEvENKUlvE2_clEvEUlS7_S7_E_S7_EEDaPvRmT3_T4_T5_mT6_P12ihipStream_tbENKUlT_T0_E_clISt17integral_constantIbLb1EESZ_EEDaSU_SV_EUlSU_E_NS1_11comp_targetILNS1_3genE4ELNS1_11target_archE910ELNS1_3gpuE8ELNS1_3repE0EEENS1_30default_config_static_selectorELNS0_4arch9wavefront6targetE0EEEvT1_: ; @_ZN7rocprim17ROCPRIM_400000_NS6detail17trampoline_kernelINS0_14default_configENS1_20scan_config_selectorIN3c107complexIfEEEEZZNS1_9scan_implILNS1_25lookback_scan_determinismE0ELb0ELb0ES3_PKS7_PS7_S7_ZZZN2at6native31launch_logcumsumexp_cuda_kernelERKNSE_10TensorBaseESI_lENKUlvE_clEvENKUlvE2_clEvEUlS7_S7_E_S7_EEDaPvRmT3_T4_T5_mT6_P12ihipStream_tbENKUlT_T0_E_clISt17integral_constantIbLb1EESZ_EEDaSU_SV_EUlSU_E_NS1_11comp_targetILNS1_3genE4ELNS1_11target_archE910ELNS1_3gpuE8ELNS1_3repE0EEENS1_30default_config_static_selectorELNS0_4arch9wavefront6targetE0EEEvT1_
; %bb.0:
	.section	.rodata,"a",@progbits
	.p2align	6, 0x0
	.amdhsa_kernel _ZN7rocprim17ROCPRIM_400000_NS6detail17trampoline_kernelINS0_14default_configENS1_20scan_config_selectorIN3c107complexIfEEEEZZNS1_9scan_implILNS1_25lookback_scan_determinismE0ELb0ELb0ES3_PKS7_PS7_S7_ZZZN2at6native31launch_logcumsumexp_cuda_kernelERKNSE_10TensorBaseESI_lENKUlvE_clEvENKUlvE2_clEvEUlS7_S7_E_S7_EEDaPvRmT3_T4_T5_mT6_P12ihipStream_tbENKUlT_T0_E_clISt17integral_constantIbLb1EESZ_EEDaSU_SV_EUlSU_E_NS1_11comp_targetILNS1_3genE4ELNS1_11target_archE910ELNS1_3gpuE8ELNS1_3repE0EEENS1_30default_config_static_selectorELNS0_4arch9wavefront6targetE0EEEvT1_
		.amdhsa_group_segment_fixed_size 0
		.amdhsa_private_segment_fixed_size 0
		.amdhsa_kernarg_size 104
		.amdhsa_user_sgpr_count 6
		.amdhsa_user_sgpr_private_segment_buffer 1
		.amdhsa_user_sgpr_dispatch_ptr 0
		.amdhsa_user_sgpr_queue_ptr 0
		.amdhsa_user_sgpr_kernarg_segment_ptr 1
		.amdhsa_user_sgpr_dispatch_id 0
		.amdhsa_user_sgpr_flat_scratch_init 0
		.amdhsa_user_sgpr_private_segment_size 0
		.amdhsa_wavefront_size32 1
		.amdhsa_uses_dynamic_stack 0
		.amdhsa_system_sgpr_private_segment_wavefront_offset 0
		.amdhsa_system_sgpr_workgroup_id_x 1
		.amdhsa_system_sgpr_workgroup_id_y 0
		.amdhsa_system_sgpr_workgroup_id_z 0
		.amdhsa_system_sgpr_workgroup_info 0
		.amdhsa_system_vgpr_workitem_id 0
		.amdhsa_next_free_vgpr 1
		.amdhsa_next_free_sgpr 1
		.amdhsa_reserve_vcc 0
		.amdhsa_reserve_flat_scratch 0
		.amdhsa_float_round_mode_32 0
		.amdhsa_float_round_mode_16_64 0
		.amdhsa_float_denorm_mode_32 3
		.amdhsa_float_denorm_mode_16_64 3
		.amdhsa_dx10_clamp 1
		.amdhsa_ieee_mode 1
		.amdhsa_fp16_overflow 0
		.amdhsa_workgroup_processor_mode 1
		.amdhsa_memory_ordered 1
		.amdhsa_forward_progress 1
		.amdhsa_shared_vgpr_count 0
		.amdhsa_exception_fp_ieee_invalid_op 0
		.amdhsa_exception_fp_denorm_src 0
		.amdhsa_exception_fp_ieee_div_zero 0
		.amdhsa_exception_fp_ieee_overflow 0
		.amdhsa_exception_fp_ieee_underflow 0
		.amdhsa_exception_fp_ieee_inexact 0
		.amdhsa_exception_int_div_zero 0
	.end_amdhsa_kernel
	.section	.text._ZN7rocprim17ROCPRIM_400000_NS6detail17trampoline_kernelINS0_14default_configENS1_20scan_config_selectorIN3c107complexIfEEEEZZNS1_9scan_implILNS1_25lookback_scan_determinismE0ELb0ELb0ES3_PKS7_PS7_S7_ZZZN2at6native31launch_logcumsumexp_cuda_kernelERKNSE_10TensorBaseESI_lENKUlvE_clEvENKUlvE2_clEvEUlS7_S7_E_S7_EEDaPvRmT3_T4_T5_mT6_P12ihipStream_tbENKUlT_T0_E_clISt17integral_constantIbLb1EESZ_EEDaSU_SV_EUlSU_E_NS1_11comp_targetILNS1_3genE4ELNS1_11target_archE910ELNS1_3gpuE8ELNS1_3repE0EEENS1_30default_config_static_selectorELNS0_4arch9wavefront6targetE0EEEvT1_,"axG",@progbits,_ZN7rocprim17ROCPRIM_400000_NS6detail17trampoline_kernelINS0_14default_configENS1_20scan_config_selectorIN3c107complexIfEEEEZZNS1_9scan_implILNS1_25lookback_scan_determinismE0ELb0ELb0ES3_PKS7_PS7_S7_ZZZN2at6native31launch_logcumsumexp_cuda_kernelERKNSE_10TensorBaseESI_lENKUlvE_clEvENKUlvE2_clEvEUlS7_S7_E_S7_EEDaPvRmT3_T4_T5_mT6_P12ihipStream_tbENKUlT_T0_E_clISt17integral_constantIbLb1EESZ_EEDaSU_SV_EUlSU_E_NS1_11comp_targetILNS1_3genE4ELNS1_11target_archE910ELNS1_3gpuE8ELNS1_3repE0EEENS1_30default_config_static_selectorELNS0_4arch9wavefront6targetE0EEEvT1_,comdat
.Lfunc_end293:
	.size	_ZN7rocprim17ROCPRIM_400000_NS6detail17trampoline_kernelINS0_14default_configENS1_20scan_config_selectorIN3c107complexIfEEEEZZNS1_9scan_implILNS1_25lookback_scan_determinismE0ELb0ELb0ES3_PKS7_PS7_S7_ZZZN2at6native31launch_logcumsumexp_cuda_kernelERKNSE_10TensorBaseESI_lENKUlvE_clEvENKUlvE2_clEvEUlS7_S7_E_S7_EEDaPvRmT3_T4_T5_mT6_P12ihipStream_tbENKUlT_T0_E_clISt17integral_constantIbLb1EESZ_EEDaSU_SV_EUlSU_E_NS1_11comp_targetILNS1_3genE4ELNS1_11target_archE910ELNS1_3gpuE8ELNS1_3repE0EEENS1_30default_config_static_selectorELNS0_4arch9wavefront6targetE0EEEvT1_, .Lfunc_end293-_ZN7rocprim17ROCPRIM_400000_NS6detail17trampoline_kernelINS0_14default_configENS1_20scan_config_selectorIN3c107complexIfEEEEZZNS1_9scan_implILNS1_25lookback_scan_determinismE0ELb0ELb0ES3_PKS7_PS7_S7_ZZZN2at6native31launch_logcumsumexp_cuda_kernelERKNSE_10TensorBaseESI_lENKUlvE_clEvENKUlvE2_clEvEUlS7_S7_E_S7_EEDaPvRmT3_T4_T5_mT6_P12ihipStream_tbENKUlT_T0_E_clISt17integral_constantIbLb1EESZ_EEDaSU_SV_EUlSU_E_NS1_11comp_targetILNS1_3genE4ELNS1_11target_archE910ELNS1_3gpuE8ELNS1_3repE0EEENS1_30default_config_static_selectorELNS0_4arch9wavefront6targetE0EEEvT1_
                                        ; -- End function
	.set _ZN7rocprim17ROCPRIM_400000_NS6detail17trampoline_kernelINS0_14default_configENS1_20scan_config_selectorIN3c107complexIfEEEEZZNS1_9scan_implILNS1_25lookback_scan_determinismE0ELb0ELb0ES3_PKS7_PS7_S7_ZZZN2at6native31launch_logcumsumexp_cuda_kernelERKNSE_10TensorBaseESI_lENKUlvE_clEvENKUlvE2_clEvEUlS7_S7_E_S7_EEDaPvRmT3_T4_T5_mT6_P12ihipStream_tbENKUlT_T0_E_clISt17integral_constantIbLb1EESZ_EEDaSU_SV_EUlSU_E_NS1_11comp_targetILNS1_3genE4ELNS1_11target_archE910ELNS1_3gpuE8ELNS1_3repE0EEENS1_30default_config_static_selectorELNS0_4arch9wavefront6targetE0EEEvT1_.num_vgpr, 0
	.set _ZN7rocprim17ROCPRIM_400000_NS6detail17trampoline_kernelINS0_14default_configENS1_20scan_config_selectorIN3c107complexIfEEEEZZNS1_9scan_implILNS1_25lookback_scan_determinismE0ELb0ELb0ES3_PKS7_PS7_S7_ZZZN2at6native31launch_logcumsumexp_cuda_kernelERKNSE_10TensorBaseESI_lENKUlvE_clEvENKUlvE2_clEvEUlS7_S7_E_S7_EEDaPvRmT3_T4_T5_mT6_P12ihipStream_tbENKUlT_T0_E_clISt17integral_constantIbLb1EESZ_EEDaSU_SV_EUlSU_E_NS1_11comp_targetILNS1_3genE4ELNS1_11target_archE910ELNS1_3gpuE8ELNS1_3repE0EEENS1_30default_config_static_selectorELNS0_4arch9wavefront6targetE0EEEvT1_.num_agpr, 0
	.set _ZN7rocprim17ROCPRIM_400000_NS6detail17trampoline_kernelINS0_14default_configENS1_20scan_config_selectorIN3c107complexIfEEEEZZNS1_9scan_implILNS1_25lookback_scan_determinismE0ELb0ELb0ES3_PKS7_PS7_S7_ZZZN2at6native31launch_logcumsumexp_cuda_kernelERKNSE_10TensorBaseESI_lENKUlvE_clEvENKUlvE2_clEvEUlS7_S7_E_S7_EEDaPvRmT3_T4_T5_mT6_P12ihipStream_tbENKUlT_T0_E_clISt17integral_constantIbLb1EESZ_EEDaSU_SV_EUlSU_E_NS1_11comp_targetILNS1_3genE4ELNS1_11target_archE910ELNS1_3gpuE8ELNS1_3repE0EEENS1_30default_config_static_selectorELNS0_4arch9wavefront6targetE0EEEvT1_.numbered_sgpr, 0
	.set _ZN7rocprim17ROCPRIM_400000_NS6detail17trampoline_kernelINS0_14default_configENS1_20scan_config_selectorIN3c107complexIfEEEEZZNS1_9scan_implILNS1_25lookback_scan_determinismE0ELb0ELb0ES3_PKS7_PS7_S7_ZZZN2at6native31launch_logcumsumexp_cuda_kernelERKNSE_10TensorBaseESI_lENKUlvE_clEvENKUlvE2_clEvEUlS7_S7_E_S7_EEDaPvRmT3_T4_T5_mT6_P12ihipStream_tbENKUlT_T0_E_clISt17integral_constantIbLb1EESZ_EEDaSU_SV_EUlSU_E_NS1_11comp_targetILNS1_3genE4ELNS1_11target_archE910ELNS1_3gpuE8ELNS1_3repE0EEENS1_30default_config_static_selectorELNS0_4arch9wavefront6targetE0EEEvT1_.num_named_barrier, 0
	.set _ZN7rocprim17ROCPRIM_400000_NS6detail17trampoline_kernelINS0_14default_configENS1_20scan_config_selectorIN3c107complexIfEEEEZZNS1_9scan_implILNS1_25lookback_scan_determinismE0ELb0ELb0ES3_PKS7_PS7_S7_ZZZN2at6native31launch_logcumsumexp_cuda_kernelERKNSE_10TensorBaseESI_lENKUlvE_clEvENKUlvE2_clEvEUlS7_S7_E_S7_EEDaPvRmT3_T4_T5_mT6_P12ihipStream_tbENKUlT_T0_E_clISt17integral_constantIbLb1EESZ_EEDaSU_SV_EUlSU_E_NS1_11comp_targetILNS1_3genE4ELNS1_11target_archE910ELNS1_3gpuE8ELNS1_3repE0EEENS1_30default_config_static_selectorELNS0_4arch9wavefront6targetE0EEEvT1_.private_seg_size, 0
	.set _ZN7rocprim17ROCPRIM_400000_NS6detail17trampoline_kernelINS0_14default_configENS1_20scan_config_selectorIN3c107complexIfEEEEZZNS1_9scan_implILNS1_25lookback_scan_determinismE0ELb0ELb0ES3_PKS7_PS7_S7_ZZZN2at6native31launch_logcumsumexp_cuda_kernelERKNSE_10TensorBaseESI_lENKUlvE_clEvENKUlvE2_clEvEUlS7_S7_E_S7_EEDaPvRmT3_T4_T5_mT6_P12ihipStream_tbENKUlT_T0_E_clISt17integral_constantIbLb1EESZ_EEDaSU_SV_EUlSU_E_NS1_11comp_targetILNS1_3genE4ELNS1_11target_archE910ELNS1_3gpuE8ELNS1_3repE0EEENS1_30default_config_static_selectorELNS0_4arch9wavefront6targetE0EEEvT1_.uses_vcc, 0
	.set _ZN7rocprim17ROCPRIM_400000_NS6detail17trampoline_kernelINS0_14default_configENS1_20scan_config_selectorIN3c107complexIfEEEEZZNS1_9scan_implILNS1_25lookback_scan_determinismE0ELb0ELb0ES3_PKS7_PS7_S7_ZZZN2at6native31launch_logcumsumexp_cuda_kernelERKNSE_10TensorBaseESI_lENKUlvE_clEvENKUlvE2_clEvEUlS7_S7_E_S7_EEDaPvRmT3_T4_T5_mT6_P12ihipStream_tbENKUlT_T0_E_clISt17integral_constantIbLb1EESZ_EEDaSU_SV_EUlSU_E_NS1_11comp_targetILNS1_3genE4ELNS1_11target_archE910ELNS1_3gpuE8ELNS1_3repE0EEENS1_30default_config_static_selectorELNS0_4arch9wavefront6targetE0EEEvT1_.uses_flat_scratch, 0
	.set _ZN7rocprim17ROCPRIM_400000_NS6detail17trampoline_kernelINS0_14default_configENS1_20scan_config_selectorIN3c107complexIfEEEEZZNS1_9scan_implILNS1_25lookback_scan_determinismE0ELb0ELb0ES3_PKS7_PS7_S7_ZZZN2at6native31launch_logcumsumexp_cuda_kernelERKNSE_10TensorBaseESI_lENKUlvE_clEvENKUlvE2_clEvEUlS7_S7_E_S7_EEDaPvRmT3_T4_T5_mT6_P12ihipStream_tbENKUlT_T0_E_clISt17integral_constantIbLb1EESZ_EEDaSU_SV_EUlSU_E_NS1_11comp_targetILNS1_3genE4ELNS1_11target_archE910ELNS1_3gpuE8ELNS1_3repE0EEENS1_30default_config_static_selectorELNS0_4arch9wavefront6targetE0EEEvT1_.has_dyn_sized_stack, 0
	.set _ZN7rocprim17ROCPRIM_400000_NS6detail17trampoline_kernelINS0_14default_configENS1_20scan_config_selectorIN3c107complexIfEEEEZZNS1_9scan_implILNS1_25lookback_scan_determinismE0ELb0ELb0ES3_PKS7_PS7_S7_ZZZN2at6native31launch_logcumsumexp_cuda_kernelERKNSE_10TensorBaseESI_lENKUlvE_clEvENKUlvE2_clEvEUlS7_S7_E_S7_EEDaPvRmT3_T4_T5_mT6_P12ihipStream_tbENKUlT_T0_E_clISt17integral_constantIbLb1EESZ_EEDaSU_SV_EUlSU_E_NS1_11comp_targetILNS1_3genE4ELNS1_11target_archE910ELNS1_3gpuE8ELNS1_3repE0EEENS1_30default_config_static_selectorELNS0_4arch9wavefront6targetE0EEEvT1_.has_recursion, 0
	.set _ZN7rocprim17ROCPRIM_400000_NS6detail17trampoline_kernelINS0_14default_configENS1_20scan_config_selectorIN3c107complexIfEEEEZZNS1_9scan_implILNS1_25lookback_scan_determinismE0ELb0ELb0ES3_PKS7_PS7_S7_ZZZN2at6native31launch_logcumsumexp_cuda_kernelERKNSE_10TensorBaseESI_lENKUlvE_clEvENKUlvE2_clEvEUlS7_S7_E_S7_EEDaPvRmT3_T4_T5_mT6_P12ihipStream_tbENKUlT_T0_E_clISt17integral_constantIbLb1EESZ_EEDaSU_SV_EUlSU_E_NS1_11comp_targetILNS1_3genE4ELNS1_11target_archE910ELNS1_3gpuE8ELNS1_3repE0EEENS1_30default_config_static_selectorELNS0_4arch9wavefront6targetE0EEEvT1_.has_indirect_call, 0
	.section	.AMDGPU.csdata,"",@progbits
; Kernel info:
; codeLenInByte = 0
; TotalNumSgprs: 0
; NumVgprs: 0
; ScratchSize: 0
; MemoryBound: 0
; FloatMode: 240
; IeeeMode: 1
; LDSByteSize: 0 bytes/workgroup (compile time only)
; SGPRBlocks: 0
; VGPRBlocks: 0
; NumSGPRsForWavesPerEU: 1
; NumVGPRsForWavesPerEU: 1
; Occupancy: 16
; WaveLimiterHint : 0
; COMPUTE_PGM_RSRC2:SCRATCH_EN: 0
; COMPUTE_PGM_RSRC2:USER_SGPR: 6
; COMPUTE_PGM_RSRC2:TRAP_HANDLER: 0
; COMPUTE_PGM_RSRC2:TGID_X_EN: 1
; COMPUTE_PGM_RSRC2:TGID_Y_EN: 0
; COMPUTE_PGM_RSRC2:TGID_Z_EN: 0
; COMPUTE_PGM_RSRC2:TIDIG_COMP_CNT: 0
	.section	.text._ZN7rocprim17ROCPRIM_400000_NS6detail17trampoline_kernelINS0_14default_configENS1_20scan_config_selectorIN3c107complexIfEEEEZZNS1_9scan_implILNS1_25lookback_scan_determinismE0ELb0ELb0ES3_PKS7_PS7_S7_ZZZN2at6native31launch_logcumsumexp_cuda_kernelERKNSE_10TensorBaseESI_lENKUlvE_clEvENKUlvE2_clEvEUlS7_S7_E_S7_EEDaPvRmT3_T4_T5_mT6_P12ihipStream_tbENKUlT_T0_E_clISt17integral_constantIbLb1EESZ_EEDaSU_SV_EUlSU_E_NS1_11comp_targetILNS1_3genE3ELNS1_11target_archE908ELNS1_3gpuE7ELNS1_3repE0EEENS1_30default_config_static_selectorELNS0_4arch9wavefront6targetE0EEEvT1_,"axG",@progbits,_ZN7rocprim17ROCPRIM_400000_NS6detail17trampoline_kernelINS0_14default_configENS1_20scan_config_selectorIN3c107complexIfEEEEZZNS1_9scan_implILNS1_25lookback_scan_determinismE0ELb0ELb0ES3_PKS7_PS7_S7_ZZZN2at6native31launch_logcumsumexp_cuda_kernelERKNSE_10TensorBaseESI_lENKUlvE_clEvENKUlvE2_clEvEUlS7_S7_E_S7_EEDaPvRmT3_T4_T5_mT6_P12ihipStream_tbENKUlT_T0_E_clISt17integral_constantIbLb1EESZ_EEDaSU_SV_EUlSU_E_NS1_11comp_targetILNS1_3genE3ELNS1_11target_archE908ELNS1_3gpuE7ELNS1_3repE0EEENS1_30default_config_static_selectorELNS0_4arch9wavefront6targetE0EEEvT1_,comdat
	.globl	_ZN7rocprim17ROCPRIM_400000_NS6detail17trampoline_kernelINS0_14default_configENS1_20scan_config_selectorIN3c107complexIfEEEEZZNS1_9scan_implILNS1_25lookback_scan_determinismE0ELb0ELb0ES3_PKS7_PS7_S7_ZZZN2at6native31launch_logcumsumexp_cuda_kernelERKNSE_10TensorBaseESI_lENKUlvE_clEvENKUlvE2_clEvEUlS7_S7_E_S7_EEDaPvRmT3_T4_T5_mT6_P12ihipStream_tbENKUlT_T0_E_clISt17integral_constantIbLb1EESZ_EEDaSU_SV_EUlSU_E_NS1_11comp_targetILNS1_3genE3ELNS1_11target_archE908ELNS1_3gpuE7ELNS1_3repE0EEENS1_30default_config_static_selectorELNS0_4arch9wavefront6targetE0EEEvT1_ ; -- Begin function _ZN7rocprim17ROCPRIM_400000_NS6detail17trampoline_kernelINS0_14default_configENS1_20scan_config_selectorIN3c107complexIfEEEEZZNS1_9scan_implILNS1_25lookback_scan_determinismE0ELb0ELb0ES3_PKS7_PS7_S7_ZZZN2at6native31launch_logcumsumexp_cuda_kernelERKNSE_10TensorBaseESI_lENKUlvE_clEvENKUlvE2_clEvEUlS7_S7_E_S7_EEDaPvRmT3_T4_T5_mT6_P12ihipStream_tbENKUlT_T0_E_clISt17integral_constantIbLb1EESZ_EEDaSU_SV_EUlSU_E_NS1_11comp_targetILNS1_3genE3ELNS1_11target_archE908ELNS1_3gpuE7ELNS1_3repE0EEENS1_30default_config_static_selectorELNS0_4arch9wavefront6targetE0EEEvT1_
	.p2align	8
	.type	_ZN7rocprim17ROCPRIM_400000_NS6detail17trampoline_kernelINS0_14default_configENS1_20scan_config_selectorIN3c107complexIfEEEEZZNS1_9scan_implILNS1_25lookback_scan_determinismE0ELb0ELb0ES3_PKS7_PS7_S7_ZZZN2at6native31launch_logcumsumexp_cuda_kernelERKNSE_10TensorBaseESI_lENKUlvE_clEvENKUlvE2_clEvEUlS7_S7_E_S7_EEDaPvRmT3_T4_T5_mT6_P12ihipStream_tbENKUlT_T0_E_clISt17integral_constantIbLb1EESZ_EEDaSU_SV_EUlSU_E_NS1_11comp_targetILNS1_3genE3ELNS1_11target_archE908ELNS1_3gpuE7ELNS1_3repE0EEENS1_30default_config_static_selectorELNS0_4arch9wavefront6targetE0EEEvT1_,@function
_ZN7rocprim17ROCPRIM_400000_NS6detail17trampoline_kernelINS0_14default_configENS1_20scan_config_selectorIN3c107complexIfEEEEZZNS1_9scan_implILNS1_25lookback_scan_determinismE0ELb0ELb0ES3_PKS7_PS7_S7_ZZZN2at6native31launch_logcumsumexp_cuda_kernelERKNSE_10TensorBaseESI_lENKUlvE_clEvENKUlvE2_clEvEUlS7_S7_E_S7_EEDaPvRmT3_T4_T5_mT6_P12ihipStream_tbENKUlT_T0_E_clISt17integral_constantIbLb1EESZ_EEDaSU_SV_EUlSU_E_NS1_11comp_targetILNS1_3genE3ELNS1_11target_archE908ELNS1_3gpuE7ELNS1_3repE0EEENS1_30default_config_static_selectorELNS0_4arch9wavefront6targetE0EEEvT1_: ; @_ZN7rocprim17ROCPRIM_400000_NS6detail17trampoline_kernelINS0_14default_configENS1_20scan_config_selectorIN3c107complexIfEEEEZZNS1_9scan_implILNS1_25lookback_scan_determinismE0ELb0ELb0ES3_PKS7_PS7_S7_ZZZN2at6native31launch_logcumsumexp_cuda_kernelERKNSE_10TensorBaseESI_lENKUlvE_clEvENKUlvE2_clEvEUlS7_S7_E_S7_EEDaPvRmT3_T4_T5_mT6_P12ihipStream_tbENKUlT_T0_E_clISt17integral_constantIbLb1EESZ_EEDaSU_SV_EUlSU_E_NS1_11comp_targetILNS1_3genE3ELNS1_11target_archE908ELNS1_3gpuE7ELNS1_3repE0EEENS1_30default_config_static_selectorELNS0_4arch9wavefront6targetE0EEEvT1_
; %bb.0:
	.section	.rodata,"a",@progbits
	.p2align	6, 0x0
	.amdhsa_kernel _ZN7rocprim17ROCPRIM_400000_NS6detail17trampoline_kernelINS0_14default_configENS1_20scan_config_selectorIN3c107complexIfEEEEZZNS1_9scan_implILNS1_25lookback_scan_determinismE0ELb0ELb0ES3_PKS7_PS7_S7_ZZZN2at6native31launch_logcumsumexp_cuda_kernelERKNSE_10TensorBaseESI_lENKUlvE_clEvENKUlvE2_clEvEUlS7_S7_E_S7_EEDaPvRmT3_T4_T5_mT6_P12ihipStream_tbENKUlT_T0_E_clISt17integral_constantIbLb1EESZ_EEDaSU_SV_EUlSU_E_NS1_11comp_targetILNS1_3genE3ELNS1_11target_archE908ELNS1_3gpuE7ELNS1_3repE0EEENS1_30default_config_static_selectorELNS0_4arch9wavefront6targetE0EEEvT1_
		.amdhsa_group_segment_fixed_size 0
		.amdhsa_private_segment_fixed_size 0
		.amdhsa_kernarg_size 104
		.amdhsa_user_sgpr_count 6
		.amdhsa_user_sgpr_private_segment_buffer 1
		.amdhsa_user_sgpr_dispatch_ptr 0
		.amdhsa_user_sgpr_queue_ptr 0
		.amdhsa_user_sgpr_kernarg_segment_ptr 1
		.amdhsa_user_sgpr_dispatch_id 0
		.amdhsa_user_sgpr_flat_scratch_init 0
		.amdhsa_user_sgpr_private_segment_size 0
		.amdhsa_wavefront_size32 1
		.amdhsa_uses_dynamic_stack 0
		.amdhsa_system_sgpr_private_segment_wavefront_offset 0
		.amdhsa_system_sgpr_workgroup_id_x 1
		.amdhsa_system_sgpr_workgroup_id_y 0
		.amdhsa_system_sgpr_workgroup_id_z 0
		.amdhsa_system_sgpr_workgroup_info 0
		.amdhsa_system_vgpr_workitem_id 0
		.amdhsa_next_free_vgpr 1
		.amdhsa_next_free_sgpr 1
		.amdhsa_reserve_vcc 0
		.amdhsa_reserve_flat_scratch 0
		.amdhsa_float_round_mode_32 0
		.amdhsa_float_round_mode_16_64 0
		.amdhsa_float_denorm_mode_32 3
		.amdhsa_float_denorm_mode_16_64 3
		.amdhsa_dx10_clamp 1
		.amdhsa_ieee_mode 1
		.amdhsa_fp16_overflow 0
		.amdhsa_workgroup_processor_mode 1
		.amdhsa_memory_ordered 1
		.amdhsa_forward_progress 1
		.amdhsa_shared_vgpr_count 0
		.amdhsa_exception_fp_ieee_invalid_op 0
		.amdhsa_exception_fp_denorm_src 0
		.amdhsa_exception_fp_ieee_div_zero 0
		.amdhsa_exception_fp_ieee_overflow 0
		.amdhsa_exception_fp_ieee_underflow 0
		.amdhsa_exception_fp_ieee_inexact 0
		.amdhsa_exception_int_div_zero 0
	.end_amdhsa_kernel
	.section	.text._ZN7rocprim17ROCPRIM_400000_NS6detail17trampoline_kernelINS0_14default_configENS1_20scan_config_selectorIN3c107complexIfEEEEZZNS1_9scan_implILNS1_25lookback_scan_determinismE0ELb0ELb0ES3_PKS7_PS7_S7_ZZZN2at6native31launch_logcumsumexp_cuda_kernelERKNSE_10TensorBaseESI_lENKUlvE_clEvENKUlvE2_clEvEUlS7_S7_E_S7_EEDaPvRmT3_T4_T5_mT6_P12ihipStream_tbENKUlT_T0_E_clISt17integral_constantIbLb1EESZ_EEDaSU_SV_EUlSU_E_NS1_11comp_targetILNS1_3genE3ELNS1_11target_archE908ELNS1_3gpuE7ELNS1_3repE0EEENS1_30default_config_static_selectorELNS0_4arch9wavefront6targetE0EEEvT1_,"axG",@progbits,_ZN7rocprim17ROCPRIM_400000_NS6detail17trampoline_kernelINS0_14default_configENS1_20scan_config_selectorIN3c107complexIfEEEEZZNS1_9scan_implILNS1_25lookback_scan_determinismE0ELb0ELb0ES3_PKS7_PS7_S7_ZZZN2at6native31launch_logcumsumexp_cuda_kernelERKNSE_10TensorBaseESI_lENKUlvE_clEvENKUlvE2_clEvEUlS7_S7_E_S7_EEDaPvRmT3_T4_T5_mT6_P12ihipStream_tbENKUlT_T0_E_clISt17integral_constantIbLb1EESZ_EEDaSU_SV_EUlSU_E_NS1_11comp_targetILNS1_3genE3ELNS1_11target_archE908ELNS1_3gpuE7ELNS1_3repE0EEENS1_30default_config_static_selectorELNS0_4arch9wavefront6targetE0EEEvT1_,comdat
.Lfunc_end294:
	.size	_ZN7rocprim17ROCPRIM_400000_NS6detail17trampoline_kernelINS0_14default_configENS1_20scan_config_selectorIN3c107complexIfEEEEZZNS1_9scan_implILNS1_25lookback_scan_determinismE0ELb0ELb0ES3_PKS7_PS7_S7_ZZZN2at6native31launch_logcumsumexp_cuda_kernelERKNSE_10TensorBaseESI_lENKUlvE_clEvENKUlvE2_clEvEUlS7_S7_E_S7_EEDaPvRmT3_T4_T5_mT6_P12ihipStream_tbENKUlT_T0_E_clISt17integral_constantIbLb1EESZ_EEDaSU_SV_EUlSU_E_NS1_11comp_targetILNS1_3genE3ELNS1_11target_archE908ELNS1_3gpuE7ELNS1_3repE0EEENS1_30default_config_static_selectorELNS0_4arch9wavefront6targetE0EEEvT1_, .Lfunc_end294-_ZN7rocprim17ROCPRIM_400000_NS6detail17trampoline_kernelINS0_14default_configENS1_20scan_config_selectorIN3c107complexIfEEEEZZNS1_9scan_implILNS1_25lookback_scan_determinismE0ELb0ELb0ES3_PKS7_PS7_S7_ZZZN2at6native31launch_logcumsumexp_cuda_kernelERKNSE_10TensorBaseESI_lENKUlvE_clEvENKUlvE2_clEvEUlS7_S7_E_S7_EEDaPvRmT3_T4_T5_mT6_P12ihipStream_tbENKUlT_T0_E_clISt17integral_constantIbLb1EESZ_EEDaSU_SV_EUlSU_E_NS1_11comp_targetILNS1_3genE3ELNS1_11target_archE908ELNS1_3gpuE7ELNS1_3repE0EEENS1_30default_config_static_selectorELNS0_4arch9wavefront6targetE0EEEvT1_
                                        ; -- End function
	.set _ZN7rocprim17ROCPRIM_400000_NS6detail17trampoline_kernelINS0_14default_configENS1_20scan_config_selectorIN3c107complexIfEEEEZZNS1_9scan_implILNS1_25lookback_scan_determinismE0ELb0ELb0ES3_PKS7_PS7_S7_ZZZN2at6native31launch_logcumsumexp_cuda_kernelERKNSE_10TensorBaseESI_lENKUlvE_clEvENKUlvE2_clEvEUlS7_S7_E_S7_EEDaPvRmT3_T4_T5_mT6_P12ihipStream_tbENKUlT_T0_E_clISt17integral_constantIbLb1EESZ_EEDaSU_SV_EUlSU_E_NS1_11comp_targetILNS1_3genE3ELNS1_11target_archE908ELNS1_3gpuE7ELNS1_3repE0EEENS1_30default_config_static_selectorELNS0_4arch9wavefront6targetE0EEEvT1_.num_vgpr, 0
	.set _ZN7rocprim17ROCPRIM_400000_NS6detail17trampoline_kernelINS0_14default_configENS1_20scan_config_selectorIN3c107complexIfEEEEZZNS1_9scan_implILNS1_25lookback_scan_determinismE0ELb0ELb0ES3_PKS7_PS7_S7_ZZZN2at6native31launch_logcumsumexp_cuda_kernelERKNSE_10TensorBaseESI_lENKUlvE_clEvENKUlvE2_clEvEUlS7_S7_E_S7_EEDaPvRmT3_T4_T5_mT6_P12ihipStream_tbENKUlT_T0_E_clISt17integral_constantIbLb1EESZ_EEDaSU_SV_EUlSU_E_NS1_11comp_targetILNS1_3genE3ELNS1_11target_archE908ELNS1_3gpuE7ELNS1_3repE0EEENS1_30default_config_static_selectorELNS0_4arch9wavefront6targetE0EEEvT1_.num_agpr, 0
	.set _ZN7rocprim17ROCPRIM_400000_NS6detail17trampoline_kernelINS0_14default_configENS1_20scan_config_selectorIN3c107complexIfEEEEZZNS1_9scan_implILNS1_25lookback_scan_determinismE0ELb0ELb0ES3_PKS7_PS7_S7_ZZZN2at6native31launch_logcumsumexp_cuda_kernelERKNSE_10TensorBaseESI_lENKUlvE_clEvENKUlvE2_clEvEUlS7_S7_E_S7_EEDaPvRmT3_T4_T5_mT6_P12ihipStream_tbENKUlT_T0_E_clISt17integral_constantIbLb1EESZ_EEDaSU_SV_EUlSU_E_NS1_11comp_targetILNS1_3genE3ELNS1_11target_archE908ELNS1_3gpuE7ELNS1_3repE0EEENS1_30default_config_static_selectorELNS0_4arch9wavefront6targetE0EEEvT1_.numbered_sgpr, 0
	.set _ZN7rocprim17ROCPRIM_400000_NS6detail17trampoline_kernelINS0_14default_configENS1_20scan_config_selectorIN3c107complexIfEEEEZZNS1_9scan_implILNS1_25lookback_scan_determinismE0ELb0ELb0ES3_PKS7_PS7_S7_ZZZN2at6native31launch_logcumsumexp_cuda_kernelERKNSE_10TensorBaseESI_lENKUlvE_clEvENKUlvE2_clEvEUlS7_S7_E_S7_EEDaPvRmT3_T4_T5_mT6_P12ihipStream_tbENKUlT_T0_E_clISt17integral_constantIbLb1EESZ_EEDaSU_SV_EUlSU_E_NS1_11comp_targetILNS1_3genE3ELNS1_11target_archE908ELNS1_3gpuE7ELNS1_3repE0EEENS1_30default_config_static_selectorELNS0_4arch9wavefront6targetE0EEEvT1_.num_named_barrier, 0
	.set _ZN7rocprim17ROCPRIM_400000_NS6detail17trampoline_kernelINS0_14default_configENS1_20scan_config_selectorIN3c107complexIfEEEEZZNS1_9scan_implILNS1_25lookback_scan_determinismE0ELb0ELb0ES3_PKS7_PS7_S7_ZZZN2at6native31launch_logcumsumexp_cuda_kernelERKNSE_10TensorBaseESI_lENKUlvE_clEvENKUlvE2_clEvEUlS7_S7_E_S7_EEDaPvRmT3_T4_T5_mT6_P12ihipStream_tbENKUlT_T0_E_clISt17integral_constantIbLb1EESZ_EEDaSU_SV_EUlSU_E_NS1_11comp_targetILNS1_3genE3ELNS1_11target_archE908ELNS1_3gpuE7ELNS1_3repE0EEENS1_30default_config_static_selectorELNS0_4arch9wavefront6targetE0EEEvT1_.private_seg_size, 0
	.set _ZN7rocprim17ROCPRIM_400000_NS6detail17trampoline_kernelINS0_14default_configENS1_20scan_config_selectorIN3c107complexIfEEEEZZNS1_9scan_implILNS1_25lookback_scan_determinismE0ELb0ELb0ES3_PKS7_PS7_S7_ZZZN2at6native31launch_logcumsumexp_cuda_kernelERKNSE_10TensorBaseESI_lENKUlvE_clEvENKUlvE2_clEvEUlS7_S7_E_S7_EEDaPvRmT3_T4_T5_mT6_P12ihipStream_tbENKUlT_T0_E_clISt17integral_constantIbLb1EESZ_EEDaSU_SV_EUlSU_E_NS1_11comp_targetILNS1_3genE3ELNS1_11target_archE908ELNS1_3gpuE7ELNS1_3repE0EEENS1_30default_config_static_selectorELNS0_4arch9wavefront6targetE0EEEvT1_.uses_vcc, 0
	.set _ZN7rocprim17ROCPRIM_400000_NS6detail17trampoline_kernelINS0_14default_configENS1_20scan_config_selectorIN3c107complexIfEEEEZZNS1_9scan_implILNS1_25lookback_scan_determinismE0ELb0ELb0ES3_PKS7_PS7_S7_ZZZN2at6native31launch_logcumsumexp_cuda_kernelERKNSE_10TensorBaseESI_lENKUlvE_clEvENKUlvE2_clEvEUlS7_S7_E_S7_EEDaPvRmT3_T4_T5_mT6_P12ihipStream_tbENKUlT_T0_E_clISt17integral_constantIbLb1EESZ_EEDaSU_SV_EUlSU_E_NS1_11comp_targetILNS1_3genE3ELNS1_11target_archE908ELNS1_3gpuE7ELNS1_3repE0EEENS1_30default_config_static_selectorELNS0_4arch9wavefront6targetE0EEEvT1_.uses_flat_scratch, 0
	.set _ZN7rocprim17ROCPRIM_400000_NS6detail17trampoline_kernelINS0_14default_configENS1_20scan_config_selectorIN3c107complexIfEEEEZZNS1_9scan_implILNS1_25lookback_scan_determinismE0ELb0ELb0ES3_PKS7_PS7_S7_ZZZN2at6native31launch_logcumsumexp_cuda_kernelERKNSE_10TensorBaseESI_lENKUlvE_clEvENKUlvE2_clEvEUlS7_S7_E_S7_EEDaPvRmT3_T4_T5_mT6_P12ihipStream_tbENKUlT_T0_E_clISt17integral_constantIbLb1EESZ_EEDaSU_SV_EUlSU_E_NS1_11comp_targetILNS1_3genE3ELNS1_11target_archE908ELNS1_3gpuE7ELNS1_3repE0EEENS1_30default_config_static_selectorELNS0_4arch9wavefront6targetE0EEEvT1_.has_dyn_sized_stack, 0
	.set _ZN7rocprim17ROCPRIM_400000_NS6detail17trampoline_kernelINS0_14default_configENS1_20scan_config_selectorIN3c107complexIfEEEEZZNS1_9scan_implILNS1_25lookback_scan_determinismE0ELb0ELb0ES3_PKS7_PS7_S7_ZZZN2at6native31launch_logcumsumexp_cuda_kernelERKNSE_10TensorBaseESI_lENKUlvE_clEvENKUlvE2_clEvEUlS7_S7_E_S7_EEDaPvRmT3_T4_T5_mT6_P12ihipStream_tbENKUlT_T0_E_clISt17integral_constantIbLb1EESZ_EEDaSU_SV_EUlSU_E_NS1_11comp_targetILNS1_3genE3ELNS1_11target_archE908ELNS1_3gpuE7ELNS1_3repE0EEENS1_30default_config_static_selectorELNS0_4arch9wavefront6targetE0EEEvT1_.has_recursion, 0
	.set _ZN7rocprim17ROCPRIM_400000_NS6detail17trampoline_kernelINS0_14default_configENS1_20scan_config_selectorIN3c107complexIfEEEEZZNS1_9scan_implILNS1_25lookback_scan_determinismE0ELb0ELb0ES3_PKS7_PS7_S7_ZZZN2at6native31launch_logcumsumexp_cuda_kernelERKNSE_10TensorBaseESI_lENKUlvE_clEvENKUlvE2_clEvEUlS7_S7_E_S7_EEDaPvRmT3_T4_T5_mT6_P12ihipStream_tbENKUlT_T0_E_clISt17integral_constantIbLb1EESZ_EEDaSU_SV_EUlSU_E_NS1_11comp_targetILNS1_3genE3ELNS1_11target_archE908ELNS1_3gpuE7ELNS1_3repE0EEENS1_30default_config_static_selectorELNS0_4arch9wavefront6targetE0EEEvT1_.has_indirect_call, 0
	.section	.AMDGPU.csdata,"",@progbits
; Kernel info:
; codeLenInByte = 0
; TotalNumSgprs: 0
; NumVgprs: 0
; ScratchSize: 0
; MemoryBound: 0
; FloatMode: 240
; IeeeMode: 1
; LDSByteSize: 0 bytes/workgroup (compile time only)
; SGPRBlocks: 0
; VGPRBlocks: 0
; NumSGPRsForWavesPerEU: 1
; NumVGPRsForWavesPerEU: 1
; Occupancy: 16
; WaveLimiterHint : 0
; COMPUTE_PGM_RSRC2:SCRATCH_EN: 0
; COMPUTE_PGM_RSRC2:USER_SGPR: 6
; COMPUTE_PGM_RSRC2:TRAP_HANDLER: 0
; COMPUTE_PGM_RSRC2:TGID_X_EN: 1
; COMPUTE_PGM_RSRC2:TGID_Y_EN: 0
; COMPUTE_PGM_RSRC2:TGID_Z_EN: 0
; COMPUTE_PGM_RSRC2:TIDIG_COMP_CNT: 0
	.section	.text._ZN7rocprim17ROCPRIM_400000_NS6detail17trampoline_kernelINS0_14default_configENS1_20scan_config_selectorIN3c107complexIfEEEEZZNS1_9scan_implILNS1_25lookback_scan_determinismE0ELb0ELb0ES3_PKS7_PS7_S7_ZZZN2at6native31launch_logcumsumexp_cuda_kernelERKNSE_10TensorBaseESI_lENKUlvE_clEvENKUlvE2_clEvEUlS7_S7_E_S7_EEDaPvRmT3_T4_T5_mT6_P12ihipStream_tbENKUlT_T0_E_clISt17integral_constantIbLb1EESZ_EEDaSU_SV_EUlSU_E_NS1_11comp_targetILNS1_3genE2ELNS1_11target_archE906ELNS1_3gpuE6ELNS1_3repE0EEENS1_30default_config_static_selectorELNS0_4arch9wavefront6targetE0EEEvT1_,"axG",@progbits,_ZN7rocprim17ROCPRIM_400000_NS6detail17trampoline_kernelINS0_14default_configENS1_20scan_config_selectorIN3c107complexIfEEEEZZNS1_9scan_implILNS1_25lookback_scan_determinismE0ELb0ELb0ES3_PKS7_PS7_S7_ZZZN2at6native31launch_logcumsumexp_cuda_kernelERKNSE_10TensorBaseESI_lENKUlvE_clEvENKUlvE2_clEvEUlS7_S7_E_S7_EEDaPvRmT3_T4_T5_mT6_P12ihipStream_tbENKUlT_T0_E_clISt17integral_constantIbLb1EESZ_EEDaSU_SV_EUlSU_E_NS1_11comp_targetILNS1_3genE2ELNS1_11target_archE906ELNS1_3gpuE6ELNS1_3repE0EEENS1_30default_config_static_selectorELNS0_4arch9wavefront6targetE0EEEvT1_,comdat
	.globl	_ZN7rocprim17ROCPRIM_400000_NS6detail17trampoline_kernelINS0_14default_configENS1_20scan_config_selectorIN3c107complexIfEEEEZZNS1_9scan_implILNS1_25lookback_scan_determinismE0ELb0ELb0ES3_PKS7_PS7_S7_ZZZN2at6native31launch_logcumsumexp_cuda_kernelERKNSE_10TensorBaseESI_lENKUlvE_clEvENKUlvE2_clEvEUlS7_S7_E_S7_EEDaPvRmT3_T4_T5_mT6_P12ihipStream_tbENKUlT_T0_E_clISt17integral_constantIbLb1EESZ_EEDaSU_SV_EUlSU_E_NS1_11comp_targetILNS1_3genE2ELNS1_11target_archE906ELNS1_3gpuE6ELNS1_3repE0EEENS1_30default_config_static_selectorELNS0_4arch9wavefront6targetE0EEEvT1_ ; -- Begin function _ZN7rocprim17ROCPRIM_400000_NS6detail17trampoline_kernelINS0_14default_configENS1_20scan_config_selectorIN3c107complexIfEEEEZZNS1_9scan_implILNS1_25lookback_scan_determinismE0ELb0ELb0ES3_PKS7_PS7_S7_ZZZN2at6native31launch_logcumsumexp_cuda_kernelERKNSE_10TensorBaseESI_lENKUlvE_clEvENKUlvE2_clEvEUlS7_S7_E_S7_EEDaPvRmT3_T4_T5_mT6_P12ihipStream_tbENKUlT_T0_E_clISt17integral_constantIbLb1EESZ_EEDaSU_SV_EUlSU_E_NS1_11comp_targetILNS1_3genE2ELNS1_11target_archE906ELNS1_3gpuE6ELNS1_3repE0EEENS1_30default_config_static_selectorELNS0_4arch9wavefront6targetE0EEEvT1_
	.p2align	8
	.type	_ZN7rocprim17ROCPRIM_400000_NS6detail17trampoline_kernelINS0_14default_configENS1_20scan_config_selectorIN3c107complexIfEEEEZZNS1_9scan_implILNS1_25lookback_scan_determinismE0ELb0ELb0ES3_PKS7_PS7_S7_ZZZN2at6native31launch_logcumsumexp_cuda_kernelERKNSE_10TensorBaseESI_lENKUlvE_clEvENKUlvE2_clEvEUlS7_S7_E_S7_EEDaPvRmT3_T4_T5_mT6_P12ihipStream_tbENKUlT_T0_E_clISt17integral_constantIbLb1EESZ_EEDaSU_SV_EUlSU_E_NS1_11comp_targetILNS1_3genE2ELNS1_11target_archE906ELNS1_3gpuE6ELNS1_3repE0EEENS1_30default_config_static_selectorELNS0_4arch9wavefront6targetE0EEEvT1_,@function
_ZN7rocprim17ROCPRIM_400000_NS6detail17trampoline_kernelINS0_14default_configENS1_20scan_config_selectorIN3c107complexIfEEEEZZNS1_9scan_implILNS1_25lookback_scan_determinismE0ELb0ELb0ES3_PKS7_PS7_S7_ZZZN2at6native31launch_logcumsumexp_cuda_kernelERKNSE_10TensorBaseESI_lENKUlvE_clEvENKUlvE2_clEvEUlS7_S7_E_S7_EEDaPvRmT3_T4_T5_mT6_P12ihipStream_tbENKUlT_T0_E_clISt17integral_constantIbLb1EESZ_EEDaSU_SV_EUlSU_E_NS1_11comp_targetILNS1_3genE2ELNS1_11target_archE906ELNS1_3gpuE6ELNS1_3repE0EEENS1_30default_config_static_selectorELNS0_4arch9wavefront6targetE0EEEvT1_: ; @_ZN7rocprim17ROCPRIM_400000_NS6detail17trampoline_kernelINS0_14default_configENS1_20scan_config_selectorIN3c107complexIfEEEEZZNS1_9scan_implILNS1_25lookback_scan_determinismE0ELb0ELb0ES3_PKS7_PS7_S7_ZZZN2at6native31launch_logcumsumexp_cuda_kernelERKNSE_10TensorBaseESI_lENKUlvE_clEvENKUlvE2_clEvEUlS7_S7_E_S7_EEDaPvRmT3_T4_T5_mT6_P12ihipStream_tbENKUlT_T0_E_clISt17integral_constantIbLb1EESZ_EEDaSU_SV_EUlSU_E_NS1_11comp_targetILNS1_3genE2ELNS1_11target_archE906ELNS1_3gpuE6ELNS1_3repE0EEENS1_30default_config_static_selectorELNS0_4arch9wavefront6targetE0EEEvT1_
; %bb.0:
	.section	.rodata,"a",@progbits
	.p2align	6, 0x0
	.amdhsa_kernel _ZN7rocprim17ROCPRIM_400000_NS6detail17trampoline_kernelINS0_14default_configENS1_20scan_config_selectorIN3c107complexIfEEEEZZNS1_9scan_implILNS1_25lookback_scan_determinismE0ELb0ELb0ES3_PKS7_PS7_S7_ZZZN2at6native31launch_logcumsumexp_cuda_kernelERKNSE_10TensorBaseESI_lENKUlvE_clEvENKUlvE2_clEvEUlS7_S7_E_S7_EEDaPvRmT3_T4_T5_mT6_P12ihipStream_tbENKUlT_T0_E_clISt17integral_constantIbLb1EESZ_EEDaSU_SV_EUlSU_E_NS1_11comp_targetILNS1_3genE2ELNS1_11target_archE906ELNS1_3gpuE6ELNS1_3repE0EEENS1_30default_config_static_selectorELNS0_4arch9wavefront6targetE0EEEvT1_
		.amdhsa_group_segment_fixed_size 0
		.amdhsa_private_segment_fixed_size 0
		.amdhsa_kernarg_size 104
		.amdhsa_user_sgpr_count 6
		.amdhsa_user_sgpr_private_segment_buffer 1
		.amdhsa_user_sgpr_dispatch_ptr 0
		.amdhsa_user_sgpr_queue_ptr 0
		.amdhsa_user_sgpr_kernarg_segment_ptr 1
		.amdhsa_user_sgpr_dispatch_id 0
		.amdhsa_user_sgpr_flat_scratch_init 0
		.amdhsa_user_sgpr_private_segment_size 0
		.amdhsa_wavefront_size32 1
		.amdhsa_uses_dynamic_stack 0
		.amdhsa_system_sgpr_private_segment_wavefront_offset 0
		.amdhsa_system_sgpr_workgroup_id_x 1
		.amdhsa_system_sgpr_workgroup_id_y 0
		.amdhsa_system_sgpr_workgroup_id_z 0
		.amdhsa_system_sgpr_workgroup_info 0
		.amdhsa_system_vgpr_workitem_id 0
		.amdhsa_next_free_vgpr 1
		.amdhsa_next_free_sgpr 1
		.amdhsa_reserve_vcc 0
		.amdhsa_reserve_flat_scratch 0
		.amdhsa_float_round_mode_32 0
		.amdhsa_float_round_mode_16_64 0
		.amdhsa_float_denorm_mode_32 3
		.amdhsa_float_denorm_mode_16_64 3
		.amdhsa_dx10_clamp 1
		.amdhsa_ieee_mode 1
		.amdhsa_fp16_overflow 0
		.amdhsa_workgroup_processor_mode 1
		.amdhsa_memory_ordered 1
		.amdhsa_forward_progress 1
		.amdhsa_shared_vgpr_count 0
		.amdhsa_exception_fp_ieee_invalid_op 0
		.amdhsa_exception_fp_denorm_src 0
		.amdhsa_exception_fp_ieee_div_zero 0
		.amdhsa_exception_fp_ieee_overflow 0
		.amdhsa_exception_fp_ieee_underflow 0
		.amdhsa_exception_fp_ieee_inexact 0
		.amdhsa_exception_int_div_zero 0
	.end_amdhsa_kernel
	.section	.text._ZN7rocprim17ROCPRIM_400000_NS6detail17trampoline_kernelINS0_14default_configENS1_20scan_config_selectorIN3c107complexIfEEEEZZNS1_9scan_implILNS1_25lookback_scan_determinismE0ELb0ELb0ES3_PKS7_PS7_S7_ZZZN2at6native31launch_logcumsumexp_cuda_kernelERKNSE_10TensorBaseESI_lENKUlvE_clEvENKUlvE2_clEvEUlS7_S7_E_S7_EEDaPvRmT3_T4_T5_mT6_P12ihipStream_tbENKUlT_T0_E_clISt17integral_constantIbLb1EESZ_EEDaSU_SV_EUlSU_E_NS1_11comp_targetILNS1_3genE2ELNS1_11target_archE906ELNS1_3gpuE6ELNS1_3repE0EEENS1_30default_config_static_selectorELNS0_4arch9wavefront6targetE0EEEvT1_,"axG",@progbits,_ZN7rocprim17ROCPRIM_400000_NS6detail17trampoline_kernelINS0_14default_configENS1_20scan_config_selectorIN3c107complexIfEEEEZZNS1_9scan_implILNS1_25lookback_scan_determinismE0ELb0ELb0ES3_PKS7_PS7_S7_ZZZN2at6native31launch_logcumsumexp_cuda_kernelERKNSE_10TensorBaseESI_lENKUlvE_clEvENKUlvE2_clEvEUlS7_S7_E_S7_EEDaPvRmT3_T4_T5_mT6_P12ihipStream_tbENKUlT_T0_E_clISt17integral_constantIbLb1EESZ_EEDaSU_SV_EUlSU_E_NS1_11comp_targetILNS1_3genE2ELNS1_11target_archE906ELNS1_3gpuE6ELNS1_3repE0EEENS1_30default_config_static_selectorELNS0_4arch9wavefront6targetE0EEEvT1_,comdat
.Lfunc_end295:
	.size	_ZN7rocprim17ROCPRIM_400000_NS6detail17trampoline_kernelINS0_14default_configENS1_20scan_config_selectorIN3c107complexIfEEEEZZNS1_9scan_implILNS1_25lookback_scan_determinismE0ELb0ELb0ES3_PKS7_PS7_S7_ZZZN2at6native31launch_logcumsumexp_cuda_kernelERKNSE_10TensorBaseESI_lENKUlvE_clEvENKUlvE2_clEvEUlS7_S7_E_S7_EEDaPvRmT3_T4_T5_mT6_P12ihipStream_tbENKUlT_T0_E_clISt17integral_constantIbLb1EESZ_EEDaSU_SV_EUlSU_E_NS1_11comp_targetILNS1_3genE2ELNS1_11target_archE906ELNS1_3gpuE6ELNS1_3repE0EEENS1_30default_config_static_selectorELNS0_4arch9wavefront6targetE0EEEvT1_, .Lfunc_end295-_ZN7rocprim17ROCPRIM_400000_NS6detail17trampoline_kernelINS0_14default_configENS1_20scan_config_selectorIN3c107complexIfEEEEZZNS1_9scan_implILNS1_25lookback_scan_determinismE0ELb0ELb0ES3_PKS7_PS7_S7_ZZZN2at6native31launch_logcumsumexp_cuda_kernelERKNSE_10TensorBaseESI_lENKUlvE_clEvENKUlvE2_clEvEUlS7_S7_E_S7_EEDaPvRmT3_T4_T5_mT6_P12ihipStream_tbENKUlT_T0_E_clISt17integral_constantIbLb1EESZ_EEDaSU_SV_EUlSU_E_NS1_11comp_targetILNS1_3genE2ELNS1_11target_archE906ELNS1_3gpuE6ELNS1_3repE0EEENS1_30default_config_static_selectorELNS0_4arch9wavefront6targetE0EEEvT1_
                                        ; -- End function
	.set _ZN7rocprim17ROCPRIM_400000_NS6detail17trampoline_kernelINS0_14default_configENS1_20scan_config_selectorIN3c107complexIfEEEEZZNS1_9scan_implILNS1_25lookback_scan_determinismE0ELb0ELb0ES3_PKS7_PS7_S7_ZZZN2at6native31launch_logcumsumexp_cuda_kernelERKNSE_10TensorBaseESI_lENKUlvE_clEvENKUlvE2_clEvEUlS7_S7_E_S7_EEDaPvRmT3_T4_T5_mT6_P12ihipStream_tbENKUlT_T0_E_clISt17integral_constantIbLb1EESZ_EEDaSU_SV_EUlSU_E_NS1_11comp_targetILNS1_3genE2ELNS1_11target_archE906ELNS1_3gpuE6ELNS1_3repE0EEENS1_30default_config_static_selectorELNS0_4arch9wavefront6targetE0EEEvT1_.num_vgpr, 0
	.set _ZN7rocprim17ROCPRIM_400000_NS6detail17trampoline_kernelINS0_14default_configENS1_20scan_config_selectorIN3c107complexIfEEEEZZNS1_9scan_implILNS1_25lookback_scan_determinismE0ELb0ELb0ES3_PKS7_PS7_S7_ZZZN2at6native31launch_logcumsumexp_cuda_kernelERKNSE_10TensorBaseESI_lENKUlvE_clEvENKUlvE2_clEvEUlS7_S7_E_S7_EEDaPvRmT3_T4_T5_mT6_P12ihipStream_tbENKUlT_T0_E_clISt17integral_constantIbLb1EESZ_EEDaSU_SV_EUlSU_E_NS1_11comp_targetILNS1_3genE2ELNS1_11target_archE906ELNS1_3gpuE6ELNS1_3repE0EEENS1_30default_config_static_selectorELNS0_4arch9wavefront6targetE0EEEvT1_.num_agpr, 0
	.set _ZN7rocprim17ROCPRIM_400000_NS6detail17trampoline_kernelINS0_14default_configENS1_20scan_config_selectorIN3c107complexIfEEEEZZNS1_9scan_implILNS1_25lookback_scan_determinismE0ELb0ELb0ES3_PKS7_PS7_S7_ZZZN2at6native31launch_logcumsumexp_cuda_kernelERKNSE_10TensorBaseESI_lENKUlvE_clEvENKUlvE2_clEvEUlS7_S7_E_S7_EEDaPvRmT3_T4_T5_mT6_P12ihipStream_tbENKUlT_T0_E_clISt17integral_constantIbLb1EESZ_EEDaSU_SV_EUlSU_E_NS1_11comp_targetILNS1_3genE2ELNS1_11target_archE906ELNS1_3gpuE6ELNS1_3repE0EEENS1_30default_config_static_selectorELNS0_4arch9wavefront6targetE0EEEvT1_.numbered_sgpr, 0
	.set _ZN7rocprim17ROCPRIM_400000_NS6detail17trampoline_kernelINS0_14default_configENS1_20scan_config_selectorIN3c107complexIfEEEEZZNS1_9scan_implILNS1_25lookback_scan_determinismE0ELb0ELb0ES3_PKS7_PS7_S7_ZZZN2at6native31launch_logcumsumexp_cuda_kernelERKNSE_10TensorBaseESI_lENKUlvE_clEvENKUlvE2_clEvEUlS7_S7_E_S7_EEDaPvRmT3_T4_T5_mT6_P12ihipStream_tbENKUlT_T0_E_clISt17integral_constantIbLb1EESZ_EEDaSU_SV_EUlSU_E_NS1_11comp_targetILNS1_3genE2ELNS1_11target_archE906ELNS1_3gpuE6ELNS1_3repE0EEENS1_30default_config_static_selectorELNS0_4arch9wavefront6targetE0EEEvT1_.num_named_barrier, 0
	.set _ZN7rocprim17ROCPRIM_400000_NS6detail17trampoline_kernelINS0_14default_configENS1_20scan_config_selectorIN3c107complexIfEEEEZZNS1_9scan_implILNS1_25lookback_scan_determinismE0ELb0ELb0ES3_PKS7_PS7_S7_ZZZN2at6native31launch_logcumsumexp_cuda_kernelERKNSE_10TensorBaseESI_lENKUlvE_clEvENKUlvE2_clEvEUlS7_S7_E_S7_EEDaPvRmT3_T4_T5_mT6_P12ihipStream_tbENKUlT_T0_E_clISt17integral_constantIbLb1EESZ_EEDaSU_SV_EUlSU_E_NS1_11comp_targetILNS1_3genE2ELNS1_11target_archE906ELNS1_3gpuE6ELNS1_3repE0EEENS1_30default_config_static_selectorELNS0_4arch9wavefront6targetE0EEEvT1_.private_seg_size, 0
	.set _ZN7rocprim17ROCPRIM_400000_NS6detail17trampoline_kernelINS0_14default_configENS1_20scan_config_selectorIN3c107complexIfEEEEZZNS1_9scan_implILNS1_25lookback_scan_determinismE0ELb0ELb0ES3_PKS7_PS7_S7_ZZZN2at6native31launch_logcumsumexp_cuda_kernelERKNSE_10TensorBaseESI_lENKUlvE_clEvENKUlvE2_clEvEUlS7_S7_E_S7_EEDaPvRmT3_T4_T5_mT6_P12ihipStream_tbENKUlT_T0_E_clISt17integral_constantIbLb1EESZ_EEDaSU_SV_EUlSU_E_NS1_11comp_targetILNS1_3genE2ELNS1_11target_archE906ELNS1_3gpuE6ELNS1_3repE0EEENS1_30default_config_static_selectorELNS0_4arch9wavefront6targetE0EEEvT1_.uses_vcc, 0
	.set _ZN7rocprim17ROCPRIM_400000_NS6detail17trampoline_kernelINS0_14default_configENS1_20scan_config_selectorIN3c107complexIfEEEEZZNS1_9scan_implILNS1_25lookback_scan_determinismE0ELb0ELb0ES3_PKS7_PS7_S7_ZZZN2at6native31launch_logcumsumexp_cuda_kernelERKNSE_10TensorBaseESI_lENKUlvE_clEvENKUlvE2_clEvEUlS7_S7_E_S7_EEDaPvRmT3_T4_T5_mT6_P12ihipStream_tbENKUlT_T0_E_clISt17integral_constantIbLb1EESZ_EEDaSU_SV_EUlSU_E_NS1_11comp_targetILNS1_3genE2ELNS1_11target_archE906ELNS1_3gpuE6ELNS1_3repE0EEENS1_30default_config_static_selectorELNS0_4arch9wavefront6targetE0EEEvT1_.uses_flat_scratch, 0
	.set _ZN7rocprim17ROCPRIM_400000_NS6detail17trampoline_kernelINS0_14default_configENS1_20scan_config_selectorIN3c107complexIfEEEEZZNS1_9scan_implILNS1_25lookback_scan_determinismE0ELb0ELb0ES3_PKS7_PS7_S7_ZZZN2at6native31launch_logcumsumexp_cuda_kernelERKNSE_10TensorBaseESI_lENKUlvE_clEvENKUlvE2_clEvEUlS7_S7_E_S7_EEDaPvRmT3_T4_T5_mT6_P12ihipStream_tbENKUlT_T0_E_clISt17integral_constantIbLb1EESZ_EEDaSU_SV_EUlSU_E_NS1_11comp_targetILNS1_3genE2ELNS1_11target_archE906ELNS1_3gpuE6ELNS1_3repE0EEENS1_30default_config_static_selectorELNS0_4arch9wavefront6targetE0EEEvT1_.has_dyn_sized_stack, 0
	.set _ZN7rocprim17ROCPRIM_400000_NS6detail17trampoline_kernelINS0_14default_configENS1_20scan_config_selectorIN3c107complexIfEEEEZZNS1_9scan_implILNS1_25lookback_scan_determinismE0ELb0ELb0ES3_PKS7_PS7_S7_ZZZN2at6native31launch_logcumsumexp_cuda_kernelERKNSE_10TensorBaseESI_lENKUlvE_clEvENKUlvE2_clEvEUlS7_S7_E_S7_EEDaPvRmT3_T4_T5_mT6_P12ihipStream_tbENKUlT_T0_E_clISt17integral_constantIbLb1EESZ_EEDaSU_SV_EUlSU_E_NS1_11comp_targetILNS1_3genE2ELNS1_11target_archE906ELNS1_3gpuE6ELNS1_3repE0EEENS1_30default_config_static_selectorELNS0_4arch9wavefront6targetE0EEEvT1_.has_recursion, 0
	.set _ZN7rocprim17ROCPRIM_400000_NS6detail17trampoline_kernelINS0_14default_configENS1_20scan_config_selectorIN3c107complexIfEEEEZZNS1_9scan_implILNS1_25lookback_scan_determinismE0ELb0ELb0ES3_PKS7_PS7_S7_ZZZN2at6native31launch_logcumsumexp_cuda_kernelERKNSE_10TensorBaseESI_lENKUlvE_clEvENKUlvE2_clEvEUlS7_S7_E_S7_EEDaPvRmT3_T4_T5_mT6_P12ihipStream_tbENKUlT_T0_E_clISt17integral_constantIbLb1EESZ_EEDaSU_SV_EUlSU_E_NS1_11comp_targetILNS1_3genE2ELNS1_11target_archE906ELNS1_3gpuE6ELNS1_3repE0EEENS1_30default_config_static_selectorELNS0_4arch9wavefront6targetE0EEEvT1_.has_indirect_call, 0
	.section	.AMDGPU.csdata,"",@progbits
; Kernel info:
; codeLenInByte = 0
; TotalNumSgprs: 0
; NumVgprs: 0
; ScratchSize: 0
; MemoryBound: 0
; FloatMode: 240
; IeeeMode: 1
; LDSByteSize: 0 bytes/workgroup (compile time only)
; SGPRBlocks: 0
; VGPRBlocks: 0
; NumSGPRsForWavesPerEU: 1
; NumVGPRsForWavesPerEU: 1
; Occupancy: 16
; WaveLimiterHint : 0
; COMPUTE_PGM_RSRC2:SCRATCH_EN: 0
; COMPUTE_PGM_RSRC2:USER_SGPR: 6
; COMPUTE_PGM_RSRC2:TRAP_HANDLER: 0
; COMPUTE_PGM_RSRC2:TGID_X_EN: 1
; COMPUTE_PGM_RSRC2:TGID_Y_EN: 0
; COMPUTE_PGM_RSRC2:TGID_Z_EN: 0
; COMPUTE_PGM_RSRC2:TIDIG_COMP_CNT: 0
	.section	.text._ZN7rocprim17ROCPRIM_400000_NS6detail17trampoline_kernelINS0_14default_configENS1_20scan_config_selectorIN3c107complexIfEEEEZZNS1_9scan_implILNS1_25lookback_scan_determinismE0ELb0ELb0ES3_PKS7_PS7_S7_ZZZN2at6native31launch_logcumsumexp_cuda_kernelERKNSE_10TensorBaseESI_lENKUlvE_clEvENKUlvE2_clEvEUlS7_S7_E_S7_EEDaPvRmT3_T4_T5_mT6_P12ihipStream_tbENKUlT_T0_E_clISt17integral_constantIbLb1EESZ_EEDaSU_SV_EUlSU_E_NS1_11comp_targetILNS1_3genE10ELNS1_11target_archE1201ELNS1_3gpuE5ELNS1_3repE0EEENS1_30default_config_static_selectorELNS0_4arch9wavefront6targetE0EEEvT1_,"axG",@progbits,_ZN7rocprim17ROCPRIM_400000_NS6detail17trampoline_kernelINS0_14default_configENS1_20scan_config_selectorIN3c107complexIfEEEEZZNS1_9scan_implILNS1_25lookback_scan_determinismE0ELb0ELb0ES3_PKS7_PS7_S7_ZZZN2at6native31launch_logcumsumexp_cuda_kernelERKNSE_10TensorBaseESI_lENKUlvE_clEvENKUlvE2_clEvEUlS7_S7_E_S7_EEDaPvRmT3_T4_T5_mT6_P12ihipStream_tbENKUlT_T0_E_clISt17integral_constantIbLb1EESZ_EEDaSU_SV_EUlSU_E_NS1_11comp_targetILNS1_3genE10ELNS1_11target_archE1201ELNS1_3gpuE5ELNS1_3repE0EEENS1_30default_config_static_selectorELNS0_4arch9wavefront6targetE0EEEvT1_,comdat
	.globl	_ZN7rocprim17ROCPRIM_400000_NS6detail17trampoline_kernelINS0_14default_configENS1_20scan_config_selectorIN3c107complexIfEEEEZZNS1_9scan_implILNS1_25lookback_scan_determinismE0ELb0ELb0ES3_PKS7_PS7_S7_ZZZN2at6native31launch_logcumsumexp_cuda_kernelERKNSE_10TensorBaseESI_lENKUlvE_clEvENKUlvE2_clEvEUlS7_S7_E_S7_EEDaPvRmT3_T4_T5_mT6_P12ihipStream_tbENKUlT_T0_E_clISt17integral_constantIbLb1EESZ_EEDaSU_SV_EUlSU_E_NS1_11comp_targetILNS1_3genE10ELNS1_11target_archE1201ELNS1_3gpuE5ELNS1_3repE0EEENS1_30default_config_static_selectorELNS0_4arch9wavefront6targetE0EEEvT1_ ; -- Begin function _ZN7rocprim17ROCPRIM_400000_NS6detail17trampoline_kernelINS0_14default_configENS1_20scan_config_selectorIN3c107complexIfEEEEZZNS1_9scan_implILNS1_25lookback_scan_determinismE0ELb0ELb0ES3_PKS7_PS7_S7_ZZZN2at6native31launch_logcumsumexp_cuda_kernelERKNSE_10TensorBaseESI_lENKUlvE_clEvENKUlvE2_clEvEUlS7_S7_E_S7_EEDaPvRmT3_T4_T5_mT6_P12ihipStream_tbENKUlT_T0_E_clISt17integral_constantIbLb1EESZ_EEDaSU_SV_EUlSU_E_NS1_11comp_targetILNS1_3genE10ELNS1_11target_archE1201ELNS1_3gpuE5ELNS1_3repE0EEENS1_30default_config_static_selectorELNS0_4arch9wavefront6targetE0EEEvT1_
	.p2align	8
	.type	_ZN7rocprim17ROCPRIM_400000_NS6detail17trampoline_kernelINS0_14default_configENS1_20scan_config_selectorIN3c107complexIfEEEEZZNS1_9scan_implILNS1_25lookback_scan_determinismE0ELb0ELb0ES3_PKS7_PS7_S7_ZZZN2at6native31launch_logcumsumexp_cuda_kernelERKNSE_10TensorBaseESI_lENKUlvE_clEvENKUlvE2_clEvEUlS7_S7_E_S7_EEDaPvRmT3_T4_T5_mT6_P12ihipStream_tbENKUlT_T0_E_clISt17integral_constantIbLb1EESZ_EEDaSU_SV_EUlSU_E_NS1_11comp_targetILNS1_3genE10ELNS1_11target_archE1201ELNS1_3gpuE5ELNS1_3repE0EEENS1_30default_config_static_selectorELNS0_4arch9wavefront6targetE0EEEvT1_,@function
_ZN7rocprim17ROCPRIM_400000_NS6detail17trampoline_kernelINS0_14default_configENS1_20scan_config_selectorIN3c107complexIfEEEEZZNS1_9scan_implILNS1_25lookback_scan_determinismE0ELb0ELb0ES3_PKS7_PS7_S7_ZZZN2at6native31launch_logcumsumexp_cuda_kernelERKNSE_10TensorBaseESI_lENKUlvE_clEvENKUlvE2_clEvEUlS7_S7_E_S7_EEDaPvRmT3_T4_T5_mT6_P12ihipStream_tbENKUlT_T0_E_clISt17integral_constantIbLb1EESZ_EEDaSU_SV_EUlSU_E_NS1_11comp_targetILNS1_3genE10ELNS1_11target_archE1201ELNS1_3gpuE5ELNS1_3repE0EEENS1_30default_config_static_selectorELNS0_4arch9wavefront6targetE0EEEvT1_: ; @_ZN7rocprim17ROCPRIM_400000_NS6detail17trampoline_kernelINS0_14default_configENS1_20scan_config_selectorIN3c107complexIfEEEEZZNS1_9scan_implILNS1_25lookback_scan_determinismE0ELb0ELb0ES3_PKS7_PS7_S7_ZZZN2at6native31launch_logcumsumexp_cuda_kernelERKNSE_10TensorBaseESI_lENKUlvE_clEvENKUlvE2_clEvEUlS7_S7_E_S7_EEDaPvRmT3_T4_T5_mT6_P12ihipStream_tbENKUlT_T0_E_clISt17integral_constantIbLb1EESZ_EEDaSU_SV_EUlSU_E_NS1_11comp_targetILNS1_3genE10ELNS1_11target_archE1201ELNS1_3gpuE5ELNS1_3repE0EEENS1_30default_config_static_selectorELNS0_4arch9wavefront6targetE0EEEvT1_
; %bb.0:
	.section	.rodata,"a",@progbits
	.p2align	6, 0x0
	.amdhsa_kernel _ZN7rocprim17ROCPRIM_400000_NS6detail17trampoline_kernelINS0_14default_configENS1_20scan_config_selectorIN3c107complexIfEEEEZZNS1_9scan_implILNS1_25lookback_scan_determinismE0ELb0ELb0ES3_PKS7_PS7_S7_ZZZN2at6native31launch_logcumsumexp_cuda_kernelERKNSE_10TensorBaseESI_lENKUlvE_clEvENKUlvE2_clEvEUlS7_S7_E_S7_EEDaPvRmT3_T4_T5_mT6_P12ihipStream_tbENKUlT_T0_E_clISt17integral_constantIbLb1EESZ_EEDaSU_SV_EUlSU_E_NS1_11comp_targetILNS1_3genE10ELNS1_11target_archE1201ELNS1_3gpuE5ELNS1_3repE0EEENS1_30default_config_static_selectorELNS0_4arch9wavefront6targetE0EEEvT1_
		.amdhsa_group_segment_fixed_size 0
		.amdhsa_private_segment_fixed_size 0
		.amdhsa_kernarg_size 104
		.amdhsa_user_sgpr_count 6
		.amdhsa_user_sgpr_private_segment_buffer 1
		.amdhsa_user_sgpr_dispatch_ptr 0
		.amdhsa_user_sgpr_queue_ptr 0
		.amdhsa_user_sgpr_kernarg_segment_ptr 1
		.amdhsa_user_sgpr_dispatch_id 0
		.amdhsa_user_sgpr_flat_scratch_init 0
		.amdhsa_user_sgpr_private_segment_size 0
		.amdhsa_wavefront_size32 1
		.amdhsa_uses_dynamic_stack 0
		.amdhsa_system_sgpr_private_segment_wavefront_offset 0
		.amdhsa_system_sgpr_workgroup_id_x 1
		.amdhsa_system_sgpr_workgroup_id_y 0
		.amdhsa_system_sgpr_workgroup_id_z 0
		.amdhsa_system_sgpr_workgroup_info 0
		.amdhsa_system_vgpr_workitem_id 0
		.amdhsa_next_free_vgpr 1
		.amdhsa_next_free_sgpr 1
		.amdhsa_reserve_vcc 0
		.amdhsa_reserve_flat_scratch 0
		.amdhsa_float_round_mode_32 0
		.amdhsa_float_round_mode_16_64 0
		.amdhsa_float_denorm_mode_32 3
		.amdhsa_float_denorm_mode_16_64 3
		.amdhsa_dx10_clamp 1
		.amdhsa_ieee_mode 1
		.amdhsa_fp16_overflow 0
		.amdhsa_workgroup_processor_mode 1
		.amdhsa_memory_ordered 1
		.amdhsa_forward_progress 1
		.amdhsa_shared_vgpr_count 0
		.amdhsa_exception_fp_ieee_invalid_op 0
		.amdhsa_exception_fp_denorm_src 0
		.amdhsa_exception_fp_ieee_div_zero 0
		.amdhsa_exception_fp_ieee_overflow 0
		.amdhsa_exception_fp_ieee_underflow 0
		.amdhsa_exception_fp_ieee_inexact 0
		.amdhsa_exception_int_div_zero 0
	.end_amdhsa_kernel
	.section	.text._ZN7rocprim17ROCPRIM_400000_NS6detail17trampoline_kernelINS0_14default_configENS1_20scan_config_selectorIN3c107complexIfEEEEZZNS1_9scan_implILNS1_25lookback_scan_determinismE0ELb0ELb0ES3_PKS7_PS7_S7_ZZZN2at6native31launch_logcumsumexp_cuda_kernelERKNSE_10TensorBaseESI_lENKUlvE_clEvENKUlvE2_clEvEUlS7_S7_E_S7_EEDaPvRmT3_T4_T5_mT6_P12ihipStream_tbENKUlT_T0_E_clISt17integral_constantIbLb1EESZ_EEDaSU_SV_EUlSU_E_NS1_11comp_targetILNS1_3genE10ELNS1_11target_archE1201ELNS1_3gpuE5ELNS1_3repE0EEENS1_30default_config_static_selectorELNS0_4arch9wavefront6targetE0EEEvT1_,"axG",@progbits,_ZN7rocprim17ROCPRIM_400000_NS6detail17trampoline_kernelINS0_14default_configENS1_20scan_config_selectorIN3c107complexIfEEEEZZNS1_9scan_implILNS1_25lookback_scan_determinismE0ELb0ELb0ES3_PKS7_PS7_S7_ZZZN2at6native31launch_logcumsumexp_cuda_kernelERKNSE_10TensorBaseESI_lENKUlvE_clEvENKUlvE2_clEvEUlS7_S7_E_S7_EEDaPvRmT3_T4_T5_mT6_P12ihipStream_tbENKUlT_T0_E_clISt17integral_constantIbLb1EESZ_EEDaSU_SV_EUlSU_E_NS1_11comp_targetILNS1_3genE10ELNS1_11target_archE1201ELNS1_3gpuE5ELNS1_3repE0EEENS1_30default_config_static_selectorELNS0_4arch9wavefront6targetE0EEEvT1_,comdat
.Lfunc_end296:
	.size	_ZN7rocprim17ROCPRIM_400000_NS6detail17trampoline_kernelINS0_14default_configENS1_20scan_config_selectorIN3c107complexIfEEEEZZNS1_9scan_implILNS1_25lookback_scan_determinismE0ELb0ELb0ES3_PKS7_PS7_S7_ZZZN2at6native31launch_logcumsumexp_cuda_kernelERKNSE_10TensorBaseESI_lENKUlvE_clEvENKUlvE2_clEvEUlS7_S7_E_S7_EEDaPvRmT3_T4_T5_mT6_P12ihipStream_tbENKUlT_T0_E_clISt17integral_constantIbLb1EESZ_EEDaSU_SV_EUlSU_E_NS1_11comp_targetILNS1_3genE10ELNS1_11target_archE1201ELNS1_3gpuE5ELNS1_3repE0EEENS1_30default_config_static_selectorELNS0_4arch9wavefront6targetE0EEEvT1_, .Lfunc_end296-_ZN7rocprim17ROCPRIM_400000_NS6detail17trampoline_kernelINS0_14default_configENS1_20scan_config_selectorIN3c107complexIfEEEEZZNS1_9scan_implILNS1_25lookback_scan_determinismE0ELb0ELb0ES3_PKS7_PS7_S7_ZZZN2at6native31launch_logcumsumexp_cuda_kernelERKNSE_10TensorBaseESI_lENKUlvE_clEvENKUlvE2_clEvEUlS7_S7_E_S7_EEDaPvRmT3_T4_T5_mT6_P12ihipStream_tbENKUlT_T0_E_clISt17integral_constantIbLb1EESZ_EEDaSU_SV_EUlSU_E_NS1_11comp_targetILNS1_3genE10ELNS1_11target_archE1201ELNS1_3gpuE5ELNS1_3repE0EEENS1_30default_config_static_selectorELNS0_4arch9wavefront6targetE0EEEvT1_
                                        ; -- End function
	.set _ZN7rocprim17ROCPRIM_400000_NS6detail17trampoline_kernelINS0_14default_configENS1_20scan_config_selectorIN3c107complexIfEEEEZZNS1_9scan_implILNS1_25lookback_scan_determinismE0ELb0ELb0ES3_PKS7_PS7_S7_ZZZN2at6native31launch_logcumsumexp_cuda_kernelERKNSE_10TensorBaseESI_lENKUlvE_clEvENKUlvE2_clEvEUlS7_S7_E_S7_EEDaPvRmT3_T4_T5_mT6_P12ihipStream_tbENKUlT_T0_E_clISt17integral_constantIbLb1EESZ_EEDaSU_SV_EUlSU_E_NS1_11comp_targetILNS1_3genE10ELNS1_11target_archE1201ELNS1_3gpuE5ELNS1_3repE0EEENS1_30default_config_static_selectorELNS0_4arch9wavefront6targetE0EEEvT1_.num_vgpr, 0
	.set _ZN7rocprim17ROCPRIM_400000_NS6detail17trampoline_kernelINS0_14default_configENS1_20scan_config_selectorIN3c107complexIfEEEEZZNS1_9scan_implILNS1_25lookback_scan_determinismE0ELb0ELb0ES3_PKS7_PS7_S7_ZZZN2at6native31launch_logcumsumexp_cuda_kernelERKNSE_10TensorBaseESI_lENKUlvE_clEvENKUlvE2_clEvEUlS7_S7_E_S7_EEDaPvRmT3_T4_T5_mT6_P12ihipStream_tbENKUlT_T0_E_clISt17integral_constantIbLb1EESZ_EEDaSU_SV_EUlSU_E_NS1_11comp_targetILNS1_3genE10ELNS1_11target_archE1201ELNS1_3gpuE5ELNS1_3repE0EEENS1_30default_config_static_selectorELNS0_4arch9wavefront6targetE0EEEvT1_.num_agpr, 0
	.set _ZN7rocprim17ROCPRIM_400000_NS6detail17trampoline_kernelINS0_14default_configENS1_20scan_config_selectorIN3c107complexIfEEEEZZNS1_9scan_implILNS1_25lookback_scan_determinismE0ELb0ELb0ES3_PKS7_PS7_S7_ZZZN2at6native31launch_logcumsumexp_cuda_kernelERKNSE_10TensorBaseESI_lENKUlvE_clEvENKUlvE2_clEvEUlS7_S7_E_S7_EEDaPvRmT3_T4_T5_mT6_P12ihipStream_tbENKUlT_T0_E_clISt17integral_constantIbLb1EESZ_EEDaSU_SV_EUlSU_E_NS1_11comp_targetILNS1_3genE10ELNS1_11target_archE1201ELNS1_3gpuE5ELNS1_3repE0EEENS1_30default_config_static_selectorELNS0_4arch9wavefront6targetE0EEEvT1_.numbered_sgpr, 0
	.set _ZN7rocprim17ROCPRIM_400000_NS6detail17trampoline_kernelINS0_14default_configENS1_20scan_config_selectorIN3c107complexIfEEEEZZNS1_9scan_implILNS1_25lookback_scan_determinismE0ELb0ELb0ES3_PKS7_PS7_S7_ZZZN2at6native31launch_logcumsumexp_cuda_kernelERKNSE_10TensorBaseESI_lENKUlvE_clEvENKUlvE2_clEvEUlS7_S7_E_S7_EEDaPvRmT3_T4_T5_mT6_P12ihipStream_tbENKUlT_T0_E_clISt17integral_constantIbLb1EESZ_EEDaSU_SV_EUlSU_E_NS1_11comp_targetILNS1_3genE10ELNS1_11target_archE1201ELNS1_3gpuE5ELNS1_3repE0EEENS1_30default_config_static_selectorELNS0_4arch9wavefront6targetE0EEEvT1_.num_named_barrier, 0
	.set _ZN7rocprim17ROCPRIM_400000_NS6detail17trampoline_kernelINS0_14default_configENS1_20scan_config_selectorIN3c107complexIfEEEEZZNS1_9scan_implILNS1_25lookback_scan_determinismE0ELb0ELb0ES3_PKS7_PS7_S7_ZZZN2at6native31launch_logcumsumexp_cuda_kernelERKNSE_10TensorBaseESI_lENKUlvE_clEvENKUlvE2_clEvEUlS7_S7_E_S7_EEDaPvRmT3_T4_T5_mT6_P12ihipStream_tbENKUlT_T0_E_clISt17integral_constantIbLb1EESZ_EEDaSU_SV_EUlSU_E_NS1_11comp_targetILNS1_3genE10ELNS1_11target_archE1201ELNS1_3gpuE5ELNS1_3repE0EEENS1_30default_config_static_selectorELNS0_4arch9wavefront6targetE0EEEvT1_.private_seg_size, 0
	.set _ZN7rocprim17ROCPRIM_400000_NS6detail17trampoline_kernelINS0_14default_configENS1_20scan_config_selectorIN3c107complexIfEEEEZZNS1_9scan_implILNS1_25lookback_scan_determinismE0ELb0ELb0ES3_PKS7_PS7_S7_ZZZN2at6native31launch_logcumsumexp_cuda_kernelERKNSE_10TensorBaseESI_lENKUlvE_clEvENKUlvE2_clEvEUlS7_S7_E_S7_EEDaPvRmT3_T4_T5_mT6_P12ihipStream_tbENKUlT_T0_E_clISt17integral_constantIbLb1EESZ_EEDaSU_SV_EUlSU_E_NS1_11comp_targetILNS1_3genE10ELNS1_11target_archE1201ELNS1_3gpuE5ELNS1_3repE0EEENS1_30default_config_static_selectorELNS0_4arch9wavefront6targetE0EEEvT1_.uses_vcc, 0
	.set _ZN7rocprim17ROCPRIM_400000_NS6detail17trampoline_kernelINS0_14default_configENS1_20scan_config_selectorIN3c107complexIfEEEEZZNS1_9scan_implILNS1_25lookback_scan_determinismE0ELb0ELb0ES3_PKS7_PS7_S7_ZZZN2at6native31launch_logcumsumexp_cuda_kernelERKNSE_10TensorBaseESI_lENKUlvE_clEvENKUlvE2_clEvEUlS7_S7_E_S7_EEDaPvRmT3_T4_T5_mT6_P12ihipStream_tbENKUlT_T0_E_clISt17integral_constantIbLb1EESZ_EEDaSU_SV_EUlSU_E_NS1_11comp_targetILNS1_3genE10ELNS1_11target_archE1201ELNS1_3gpuE5ELNS1_3repE0EEENS1_30default_config_static_selectorELNS0_4arch9wavefront6targetE0EEEvT1_.uses_flat_scratch, 0
	.set _ZN7rocprim17ROCPRIM_400000_NS6detail17trampoline_kernelINS0_14default_configENS1_20scan_config_selectorIN3c107complexIfEEEEZZNS1_9scan_implILNS1_25lookback_scan_determinismE0ELb0ELb0ES3_PKS7_PS7_S7_ZZZN2at6native31launch_logcumsumexp_cuda_kernelERKNSE_10TensorBaseESI_lENKUlvE_clEvENKUlvE2_clEvEUlS7_S7_E_S7_EEDaPvRmT3_T4_T5_mT6_P12ihipStream_tbENKUlT_T0_E_clISt17integral_constantIbLb1EESZ_EEDaSU_SV_EUlSU_E_NS1_11comp_targetILNS1_3genE10ELNS1_11target_archE1201ELNS1_3gpuE5ELNS1_3repE0EEENS1_30default_config_static_selectorELNS0_4arch9wavefront6targetE0EEEvT1_.has_dyn_sized_stack, 0
	.set _ZN7rocprim17ROCPRIM_400000_NS6detail17trampoline_kernelINS0_14default_configENS1_20scan_config_selectorIN3c107complexIfEEEEZZNS1_9scan_implILNS1_25lookback_scan_determinismE0ELb0ELb0ES3_PKS7_PS7_S7_ZZZN2at6native31launch_logcumsumexp_cuda_kernelERKNSE_10TensorBaseESI_lENKUlvE_clEvENKUlvE2_clEvEUlS7_S7_E_S7_EEDaPvRmT3_T4_T5_mT6_P12ihipStream_tbENKUlT_T0_E_clISt17integral_constantIbLb1EESZ_EEDaSU_SV_EUlSU_E_NS1_11comp_targetILNS1_3genE10ELNS1_11target_archE1201ELNS1_3gpuE5ELNS1_3repE0EEENS1_30default_config_static_selectorELNS0_4arch9wavefront6targetE0EEEvT1_.has_recursion, 0
	.set _ZN7rocprim17ROCPRIM_400000_NS6detail17trampoline_kernelINS0_14default_configENS1_20scan_config_selectorIN3c107complexIfEEEEZZNS1_9scan_implILNS1_25lookback_scan_determinismE0ELb0ELb0ES3_PKS7_PS7_S7_ZZZN2at6native31launch_logcumsumexp_cuda_kernelERKNSE_10TensorBaseESI_lENKUlvE_clEvENKUlvE2_clEvEUlS7_S7_E_S7_EEDaPvRmT3_T4_T5_mT6_P12ihipStream_tbENKUlT_T0_E_clISt17integral_constantIbLb1EESZ_EEDaSU_SV_EUlSU_E_NS1_11comp_targetILNS1_3genE10ELNS1_11target_archE1201ELNS1_3gpuE5ELNS1_3repE0EEENS1_30default_config_static_selectorELNS0_4arch9wavefront6targetE0EEEvT1_.has_indirect_call, 0
	.section	.AMDGPU.csdata,"",@progbits
; Kernel info:
; codeLenInByte = 0
; TotalNumSgprs: 0
; NumVgprs: 0
; ScratchSize: 0
; MemoryBound: 0
; FloatMode: 240
; IeeeMode: 1
; LDSByteSize: 0 bytes/workgroup (compile time only)
; SGPRBlocks: 0
; VGPRBlocks: 0
; NumSGPRsForWavesPerEU: 1
; NumVGPRsForWavesPerEU: 1
; Occupancy: 16
; WaveLimiterHint : 0
; COMPUTE_PGM_RSRC2:SCRATCH_EN: 0
; COMPUTE_PGM_RSRC2:USER_SGPR: 6
; COMPUTE_PGM_RSRC2:TRAP_HANDLER: 0
; COMPUTE_PGM_RSRC2:TGID_X_EN: 1
; COMPUTE_PGM_RSRC2:TGID_Y_EN: 0
; COMPUTE_PGM_RSRC2:TGID_Z_EN: 0
; COMPUTE_PGM_RSRC2:TIDIG_COMP_CNT: 0
	.section	.text._ZN7rocprim17ROCPRIM_400000_NS6detail17trampoline_kernelINS0_14default_configENS1_20scan_config_selectorIN3c107complexIfEEEEZZNS1_9scan_implILNS1_25lookback_scan_determinismE0ELb0ELb0ES3_PKS7_PS7_S7_ZZZN2at6native31launch_logcumsumexp_cuda_kernelERKNSE_10TensorBaseESI_lENKUlvE_clEvENKUlvE2_clEvEUlS7_S7_E_S7_EEDaPvRmT3_T4_T5_mT6_P12ihipStream_tbENKUlT_T0_E_clISt17integral_constantIbLb1EESZ_EEDaSU_SV_EUlSU_E_NS1_11comp_targetILNS1_3genE10ELNS1_11target_archE1200ELNS1_3gpuE4ELNS1_3repE0EEENS1_30default_config_static_selectorELNS0_4arch9wavefront6targetE0EEEvT1_,"axG",@progbits,_ZN7rocprim17ROCPRIM_400000_NS6detail17trampoline_kernelINS0_14default_configENS1_20scan_config_selectorIN3c107complexIfEEEEZZNS1_9scan_implILNS1_25lookback_scan_determinismE0ELb0ELb0ES3_PKS7_PS7_S7_ZZZN2at6native31launch_logcumsumexp_cuda_kernelERKNSE_10TensorBaseESI_lENKUlvE_clEvENKUlvE2_clEvEUlS7_S7_E_S7_EEDaPvRmT3_T4_T5_mT6_P12ihipStream_tbENKUlT_T0_E_clISt17integral_constantIbLb1EESZ_EEDaSU_SV_EUlSU_E_NS1_11comp_targetILNS1_3genE10ELNS1_11target_archE1200ELNS1_3gpuE4ELNS1_3repE0EEENS1_30default_config_static_selectorELNS0_4arch9wavefront6targetE0EEEvT1_,comdat
	.globl	_ZN7rocprim17ROCPRIM_400000_NS6detail17trampoline_kernelINS0_14default_configENS1_20scan_config_selectorIN3c107complexIfEEEEZZNS1_9scan_implILNS1_25lookback_scan_determinismE0ELb0ELb0ES3_PKS7_PS7_S7_ZZZN2at6native31launch_logcumsumexp_cuda_kernelERKNSE_10TensorBaseESI_lENKUlvE_clEvENKUlvE2_clEvEUlS7_S7_E_S7_EEDaPvRmT3_T4_T5_mT6_P12ihipStream_tbENKUlT_T0_E_clISt17integral_constantIbLb1EESZ_EEDaSU_SV_EUlSU_E_NS1_11comp_targetILNS1_3genE10ELNS1_11target_archE1200ELNS1_3gpuE4ELNS1_3repE0EEENS1_30default_config_static_selectorELNS0_4arch9wavefront6targetE0EEEvT1_ ; -- Begin function _ZN7rocprim17ROCPRIM_400000_NS6detail17trampoline_kernelINS0_14default_configENS1_20scan_config_selectorIN3c107complexIfEEEEZZNS1_9scan_implILNS1_25lookback_scan_determinismE0ELb0ELb0ES3_PKS7_PS7_S7_ZZZN2at6native31launch_logcumsumexp_cuda_kernelERKNSE_10TensorBaseESI_lENKUlvE_clEvENKUlvE2_clEvEUlS7_S7_E_S7_EEDaPvRmT3_T4_T5_mT6_P12ihipStream_tbENKUlT_T0_E_clISt17integral_constantIbLb1EESZ_EEDaSU_SV_EUlSU_E_NS1_11comp_targetILNS1_3genE10ELNS1_11target_archE1200ELNS1_3gpuE4ELNS1_3repE0EEENS1_30default_config_static_selectorELNS0_4arch9wavefront6targetE0EEEvT1_
	.p2align	8
	.type	_ZN7rocprim17ROCPRIM_400000_NS6detail17trampoline_kernelINS0_14default_configENS1_20scan_config_selectorIN3c107complexIfEEEEZZNS1_9scan_implILNS1_25lookback_scan_determinismE0ELb0ELb0ES3_PKS7_PS7_S7_ZZZN2at6native31launch_logcumsumexp_cuda_kernelERKNSE_10TensorBaseESI_lENKUlvE_clEvENKUlvE2_clEvEUlS7_S7_E_S7_EEDaPvRmT3_T4_T5_mT6_P12ihipStream_tbENKUlT_T0_E_clISt17integral_constantIbLb1EESZ_EEDaSU_SV_EUlSU_E_NS1_11comp_targetILNS1_3genE10ELNS1_11target_archE1200ELNS1_3gpuE4ELNS1_3repE0EEENS1_30default_config_static_selectorELNS0_4arch9wavefront6targetE0EEEvT1_,@function
_ZN7rocprim17ROCPRIM_400000_NS6detail17trampoline_kernelINS0_14default_configENS1_20scan_config_selectorIN3c107complexIfEEEEZZNS1_9scan_implILNS1_25lookback_scan_determinismE0ELb0ELb0ES3_PKS7_PS7_S7_ZZZN2at6native31launch_logcumsumexp_cuda_kernelERKNSE_10TensorBaseESI_lENKUlvE_clEvENKUlvE2_clEvEUlS7_S7_E_S7_EEDaPvRmT3_T4_T5_mT6_P12ihipStream_tbENKUlT_T0_E_clISt17integral_constantIbLb1EESZ_EEDaSU_SV_EUlSU_E_NS1_11comp_targetILNS1_3genE10ELNS1_11target_archE1200ELNS1_3gpuE4ELNS1_3repE0EEENS1_30default_config_static_selectorELNS0_4arch9wavefront6targetE0EEEvT1_: ; @_ZN7rocprim17ROCPRIM_400000_NS6detail17trampoline_kernelINS0_14default_configENS1_20scan_config_selectorIN3c107complexIfEEEEZZNS1_9scan_implILNS1_25lookback_scan_determinismE0ELb0ELb0ES3_PKS7_PS7_S7_ZZZN2at6native31launch_logcumsumexp_cuda_kernelERKNSE_10TensorBaseESI_lENKUlvE_clEvENKUlvE2_clEvEUlS7_S7_E_S7_EEDaPvRmT3_T4_T5_mT6_P12ihipStream_tbENKUlT_T0_E_clISt17integral_constantIbLb1EESZ_EEDaSU_SV_EUlSU_E_NS1_11comp_targetILNS1_3genE10ELNS1_11target_archE1200ELNS1_3gpuE4ELNS1_3repE0EEENS1_30default_config_static_selectorELNS0_4arch9wavefront6targetE0EEEvT1_
; %bb.0:
	.section	.rodata,"a",@progbits
	.p2align	6, 0x0
	.amdhsa_kernel _ZN7rocprim17ROCPRIM_400000_NS6detail17trampoline_kernelINS0_14default_configENS1_20scan_config_selectorIN3c107complexIfEEEEZZNS1_9scan_implILNS1_25lookback_scan_determinismE0ELb0ELb0ES3_PKS7_PS7_S7_ZZZN2at6native31launch_logcumsumexp_cuda_kernelERKNSE_10TensorBaseESI_lENKUlvE_clEvENKUlvE2_clEvEUlS7_S7_E_S7_EEDaPvRmT3_T4_T5_mT6_P12ihipStream_tbENKUlT_T0_E_clISt17integral_constantIbLb1EESZ_EEDaSU_SV_EUlSU_E_NS1_11comp_targetILNS1_3genE10ELNS1_11target_archE1200ELNS1_3gpuE4ELNS1_3repE0EEENS1_30default_config_static_selectorELNS0_4arch9wavefront6targetE0EEEvT1_
		.amdhsa_group_segment_fixed_size 0
		.amdhsa_private_segment_fixed_size 0
		.amdhsa_kernarg_size 104
		.amdhsa_user_sgpr_count 6
		.amdhsa_user_sgpr_private_segment_buffer 1
		.amdhsa_user_sgpr_dispatch_ptr 0
		.amdhsa_user_sgpr_queue_ptr 0
		.amdhsa_user_sgpr_kernarg_segment_ptr 1
		.amdhsa_user_sgpr_dispatch_id 0
		.amdhsa_user_sgpr_flat_scratch_init 0
		.amdhsa_user_sgpr_private_segment_size 0
		.amdhsa_wavefront_size32 1
		.amdhsa_uses_dynamic_stack 0
		.amdhsa_system_sgpr_private_segment_wavefront_offset 0
		.amdhsa_system_sgpr_workgroup_id_x 1
		.amdhsa_system_sgpr_workgroup_id_y 0
		.amdhsa_system_sgpr_workgroup_id_z 0
		.amdhsa_system_sgpr_workgroup_info 0
		.amdhsa_system_vgpr_workitem_id 0
		.amdhsa_next_free_vgpr 1
		.amdhsa_next_free_sgpr 1
		.amdhsa_reserve_vcc 0
		.amdhsa_reserve_flat_scratch 0
		.amdhsa_float_round_mode_32 0
		.amdhsa_float_round_mode_16_64 0
		.amdhsa_float_denorm_mode_32 3
		.amdhsa_float_denorm_mode_16_64 3
		.amdhsa_dx10_clamp 1
		.amdhsa_ieee_mode 1
		.amdhsa_fp16_overflow 0
		.amdhsa_workgroup_processor_mode 1
		.amdhsa_memory_ordered 1
		.amdhsa_forward_progress 1
		.amdhsa_shared_vgpr_count 0
		.amdhsa_exception_fp_ieee_invalid_op 0
		.amdhsa_exception_fp_denorm_src 0
		.amdhsa_exception_fp_ieee_div_zero 0
		.amdhsa_exception_fp_ieee_overflow 0
		.amdhsa_exception_fp_ieee_underflow 0
		.amdhsa_exception_fp_ieee_inexact 0
		.amdhsa_exception_int_div_zero 0
	.end_amdhsa_kernel
	.section	.text._ZN7rocprim17ROCPRIM_400000_NS6detail17trampoline_kernelINS0_14default_configENS1_20scan_config_selectorIN3c107complexIfEEEEZZNS1_9scan_implILNS1_25lookback_scan_determinismE0ELb0ELb0ES3_PKS7_PS7_S7_ZZZN2at6native31launch_logcumsumexp_cuda_kernelERKNSE_10TensorBaseESI_lENKUlvE_clEvENKUlvE2_clEvEUlS7_S7_E_S7_EEDaPvRmT3_T4_T5_mT6_P12ihipStream_tbENKUlT_T0_E_clISt17integral_constantIbLb1EESZ_EEDaSU_SV_EUlSU_E_NS1_11comp_targetILNS1_3genE10ELNS1_11target_archE1200ELNS1_3gpuE4ELNS1_3repE0EEENS1_30default_config_static_selectorELNS0_4arch9wavefront6targetE0EEEvT1_,"axG",@progbits,_ZN7rocprim17ROCPRIM_400000_NS6detail17trampoline_kernelINS0_14default_configENS1_20scan_config_selectorIN3c107complexIfEEEEZZNS1_9scan_implILNS1_25lookback_scan_determinismE0ELb0ELb0ES3_PKS7_PS7_S7_ZZZN2at6native31launch_logcumsumexp_cuda_kernelERKNSE_10TensorBaseESI_lENKUlvE_clEvENKUlvE2_clEvEUlS7_S7_E_S7_EEDaPvRmT3_T4_T5_mT6_P12ihipStream_tbENKUlT_T0_E_clISt17integral_constantIbLb1EESZ_EEDaSU_SV_EUlSU_E_NS1_11comp_targetILNS1_3genE10ELNS1_11target_archE1200ELNS1_3gpuE4ELNS1_3repE0EEENS1_30default_config_static_selectorELNS0_4arch9wavefront6targetE0EEEvT1_,comdat
.Lfunc_end297:
	.size	_ZN7rocprim17ROCPRIM_400000_NS6detail17trampoline_kernelINS0_14default_configENS1_20scan_config_selectorIN3c107complexIfEEEEZZNS1_9scan_implILNS1_25lookback_scan_determinismE0ELb0ELb0ES3_PKS7_PS7_S7_ZZZN2at6native31launch_logcumsumexp_cuda_kernelERKNSE_10TensorBaseESI_lENKUlvE_clEvENKUlvE2_clEvEUlS7_S7_E_S7_EEDaPvRmT3_T4_T5_mT6_P12ihipStream_tbENKUlT_T0_E_clISt17integral_constantIbLb1EESZ_EEDaSU_SV_EUlSU_E_NS1_11comp_targetILNS1_3genE10ELNS1_11target_archE1200ELNS1_3gpuE4ELNS1_3repE0EEENS1_30default_config_static_selectorELNS0_4arch9wavefront6targetE0EEEvT1_, .Lfunc_end297-_ZN7rocprim17ROCPRIM_400000_NS6detail17trampoline_kernelINS0_14default_configENS1_20scan_config_selectorIN3c107complexIfEEEEZZNS1_9scan_implILNS1_25lookback_scan_determinismE0ELb0ELb0ES3_PKS7_PS7_S7_ZZZN2at6native31launch_logcumsumexp_cuda_kernelERKNSE_10TensorBaseESI_lENKUlvE_clEvENKUlvE2_clEvEUlS7_S7_E_S7_EEDaPvRmT3_T4_T5_mT6_P12ihipStream_tbENKUlT_T0_E_clISt17integral_constantIbLb1EESZ_EEDaSU_SV_EUlSU_E_NS1_11comp_targetILNS1_3genE10ELNS1_11target_archE1200ELNS1_3gpuE4ELNS1_3repE0EEENS1_30default_config_static_selectorELNS0_4arch9wavefront6targetE0EEEvT1_
                                        ; -- End function
	.set _ZN7rocprim17ROCPRIM_400000_NS6detail17trampoline_kernelINS0_14default_configENS1_20scan_config_selectorIN3c107complexIfEEEEZZNS1_9scan_implILNS1_25lookback_scan_determinismE0ELb0ELb0ES3_PKS7_PS7_S7_ZZZN2at6native31launch_logcumsumexp_cuda_kernelERKNSE_10TensorBaseESI_lENKUlvE_clEvENKUlvE2_clEvEUlS7_S7_E_S7_EEDaPvRmT3_T4_T5_mT6_P12ihipStream_tbENKUlT_T0_E_clISt17integral_constantIbLb1EESZ_EEDaSU_SV_EUlSU_E_NS1_11comp_targetILNS1_3genE10ELNS1_11target_archE1200ELNS1_3gpuE4ELNS1_3repE0EEENS1_30default_config_static_selectorELNS0_4arch9wavefront6targetE0EEEvT1_.num_vgpr, 0
	.set _ZN7rocprim17ROCPRIM_400000_NS6detail17trampoline_kernelINS0_14default_configENS1_20scan_config_selectorIN3c107complexIfEEEEZZNS1_9scan_implILNS1_25lookback_scan_determinismE0ELb0ELb0ES3_PKS7_PS7_S7_ZZZN2at6native31launch_logcumsumexp_cuda_kernelERKNSE_10TensorBaseESI_lENKUlvE_clEvENKUlvE2_clEvEUlS7_S7_E_S7_EEDaPvRmT3_T4_T5_mT6_P12ihipStream_tbENKUlT_T0_E_clISt17integral_constantIbLb1EESZ_EEDaSU_SV_EUlSU_E_NS1_11comp_targetILNS1_3genE10ELNS1_11target_archE1200ELNS1_3gpuE4ELNS1_3repE0EEENS1_30default_config_static_selectorELNS0_4arch9wavefront6targetE0EEEvT1_.num_agpr, 0
	.set _ZN7rocprim17ROCPRIM_400000_NS6detail17trampoline_kernelINS0_14default_configENS1_20scan_config_selectorIN3c107complexIfEEEEZZNS1_9scan_implILNS1_25lookback_scan_determinismE0ELb0ELb0ES3_PKS7_PS7_S7_ZZZN2at6native31launch_logcumsumexp_cuda_kernelERKNSE_10TensorBaseESI_lENKUlvE_clEvENKUlvE2_clEvEUlS7_S7_E_S7_EEDaPvRmT3_T4_T5_mT6_P12ihipStream_tbENKUlT_T0_E_clISt17integral_constantIbLb1EESZ_EEDaSU_SV_EUlSU_E_NS1_11comp_targetILNS1_3genE10ELNS1_11target_archE1200ELNS1_3gpuE4ELNS1_3repE0EEENS1_30default_config_static_selectorELNS0_4arch9wavefront6targetE0EEEvT1_.numbered_sgpr, 0
	.set _ZN7rocprim17ROCPRIM_400000_NS6detail17trampoline_kernelINS0_14default_configENS1_20scan_config_selectorIN3c107complexIfEEEEZZNS1_9scan_implILNS1_25lookback_scan_determinismE0ELb0ELb0ES3_PKS7_PS7_S7_ZZZN2at6native31launch_logcumsumexp_cuda_kernelERKNSE_10TensorBaseESI_lENKUlvE_clEvENKUlvE2_clEvEUlS7_S7_E_S7_EEDaPvRmT3_T4_T5_mT6_P12ihipStream_tbENKUlT_T0_E_clISt17integral_constantIbLb1EESZ_EEDaSU_SV_EUlSU_E_NS1_11comp_targetILNS1_3genE10ELNS1_11target_archE1200ELNS1_3gpuE4ELNS1_3repE0EEENS1_30default_config_static_selectorELNS0_4arch9wavefront6targetE0EEEvT1_.num_named_barrier, 0
	.set _ZN7rocprim17ROCPRIM_400000_NS6detail17trampoline_kernelINS0_14default_configENS1_20scan_config_selectorIN3c107complexIfEEEEZZNS1_9scan_implILNS1_25lookback_scan_determinismE0ELb0ELb0ES3_PKS7_PS7_S7_ZZZN2at6native31launch_logcumsumexp_cuda_kernelERKNSE_10TensorBaseESI_lENKUlvE_clEvENKUlvE2_clEvEUlS7_S7_E_S7_EEDaPvRmT3_T4_T5_mT6_P12ihipStream_tbENKUlT_T0_E_clISt17integral_constantIbLb1EESZ_EEDaSU_SV_EUlSU_E_NS1_11comp_targetILNS1_3genE10ELNS1_11target_archE1200ELNS1_3gpuE4ELNS1_3repE0EEENS1_30default_config_static_selectorELNS0_4arch9wavefront6targetE0EEEvT1_.private_seg_size, 0
	.set _ZN7rocprim17ROCPRIM_400000_NS6detail17trampoline_kernelINS0_14default_configENS1_20scan_config_selectorIN3c107complexIfEEEEZZNS1_9scan_implILNS1_25lookback_scan_determinismE0ELb0ELb0ES3_PKS7_PS7_S7_ZZZN2at6native31launch_logcumsumexp_cuda_kernelERKNSE_10TensorBaseESI_lENKUlvE_clEvENKUlvE2_clEvEUlS7_S7_E_S7_EEDaPvRmT3_T4_T5_mT6_P12ihipStream_tbENKUlT_T0_E_clISt17integral_constantIbLb1EESZ_EEDaSU_SV_EUlSU_E_NS1_11comp_targetILNS1_3genE10ELNS1_11target_archE1200ELNS1_3gpuE4ELNS1_3repE0EEENS1_30default_config_static_selectorELNS0_4arch9wavefront6targetE0EEEvT1_.uses_vcc, 0
	.set _ZN7rocprim17ROCPRIM_400000_NS6detail17trampoline_kernelINS0_14default_configENS1_20scan_config_selectorIN3c107complexIfEEEEZZNS1_9scan_implILNS1_25lookback_scan_determinismE0ELb0ELb0ES3_PKS7_PS7_S7_ZZZN2at6native31launch_logcumsumexp_cuda_kernelERKNSE_10TensorBaseESI_lENKUlvE_clEvENKUlvE2_clEvEUlS7_S7_E_S7_EEDaPvRmT3_T4_T5_mT6_P12ihipStream_tbENKUlT_T0_E_clISt17integral_constantIbLb1EESZ_EEDaSU_SV_EUlSU_E_NS1_11comp_targetILNS1_3genE10ELNS1_11target_archE1200ELNS1_3gpuE4ELNS1_3repE0EEENS1_30default_config_static_selectorELNS0_4arch9wavefront6targetE0EEEvT1_.uses_flat_scratch, 0
	.set _ZN7rocprim17ROCPRIM_400000_NS6detail17trampoline_kernelINS0_14default_configENS1_20scan_config_selectorIN3c107complexIfEEEEZZNS1_9scan_implILNS1_25lookback_scan_determinismE0ELb0ELb0ES3_PKS7_PS7_S7_ZZZN2at6native31launch_logcumsumexp_cuda_kernelERKNSE_10TensorBaseESI_lENKUlvE_clEvENKUlvE2_clEvEUlS7_S7_E_S7_EEDaPvRmT3_T4_T5_mT6_P12ihipStream_tbENKUlT_T0_E_clISt17integral_constantIbLb1EESZ_EEDaSU_SV_EUlSU_E_NS1_11comp_targetILNS1_3genE10ELNS1_11target_archE1200ELNS1_3gpuE4ELNS1_3repE0EEENS1_30default_config_static_selectorELNS0_4arch9wavefront6targetE0EEEvT1_.has_dyn_sized_stack, 0
	.set _ZN7rocprim17ROCPRIM_400000_NS6detail17trampoline_kernelINS0_14default_configENS1_20scan_config_selectorIN3c107complexIfEEEEZZNS1_9scan_implILNS1_25lookback_scan_determinismE0ELb0ELb0ES3_PKS7_PS7_S7_ZZZN2at6native31launch_logcumsumexp_cuda_kernelERKNSE_10TensorBaseESI_lENKUlvE_clEvENKUlvE2_clEvEUlS7_S7_E_S7_EEDaPvRmT3_T4_T5_mT6_P12ihipStream_tbENKUlT_T0_E_clISt17integral_constantIbLb1EESZ_EEDaSU_SV_EUlSU_E_NS1_11comp_targetILNS1_3genE10ELNS1_11target_archE1200ELNS1_3gpuE4ELNS1_3repE0EEENS1_30default_config_static_selectorELNS0_4arch9wavefront6targetE0EEEvT1_.has_recursion, 0
	.set _ZN7rocprim17ROCPRIM_400000_NS6detail17trampoline_kernelINS0_14default_configENS1_20scan_config_selectorIN3c107complexIfEEEEZZNS1_9scan_implILNS1_25lookback_scan_determinismE0ELb0ELb0ES3_PKS7_PS7_S7_ZZZN2at6native31launch_logcumsumexp_cuda_kernelERKNSE_10TensorBaseESI_lENKUlvE_clEvENKUlvE2_clEvEUlS7_S7_E_S7_EEDaPvRmT3_T4_T5_mT6_P12ihipStream_tbENKUlT_T0_E_clISt17integral_constantIbLb1EESZ_EEDaSU_SV_EUlSU_E_NS1_11comp_targetILNS1_3genE10ELNS1_11target_archE1200ELNS1_3gpuE4ELNS1_3repE0EEENS1_30default_config_static_selectorELNS0_4arch9wavefront6targetE0EEEvT1_.has_indirect_call, 0
	.section	.AMDGPU.csdata,"",@progbits
; Kernel info:
; codeLenInByte = 0
; TotalNumSgprs: 0
; NumVgprs: 0
; ScratchSize: 0
; MemoryBound: 0
; FloatMode: 240
; IeeeMode: 1
; LDSByteSize: 0 bytes/workgroup (compile time only)
; SGPRBlocks: 0
; VGPRBlocks: 0
; NumSGPRsForWavesPerEU: 1
; NumVGPRsForWavesPerEU: 1
; Occupancy: 16
; WaveLimiterHint : 0
; COMPUTE_PGM_RSRC2:SCRATCH_EN: 0
; COMPUTE_PGM_RSRC2:USER_SGPR: 6
; COMPUTE_PGM_RSRC2:TRAP_HANDLER: 0
; COMPUTE_PGM_RSRC2:TGID_X_EN: 1
; COMPUTE_PGM_RSRC2:TGID_Y_EN: 0
; COMPUTE_PGM_RSRC2:TGID_Z_EN: 0
; COMPUTE_PGM_RSRC2:TIDIG_COMP_CNT: 0
	.section	.text._ZN7rocprim17ROCPRIM_400000_NS6detail17trampoline_kernelINS0_14default_configENS1_20scan_config_selectorIN3c107complexIfEEEEZZNS1_9scan_implILNS1_25lookback_scan_determinismE0ELb0ELb0ES3_PKS7_PS7_S7_ZZZN2at6native31launch_logcumsumexp_cuda_kernelERKNSE_10TensorBaseESI_lENKUlvE_clEvENKUlvE2_clEvEUlS7_S7_E_S7_EEDaPvRmT3_T4_T5_mT6_P12ihipStream_tbENKUlT_T0_E_clISt17integral_constantIbLb1EESZ_EEDaSU_SV_EUlSU_E_NS1_11comp_targetILNS1_3genE9ELNS1_11target_archE1100ELNS1_3gpuE3ELNS1_3repE0EEENS1_30default_config_static_selectorELNS0_4arch9wavefront6targetE0EEEvT1_,"axG",@progbits,_ZN7rocprim17ROCPRIM_400000_NS6detail17trampoline_kernelINS0_14default_configENS1_20scan_config_selectorIN3c107complexIfEEEEZZNS1_9scan_implILNS1_25lookback_scan_determinismE0ELb0ELb0ES3_PKS7_PS7_S7_ZZZN2at6native31launch_logcumsumexp_cuda_kernelERKNSE_10TensorBaseESI_lENKUlvE_clEvENKUlvE2_clEvEUlS7_S7_E_S7_EEDaPvRmT3_T4_T5_mT6_P12ihipStream_tbENKUlT_T0_E_clISt17integral_constantIbLb1EESZ_EEDaSU_SV_EUlSU_E_NS1_11comp_targetILNS1_3genE9ELNS1_11target_archE1100ELNS1_3gpuE3ELNS1_3repE0EEENS1_30default_config_static_selectorELNS0_4arch9wavefront6targetE0EEEvT1_,comdat
	.globl	_ZN7rocprim17ROCPRIM_400000_NS6detail17trampoline_kernelINS0_14default_configENS1_20scan_config_selectorIN3c107complexIfEEEEZZNS1_9scan_implILNS1_25lookback_scan_determinismE0ELb0ELb0ES3_PKS7_PS7_S7_ZZZN2at6native31launch_logcumsumexp_cuda_kernelERKNSE_10TensorBaseESI_lENKUlvE_clEvENKUlvE2_clEvEUlS7_S7_E_S7_EEDaPvRmT3_T4_T5_mT6_P12ihipStream_tbENKUlT_T0_E_clISt17integral_constantIbLb1EESZ_EEDaSU_SV_EUlSU_E_NS1_11comp_targetILNS1_3genE9ELNS1_11target_archE1100ELNS1_3gpuE3ELNS1_3repE0EEENS1_30default_config_static_selectorELNS0_4arch9wavefront6targetE0EEEvT1_ ; -- Begin function _ZN7rocprim17ROCPRIM_400000_NS6detail17trampoline_kernelINS0_14default_configENS1_20scan_config_selectorIN3c107complexIfEEEEZZNS1_9scan_implILNS1_25lookback_scan_determinismE0ELb0ELb0ES3_PKS7_PS7_S7_ZZZN2at6native31launch_logcumsumexp_cuda_kernelERKNSE_10TensorBaseESI_lENKUlvE_clEvENKUlvE2_clEvEUlS7_S7_E_S7_EEDaPvRmT3_T4_T5_mT6_P12ihipStream_tbENKUlT_T0_E_clISt17integral_constantIbLb1EESZ_EEDaSU_SV_EUlSU_E_NS1_11comp_targetILNS1_3genE9ELNS1_11target_archE1100ELNS1_3gpuE3ELNS1_3repE0EEENS1_30default_config_static_selectorELNS0_4arch9wavefront6targetE0EEEvT1_
	.p2align	8
	.type	_ZN7rocprim17ROCPRIM_400000_NS6detail17trampoline_kernelINS0_14default_configENS1_20scan_config_selectorIN3c107complexIfEEEEZZNS1_9scan_implILNS1_25lookback_scan_determinismE0ELb0ELb0ES3_PKS7_PS7_S7_ZZZN2at6native31launch_logcumsumexp_cuda_kernelERKNSE_10TensorBaseESI_lENKUlvE_clEvENKUlvE2_clEvEUlS7_S7_E_S7_EEDaPvRmT3_T4_T5_mT6_P12ihipStream_tbENKUlT_T0_E_clISt17integral_constantIbLb1EESZ_EEDaSU_SV_EUlSU_E_NS1_11comp_targetILNS1_3genE9ELNS1_11target_archE1100ELNS1_3gpuE3ELNS1_3repE0EEENS1_30default_config_static_selectorELNS0_4arch9wavefront6targetE0EEEvT1_,@function
_ZN7rocprim17ROCPRIM_400000_NS6detail17trampoline_kernelINS0_14default_configENS1_20scan_config_selectorIN3c107complexIfEEEEZZNS1_9scan_implILNS1_25lookback_scan_determinismE0ELb0ELb0ES3_PKS7_PS7_S7_ZZZN2at6native31launch_logcumsumexp_cuda_kernelERKNSE_10TensorBaseESI_lENKUlvE_clEvENKUlvE2_clEvEUlS7_S7_E_S7_EEDaPvRmT3_T4_T5_mT6_P12ihipStream_tbENKUlT_T0_E_clISt17integral_constantIbLb1EESZ_EEDaSU_SV_EUlSU_E_NS1_11comp_targetILNS1_3genE9ELNS1_11target_archE1100ELNS1_3gpuE3ELNS1_3repE0EEENS1_30default_config_static_selectorELNS0_4arch9wavefront6targetE0EEEvT1_: ; @_ZN7rocprim17ROCPRIM_400000_NS6detail17trampoline_kernelINS0_14default_configENS1_20scan_config_selectorIN3c107complexIfEEEEZZNS1_9scan_implILNS1_25lookback_scan_determinismE0ELb0ELb0ES3_PKS7_PS7_S7_ZZZN2at6native31launch_logcumsumexp_cuda_kernelERKNSE_10TensorBaseESI_lENKUlvE_clEvENKUlvE2_clEvEUlS7_S7_E_S7_EEDaPvRmT3_T4_T5_mT6_P12ihipStream_tbENKUlT_T0_E_clISt17integral_constantIbLb1EESZ_EEDaSU_SV_EUlSU_E_NS1_11comp_targetILNS1_3genE9ELNS1_11target_archE1100ELNS1_3gpuE3ELNS1_3repE0EEENS1_30default_config_static_selectorELNS0_4arch9wavefront6targetE0EEEvT1_
; %bb.0:
	.section	.rodata,"a",@progbits
	.p2align	6, 0x0
	.amdhsa_kernel _ZN7rocprim17ROCPRIM_400000_NS6detail17trampoline_kernelINS0_14default_configENS1_20scan_config_selectorIN3c107complexIfEEEEZZNS1_9scan_implILNS1_25lookback_scan_determinismE0ELb0ELb0ES3_PKS7_PS7_S7_ZZZN2at6native31launch_logcumsumexp_cuda_kernelERKNSE_10TensorBaseESI_lENKUlvE_clEvENKUlvE2_clEvEUlS7_S7_E_S7_EEDaPvRmT3_T4_T5_mT6_P12ihipStream_tbENKUlT_T0_E_clISt17integral_constantIbLb1EESZ_EEDaSU_SV_EUlSU_E_NS1_11comp_targetILNS1_3genE9ELNS1_11target_archE1100ELNS1_3gpuE3ELNS1_3repE0EEENS1_30default_config_static_selectorELNS0_4arch9wavefront6targetE0EEEvT1_
		.amdhsa_group_segment_fixed_size 0
		.amdhsa_private_segment_fixed_size 0
		.amdhsa_kernarg_size 104
		.amdhsa_user_sgpr_count 6
		.amdhsa_user_sgpr_private_segment_buffer 1
		.amdhsa_user_sgpr_dispatch_ptr 0
		.amdhsa_user_sgpr_queue_ptr 0
		.amdhsa_user_sgpr_kernarg_segment_ptr 1
		.amdhsa_user_sgpr_dispatch_id 0
		.amdhsa_user_sgpr_flat_scratch_init 0
		.amdhsa_user_sgpr_private_segment_size 0
		.amdhsa_wavefront_size32 1
		.amdhsa_uses_dynamic_stack 0
		.amdhsa_system_sgpr_private_segment_wavefront_offset 0
		.amdhsa_system_sgpr_workgroup_id_x 1
		.amdhsa_system_sgpr_workgroup_id_y 0
		.amdhsa_system_sgpr_workgroup_id_z 0
		.amdhsa_system_sgpr_workgroup_info 0
		.amdhsa_system_vgpr_workitem_id 0
		.amdhsa_next_free_vgpr 1
		.amdhsa_next_free_sgpr 1
		.amdhsa_reserve_vcc 0
		.amdhsa_reserve_flat_scratch 0
		.amdhsa_float_round_mode_32 0
		.amdhsa_float_round_mode_16_64 0
		.amdhsa_float_denorm_mode_32 3
		.amdhsa_float_denorm_mode_16_64 3
		.amdhsa_dx10_clamp 1
		.amdhsa_ieee_mode 1
		.amdhsa_fp16_overflow 0
		.amdhsa_workgroup_processor_mode 1
		.amdhsa_memory_ordered 1
		.amdhsa_forward_progress 1
		.amdhsa_shared_vgpr_count 0
		.amdhsa_exception_fp_ieee_invalid_op 0
		.amdhsa_exception_fp_denorm_src 0
		.amdhsa_exception_fp_ieee_div_zero 0
		.amdhsa_exception_fp_ieee_overflow 0
		.amdhsa_exception_fp_ieee_underflow 0
		.amdhsa_exception_fp_ieee_inexact 0
		.amdhsa_exception_int_div_zero 0
	.end_amdhsa_kernel
	.section	.text._ZN7rocprim17ROCPRIM_400000_NS6detail17trampoline_kernelINS0_14default_configENS1_20scan_config_selectorIN3c107complexIfEEEEZZNS1_9scan_implILNS1_25lookback_scan_determinismE0ELb0ELb0ES3_PKS7_PS7_S7_ZZZN2at6native31launch_logcumsumexp_cuda_kernelERKNSE_10TensorBaseESI_lENKUlvE_clEvENKUlvE2_clEvEUlS7_S7_E_S7_EEDaPvRmT3_T4_T5_mT6_P12ihipStream_tbENKUlT_T0_E_clISt17integral_constantIbLb1EESZ_EEDaSU_SV_EUlSU_E_NS1_11comp_targetILNS1_3genE9ELNS1_11target_archE1100ELNS1_3gpuE3ELNS1_3repE0EEENS1_30default_config_static_selectorELNS0_4arch9wavefront6targetE0EEEvT1_,"axG",@progbits,_ZN7rocprim17ROCPRIM_400000_NS6detail17trampoline_kernelINS0_14default_configENS1_20scan_config_selectorIN3c107complexIfEEEEZZNS1_9scan_implILNS1_25lookback_scan_determinismE0ELb0ELb0ES3_PKS7_PS7_S7_ZZZN2at6native31launch_logcumsumexp_cuda_kernelERKNSE_10TensorBaseESI_lENKUlvE_clEvENKUlvE2_clEvEUlS7_S7_E_S7_EEDaPvRmT3_T4_T5_mT6_P12ihipStream_tbENKUlT_T0_E_clISt17integral_constantIbLb1EESZ_EEDaSU_SV_EUlSU_E_NS1_11comp_targetILNS1_3genE9ELNS1_11target_archE1100ELNS1_3gpuE3ELNS1_3repE0EEENS1_30default_config_static_selectorELNS0_4arch9wavefront6targetE0EEEvT1_,comdat
.Lfunc_end298:
	.size	_ZN7rocprim17ROCPRIM_400000_NS6detail17trampoline_kernelINS0_14default_configENS1_20scan_config_selectorIN3c107complexIfEEEEZZNS1_9scan_implILNS1_25lookback_scan_determinismE0ELb0ELb0ES3_PKS7_PS7_S7_ZZZN2at6native31launch_logcumsumexp_cuda_kernelERKNSE_10TensorBaseESI_lENKUlvE_clEvENKUlvE2_clEvEUlS7_S7_E_S7_EEDaPvRmT3_T4_T5_mT6_P12ihipStream_tbENKUlT_T0_E_clISt17integral_constantIbLb1EESZ_EEDaSU_SV_EUlSU_E_NS1_11comp_targetILNS1_3genE9ELNS1_11target_archE1100ELNS1_3gpuE3ELNS1_3repE0EEENS1_30default_config_static_selectorELNS0_4arch9wavefront6targetE0EEEvT1_, .Lfunc_end298-_ZN7rocprim17ROCPRIM_400000_NS6detail17trampoline_kernelINS0_14default_configENS1_20scan_config_selectorIN3c107complexIfEEEEZZNS1_9scan_implILNS1_25lookback_scan_determinismE0ELb0ELb0ES3_PKS7_PS7_S7_ZZZN2at6native31launch_logcumsumexp_cuda_kernelERKNSE_10TensorBaseESI_lENKUlvE_clEvENKUlvE2_clEvEUlS7_S7_E_S7_EEDaPvRmT3_T4_T5_mT6_P12ihipStream_tbENKUlT_T0_E_clISt17integral_constantIbLb1EESZ_EEDaSU_SV_EUlSU_E_NS1_11comp_targetILNS1_3genE9ELNS1_11target_archE1100ELNS1_3gpuE3ELNS1_3repE0EEENS1_30default_config_static_selectorELNS0_4arch9wavefront6targetE0EEEvT1_
                                        ; -- End function
	.set _ZN7rocprim17ROCPRIM_400000_NS6detail17trampoline_kernelINS0_14default_configENS1_20scan_config_selectorIN3c107complexIfEEEEZZNS1_9scan_implILNS1_25lookback_scan_determinismE0ELb0ELb0ES3_PKS7_PS7_S7_ZZZN2at6native31launch_logcumsumexp_cuda_kernelERKNSE_10TensorBaseESI_lENKUlvE_clEvENKUlvE2_clEvEUlS7_S7_E_S7_EEDaPvRmT3_T4_T5_mT6_P12ihipStream_tbENKUlT_T0_E_clISt17integral_constantIbLb1EESZ_EEDaSU_SV_EUlSU_E_NS1_11comp_targetILNS1_3genE9ELNS1_11target_archE1100ELNS1_3gpuE3ELNS1_3repE0EEENS1_30default_config_static_selectorELNS0_4arch9wavefront6targetE0EEEvT1_.num_vgpr, 0
	.set _ZN7rocprim17ROCPRIM_400000_NS6detail17trampoline_kernelINS0_14default_configENS1_20scan_config_selectorIN3c107complexIfEEEEZZNS1_9scan_implILNS1_25lookback_scan_determinismE0ELb0ELb0ES3_PKS7_PS7_S7_ZZZN2at6native31launch_logcumsumexp_cuda_kernelERKNSE_10TensorBaseESI_lENKUlvE_clEvENKUlvE2_clEvEUlS7_S7_E_S7_EEDaPvRmT3_T4_T5_mT6_P12ihipStream_tbENKUlT_T0_E_clISt17integral_constantIbLb1EESZ_EEDaSU_SV_EUlSU_E_NS1_11comp_targetILNS1_3genE9ELNS1_11target_archE1100ELNS1_3gpuE3ELNS1_3repE0EEENS1_30default_config_static_selectorELNS0_4arch9wavefront6targetE0EEEvT1_.num_agpr, 0
	.set _ZN7rocprim17ROCPRIM_400000_NS6detail17trampoline_kernelINS0_14default_configENS1_20scan_config_selectorIN3c107complexIfEEEEZZNS1_9scan_implILNS1_25lookback_scan_determinismE0ELb0ELb0ES3_PKS7_PS7_S7_ZZZN2at6native31launch_logcumsumexp_cuda_kernelERKNSE_10TensorBaseESI_lENKUlvE_clEvENKUlvE2_clEvEUlS7_S7_E_S7_EEDaPvRmT3_T4_T5_mT6_P12ihipStream_tbENKUlT_T0_E_clISt17integral_constantIbLb1EESZ_EEDaSU_SV_EUlSU_E_NS1_11comp_targetILNS1_3genE9ELNS1_11target_archE1100ELNS1_3gpuE3ELNS1_3repE0EEENS1_30default_config_static_selectorELNS0_4arch9wavefront6targetE0EEEvT1_.numbered_sgpr, 0
	.set _ZN7rocprim17ROCPRIM_400000_NS6detail17trampoline_kernelINS0_14default_configENS1_20scan_config_selectorIN3c107complexIfEEEEZZNS1_9scan_implILNS1_25lookback_scan_determinismE0ELb0ELb0ES3_PKS7_PS7_S7_ZZZN2at6native31launch_logcumsumexp_cuda_kernelERKNSE_10TensorBaseESI_lENKUlvE_clEvENKUlvE2_clEvEUlS7_S7_E_S7_EEDaPvRmT3_T4_T5_mT6_P12ihipStream_tbENKUlT_T0_E_clISt17integral_constantIbLb1EESZ_EEDaSU_SV_EUlSU_E_NS1_11comp_targetILNS1_3genE9ELNS1_11target_archE1100ELNS1_3gpuE3ELNS1_3repE0EEENS1_30default_config_static_selectorELNS0_4arch9wavefront6targetE0EEEvT1_.num_named_barrier, 0
	.set _ZN7rocprim17ROCPRIM_400000_NS6detail17trampoline_kernelINS0_14default_configENS1_20scan_config_selectorIN3c107complexIfEEEEZZNS1_9scan_implILNS1_25lookback_scan_determinismE0ELb0ELb0ES3_PKS7_PS7_S7_ZZZN2at6native31launch_logcumsumexp_cuda_kernelERKNSE_10TensorBaseESI_lENKUlvE_clEvENKUlvE2_clEvEUlS7_S7_E_S7_EEDaPvRmT3_T4_T5_mT6_P12ihipStream_tbENKUlT_T0_E_clISt17integral_constantIbLb1EESZ_EEDaSU_SV_EUlSU_E_NS1_11comp_targetILNS1_3genE9ELNS1_11target_archE1100ELNS1_3gpuE3ELNS1_3repE0EEENS1_30default_config_static_selectorELNS0_4arch9wavefront6targetE0EEEvT1_.private_seg_size, 0
	.set _ZN7rocprim17ROCPRIM_400000_NS6detail17trampoline_kernelINS0_14default_configENS1_20scan_config_selectorIN3c107complexIfEEEEZZNS1_9scan_implILNS1_25lookback_scan_determinismE0ELb0ELb0ES3_PKS7_PS7_S7_ZZZN2at6native31launch_logcumsumexp_cuda_kernelERKNSE_10TensorBaseESI_lENKUlvE_clEvENKUlvE2_clEvEUlS7_S7_E_S7_EEDaPvRmT3_T4_T5_mT6_P12ihipStream_tbENKUlT_T0_E_clISt17integral_constantIbLb1EESZ_EEDaSU_SV_EUlSU_E_NS1_11comp_targetILNS1_3genE9ELNS1_11target_archE1100ELNS1_3gpuE3ELNS1_3repE0EEENS1_30default_config_static_selectorELNS0_4arch9wavefront6targetE0EEEvT1_.uses_vcc, 0
	.set _ZN7rocprim17ROCPRIM_400000_NS6detail17trampoline_kernelINS0_14default_configENS1_20scan_config_selectorIN3c107complexIfEEEEZZNS1_9scan_implILNS1_25lookback_scan_determinismE0ELb0ELb0ES3_PKS7_PS7_S7_ZZZN2at6native31launch_logcumsumexp_cuda_kernelERKNSE_10TensorBaseESI_lENKUlvE_clEvENKUlvE2_clEvEUlS7_S7_E_S7_EEDaPvRmT3_T4_T5_mT6_P12ihipStream_tbENKUlT_T0_E_clISt17integral_constantIbLb1EESZ_EEDaSU_SV_EUlSU_E_NS1_11comp_targetILNS1_3genE9ELNS1_11target_archE1100ELNS1_3gpuE3ELNS1_3repE0EEENS1_30default_config_static_selectorELNS0_4arch9wavefront6targetE0EEEvT1_.uses_flat_scratch, 0
	.set _ZN7rocprim17ROCPRIM_400000_NS6detail17trampoline_kernelINS0_14default_configENS1_20scan_config_selectorIN3c107complexIfEEEEZZNS1_9scan_implILNS1_25lookback_scan_determinismE0ELb0ELb0ES3_PKS7_PS7_S7_ZZZN2at6native31launch_logcumsumexp_cuda_kernelERKNSE_10TensorBaseESI_lENKUlvE_clEvENKUlvE2_clEvEUlS7_S7_E_S7_EEDaPvRmT3_T4_T5_mT6_P12ihipStream_tbENKUlT_T0_E_clISt17integral_constantIbLb1EESZ_EEDaSU_SV_EUlSU_E_NS1_11comp_targetILNS1_3genE9ELNS1_11target_archE1100ELNS1_3gpuE3ELNS1_3repE0EEENS1_30default_config_static_selectorELNS0_4arch9wavefront6targetE0EEEvT1_.has_dyn_sized_stack, 0
	.set _ZN7rocprim17ROCPRIM_400000_NS6detail17trampoline_kernelINS0_14default_configENS1_20scan_config_selectorIN3c107complexIfEEEEZZNS1_9scan_implILNS1_25lookback_scan_determinismE0ELb0ELb0ES3_PKS7_PS7_S7_ZZZN2at6native31launch_logcumsumexp_cuda_kernelERKNSE_10TensorBaseESI_lENKUlvE_clEvENKUlvE2_clEvEUlS7_S7_E_S7_EEDaPvRmT3_T4_T5_mT6_P12ihipStream_tbENKUlT_T0_E_clISt17integral_constantIbLb1EESZ_EEDaSU_SV_EUlSU_E_NS1_11comp_targetILNS1_3genE9ELNS1_11target_archE1100ELNS1_3gpuE3ELNS1_3repE0EEENS1_30default_config_static_selectorELNS0_4arch9wavefront6targetE0EEEvT1_.has_recursion, 0
	.set _ZN7rocprim17ROCPRIM_400000_NS6detail17trampoline_kernelINS0_14default_configENS1_20scan_config_selectorIN3c107complexIfEEEEZZNS1_9scan_implILNS1_25lookback_scan_determinismE0ELb0ELb0ES3_PKS7_PS7_S7_ZZZN2at6native31launch_logcumsumexp_cuda_kernelERKNSE_10TensorBaseESI_lENKUlvE_clEvENKUlvE2_clEvEUlS7_S7_E_S7_EEDaPvRmT3_T4_T5_mT6_P12ihipStream_tbENKUlT_T0_E_clISt17integral_constantIbLb1EESZ_EEDaSU_SV_EUlSU_E_NS1_11comp_targetILNS1_3genE9ELNS1_11target_archE1100ELNS1_3gpuE3ELNS1_3repE0EEENS1_30default_config_static_selectorELNS0_4arch9wavefront6targetE0EEEvT1_.has_indirect_call, 0
	.section	.AMDGPU.csdata,"",@progbits
; Kernel info:
; codeLenInByte = 0
; TotalNumSgprs: 0
; NumVgprs: 0
; ScratchSize: 0
; MemoryBound: 0
; FloatMode: 240
; IeeeMode: 1
; LDSByteSize: 0 bytes/workgroup (compile time only)
; SGPRBlocks: 0
; VGPRBlocks: 0
; NumSGPRsForWavesPerEU: 1
; NumVGPRsForWavesPerEU: 1
; Occupancy: 16
; WaveLimiterHint : 0
; COMPUTE_PGM_RSRC2:SCRATCH_EN: 0
; COMPUTE_PGM_RSRC2:USER_SGPR: 6
; COMPUTE_PGM_RSRC2:TRAP_HANDLER: 0
; COMPUTE_PGM_RSRC2:TGID_X_EN: 1
; COMPUTE_PGM_RSRC2:TGID_Y_EN: 0
; COMPUTE_PGM_RSRC2:TGID_Z_EN: 0
; COMPUTE_PGM_RSRC2:TIDIG_COMP_CNT: 0
	.section	.text._ZN7rocprim17ROCPRIM_400000_NS6detail17trampoline_kernelINS0_14default_configENS1_20scan_config_selectorIN3c107complexIfEEEEZZNS1_9scan_implILNS1_25lookback_scan_determinismE0ELb0ELb0ES3_PKS7_PS7_S7_ZZZN2at6native31launch_logcumsumexp_cuda_kernelERKNSE_10TensorBaseESI_lENKUlvE_clEvENKUlvE2_clEvEUlS7_S7_E_S7_EEDaPvRmT3_T4_T5_mT6_P12ihipStream_tbENKUlT_T0_E_clISt17integral_constantIbLb1EESZ_EEDaSU_SV_EUlSU_E_NS1_11comp_targetILNS1_3genE8ELNS1_11target_archE1030ELNS1_3gpuE2ELNS1_3repE0EEENS1_30default_config_static_selectorELNS0_4arch9wavefront6targetE0EEEvT1_,"axG",@progbits,_ZN7rocprim17ROCPRIM_400000_NS6detail17trampoline_kernelINS0_14default_configENS1_20scan_config_selectorIN3c107complexIfEEEEZZNS1_9scan_implILNS1_25lookback_scan_determinismE0ELb0ELb0ES3_PKS7_PS7_S7_ZZZN2at6native31launch_logcumsumexp_cuda_kernelERKNSE_10TensorBaseESI_lENKUlvE_clEvENKUlvE2_clEvEUlS7_S7_E_S7_EEDaPvRmT3_T4_T5_mT6_P12ihipStream_tbENKUlT_T0_E_clISt17integral_constantIbLb1EESZ_EEDaSU_SV_EUlSU_E_NS1_11comp_targetILNS1_3genE8ELNS1_11target_archE1030ELNS1_3gpuE2ELNS1_3repE0EEENS1_30default_config_static_selectorELNS0_4arch9wavefront6targetE0EEEvT1_,comdat
	.globl	_ZN7rocprim17ROCPRIM_400000_NS6detail17trampoline_kernelINS0_14default_configENS1_20scan_config_selectorIN3c107complexIfEEEEZZNS1_9scan_implILNS1_25lookback_scan_determinismE0ELb0ELb0ES3_PKS7_PS7_S7_ZZZN2at6native31launch_logcumsumexp_cuda_kernelERKNSE_10TensorBaseESI_lENKUlvE_clEvENKUlvE2_clEvEUlS7_S7_E_S7_EEDaPvRmT3_T4_T5_mT6_P12ihipStream_tbENKUlT_T0_E_clISt17integral_constantIbLb1EESZ_EEDaSU_SV_EUlSU_E_NS1_11comp_targetILNS1_3genE8ELNS1_11target_archE1030ELNS1_3gpuE2ELNS1_3repE0EEENS1_30default_config_static_selectorELNS0_4arch9wavefront6targetE0EEEvT1_ ; -- Begin function _ZN7rocprim17ROCPRIM_400000_NS6detail17trampoline_kernelINS0_14default_configENS1_20scan_config_selectorIN3c107complexIfEEEEZZNS1_9scan_implILNS1_25lookback_scan_determinismE0ELb0ELb0ES3_PKS7_PS7_S7_ZZZN2at6native31launch_logcumsumexp_cuda_kernelERKNSE_10TensorBaseESI_lENKUlvE_clEvENKUlvE2_clEvEUlS7_S7_E_S7_EEDaPvRmT3_T4_T5_mT6_P12ihipStream_tbENKUlT_T0_E_clISt17integral_constantIbLb1EESZ_EEDaSU_SV_EUlSU_E_NS1_11comp_targetILNS1_3genE8ELNS1_11target_archE1030ELNS1_3gpuE2ELNS1_3repE0EEENS1_30default_config_static_selectorELNS0_4arch9wavefront6targetE0EEEvT1_
	.p2align	8
	.type	_ZN7rocprim17ROCPRIM_400000_NS6detail17trampoline_kernelINS0_14default_configENS1_20scan_config_selectorIN3c107complexIfEEEEZZNS1_9scan_implILNS1_25lookback_scan_determinismE0ELb0ELb0ES3_PKS7_PS7_S7_ZZZN2at6native31launch_logcumsumexp_cuda_kernelERKNSE_10TensorBaseESI_lENKUlvE_clEvENKUlvE2_clEvEUlS7_S7_E_S7_EEDaPvRmT3_T4_T5_mT6_P12ihipStream_tbENKUlT_T0_E_clISt17integral_constantIbLb1EESZ_EEDaSU_SV_EUlSU_E_NS1_11comp_targetILNS1_3genE8ELNS1_11target_archE1030ELNS1_3gpuE2ELNS1_3repE0EEENS1_30default_config_static_selectorELNS0_4arch9wavefront6targetE0EEEvT1_,@function
_ZN7rocprim17ROCPRIM_400000_NS6detail17trampoline_kernelINS0_14default_configENS1_20scan_config_selectorIN3c107complexIfEEEEZZNS1_9scan_implILNS1_25lookback_scan_determinismE0ELb0ELb0ES3_PKS7_PS7_S7_ZZZN2at6native31launch_logcumsumexp_cuda_kernelERKNSE_10TensorBaseESI_lENKUlvE_clEvENKUlvE2_clEvEUlS7_S7_E_S7_EEDaPvRmT3_T4_T5_mT6_P12ihipStream_tbENKUlT_T0_E_clISt17integral_constantIbLb1EESZ_EEDaSU_SV_EUlSU_E_NS1_11comp_targetILNS1_3genE8ELNS1_11target_archE1030ELNS1_3gpuE2ELNS1_3repE0EEENS1_30default_config_static_selectorELNS0_4arch9wavefront6targetE0EEEvT1_: ; @_ZN7rocprim17ROCPRIM_400000_NS6detail17trampoline_kernelINS0_14default_configENS1_20scan_config_selectorIN3c107complexIfEEEEZZNS1_9scan_implILNS1_25lookback_scan_determinismE0ELb0ELb0ES3_PKS7_PS7_S7_ZZZN2at6native31launch_logcumsumexp_cuda_kernelERKNSE_10TensorBaseESI_lENKUlvE_clEvENKUlvE2_clEvEUlS7_S7_E_S7_EEDaPvRmT3_T4_T5_mT6_P12ihipStream_tbENKUlT_T0_E_clISt17integral_constantIbLb1EESZ_EEDaSU_SV_EUlSU_E_NS1_11comp_targetILNS1_3genE8ELNS1_11target_archE1030ELNS1_3gpuE2ELNS1_3repE0EEENS1_30default_config_static_selectorELNS0_4arch9wavefront6targetE0EEEvT1_
; %bb.0:
	s_endpgm
	.section	.rodata,"a",@progbits
	.p2align	6, 0x0
	.amdhsa_kernel _ZN7rocprim17ROCPRIM_400000_NS6detail17trampoline_kernelINS0_14default_configENS1_20scan_config_selectorIN3c107complexIfEEEEZZNS1_9scan_implILNS1_25lookback_scan_determinismE0ELb0ELb0ES3_PKS7_PS7_S7_ZZZN2at6native31launch_logcumsumexp_cuda_kernelERKNSE_10TensorBaseESI_lENKUlvE_clEvENKUlvE2_clEvEUlS7_S7_E_S7_EEDaPvRmT3_T4_T5_mT6_P12ihipStream_tbENKUlT_T0_E_clISt17integral_constantIbLb1EESZ_EEDaSU_SV_EUlSU_E_NS1_11comp_targetILNS1_3genE8ELNS1_11target_archE1030ELNS1_3gpuE2ELNS1_3repE0EEENS1_30default_config_static_selectorELNS0_4arch9wavefront6targetE0EEEvT1_
		.amdhsa_group_segment_fixed_size 0
		.amdhsa_private_segment_fixed_size 0
		.amdhsa_kernarg_size 104
		.amdhsa_user_sgpr_count 6
		.amdhsa_user_sgpr_private_segment_buffer 1
		.amdhsa_user_sgpr_dispatch_ptr 0
		.amdhsa_user_sgpr_queue_ptr 0
		.amdhsa_user_sgpr_kernarg_segment_ptr 1
		.amdhsa_user_sgpr_dispatch_id 0
		.amdhsa_user_sgpr_flat_scratch_init 0
		.amdhsa_user_sgpr_private_segment_size 0
		.amdhsa_wavefront_size32 1
		.amdhsa_uses_dynamic_stack 0
		.amdhsa_system_sgpr_private_segment_wavefront_offset 0
		.amdhsa_system_sgpr_workgroup_id_x 1
		.amdhsa_system_sgpr_workgroup_id_y 0
		.amdhsa_system_sgpr_workgroup_id_z 0
		.amdhsa_system_sgpr_workgroup_info 0
		.amdhsa_system_vgpr_workitem_id 0
		.amdhsa_next_free_vgpr 1
		.amdhsa_next_free_sgpr 1
		.amdhsa_reserve_vcc 0
		.amdhsa_reserve_flat_scratch 0
		.amdhsa_float_round_mode_32 0
		.amdhsa_float_round_mode_16_64 0
		.amdhsa_float_denorm_mode_32 3
		.amdhsa_float_denorm_mode_16_64 3
		.amdhsa_dx10_clamp 1
		.amdhsa_ieee_mode 1
		.amdhsa_fp16_overflow 0
		.amdhsa_workgroup_processor_mode 1
		.amdhsa_memory_ordered 1
		.amdhsa_forward_progress 1
		.amdhsa_shared_vgpr_count 0
		.amdhsa_exception_fp_ieee_invalid_op 0
		.amdhsa_exception_fp_denorm_src 0
		.amdhsa_exception_fp_ieee_div_zero 0
		.amdhsa_exception_fp_ieee_overflow 0
		.amdhsa_exception_fp_ieee_underflow 0
		.amdhsa_exception_fp_ieee_inexact 0
		.amdhsa_exception_int_div_zero 0
	.end_amdhsa_kernel
	.section	.text._ZN7rocprim17ROCPRIM_400000_NS6detail17trampoline_kernelINS0_14default_configENS1_20scan_config_selectorIN3c107complexIfEEEEZZNS1_9scan_implILNS1_25lookback_scan_determinismE0ELb0ELb0ES3_PKS7_PS7_S7_ZZZN2at6native31launch_logcumsumexp_cuda_kernelERKNSE_10TensorBaseESI_lENKUlvE_clEvENKUlvE2_clEvEUlS7_S7_E_S7_EEDaPvRmT3_T4_T5_mT6_P12ihipStream_tbENKUlT_T0_E_clISt17integral_constantIbLb1EESZ_EEDaSU_SV_EUlSU_E_NS1_11comp_targetILNS1_3genE8ELNS1_11target_archE1030ELNS1_3gpuE2ELNS1_3repE0EEENS1_30default_config_static_selectorELNS0_4arch9wavefront6targetE0EEEvT1_,"axG",@progbits,_ZN7rocprim17ROCPRIM_400000_NS6detail17trampoline_kernelINS0_14default_configENS1_20scan_config_selectorIN3c107complexIfEEEEZZNS1_9scan_implILNS1_25lookback_scan_determinismE0ELb0ELb0ES3_PKS7_PS7_S7_ZZZN2at6native31launch_logcumsumexp_cuda_kernelERKNSE_10TensorBaseESI_lENKUlvE_clEvENKUlvE2_clEvEUlS7_S7_E_S7_EEDaPvRmT3_T4_T5_mT6_P12ihipStream_tbENKUlT_T0_E_clISt17integral_constantIbLb1EESZ_EEDaSU_SV_EUlSU_E_NS1_11comp_targetILNS1_3genE8ELNS1_11target_archE1030ELNS1_3gpuE2ELNS1_3repE0EEENS1_30default_config_static_selectorELNS0_4arch9wavefront6targetE0EEEvT1_,comdat
.Lfunc_end299:
	.size	_ZN7rocprim17ROCPRIM_400000_NS6detail17trampoline_kernelINS0_14default_configENS1_20scan_config_selectorIN3c107complexIfEEEEZZNS1_9scan_implILNS1_25lookback_scan_determinismE0ELb0ELb0ES3_PKS7_PS7_S7_ZZZN2at6native31launch_logcumsumexp_cuda_kernelERKNSE_10TensorBaseESI_lENKUlvE_clEvENKUlvE2_clEvEUlS7_S7_E_S7_EEDaPvRmT3_T4_T5_mT6_P12ihipStream_tbENKUlT_T0_E_clISt17integral_constantIbLb1EESZ_EEDaSU_SV_EUlSU_E_NS1_11comp_targetILNS1_3genE8ELNS1_11target_archE1030ELNS1_3gpuE2ELNS1_3repE0EEENS1_30default_config_static_selectorELNS0_4arch9wavefront6targetE0EEEvT1_, .Lfunc_end299-_ZN7rocprim17ROCPRIM_400000_NS6detail17trampoline_kernelINS0_14default_configENS1_20scan_config_selectorIN3c107complexIfEEEEZZNS1_9scan_implILNS1_25lookback_scan_determinismE0ELb0ELb0ES3_PKS7_PS7_S7_ZZZN2at6native31launch_logcumsumexp_cuda_kernelERKNSE_10TensorBaseESI_lENKUlvE_clEvENKUlvE2_clEvEUlS7_S7_E_S7_EEDaPvRmT3_T4_T5_mT6_P12ihipStream_tbENKUlT_T0_E_clISt17integral_constantIbLb1EESZ_EEDaSU_SV_EUlSU_E_NS1_11comp_targetILNS1_3genE8ELNS1_11target_archE1030ELNS1_3gpuE2ELNS1_3repE0EEENS1_30default_config_static_selectorELNS0_4arch9wavefront6targetE0EEEvT1_
                                        ; -- End function
	.set _ZN7rocprim17ROCPRIM_400000_NS6detail17trampoline_kernelINS0_14default_configENS1_20scan_config_selectorIN3c107complexIfEEEEZZNS1_9scan_implILNS1_25lookback_scan_determinismE0ELb0ELb0ES3_PKS7_PS7_S7_ZZZN2at6native31launch_logcumsumexp_cuda_kernelERKNSE_10TensorBaseESI_lENKUlvE_clEvENKUlvE2_clEvEUlS7_S7_E_S7_EEDaPvRmT3_T4_T5_mT6_P12ihipStream_tbENKUlT_T0_E_clISt17integral_constantIbLb1EESZ_EEDaSU_SV_EUlSU_E_NS1_11comp_targetILNS1_3genE8ELNS1_11target_archE1030ELNS1_3gpuE2ELNS1_3repE0EEENS1_30default_config_static_selectorELNS0_4arch9wavefront6targetE0EEEvT1_.num_vgpr, 0
	.set _ZN7rocprim17ROCPRIM_400000_NS6detail17trampoline_kernelINS0_14default_configENS1_20scan_config_selectorIN3c107complexIfEEEEZZNS1_9scan_implILNS1_25lookback_scan_determinismE0ELb0ELb0ES3_PKS7_PS7_S7_ZZZN2at6native31launch_logcumsumexp_cuda_kernelERKNSE_10TensorBaseESI_lENKUlvE_clEvENKUlvE2_clEvEUlS7_S7_E_S7_EEDaPvRmT3_T4_T5_mT6_P12ihipStream_tbENKUlT_T0_E_clISt17integral_constantIbLb1EESZ_EEDaSU_SV_EUlSU_E_NS1_11comp_targetILNS1_3genE8ELNS1_11target_archE1030ELNS1_3gpuE2ELNS1_3repE0EEENS1_30default_config_static_selectorELNS0_4arch9wavefront6targetE0EEEvT1_.num_agpr, 0
	.set _ZN7rocprim17ROCPRIM_400000_NS6detail17trampoline_kernelINS0_14default_configENS1_20scan_config_selectorIN3c107complexIfEEEEZZNS1_9scan_implILNS1_25lookback_scan_determinismE0ELb0ELb0ES3_PKS7_PS7_S7_ZZZN2at6native31launch_logcumsumexp_cuda_kernelERKNSE_10TensorBaseESI_lENKUlvE_clEvENKUlvE2_clEvEUlS7_S7_E_S7_EEDaPvRmT3_T4_T5_mT6_P12ihipStream_tbENKUlT_T0_E_clISt17integral_constantIbLb1EESZ_EEDaSU_SV_EUlSU_E_NS1_11comp_targetILNS1_3genE8ELNS1_11target_archE1030ELNS1_3gpuE2ELNS1_3repE0EEENS1_30default_config_static_selectorELNS0_4arch9wavefront6targetE0EEEvT1_.numbered_sgpr, 0
	.set _ZN7rocprim17ROCPRIM_400000_NS6detail17trampoline_kernelINS0_14default_configENS1_20scan_config_selectorIN3c107complexIfEEEEZZNS1_9scan_implILNS1_25lookback_scan_determinismE0ELb0ELb0ES3_PKS7_PS7_S7_ZZZN2at6native31launch_logcumsumexp_cuda_kernelERKNSE_10TensorBaseESI_lENKUlvE_clEvENKUlvE2_clEvEUlS7_S7_E_S7_EEDaPvRmT3_T4_T5_mT6_P12ihipStream_tbENKUlT_T0_E_clISt17integral_constantIbLb1EESZ_EEDaSU_SV_EUlSU_E_NS1_11comp_targetILNS1_3genE8ELNS1_11target_archE1030ELNS1_3gpuE2ELNS1_3repE0EEENS1_30default_config_static_selectorELNS0_4arch9wavefront6targetE0EEEvT1_.num_named_barrier, 0
	.set _ZN7rocprim17ROCPRIM_400000_NS6detail17trampoline_kernelINS0_14default_configENS1_20scan_config_selectorIN3c107complexIfEEEEZZNS1_9scan_implILNS1_25lookback_scan_determinismE0ELb0ELb0ES3_PKS7_PS7_S7_ZZZN2at6native31launch_logcumsumexp_cuda_kernelERKNSE_10TensorBaseESI_lENKUlvE_clEvENKUlvE2_clEvEUlS7_S7_E_S7_EEDaPvRmT3_T4_T5_mT6_P12ihipStream_tbENKUlT_T0_E_clISt17integral_constantIbLb1EESZ_EEDaSU_SV_EUlSU_E_NS1_11comp_targetILNS1_3genE8ELNS1_11target_archE1030ELNS1_3gpuE2ELNS1_3repE0EEENS1_30default_config_static_selectorELNS0_4arch9wavefront6targetE0EEEvT1_.private_seg_size, 0
	.set _ZN7rocprim17ROCPRIM_400000_NS6detail17trampoline_kernelINS0_14default_configENS1_20scan_config_selectorIN3c107complexIfEEEEZZNS1_9scan_implILNS1_25lookback_scan_determinismE0ELb0ELb0ES3_PKS7_PS7_S7_ZZZN2at6native31launch_logcumsumexp_cuda_kernelERKNSE_10TensorBaseESI_lENKUlvE_clEvENKUlvE2_clEvEUlS7_S7_E_S7_EEDaPvRmT3_T4_T5_mT6_P12ihipStream_tbENKUlT_T0_E_clISt17integral_constantIbLb1EESZ_EEDaSU_SV_EUlSU_E_NS1_11comp_targetILNS1_3genE8ELNS1_11target_archE1030ELNS1_3gpuE2ELNS1_3repE0EEENS1_30default_config_static_selectorELNS0_4arch9wavefront6targetE0EEEvT1_.uses_vcc, 0
	.set _ZN7rocprim17ROCPRIM_400000_NS6detail17trampoline_kernelINS0_14default_configENS1_20scan_config_selectorIN3c107complexIfEEEEZZNS1_9scan_implILNS1_25lookback_scan_determinismE0ELb0ELb0ES3_PKS7_PS7_S7_ZZZN2at6native31launch_logcumsumexp_cuda_kernelERKNSE_10TensorBaseESI_lENKUlvE_clEvENKUlvE2_clEvEUlS7_S7_E_S7_EEDaPvRmT3_T4_T5_mT6_P12ihipStream_tbENKUlT_T0_E_clISt17integral_constantIbLb1EESZ_EEDaSU_SV_EUlSU_E_NS1_11comp_targetILNS1_3genE8ELNS1_11target_archE1030ELNS1_3gpuE2ELNS1_3repE0EEENS1_30default_config_static_selectorELNS0_4arch9wavefront6targetE0EEEvT1_.uses_flat_scratch, 0
	.set _ZN7rocprim17ROCPRIM_400000_NS6detail17trampoline_kernelINS0_14default_configENS1_20scan_config_selectorIN3c107complexIfEEEEZZNS1_9scan_implILNS1_25lookback_scan_determinismE0ELb0ELb0ES3_PKS7_PS7_S7_ZZZN2at6native31launch_logcumsumexp_cuda_kernelERKNSE_10TensorBaseESI_lENKUlvE_clEvENKUlvE2_clEvEUlS7_S7_E_S7_EEDaPvRmT3_T4_T5_mT6_P12ihipStream_tbENKUlT_T0_E_clISt17integral_constantIbLb1EESZ_EEDaSU_SV_EUlSU_E_NS1_11comp_targetILNS1_3genE8ELNS1_11target_archE1030ELNS1_3gpuE2ELNS1_3repE0EEENS1_30default_config_static_selectorELNS0_4arch9wavefront6targetE0EEEvT1_.has_dyn_sized_stack, 0
	.set _ZN7rocprim17ROCPRIM_400000_NS6detail17trampoline_kernelINS0_14default_configENS1_20scan_config_selectorIN3c107complexIfEEEEZZNS1_9scan_implILNS1_25lookback_scan_determinismE0ELb0ELb0ES3_PKS7_PS7_S7_ZZZN2at6native31launch_logcumsumexp_cuda_kernelERKNSE_10TensorBaseESI_lENKUlvE_clEvENKUlvE2_clEvEUlS7_S7_E_S7_EEDaPvRmT3_T4_T5_mT6_P12ihipStream_tbENKUlT_T0_E_clISt17integral_constantIbLb1EESZ_EEDaSU_SV_EUlSU_E_NS1_11comp_targetILNS1_3genE8ELNS1_11target_archE1030ELNS1_3gpuE2ELNS1_3repE0EEENS1_30default_config_static_selectorELNS0_4arch9wavefront6targetE0EEEvT1_.has_recursion, 0
	.set _ZN7rocprim17ROCPRIM_400000_NS6detail17trampoline_kernelINS0_14default_configENS1_20scan_config_selectorIN3c107complexIfEEEEZZNS1_9scan_implILNS1_25lookback_scan_determinismE0ELb0ELb0ES3_PKS7_PS7_S7_ZZZN2at6native31launch_logcumsumexp_cuda_kernelERKNSE_10TensorBaseESI_lENKUlvE_clEvENKUlvE2_clEvEUlS7_S7_E_S7_EEDaPvRmT3_T4_T5_mT6_P12ihipStream_tbENKUlT_T0_E_clISt17integral_constantIbLb1EESZ_EEDaSU_SV_EUlSU_E_NS1_11comp_targetILNS1_3genE8ELNS1_11target_archE1030ELNS1_3gpuE2ELNS1_3repE0EEENS1_30default_config_static_selectorELNS0_4arch9wavefront6targetE0EEEvT1_.has_indirect_call, 0
	.section	.AMDGPU.csdata,"",@progbits
; Kernel info:
; codeLenInByte = 4
; TotalNumSgprs: 0
; NumVgprs: 0
; ScratchSize: 0
; MemoryBound: 0
; FloatMode: 240
; IeeeMode: 1
; LDSByteSize: 0 bytes/workgroup (compile time only)
; SGPRBlocks: 0
; VGPRBlocks: 0
; NumSGPRsForWavesPerEU: 1
; NumVGPRsForWavesPerEU: 1
; Occupancy: 16
; WaveLimiterHint : 0
; COMPUTE_PGM_RSRC2:SCRATCH_EN: 0
; COMPUTE_PGM_RSRC2:USER_SGPR: 6
; COMPUTE_PGM_RSRC2:TRAP_HANDLER: 0
; COMPUTE_PGM_RSRC2:TGID_X_EN: 1
; COMPUTE_PGM_RSRC2:TGID_Y_EN: 0
; COMPUTE_PGM_RSRC2:TGID_Z_EN: 0
; COMPUTE_PGM_RSRC2:TIDIG_COMP_CNT: 0
	.section	.text._ZN7rocprim17ROCPRIM_400000_NS6detail17trampoline_kernelINS0_14default_configENS1_20scan_config_selectorIN3c107complexIfEEEEZZNS1_9scan_implILNS1_25lookback_scan_determinismE0ELb0ELb0ES3_PKS7_PS7_S7_ZZZN2at6native31launch_logcumsumexp_cuda_kernelERKNSE_10TensorBaseESI_lENKUlvE_clEvENKUlvE2_clEvEUlS7_S7_E_S7_EEDaPvRmT3_T4_T5_mT6_P12ihipStream_tbENKUlT_T0_E_clISt17integral_constantIbLb1EESZ_EEDaSU_SV_EUlSU_E0_NS1_11comp_targetILNS1_3genE0ELNS1_11target_archE4294967295ELNS1_3gpuE0ELNS1_3repE0EEENS1_30default_config_static_selectorELNS0_4arch9wavefront6targetE0EEEvT1_,"axG",@progbits,_ZN7rocprim17ROCPRIM_400000_NS6detail17trampoline_kernelINS0_14default_configENS1_20scan_config_selectorIN3c107complexIfEEEEZZNS1_9scan_implILNS1_25lookback_scan_determinismE0ELb0ELb0ES3_PKS7_PS7_S7_ZZZN2at6native31launch_logcumsumexp_cuda_kernelERKNSE_10TensorBaseESI_lENKUlvE_clEvENKUlvE2_clEvEUlS7_S7_E_S7_EEDaPvRmT3_T4_T5_mT6_P12ihipStream_tbENKUlT_T0_E_clISt17integral_constantIbLb1EESZ_EEDaSU_SV_EUlSU_E0_NS1_11comp_targetILNS1_3genE0ELNS1_11target_archE4294967295ELNS1_3gpuE0ELNS1_3repE0EEENS1_30default_config_static_selectorELNS0_4arch9wavefront6targetE0EEEvT1_,comdat
	.globl	_ZN7rocprim17ROCPRIM_400000_NS6detail17trampoline_kernelINS0_14default_configENS1_20scan_config_selectorIN3c107complexIfEEEEZZNS1_9scan_implILNS1_25lookback_scan_determinismE0ELb0ELb0ES3_PKS7_PS7_S7_ZZZN2at6native31launch_logcumsumexp_cuda_kernelERKNSE_10TensorBaseESI_lENKUlvE_clEvENKUlvE2_clEvEUlS7_S7_E_S7_EEDaPvRmT3_T4_T5_mT6_P12ihipStream_tbENKUlT_T0_E_clISt17integral_constantIbLb1EESZ_EEDaSU_SV_EUlSU_E0_NS1_11comp_targetILNS1_3genE0ELNS1_11target_archE4294967295ELNS1_3gpuE0ELNS1_3repE0EEENS1_30default_config_static_selectorELNS0_4arch9wavefront6targetE0EEEvT1_ ; -- Begin function _ZN7rocprim17ROCPRIM_400000_NS6detail17trampoline_kernelINS0_14default_configENS1_20scan_config_selectorIN3c107complexIfEEEEZZNS1_9scan_implILNS1_25lookback_scan_determinismE0ELb0ELb0ES3_PKS7_PS7_S7_ZZZN2at6native31launch_logcumsumexp_cuda_kernelERKNSE_10TensorBaseESI_lENKUlvE_clEvENKUlvE2_clEvEUlS7_S7_E_S7_EEDaPvRmT3_T4_T5_mT6_P12ihipStream_tbENKUlT_T0_E_clISt17integral_constantIbLb1EESZ_EEDaSU_SV_EUlSU_E0_NS1_11comp_targetILNS1_3genE0ELNS1_11target_archE4294967295ELNS1_3gpuE0ELNS1_3repE0EEENS1_30default_config_static_selectorELNS0_4arch9wavefront6targetE0EEEvT1_
	.p2align	8
	.type	_ZN7rocprim17ROCPRIM_400000_NS6detail17trampoline_kernelINS0_14default_configENS1_20scan_config_selectorIN3c107complexIfEEEEZZNS1_9scan_implILNS1_25lookback_scan_determinismE0ELb0ELb0ES3_PKS7_PS7_S7_ZZZN2at6native31launch_logcumsumexp_cuda_kernelERKNSE_10TensorBaseESI_lENKUlvE_clEvENKUlvE2_clEvEUlS7_S7_E_S7_EEDaPvRmT3_T4_T5_mT6_P12ihipStream_tbENKUlT_T0_E_clISt17integral_constantIbLb1EESZ_EEDaSU_SV_EUlSU_E0_NS1_11comp_targetILNS1_3genE0ELNS1_11target_archE4294967295ELNS1_3gpuE0ELNS1_3repE0EEENS1_30default_config_static_selectorELNS0_4arch9wavefront6targetE0EEEvT1_,@function
_ZN7rocprim17ROCPRIM_400000_NS6detail17trampoline_kernelINS0_14default_configENS1_20scan_config_selectorIN3c107complexIfEEEEZZNS1_9scan_implILNS1_25lookback_scan_determinismE0ELb0ELb0ES3_PKS7_PS7_S7_ZZZN2at6native31launch_logcumsumexp_cuda_kernelERKNSE_10TensorBaseESI_lENKUlvE_clEvENKUlvE2_clEvEUlS7_S7_E_S7_EEDaPvRmT3_T4_T5_mT6_P12ihipStream_tbENKUlT_T0_E_clISt17integral_constantIbLb1EESZ_EEDaSU_SV_EUlSU_E0_NS1_11comp_targetILNS1_3genE0ELNS1_11target_archE4294967295ELNS1_3gpuE0ELNS1_3repE0EEENS1_30default_config_static_selectorELNS0_4arch9wavefront6targetE0EEEvT1_: ; @_ZN7rocprim17ROCPRIM_400000_NS6detail17trampoline_kernelINS0_14default_configENS1_20scan_config_selectorIN3c107complexIfEEEEZZNS1_9scan_implILNS1_25lookback_scan_determinismE0ELb0ELb0ES3_PKS7_PS7_S7_ZZZN2at6native31launch_logcumsumexp_cuda_kernelERKNSE_10TensorBaseESI_lENKUlvE_clEvENKUlvE2_clEvEUlS7_S7_E_S7_EEDaPvRmT3_T4_T5_mT6_P12ihipStream_tbENKUlT_T0_E_clISt17integral_constantIbLb1EESZ_EEDaSU_SV_EUlSU_E0_NS1_11comp_targetILNS1_3genE0ELNS1_11target_archE4294967295ELNS1_3gpuE0ELNS1_3repE0EEENS1_30default_config_static_selectorELNS0_4arch9wavefront6targetE0EEEvT1_
; %bb.0:
	.section	.rodata,"a",@progbits
	.p2align	6, 0x0
	.amdhsa_kernel _ZN7rocprim17ROCPRIM_400000_NS6detail17trampoline_kernelINS0_14default_configENS1_20scan_config_selectorIN3c107complexIfEEEEZZNS1_9scan_implILNS1_25lookback_scan_determinismE0ELb0ELb0ES3_PKS7_PS7_S7_ZZZN2at6native31launch_logcumsumexp_cuda_kernelERKNSE_10TensorBaseESI_lENKUlvE_clEvENKUlvE2_clEvEUlS7_S7_E_S7_EEDaPvRmT3_T4_T5_mT6_P12ihipStream_tbENKUlT_T0_E_clISt17integral_constantIbLb1EESZ_EEDaSU_SV_EUlSU_E0_NS1_11comp_targetILNS1_3genE0ELNS1_11target_archE4294967295ELNS1_3gpuE0ELNS1_3repE0EEENS1_30default_config_static_selectorELNS0_4arch9wavefront6targetE0EEEvT1_
		.amdhsa_group_segment_fixed_size 0
		.amdhsa_private_segment_fixed_size 0
		.amdhsa_kernarg_size 40
		.amdhsa_user_sgpr_count 6
		.amdhsa_user_sgpr_private_segment_buffer 1
		.amdhsa_user_sgpr_dispatch_ptr 0
		.amdhsa_user_sgpr_queue_ptr 0
		.amdhsa_user_sgpr_kernarg_segment_ptr 1
		.amdhsa_user_sgpr_dispatch_id 0
		.amdhsa_user_sgpr_flat_scratch_init 0
		.amdhsa_user_sgpr_private_segment_size 0
		.amdhsa_wavefront_size32 1
		.amdhsa_uses_dynamic_stack 0
		.amdhsa_system_sgpr_private_segment_wavefront_offset 0
		.amdhsa_system_sgpr_workgroup_id_x 1
		.amdhsa_system_sgpr_workgroup_id_y 0
		.amdhsa_system_sgpr_workgroup_id_z 0
		.amdhsa_system_sgpr_workgroup_info 0
		.amdhsa_system_vgpr_workitem_id 0
		.amdhsa_next_free_vgpr 1
		.amdhsa_next_free_sgpr 1
		.amdhsa_reserve_vcc 0
		.amdhsa_reserve_flat_scratch 0
		.amdhsa_float_round_mode_32 0
		.amdhsa_float_round_mode_16_64 0
		.amdhsa_float_denorm_mode_32 3
		.amdhsa_float_denorm_mode_16_64 3
		.amdhsa_dx10_clamp 1
		.amdhsa_ieee_mode 1
		.amdhsa_fp16_overflow 0
		.amdhsa_workgroup_processor_mode 1
		.amdhsa_memory_ordered 1
		.amdhsa_forward_progress 1
		.amdhsa_shared_vgpr_count 0
		.amdhsa_exception_fp_ieee_invalid_op 0
		.amdhsa_exception_fp_denorm_src 0
		.amdhsa_exception_fp_ieee_div_zero 0
		.amdhsa_exception_fp_ieee_overflow 0
		.amdhsa_exception_fp_ieee_underflow 0
		.amdhsa_exception_fp_ieee_inexact 0
		.amdhsa_exception_int_div_zero 0
	.end_amdhsa_kernel
	.section	.text._ZN7rocprim17ROCPRIM_400000_NS6detail17trampoline_kernelINS0_14default_configENS1_20scan_config_selectorIN3c107complexIfEEEEZZNS1_9scan_implILNS1_25lookback_scan_determinismE0ELb0ELb0ES3_PKS7_PS7_S7_ZZZN2at6native31launch_logcumsumexp_cuda_kernelERKNSE_10TensorBaseESI_lENKUlvE_clEvENKUlvE2_clEvEUlS7_S7_E_S7_EEDaPvRmT3_T4_T5_mT6_P12ihipStream_tbENKUlT_T0_E_clISt17integral_constantIbLb1EESZ_EEDaSU_SV_EUlSU_E0_NS1_11comp_targetILNS1_3genE0ELNS1_11target_archE4294967295ELNS1_3gpuE0ELNS1_3repE0EEENS1_30default_config_static_selectorELNS0_4arch9wavefront6targetE0EEEvT1_,"axG",@progbits,_ZN7rocprim17ROCPRIM_400000_NS6detail17trampoline_kernelINS0_14default_configENS1_20scan_config_selectorIN3c107complexIfEEEEZZNS1_9scan_implILNS1_25lookback_scan_determinismE0ELb0ELb0ES3_PKS7_PS7_S7_ZZZN2at6native31launch_logcumsumexp_cuda_kernelERKNSE_10TensorBaseESI_lENKUlvE_clEvENKUlvE2_clEvEUlS7_S7_E_S7_EEDaPvRmT3_T4_T5_mT6_P12ihipStream_tbENKUlT_T0_E_clISt17integral_constantIbLb1EESZ_EEDaSU_SV_EUlSU_E0_NS1_11comp_targetILNS1_3genE0ELNS1_11target_archE4294967295ELNS1_3gpuE0ELNS1_3repE0EEENS1_30default_config_static_selectorELNS0_4arch9wavefront6targetE0EEEvT1_,comdat
.Lfunc_end300:
	.size	_ZN7rocprim17ROCPRIM_400000_NS6detail17trampoline_kernelINS0_14default_configENS1_20scan_config_selectorIN3c107complexIfEEEEZZNS1_9scan_implILNS1_25lookback_scan_determinismE0ELb0ELb0ES3_PKS7_PS7_S7_ZZZN2at6native31launch_logcumsumexp_cuda_kernelERKNSE_10TensorBaseESI_lENKUlvE_clEvENKUlvE2_clEvEUlS7_S7_E_S7_EEDaPvRmT3_T4_T5_mT6_P12ihipStream_tbENKUlT_T0_E_clISt17integral_constantIbLb1EESZ_EEDaSU_SV_EUlSU_E0_NS1_11comp_targetILNS1_3genE0ELNS1_11target_archE4294967295ELNS1_3gpuE0ELNS1_3repE0EEENS1_30default_config_static_selectorELNS0_4arch9wavefront6targetE0EEEvT1_, .Lfunc_end300-_ZN7rocprim17ROCPRIM_400000_NS6detail17trampoline_kernelINS0_14default_configENS1_20scan_config_selectorIN3c107complexIfEEEEZZNS1_9scan_implILNS1_25lookback_scan_determinismE0ELb0ELb0ES3_PKS7_PS7_S7_ZZZN2at6native31launch_logcumsumexp_cuda_kernelERKNSE_10TensorBaseESI_lENKUlvE_clEvENKUlvE2_clEvEUlS7_S7_E_S7_EEDaPvRmT3_T4_T5_mT6_P12ihipStream_tbENKUlT_T0_E_clISt17integral_constantIbLb1EESZ_EEDaSU_SV_EUlSU_E0_NS1_11comp_targetILNS1_3genE0ELNS1_11target_archE4294967295ELNS1_3gpuE0ELNS1_3repE0EEENS1_30default_config_static_selectorELNS0_4arch9wavefront6targetE0EEEvT1_
                                        ; -- End function
	.set _ZN7rocprim17ROCPRIM_400000_NS6detail17trampoline_kernelINS0_14default_configENS1_20scan_config_selectorIN3c107complexIfEEEEZZNS1_9scan_implILNS1_25lookback_scan_determinismE0ELb0ELb0ES3_PKS7_PS7_S7_ZZZN2at6native31launch_logcumsumexp_cuda_kernelERKNSE_10TensorBaseESI_lENKUlvE_clEvENKUlvE2_clEvEUlS7_S7_E_S7_EEDaPvRmT3_T4_T5_mT6_P12ihipStream_tbENKUlT_T0_E_clISt17integral_constantIbLb1EESZ_EEDaSU_SV_EUlSU_E0_NS1_11comp_targetILNS1_3genE0ELNS1_11target_archE4294967295ELNS1_3gpuE0ELNS1_3repE0EEENS1_30default_config_static_selectorELNS0_4arch9wavefront6targetE0EEEvT1_.num_vgpr, 0
	.set _ZN7rocprim17ROCPRIM_400000_NS6detail17trampoline_kernelINS0_14default_configENS1_20scan_config_selectorIN3c107complexIfEEEEZZNS1_9scan_implILNS1_25lookback_scan_determinismE0ELb0ELb0ES3_PKS7_PS7_S7_ZZZN2at6native31launch_logcumsumexp_cuda_kernelERKNSE_10TensorBaseESI_lENKUlvE_clEvENKUlvE2_clEvEUlS7_S7_E_S7_EEDaPvRmT3_T4_T5_mT6_P12ihipStream_tbENKUlT_T0_E_clISt17integral_constantIbLb1EESZ_EEDaSU_SV_EUlSU_E0_NS1_11comp_targetILNS1_3genE0ELNS1_11target_archE4294967295ELNS1_3gpuE0ELNS1_3repE0EEENS1_30default_config_static_selectorELNS0_4arch9wavefront6targetE0EEEvT1_.num_agpr, 0
	.set _ZN7rocprim17ROCPRIM_400000_NS6detail17trampoline_kernelINS0_14default_configENS1_20scan_config_selectorIN3c107complexIfEEEEZZNS1_9scan_implILNS1_25lookback_scan_determinismE0ELb0ELb0ES3_PKS7_PS7_S7_ZZZN2at6native31launch_logcumsumexp_cuda_kernelERKNSE_10TensorBaseESI_lENKUlvE_clEvENKUlvE2_clEvEUlS7_S7_E_S7_EEDaPvRmT3_T4_T5_mT6_P12ihipStream_tbENKUlT_T0_E_clISt17integral_constantIbLb1EESZ_EEDaSU_SV_EUlSU_E0_NS1_11comp_targetILNS1_3genE0ELNS1_11target_archE4294967295ELNS1_3gpuE0ELNS1_3repE0EEENS1_30default_config_static_selectorELNS0_4arch9wavefront6targetE0EEEvT1_.numbered_sgpr, 0
	.set _ZN7rocprim17ROCPRIM_400000_NS6detail17trampoline_kernelINS0_14default_configENS1_20scan_config_selectorIN3c107complexIfEEEEZZNS1_9scan_implILNS1_25lookback_scan_determinismE0ELb0ELb0ES3_PKS7_PS7_S7_ZZZN2at6native31launch_logcumsumexp_cuda_kernelERKNSE_10TensorBaseESI_lENKUlvE_clEvENKUlvE2_clEvEUlS7_S7_E_S7_EEDaPvRmT3_T4_T5_mT6_P12ihipStream_tbENKUlT_T0_E_clISt17integral_constantIbLb1EESZ_EEDaSU_SV_EUlSU_E0_NS1_11comp_targetILNS1_3genE0ELNS1_11target_archE4294967295ELNS1_3gpuE0ELNS1_3repE0EEENS1_30default_config_static_selectorELNS0_4arch9wavefront6targetE0EEEvT1_.num_named_barrier, 0
	.set _ZN7rocprim17ROCPRIM_400000_NS6detail17trampoline_kernelINS0_14default_configENS1_20scan_config_selectorIN3c107complexIfEEEEZZNS1_9scan_implILNS1_25lookback_scan_determinismE0ELb0ELb0ES3_PKS7_PS7_S7_ZZZN2at6native31launch_logcumsumexp_cuda_kernelERKNSE_10TensorBaseESI_lENKUlvE_clEvENKUlvE2_clEvEUlS7_S7_E_S7_EEDaPvRmT3_T4_T5_mT6_P12ihipStream_tbENKUlT_T0_E_clISt17integral_constantIbLb1EESZ_EEDaSU_SV_EUlSU_E0_NS1_11comp_targetILNS1_3genE0ELNS1_11target_archE4294967295ELNS1_3gpuE0ELNS1_3repE0EEENS1_30default_config_static_selectorELNS0_4arch9wavefront6targetE0EEEvT1_.private_seg_size, 0
	.set _ZN7rocprim17ROCPRIM_400000_NS6detail17trampoline_kernelINS0_14default_configENS1_20scan_config_selectorIN3c107complexIfEEEEZZNS1_9scan_implILNS1_25lookback_scan_determinismE0ELb0ELb0ES3_PKS7_PS7_S7_ZZZN2at6native31launch_logcumsumexp_cuda_kernelERKNSE_10TensorBaseESI_lENKUlvE_clEvENKUlvE2_clEvEUlS7_S7_E_S7_EEDaPvRmT3_T4_T5_mT6_P12ihipStream_tbENKUlT_T0_E_clISt17integral_constantIbLb1EESZ_EEDaSU_SV_EUlSU_E0_NS1_11comp_targetILNS1_3genE0ELNS1_11target_archE4294967295ELNS1_3gpuE0ELNS1_3repE0EEENS1_30default_config_static_selectorELNS0_4arch9wavefront6targetE0EEEvT1_.uses_vcc, 0
	.set _ZN7rocprim17ROCPRIM_400000_NS6detail17trampoline_kernelINS0_14default_configENS1_20scan_config_selectorIN3c107complexIfEEEEZZNS1_9scan_implILNS1_25lookback_scan_determinismE0ELb0ELb0ES3_PKS7_PS7_S7_ZZZN2at6native31launch_logcumsumexp_cuda_kernelERKNSE_10TensorBaseESI_lENKUlvE_clEvENKUlvE2_clEvEUlS7_S7_E_S7_EEDaPvRmT3_T4_T5_mT6_P12ihipStream_tbENKUlT_T0_E_clISt17integral_constantIbLb1EESZ_EEDaSU_SV_EUlSU_E0_NS1_11comp_targetILNS1_3genE0ELNS1_11target_archE4294967295ELNS1_3gpuE0ELNS1_3repE0EEENS1_30default_config_static_selectorELNS0_4arch9wavefront6targetE0EEEvT1_.uses_flat_scratch, 0
	.set _ZN7rocprim17ROCPRIM_400000_NS6detail17trampoline_kernelINS0_14default_configENS1_20scan_config_selectorIN3c107complexIfEEEEZZNS1_9scan_implILNS1_25lookback_scan_determinismE0ELb0ELb0ES3_PKS7_PS7_S7_ZZZN2at6native31launch_logcumsumexp_cuda_kernelERKNSE_10TensorBaseESI_lENKUlvE_clEvENKUlvE2_clEvEUlS7_S7_E_S7_EEDaPvRmT3_T4_T5_mT6_P12ihipStream_tbENKUlT_T0_E_clISt17integral_constantIbLb1EESZ_EEDaSU_SV_EUlSU_E0_NS1_11comp_targetILNS1_3genE0ELNS1_11target_archE4294967295ELNS1_3gpuE0ELNS1_3repE0EEENS1_30default_config_static_selectorELNS0_4arch9wavefront6targetE0EEEvT1_.has_dyn_sized_stack, 0
	.set _ZN7rocprim17ROCPRIM_400000_NS6detail17trampoline_kernelINS0_14default_configENS1_20scan_config_selectorIN3c107complexIfEEEEZZNS1_9scan_implILNS1_25lookback_scan_determinismE0ELb0ELb0ES3_PKS7_PS7_S7_ZZZN2at6native31launch_logcumsumexp_cuda_kernelERKNSE_10TensorBaseESI_lENKUlvE_clEvENKUlvE2_clEvEUlS7_S7_E_S7_EEDaPvRmT3_T4_T5_mT6_P12ihipStream_tbENKUlT_T0_E_clISt17integral_constantIbLb1EESZ_EEDaSU_SV_EUlSU_E0_NS1_11comp_targetILNS1_3genE0ELNS1_11target_archE4294967295ELNS1_3gpuE0ELNS1_3repE0EEENS1_30default_config_static_selectorELNS0_4arch9wavefront6targetE0EEEvT1_.has_recursion, 0
	.set _ZN7rocprim17ROCPRIM_400000_NS6detail17trampoline_kernelINS0_14default_configENS1_20scan_config_selectorIN3c107complexIfEEEEZZNS1_9scan_implILNS1_25lookback_scan_determinismE0ELb0ELb0ES3_PKS7_PS7_S7_ZZZN2at6native31launch_logcumsumexp_cuda_kernelERKNSE_10TensorBaseESI_lENKUlvE_clEvENKUlvE2_clEvEUlS7_S7_E_S7_EEDaPvRmT3_T4_T5_mT6_P12ihipStream_tbENKUlT_T0_E_clISt17integral_constantIbLb1EESZ_EEDaSU_SV_EUlSU_E0_NS1_11comp_targetILNS1_3genE0ELNS1_11target_archE4294967295ELNS1_3gpuE0ELNS1_3repE0EEENS1_30default_config_static_selectorELNS0_4arch9wavefront6targetE0EEEvT1_.has_indirect_call, 0
	.section	.AMDGPU.csdata,"",@progbits
; Kernel info:
; codeLenInByte = 0
; TotalNumSgprs: 0
; NumVgprs: 0
; ScratchSize: 0
; MemoryBound: 0
; FloatMode: 240
; IeeeMode: 1
; LDSByteSize: 0 bytes/workgroup (compile time only)
; SGPRBlocks: 0
; VGPRBlocks: 0
; NumSGPRsForWavesPerEU: 1
; NumVGPRsForWavesPerEU: 1
; Occupancy: 16
; WaveLimiterHint : 0
; COMPUTE_PGM_RSRC2:SCRATCH_EN: 0
; COMPUTE_PGM_RSRC2:USER_SGPR: 6
; COMPUTE_PGM_RSRC2:TRAP_HANDLER: 0
; COMPUTE_PGM_RSRC2:TGID_X_EN: 1
; COMPUTE_PGM_RSRC2:TGID_Y_EN: 0
; COMPUTE_PGM_RSRC2:TGID_Z_EN: 0
; COMPUTE_PGM_RSRC2:TIDIG_COMP_CNT: 0
	.section	.text._ZN7rocprim17ROCPRIM_400000_NS6detail17trampoline_kernelINS0_14default_configENS1_20scan_config_selectorIN3c107complexIfEEEEZZNS1_9scan_implILNS1_25lookback_scan_determinismE0ELb0ELb0ES3_PKS7_PS7_S7_ZZZN2at6native31launch_logcumsumexp_cuda_kernelERKNSE_10TensorBaseESI_lENKUlvE_clEvENKUlvE2_clEvEUlS7_S7_E_S7_EEDaPvRmT3_T4_T5_mT6_P12ihipStream_tbENKUlT_T0_E_clISt17integral_constantIbLb1EESZ_EEDaSU_SV_EUlSU_E0_NS1_11comp_targetILNS1_3genE5ELNS1_11target_archE942ELNS1_3gpuE9ELNS1_3repE0EEENS1_30default_config_static_selectorELNS0_4arch9wavefront6targetE0EEEvT1_,"axG",@progbits,_ZN7rocprim17ROCPRIM_400000_NS6detail17trampoline_kernelINS0_14default_configENS1_20scan_config_selectorIN3c107complexIfEEEEZZNS1_9scan_implILNS1_25lookback_scan_determinismE0ELb0ELb0ES3_PKS7_PS7_S7_ZZZN2at6native31launch_logcumsumexp_cuda_kernelERKNSE_10TensorBaseESI_lENKUlvE_clEvENKUlvE2_clEvEUlS7_S7_E_S7_EEDaPvRmT3_T4_T5_mT6_P12ihipStream_tbENKUlT_T0_E_clISt17integral_constantIbLb1EESZ_EEDaSU_SV_EUlSU_E0_NS1_11comp_targetILNS1_3genE5ELNS1_11target_archE942ELNS1_3gpuE9ELNS1_3repE0EEENS1_30default_config_static_selectorELNS0_4arch9wavefront6targetE0EEEvT1_,comdat
	.globl	_ZN7rocprim17ROCPRIM_400000_NS6detail17trampoline_kernelINS0_14default_configENS1_20scan_config_selectorIN3c107complexIfEEEEZZNS1_9scan_implILNS1_25lookback_scan_determinismE0ELb0ELb0ES3_PKS7_PS7_S7_ZZZN2at6native31launch_logcumsumexp_cuda_kernelERKNSE_10TensorBaseESI_lENKUlvE_clEvENKUlvE2_clEvEUlS7_S7_E_S7_EEDaPvRmT3_T4_T5_mT6_P12ihipStream_tbENKUlT_T0_E_clISt17integral_constantIbLb1EESZ_EEDaSU_SV_EUlSU_E0_NS1_11comp_targetILNS1_3genE5ELNS1_11target_archE942ELNS1_3gpuE9ELNS1_3repE0EEENS1_30default_config_static_selectorELNS0_4arch9wavefront6targetE0EEEvT1_ ; -- Begin function _ZN7rocprim17ROCPRIM_400000_NS6detail17trampoline_kernelINS0_14default_configENS1_20scan_config_selectorIN3c107complexIfEEEEZZNS1_9scan_implILNS1_25lookback_scan_determinismE0ELb0ELb0ES3_PKS7_PS7_S7_ZZZN2at6native31launch_logcumsumexp_cuda_kernelERKNSE_10TensorBaseESI_lENKUlvE_clEvENKUlvE2_clEvEUlS7_S7_E_S7_EEDaPvRmT3_T4_T5_mT6_P12ihipStream_tbENKUlT_T0_E_clISt17integral_constantIbLb1EESZ_EEDaSU_SV_EUlSU_E0_NS1_11comp_targetILNS1_3genE5ELNS1_11target_archE942ELNS1_3gpuE9ELNS1_3repE0EEENS1_30default_config_static_selectorELNS0_4arch9wavefront6targetE0EEEvT1_
	.p2align	8
	.type	_ZN7rocprim17ROCPRIM_400000_NS6detail17trampoline_kernelINS0_14default_configENS1_20scan_config_selectorIN3c107complexIfEEEEZZNS1_9scan_implILNS1_25lookback_scan_determinismE0ELb0ELb0ES3_PKS7_PS7_S7_ZZZN2at6native31launch_logcumsumexp_cuda_kernelERKNSE_10TensorBaseESI_lENKUlvE_clEvENKUlvE2_clEvEUlS7_S7_E_S7_EEDaPvRmT3_T4_T5_mT6_P12ihipStream_tbENKUlT_T0_E_clISt17integral_constantIbLb1EESZ_EEDaSU_SV_EUlSU_E0_NS1_11comp_targetILNS1_3genE5ELNS1_11target_archE942ELNS1_3gpuE9ELNS1_3repE0EEENS1_30default_config_static_selectorELNS0_4arch9wavefront6targetE0EEEvT1_,@function
_ZN7rocprim17ROCPRIM_400000_NS6detail17trampoline_kernelINS0_14default_configENS1_20scan_config_selectorIN3c107complexIfEEEEZZNS1_9scan_implILNS1_25lookback_scan_determinismE0ELb0ELb0ES3_PKS7_PS7_S7_ZZZN2at6native31launch_logcumsumexp_cuda_kernelERKNSE_10TensorBaseESI_lENKUlvE_clEvENKUlvE2_clEvEUlS7_S7_E_S7_EEDaPvRmT3_T4_T5_mT6_P12ihipStream_tbENKUlT_T0_E_clISt17integral_constantIbLb1EESZ_EEDaSU_SV_EUlSU_E0_NS1_11comp_targetILNS1_3genE5ELNS1_11target_archE942ELNS1_3gpuE9ELNS1_3repE0EEENS1_30default_config_static_selectorELNS0_4arch9wavefront6targetE0EEEvT1_: ; @_ZN7rocprim17ROCPRIM_400000_NS6detail17trampoline_kernelINS0_14default_configENS1_20scan_config_selectorIN3c107complexIfEEEEZZNS1_9scan_implILNS1_25lookback_scan_determinismE0ELb0ELb0ES3_PKS7_PS7_S7_ZZZN2at6native31launch_logcumsumexp_cuda_kernelERKNSE_10TensorBaseESI_lENKUlvE_clEvENKUlvE2_clEvEUlS7_S7_E_S7_EEDaPvRmT3_T4_T5_mT6_P12ihipStream_tbENKUlT_T0_E_clISt17integral_constantIbLb1EESZ_EEDaSU_SV_EUlSU_E0_NS1_11comp_targetILNS1_3genE5ELNS1_11target_archE942ELNS1_3gpuE9ELNS1_3repE0EEENS1_30default_config_static_selectorELNS0_4arch9wavefront6targetE0EEEvT1_
; %bb.0:
	.section	.rodata,"a",@progbits
	.p2align	6, 0x0
	.amdhsa_kernel _ZN7rocprim17ROCPRIM_400000_NS6detail17trampoline_kernelINS0_14default_configENS1_20scan_config_selectorIN3c107complexIfEEEEZZNS1_9scan_implILNS1_25lookback_scan_determinismE0ELb0ELb0ES3_PKS7_PS7_S7_ZZZN2at6native31launch_logcumsumexp_cuda_kernelERKNSE_10TensorBaseESI_lENKUlvE_clEvENKUlvE2_clEvEUlS7_S7_E_S7_EEDaPvRmT3_T4_T5_mT6_P12ihipStream_tbENKUlT_T0_E_clISt17integral_constantIbLb1EESZ_EEDaSU_SV_EUlSU_E0_NS1_11comp_targetILNS1_3genE5ELNS1_11target_archE942ELNS1_3gpuE9ELNS1_3repE0EEENS1_30default_config_static_selectorELNS0_4arch9wavefront6targetE0EEEvT1_
		.amdhsa_group_segment_fixed_size 0
		.amdhsa_private_segment_fixed_size 0
		.amdhsa_kernarg_size 40
		.amdhsa_user_sgpr_count 6
		.amdhsa_user_sgpr_private_segment_buffer 1
		.amdhsa_user_sgpr_dispatch_ptr 0
		.amdhsa_user_sgpr_queue_ptr 0
		.amdhsa_user_sgpr_kernarg_segment_ptr 1
		.amdhsa_user_sgpr_dispatch_id 0
		.amdhsa_user_sgpr_flat_scratch_init 0
		.amdhsa_user_sgpr_private_segment_size 0
		.amdhsa_wavefront_size32 1
		.amdhsa_uses_dynamic_stack 0
		.amdhsa_system_sgpr_private_segment_wavefront_offset 0
		.amdhsa_system_sgpr_workgroup_id_x 1
		.amdhsa_system_sgpr_workgroup_id_y 0
		.amdhsa_system_sgpr_workgroup_id_z 0
		.amdhsa_system_sgpr_workgroup_info 0
		.amdhsa_system_vgpr_workitem_id 0
		.amdhsa_next_free_vgpr 1
		.amdhsa_next_free_sgpr 1
		.amdhsa_reserve_vcc 0
		.amdhsa_reserve_flat_scratch 0
		.amdhsa_float_round_mode_32 0
		.amdhsa_float_round_mode_16_64 0
		.amdhsa_float_denorm_mode_32 3
		.amdhsa_float_denorm_mode_16_64 3
		.amdhsa_dx10_clamp 1
		.amdhsa_ieee_mode 1
		.amdhsa_fp16_overflow 0
		.amdhsa_workgroup_processor_mode 1
		.amdhsa_memory_ordered 1
		.amdhsa_forward_progress 1
		.amdhsa_shared_vgpr_count 0
		.amdhsa_exception_fp_ieee_invalid_op 0
		.amdhsa_exception_fp_denorm_src 0
		.amdhsa_exception_fp_ieee_div_zero 0
		.amdhsa_exception_fp_ieee_overflow 0
		.amdhsa_exception_fp_ieee_underflow 0
		.amdhsa_exception_fp_ieee_inexact 0
		.amdhsa_exception_int_div_zero 0
	.end_amdhsa_kernel
	.section	.text._ZN7rocprim17ROCPRIM_400000_NS6detail17trampoline_kernelINS0_14default_configENS1_20scan_config_selectorIN3c107complexIfEEEEZZNS1_9scan_implILNS1_25lookback_scan_determinismE0ELb0ELb0ES3_PKS7_PS7_S7_ZZZN2at6native31launch_logcumsumexp_cuda_kernelERKNSE_10TensorBaseESI_lENKUlvE_clEvENKUlvE2_clEvEUlS7_S7_E_S7_EEDaPvRmT3_T4_T5_mT6_P12ihipStream_tbENKUlT_T0_E_clISt17integral_constantIbLb1EESZ_EEDaSU_SV_EUlSU_E0_NS1_11comp_targetILNS1_3genE5ELNS1_11target_archE942ELNS1_3gpuE9ELNS1_3repE0EEENS1_30default_config_static_selectorELNS0_4arch9wavefront6targetE0EEEvT1_,"axG",@progbits,_ZN7rocprim17ROCPRIM_400000_NS6detail17trampoline_kernelINS0_14default_configENS1_20scan_config_selectorIN3c107complexIfEEEEZZNS1_9scan_implILNS1_25lookback_scan_determinismE0ELb0ELb0ES3_PKS7_PS7_S7_ZZZN2at6native31launch_logcumsumexp_cuda_kernelERKNSE_10TensorBaseESI_lENKUlvE_clEvENKUlvE2_clEvEUlS7_S7_E_S7_EEDaPvRmT3_T4_T5_mT6_P12ihipStream_tbENKUlT_T0_E_clISt17integral_constantIbLb1EESZ_EEDaSU_SV_EUlSU_E0_NS1_11comp_targetILNS1_3genE5ELNS1_11target_archE942ELNS1_3gpuE9ELNS1_3repE0EEENS1_30default_config_static_selectorELNS0_4arch9wavefront6targetE0EEEvT1_,comdat
.Lfunc_end301:
	.size	_ZN7rocprim17ROCPRIM_400000_NS6detail17trampoline_kernelINS0_14default_configENS1_20scan_config_selectorIN3c107complexIfEEEEZZNS1_9scan_implILNS1_25lookback_scan_determinismE0ELb0ELb0ES3_PKS7_PS7_S7_ZZZN2at6native31launch_logcumsumexp_cuda_kernelERKNSE_10TensorBaseESI_lENKUlvE_clEvENKUlvE2_clEvEUlS7_S7_E_S7_EEDaPvRmT3_T4_T5_mT6_P12ihipStream_tbENKUlT_T0_E_clISt17integral_constantIbLb1EESZ_EEDaSU_SV_EUlSU_E0_NS1_11comp_targetILNS1_3genE5ELNS1_11target_archE942ELNS1_3gpuE9ELNS1_3repE0EEENS1_30default_config_static_selectorELNS0_4arch9wavefront6targetE0EEEvT1_, .Lfunc_end301-_ZN7rocprim17ROCPRIM_400000_NS6detail17trampoline_kernelINS0_14default_configENS1_20scan_config_selectorIN3c107complexIfEEEEZZNS1_9scan_implILNS1_25lookback_scan_determinismE0ELb0ELb0ES3_PKS7_PS7_S7_ZZZN2at6native31launch_logcumsumexp_cuda_kernelERKNSE_10TensorBaseESI_lENKUlvE_clEvENKUlvE2_clEvEUlS7_S7_E_S7_EEDaPvRmT3_T4_T5_mT6_P12ihipStream_tbENKUlT_T0_E_clISt17integral_constantIbLb1EESZ_EEDaSU_SV_EUlSU_E0_NS1_11comp_targetILNS1_3genE5ELNS1_11target_archE942ELNS1_3gpuE9ELNS1_3repE0EEENS1_30default_config_static_selectorELNS0_4arch9wavefront6targetE0EEEvT1_
                                        ; -- End function
	.set _ZN7rocprim17ROCPRIM_400000_NS6detail17trampoline_kernelINS0_14default_configENS1_20scan_config_selectorIN3c107complexIfEEEEZZNS1_9scan_implILNS1_25lookback_scan_determinismE0ELb0ELb0ES3_PKS7_PS7_S7_ZZZN2at6native31launch_logcumsumexp_cuda_kernelERKNSE_10TensorBaseESI_lENKUlvE_clEvENKUlvE2_clEvEUlS7_S7_E_S7_EEDaPvRmT3_T4_T5_mT6_P12ihipStream_tbENKUlT_T0_E_clISt17integral_constantIbLb1EESZ_EEDaSU_SV_EUlSU_E0_NS1_11comp_targetILNS1_3genE5ELNS1_11target_archE942ELNS1_3gpuE9ELNS1_3repE0EEENS1_30default_config_static_selectorELNS0_4arch9wavefront6targetE0EEEvT1_.num_vgpr, 0
	.set _ZN7rocprim17ROCPRIM_400000_NS6detail17trampoline_kernelINS0_14default_configENS1_20scan_config_selectorIN3c107complexIfEEEEZZNS1_9scan_implILNS1_25lookback_scan_determinismE0ELb0ELb0ES3_PKS7_PS7_S7_ZZZN2at6native31launch_logcumsumexp_cuda_kernelERKNSE_10TensorBaseESI_lENKUlvE_clEvENKUlvE2_clEvEUlS7_S7_E_S7_EEDaPvRmT3_T4_T5_mT6_P12ihipStream_tbENKUlT_T0_E_clISt17integral_constantIbLb1EESZ_EEDaSU_SV_EUlSU_E0_NS1_11comp_targetILNS1_3genE5ELNS1_11target_archE942ELNS1_3gpuE9ELNS1_3repE0EEENS1_30default_config_static_selectorELNS0_4arch9wavefront6targetE0EEEvT1_.num_agpr, 0
	.set _ZN7rocprim17ROCPRIM_400000_NS6detail17trampoline_kernelINS0_14default_configENS1_20scan_config_selectorIN3c107complexIfEEEEZZNS1_9scan_implILNS1_25lookback_scan_determinismE0ELb0ELb0ES3_PKS7_PS7_S7_ZZZN2at6native31launch_logcumsumexp_cuda_kernelERKNSE_10TensorBaseESI_lENKUlvE_clEvENKUlvE2_clEvEUlS7_S7_E_S7_EEDaPvRmT3_T4_T5_mT6_P12ihipStream_tbENKUlT_T0_E_clISt17integral_constantIbLb1EESZ_EEDaSU_SV_EUlSU_E0_NS1_11comp_targetILNS1_3genE5ELNS1_11target_archE942ELNS1_3gpuE9ELNS1_3repE0EEENS1_30default_config_static_selectorELNS0_4arch9wavefront6targetE0EEEvT1_.numbered_sgpr, 0
	.set _ZN7rocprim17ROCPRIM_400000_NS6detail17trampoline_kernelINS0_14default_configENS1_20scan_config_selectorIN3c107complexIfEEEEZZNS1_9scan_implILNS1_25lookback_scan_determinismE0ELb0ELb0ES3_PKS7_PS7_S7_ZZZN2at6native31launch_logcumsumexp_cuda_kernelERKNSE_10TensorBaseESI_lENKUlvE_clEvENKUlvE2_clEvEUlS7_S7_E_S7_EEDaPvRmT3_T4_T5_mT6_P12ihipStream_tbENKUlT_T0_E_clISt17integral_constantIbLb1EESZ_EEDaSU_SV_EUlSU_E0_NS1_11comp_targetILNS1_3genE5ELNS1_11target_archE942ELNS1_3gpuE9ELNS1_3repE0EEENS1_30default_config_static_selectorELNS0_4arch9wavefront6targetE0EEEvT1_.num_named_barrier, 0
	.set _ZN7rocprim17ROCPRIM_400000_NS6detail17trampoline_kernelINS0_14default_configENS1_20scan_config_selectorIN3c107complexIfEEEEZZNS1_9scan_implILNS1_25lookback_scan_determinismE0ELb0ELb0ES3_PKS7_PS7_S7_ZZZN2at6native31launch_logcumsumexp_cuda_kernelERKNSE_10TensorBaseESI_lENKUlvE_clEvENKUlvE2_clEvEUlS7_S7_E_S7_EEDaPvRmT3_T4_T5_mT6_P12ihipStream_tbENKUlT_T0_E_clISt17integral_constantIbLb1EESZ_EEDaSU_SV_EUlSU_E0_NS1_11comp_targetILNS1_3genE5ELNS1_11target_archE942ELNS1_3gpuE9ELNS1_3repE0EEENS1_30default_config_static_selectorELNS0_4arch9wavefront6targetE0EEEvT1_.private_seg_size, 0
	.set _ZN7rocprim17ROCPRIM_400000_NS6detail17trampoline_kernelINS0_14default_configENS1_20scan_config_selectorIN3c107complexIfEEEEZZNS1_9scan_implILNS1_25lookback_scan_determinismE0ELb0ELb0ES3_PKS7_PS7_S7_ZZZN2at6native31launch_logcumsumexp_cuda_kernelERKNSE_10TensorBaseESI_lENKUlvE_clEvENKUlvE2_clEvEUlS7_S7_E_S7_EEDaPvRmT3_T4_T5_mT6_P12ihipStream_tbENKUlT_T0_E_clISt17integral_constantIbLb1EESZ_EEDaSU_SV_EUlSU_E0_NS1_11comp_targetILNS1_3genE5ELNS1_11target_archE942ELNS1_3gpuE9ELNS1_3repE0EEENS1_30default_config_static_selectorELNS0_4arch9wavefront6targetE0EEEvT1_.uses_vcc, 0
	.set _ZN7rocprim17ROCPRIM_400000_NS6detail17trampoline_kernelINS0_14default_configENS1_20scan_config_selectorIN3c107complexIfEEEEZZNS1_9scan_implILNS1_25lookback_scan_determinismE0ELb0ELb0ES3_PKS7_PS7_S7_ZZZN2at6native31launch_logcumsumexp_cuda_kernelERKNSE_10TensorBaseESI_lENKUlvE_clEvENKUlvE2_clEvEUlS7_S7_E_S7_EEDaPvRmT3_T4_T5_mT6_P12ihipStream_tbENKUlT_T0_E_clISt17integral_constantIbLb1EESZ_EEDaSU_SV_EUlSU_E0_NS1_11comp_targetILNS1_3genE5ELNS1_11target_archE942ELNS1_3gpuE9ELNS1_3repE0EEENS1_30default_config_static_selectorELNS0_4arch9wavefront6targetE0EEEvT1_.uses_flat_scratch, 0
	.set _ZN7rocprim17ROCPRIM_400000_NS6detail17trampoline_kernelINS0_14default_configENS1_20scan_config_selectorIN3c107complexIfEEEEZZNS1_9scan_implILNS1_25lookback_scan_determinismE0ELb0ELb0ES3_PKS7_PS7_S7_ZZZN2at6native31launch_logcumsumexp_cuda_kernelERKNSE_10TensorBaseESI_lENKUlvE_clEvENKUlvE2_clEvEUlS7_S7_E_S7_EEDaPvRmT3_T4_T5_mT6_P12ihipStream_tbENKUlT_T0_E_clISt17integral_constantIbLb1EESZ_EEDaSU_SV_EUlSU_E0_NS1_11comp_targetILNS1_3genE5ELNS1_11target_archE942ELNS1_3gpuE9ELNS1_3repE0EEENS1_30default_config_static_selectorELNS0_4arch9wavefront6targetE0EEEvT1_.has_dyn_sized_stack, 0
	.set _ZN7rocprim17ROCPRIM_400000_NS6detail17trampoline_kernelINS0_14default_configENS1_20scan_config_selectorIN3c107complexIfEEEEZZNS1_9scan_implILNS1_25lookback_scan_determinismE0ELb0ELb0ES3_PKS7_PS7_S7_ZZZN2at6native31launch_logcumsumexp_cuda_kernelERKNSE_10TensorBaseESI_lENKUlvE_clEvENKUlvE2_clEvEUlS7_S7_E_S7_EEDaPvRmT3_T4_T5_mT6_P12ihipStream_tbENKUlT_T0_E_clISt17integral_constantIbLb1EESZ_EEDaSU_SV_EUlSU_E0_NS1_11comp_targetILNS1_3genE5ELNS1_11target_archE942ELNS1_3gpuE9ELNS1_3repE0EEENS1_30default_config_static_selectorELNS0_4arch9wavefront6targetE0EEEvT1_.has_recursion, 0
	.set _ZN7rocprim17ROCPRIM_400000_NS6detail17trampoline_kernelINS0_14default_configENS1_20scan_config_selectorIN3c107complexIfEEEEZZNS1_9scan_implILNS1_25lookback_scan_determinismE0ELb0ELb0ES3_PKS7_PS7_S7_ZZZN2at6native31launch_logcumsumexp_cuda_kernelERKNSE_10TensorBaseESI_lENKUlvE_clEvENKUlvE2_clEvEUlS7_S7_E_S7_EEDaPvRmT3_T4_T5_mT6_P12ihipStream_tbENKUlT_T0_E_clISt17integral_constantIbLb1EESZ_EEDaSU_SV_EUlSU_E0_NS1_11comp_targetILNS1_3genE5ELNS1_11target_archE942ELNS1_3gpuE9ELNS1_3repE0EEENS1_30default_config_static_selectorELNS0_4arch9wavefront6targetE0EEEvT1_.has_indirect_call, 0
	.section	.AMDGPU.csdata,"",@progbits
; Kernel info:
; codeLenInByte = 0
; TotalNumSgprs: 0
; NumVgprs: 0
; ScratchSize: 0
; MemoryBound: 0
; FloatMode: 240
; IeeeMode: 1
; LDSByteSize: 0 bytes/workgroup (compile time only)
; SGPRBlocks: 0
; VGPRBlocks: 0
; NumSGPRsForWavesPerEU: 1
; NumVGPRsForWavesPerEU: 1
; Occupancy: 16
; WaveLimiterHint : 0
; COMPUTE_PGM_RSRC2:SCRATCH_EN: 0
; COMPUTE_PGM_RSRC2:USER_SGPR: 6
; COMPUTE_PGM_RSRC2:TRAP_HANDLER: 0
; COMPUTE_PGM_RSRC2:TGID_X_EN: 1
; COMPUTE_PGM_RSRC2:TGID_Y_EN: 0
; COMPUTE_PGM_RSRC2:TGID_Z_EN: 0
; COMPUTE_PGM_RSRC2:TIDIG_COMP_CNT: 0
	.section	.text._ZN7rocprim17ROCPRIM_400000_NS6detail17trampoline_kernelINS0_14default_configENS1_20scan_config_selectorIN3c107complexIfEEEEZZNS1_9scan_implILNS1_25lookback_scan_determinismE0ELb0ELb0ES3_PKS7_PS7_S7_ZZZN2at6native31launch_logcumsumexp_cuda_kernelERKNSE_10TensorBaseESI_lENKUlvE_clEvENKUlvE2_clEvEUlS7_S7_E_S7_EEDaPvRmT3_T4_T5_mT6_P12ihipStream_tbENKUlT_T0_E_clISt17integral_constantIbLb1EESZ_EEDaSU_SV_EUlSU_E0_NS1_11comp_targetILNS1_3genE4ELNS1_11target_archE910ELNS1_3gpuE8ELNS1_3repE0EEENS1_30default_config_static_selectorELNS0_4arch9wavefront6targetE0EEEvT1_,"axG",@progbits,_ZN7rocprim17ROCPRIM_400000_NS6detail17trampoline_kernelINS0_14default_configENS1_20scan_config_selectorIN3c107complexIfEEEEZZNS1_9scan_implILNS1_25lookback_scan_determinismE0ELb0ELb0ES3_PKS7_PS7_S7_ZZZN2at6native31launch_logcumsumexp_cuda_kernelERKNSE_10TensorBaseESI_lENKUlvE_clEvENKUlvE2_clEvEUlS7_S7_E_S7_EEDaPvRmT3_T4_T5_mT6_P12ihipStream_tbENKUlT_T0_E_clISt17integral_constantIbLb1EESZ_EEDaSU_SV_EUlSU_E0_NS1_11comp_targetILNS1_3genE4ELNS1_11target_archE910ELNS1_3gpuE8ELNS1_3repE0EEENS1_30default_config_static_selectorELNS0_4arch9wavefront6targetE0EEEvT1_,comdat
	.globl	_ZN7rocprim17ROCPRIM_400000_NS6detail17trampoline_kernelINS0_14default_configENS1_20scan_config_selectorIN3c107complexIfEEEEZZNS1_9scan_implILNS1_25lookback_scan_determinismE0ELb0ELb0ES3_PKS7_PS7_S7_ZZZN2at6native31launch_logcumsumexp_cuda_kernelERKNSE_10TensorBaseESI_lENKUlvE_clEvENKUlvE2_clEvEUlS7_S7_E_S7_EEDaPvRmT3_T4_T5_mT6_P12ihipStream_tbENKUlT_T0_E_clISt17integral_constantIbLb1EESZ_EEDaSU_SV_EUlSU_E0_NS1_11comp_targetILNS1_3genE4ELNS1_11target_archE910ELNS1_3gpuE8ELNS1_3repE0EEENS1_30default_config_static_selectorELNS0_4arch9wavefront6targetE0EEEvT1_ ; -- Begin function _ZN7rocprim17ROCPRIM_400000_NS6detail17trampoline_kernelINS0_14default_configENS1_20scan_config_selectorIN3c107complexIfEEEEZZNS1_9scan_implILNS1_25lookback_scan_determinismE0ELb0ELb0ES3_PKS7_PS7_S7_ZZZN2at6native31launch_logcumsumexp_cuda_kernelERKNSE_10TensorBaseESI_lENKUlvE_clEvENKUlvE2_clEvEUlS7_S7_E_S7_EEDaPvRmT3_T4_T5_mT6_P12ihipStream_tbENKUlT_T0_E_clISt17integral_constantIbLb1EESZ_EEDaSU_SV_EUlSU_E0_NS1_11comp_targetILNS1_3genE4ELNS1_11target_archE910ELNS1_3gpuE8ELNS1_3repE0EEENS1_30default_config_static_selectorELNS0_4arch9wavefront6targetE0EEEvT1_
	.p2align	8
	.type	_ZN7rocprim17ROCPRIM_400000_NS6detail17trampoline_kernelINS0_14default_configENS1_20scan_config_selectorIN3c107complexIfEEEEZZNS1_9scan_implILNS1_25lookback_scan_determinismE0ELb0ELb0ES3_PKS7_PS7_S7_ZZZN2at6native31launch_logcumsumexp_cuda_kernelERKNSE_10TensorBaseESI_lENKUlvE_clEvENKUlvE2_clEvEUlS7_S7_E_S7_EEDaPvRmT3_T4_T5_mT6_P12ihipStream_tbENKUlT_T0_E_clISt17integral_constantIbLb1EESZ_EEDaSU_SV_EUlSU_E0_NS1_11comp_targetILNS1_3genE4ELNS1_11target_archE910ELNS1_3gpuE8ELNS1_3repE0EEENS1_30default_config_static_selectorELNS0_4arch9wavefront6targetE0EEEvT1_,@function
_ZN7rocprim17ROCPRIM_400000_NS6detail17trampoline_kernelINS0_14default_configENS1_20scan_config_selectorIN3c107complexIfEEEEZZNS1_9scan_implILNS1_25lookback_scan_determinismE0ELb0ELb0ES3_PKS7_PS7_S7_ZZZN2at6native31launch_logcumsumexp_cuda_kernelERKNSE_10TensorBaseESI_lENKUlvE_clEvENKUlvE2_clEvEUlS7_S7_E_S7_EEDaPvRmT3_T4_T5_mT6_P12ihipStream_tbENKUlT_T0_E_clISt17integral_constantIbLb1EESZ_EEDaSU_SV_EUlSU_E0_NS1_11comp_targetILNS1_3genE4ELNS1_11target_archE910ELNS1_3gpuE8ELNS1_3repE0EEENS1_30default_config_static_selectorELNS0_4arch9wavefront6targetE0EEEvT1_: ; @_ZN7rocprim17ROCPRIM_400000_NS6detail17trampoline_kernelINS0_14default_configENS1_20scan_config_selectorIN3c107complexIfEEEEZZNS1_9scan_implILNS1_25lookback_scan_determinismE0ELb0ELb0ES3_PKS7_PS7_S7_ZZZN2at6native31launch_logcumsumexp_cuda_kernelERKNSE_10TensorBaseESI_lENKUlvE_clEvENKUlvE2_clEvEUlS7_S7_E_S7_EEDaPvRmT3_T4_T5_mT6_P12ihipStream_tbENKUlT_T0_E_clISt17integral_constantIbLb1EESZ_EEDaSU_SV_EUlSU_E0_NS1_11comp_targetILNS1_3genE4ELNS1_11target_archE910ELNS1_3gpuE8ELNS1_3repE0EEENS1_30default_config_static_selectorELNS0_4arch9wavefront6targetE0EEEvT1_
; %bb.0:
	.section	.rodata,"a",@progbits
	.p2align	6, 0x0
	.amdhsa_kernel _ZN7rocprim17ROCPRIM_400000_NS6detail17trampoline_kernelINS0_14default_configENS1_20scan_config_selectorIN3c107complexIfEEEEZZNS1_9scan_implILNS1_25lookback_scan_determinismE0ELb0ELb0ES3_PKS7_PS7_S7_ZZZN2at6native31launch_logcumsumexp_cuda_kernelERKNSE_10TensorBaseESI_lENKUlvE_clEvENKUlvE2_clEvEUlS7_S7_E_S7_EEDaPvRmT3_T4_T5_mT6_P12ihipStream_tbENKUlT_T0_E_clISt17integral_constantIbLb1EESZ_EEDaSU_SV_EUlSU_E0_NS1_11comp_targetILNS1_3genE4ELNS1_11target_archE910ELNS1_3gpuE8ELNS1_3repE0EEENS1_30default_config_static_selectorELNS0_4arch9wavefront6targetE0EEEvT1_
		.amdhsa_group_segment_fixed_size 0
		.amdhsa_private_segment_fixed_size 0
		.amdhsa_kernarg_size 40
		.amdhsa_user_sgpr_count 6
		.amdhsa_user_sgpr_private_segment_buffer 1
		.amdhsa_user_sgpr_dispatch_ptr 0
		.amdhsa_user_sgpr_queue_ptr 0
		.amdhsa_user_sgpr_kernarg_segment_ptr 1
		.amdhsa_user_sgpr_dispatch_id 0
		.amdhsa_user_sgpr_flat_scratch_init 0
		.amdhsa_user_sgpr_private_segment_size 0
		.amdhsa_wavefront_size32 1
		.amdhsa_uses_dynamic_stack 0
		.amdhsa_system_sgpr_private_segment_wavefront_offset 0
		.amdhsa_system_sgpr_workgroup_id_x 1
		.amdhsa_system_sgpr_workgroup_id_y 0
		.amdhsa_system_sgpr_workgroup_id_z 0
		.amdhsa_system_sgpr_workgroup_info 0
		.amdhsa_system_vgpr_workitem_id 0
		.amdhsa_next_free_vgpr 1
		.amdhsa_next_free_sgpr 1
		.amdhsa_reserve_vcc 0
		.amdhsa_reserve_flat_scratch 0
		.amdhsa_float_round_mode_32 0
		.amdhsa_float_round_mode_16_64 0
		.amdhsa_float_denorm_mode_32 3
		.amdhsa_float_denorm_mode_16_64 3
		.amdhsa_dx10_clamp 1
		.amdhsa_ieee_mode 1
		.amdhsa_fp16_overflow 0
		.amdhsa_workgroup_processor_mode 1
		.amdhsa_memory_ordered 1
		.amdhsa_forward_progress 1
		.amdhsa_shared_vgpr_count 0
		.amdhsa_exception_fp_ieee_invalid_op 0
		.amdhsa_exception_fp_denorm_src 0
		.amdhsa_exception_fp_ieee_div_zero 0
		.amdhsa_exception_fp_ieee_overflow 0
		.amdhsa_exception_fp_ieee_underflow 0
		.amdhsa_exception_fp_ieee_inexact 0
		.amdhsa_exception_int_div_zero 0
	.end_amdhsa_kernel
	.section	.text._ZN7rocprim17ROCPRIM_400000_NS6detail17trampoline_kernelINS0_14default_configENS1_20scan_config_selectorIN3c107complexIfEEEEZZNS1_9scan_implILNS1_25lookback_scan_determinismE0ELb0ELb0ES3_PKS7_PS7_S7_ZZZN2at6native31launch_logcumsumexp_cuda_kernelERKNSE_10TensorBaseESI_lENKUlvE_clEvENKUlvE2_clEvEUlS7_S7_E_S7_EEDaPvRmT3_T4_T5_mT6_P12ihipStream_tbENKUlT_T0_E_clISt17integral_constantIbLb1EESZ_EEDaSU_SV_EUlSU_E0_NS1_11comp_targetILNS1_3genE4ELNS1_11target_archE910ELNS1_3gpuE8ELNS1_3repE0EEENS1_30default_config_static_selectorELNS0_4arch9wavefront6targetE0EEEvT1_,"axG",@progbits,_ZN7rocprim17ROCPRIM_400000_NS6detail17trampoline_kernelINS0_14default_configENS1_20scan_config_selectorIN3c107complexIfEEEEZZNS1_9scan_implILNS1_25lookback_scan_determinismE0ELb0ELb0ES3_PKS7_PS7_S7_ZZZN2at6native31launch_logcumsumexp_cuda_kernelERKNSE_10TensorBaseESI_lENKUlvE_clEvENKUlvE2_clEvEUlS7_S7_E_S7_EEDaPvRmT3_T4_T5_mT6_P12ihipStream_tbENKUlT_T0_E_clISt17integral_constantIbLb1EESZ_EEDaSU_SV_EUlSU_E0_NS1_11comp_targetILNS1_3genE4ELNS1_11target_archE910ELNS1_3gpuE8ELNS1_3repE0EEENS1_30default_config_static_selectorELNS0_4arch9wavefront6targetE0EEEvT1_,comdat
.Lfunc_end302:
	.size	_ZN7rocprim17ROCPRIM_400000_NS6detail17trampoline_kernelINS0_14default_configENS1_20scan_config_selectorIN3c107complexIfEEEEZZNS1_9scan_implILNS1_25lookback_scan_determinismE0ELb0ELb0ES3_PKS7_PS7_S7_ZZZN2at6native31launch_logcumsumexp_cuda_kernelERKNSE_10TensorBaseESI_lENKUlvE_clEvENKUlvE2_clEvEUlS7_S7_E_S7_EEDaPvRmT3_T4_T5_mT6_P12ihipStream_tbENKUlT_T0_E_clISt17integral_constantIbLb1EESZ_EEDaSU_SV_EUlSU_E0_NS1_11comp_targetILNS1_3genE4ELNS1_11target_archE910ELNS1_3gpuE8ELNS1_3repE0EEENS1_30default_config_static_selectorELNS0_4arch9wavefront6targetE0EEEvT1_, .Lfunc_end302-_ZN7rocprim17ROCPRIM_400000_NS6detail17trampoline_kernelINS0_14default_configENS1_20scan_config_selectorIN3c107complexIfEEEEZZNS1_9scan_implILNS1_25lookback_scan_determinismE0ELb0ELb0ES3_PKS7_PS7_S7_ZZZN2at6native31launch_logcumsumexp_cuda_kernelERKNSE_10TensorBaseESI_lENKUlvE_clEvENKUlvE2_clEvEUlS7_S7_E_S7_EEDaPvRmT3_T4_T5_mT6_P12ihipStream_tbENKUlT_T0_E_clISt17integral_constantIbLb1EESZ_EEDaSU_SV_EUlSU_E0_NS1_11comp_targetILNS1_3genE4ELNS1_11target_archE910ELNS1_3gpuE8ELNS1_3repE0EEENS1_30default_config_static_selectorELNS0_4arch9wavefront6targetE0EEEvT1_
                                        ; -- End function
	.set _ZN7rocprim17ROCPRIM_400000_NS6detail17trampoline_kernelINS0_14default_configENS1_20scan_config_selectorIN3c107complexIfEEEEZZNS1_9scan_implILNS1_25lookback_scan_determinismE0ELb0ELb0ES3_PKS7_PS7_S7_ZZZN2at6native31launch_logcumsumexp_cuda_kernelERKNSE_10TensorBaseESI_lENKUlvE_clEvENKUlvE2_clEvEUlS7_S7_E_S7_EEDaPvRmT3_T4_T5_mT6_P12ihipStream_tbENKUlT_T0_E_clISt17integral_constantIbLb1EESZ_EEDaSU_SV_EUlSU_E0_NS1_11comp_targetILNS1_3genE4ELNS1_11target_archE910ELNS1_3gpuE8ELNS1_3repE0EEENS1_30default_config_static_selectorELNS0_4arch9wavefront6targetE0EEEvT1_.num_vgpr, 0
	.set _ZN7rocprim17ROCPRIM_400000_NS6detail17trampoline_kernelINS0_14default_configENS1_20scan_config_selectorIN3c107complexIfEEEEZZNS1_9scan_implILNS1_25lookback_scan_determinismE0ELb0ELb0ES3_PKS7_PS7_S7_ZZZN2at6native31launch_logcumsumexp_cuda_kernelERKNSE_10TensorBaseESI_lENKUlvE_clEvENKUlvE2_clEvEUlS7_S7_E_S7_EEDaPvRmT3_T4_T5_mT6_P12ihipStream_tbENKUlT_T0_E_clISt17integral_constantIbLb1EESZ_EEDaSU_SV_EUlSU_E0_NS1_11comp_targetILNS1_3genE4ELNS1_11target_archE910ELNS1_3gpuE8ELNS1_3repE0EEENS1_30default_config_static_selectorELNS0_4arch9wavefront6targetE0EEEvT1_.num_agpr, 0
	.set _ZN7rocprim17ROCPRIM_400000_NS6detail17trampoline_kernelINS0_14default_configENS1_20scan_config_selectorIN3c107complexIfEEEEZZNS1_9scan_implILNS1_25lookback_scan_determinismE0ELb0ELb0ES3_PKS7_PS7_S7_ZZZN2at6native31launch_logcumsumexp_cuda_kernelERKNSE_10TensorBaseESI_lENKUlvE_clEvENKUlvE2_clEvEUlS7_S7_E_S7_EEDaPvRmT3_T4_T5_mT6_P12ihipStream_tbENKUlT_T0_E_clISt17integral_constantIbLb1EESZ_EEDaSU_SV_EUlSU_E0_NS1_11comp_targetILNS1_3genE4ELNS1_11target_archE910ELNS1_3gpuE8ELNS1_3repE0EEENS1_30default_config_static_selectorELNS0_4arch9wavefront6targetE0EEEvT1_.numbered_sgpr, 0
	.set _ZN7rocprim17ROCPRIM_400000_NS6detail17trampoline_kernelINS0_14default_configENS1_20scan_config_selectorIN3c107complexIfEEEEZZNS1_9scan_implILNS1_25lookback_scan_determinismE0ELb0ELb0ES3_PKS7_PS7_S7_ZZZN2at6native31launch_logcumsumexp_cuda_kernelERKNSE_10TensorBaseESI_lENKUlvE_clEvENKUlvE2_clEvEUlS7_S7_E_S7_EEDaPvRmT3_T4_T5_mT6_P12ihipStream_tbENKUlT_T0_E_clISt17integral_constantIbLb1EESZ_EEDaSU_SV_EUlSU_E0_NS1_11comp_targetILNS1_3genE4ELNS1_11target_archE910ELNS1_3gpuE8ELNS1_3repE0EEENS1_30default_config_static_selectorELNS0_4arch9wavefront6targetE0EEEvT1_.num_named_barrier, 0
	.set _ZN7rocprim17ROCPRIM_400000_NS6detail17trampoline_kernelINS0_14default_configENS1_20scan_config_selectorIN3c107complexIfEEEEZZNS1_9scan_implILNS1_25lookback_scan_determinismE0ELb0ELb0ES3_PKS7_PS7_S7_ZZZN2at6native31launch_logcumsumexp_cuda_kernelERKNSE_10TensorBaseESI_lENKUlvE_clEvENKUlvE2_clEvEUlS7_S7_E_S7_EEDaPvRmT3_T4_T5_mT6_P12ihipStream_tbENKUlT_T0_E_clISt17integral_constantIbLb1EESZ_EEDaSU_SV_EUlSU_E0_NS1_11comp_targetILNS1_3genE4ELNS1_11target_archE910ELNS1_3gpuE8ELNS1_3repE0EEENS1_30default_config_static_selectorELNS0_4arch9wavefront6targetE0EEEvT1_.private_seg_size, 0
	.set _ZN7rocprim17ROCPRIM_400000_NS6detail17trampoline_kernelINS0_14default_configENS1_20scan_config_selectorIN3c107complexIfEEEEZZNS1_9scan_implILNS1_25lookback_scan_determinismE0ELb0ELb0ES3_PKS7_PS7_S7_ZZZN2at6native31launch_logcumsumexp_cuda_kernelERKNSE_10TensorBaseESI_lENKUlvE_clEvENKUlvE2_clEvEUlS7_S7_E_S7_EEDaPvRmT3_T4_T5_mT6_P12ihipStream_tbENKUlT_T0_E_clISt17integral_constantIbLb1EESZ_EEDaSU_SV_EUlSU_E0_NS1_11comp_targetILNS1_3genE4ELNS1_11target_archE910ELNS1_3gpuE8ELNS1_3repE0EEENS1_30default_config_static_selectorELNS0_4arch9wavefront6targetE0EEEvT1_.uses_vcc, 0
	.set _ZN7rocprim17ROCPRIM_400000_NS6detail17trampoline_kernelINS0_14default_configENS1_20scan_config_selectorIN3c107complexIfEEEEZZNS1_9scan_implILNS1_25lookback_scan_determinismE0ELb0ELb0ES3_PKS7_PS7_S7_ZZZN2at6native31launch_logcumsumexp_cuda_kernelERKNSE_10TensorBaseESI_lENKUlvE_clEvENKUlvE2_clEvEUlS7_S7_E_S7_EEDaPvRmT3_T4_T5_mT6_P12ihipStream_tbENKUlT_T0_E_clISt17integral_constantIbLb1EESZ_EEDaSU_SV_EUlSU_E0_NS1_11comp_targetILNS1_3genE4ELNS1_11target_archE910ELNS1_3gpuE8ELNS1_3repE0EEENS1_30default_config_static_selectorELNS0_4arch9wavefront6targetE0EEEvT1_.uses_flat_scratch, 0
	.set _ZN7rocprim17ROCPRIM_400000_NS6detail17trampoline_kernelINS0_14default_configENS1_20scan_config_selectorIN3c107complexIfEEEEZZNS1_9scan_implILNS1_25lookback_scan_determinismE0ELb0ELb0ES3_PKS7_PS7_S7_ZZZN2at6native31launch_logcumsumexp_cuda_kernelERKNSE_10TensorBaseESI_lENKUlvE_clEvENKUlvE2_clEvEUlS7_S7_E_S7_EEDaPvRmT3_T4_T5_mT6_P12ihipStream_tbENKUlT_T0_E_clISt17integral_constantIbLb1EESZ_EEDaSU_SV_EUlSU_E0_NS1_11comp_targetILNS1_3genE4ELNS1_11target_archE910ELNS1_3gpuE8ELNS1_3repE0EEENS1_30default_config_static_selectorELNS0_4arch9wavefront6targetE0EEEvT1_.has_dyn_sized_stack, 0
	.set _ZN7rocprim17ROCPRIM_400000_NS6detail17trampoline_kernelINS0_14default_configENS1_20scan_config_selectorIN3c107complexIfEEEEZZNS1_9scan_implILNS1_25lookback_scan_determinismE0ELb0ELb0ES3_PKS7_PS7_S7_ZZZN2at6native31launch_logcumsumexp_cuda_kernelERKNSE_10TensorBaseESI_lENKUlvE_clEvENKUlvE2_clEvEUlS7_S7_E_S7_EEDaPvRmT3_T4_T5_mT6_P12ihipStream_tbENKUlT_T0_E_clISt17integral_constantIbLb1EESZ_EEDaSU_SV_EUlSU_E0_NS1_11comp_targetILNS1_3genE4ELNS1_11target_archE910ELNS1_3gpuE8ELNS1_3repE0EEENS1_30default_config_static_selectorELNS0_4arch9wavefront6targetE0EEEvT1_.has_recursion, 0
	.set _ZN7rocprim17ROCPRIM_400000_NS6detail17trampoline_kernelINS0_14default_configENS1_20scan_config_selectorIN3c107complexIfEEEEZZNS1_9scan_implILNS1_25lookback_scan_determinismE0ELb0ELb0ES3_PKS7_PS7_S7_ZZZN2at6native31launch_logcumsumexp_cuda_kernelERKNSE_10TensorBaseESI_lENKUlvE_clEvENKUlvE2_clEvEUlS7_S7_E_S7_EEDaPvRmT3_T4_T5_mT6_P12ihipStream_tbENKUlT_T0_E_clISt17integral_constantIbLb1EESZ_EEDaSU_SV_EUlSU_E0_NS1_11comp_targetILNS1_3genE4ELNS1_11target_archE910ELNS1_3gpuE8ELNS1_3repE0EEENS1_30default_config_static_selectorELNS0_4arch9wavefront6targetE0EEEvT1_.has_indirect_call, 0
	.section	.AMDGPU.csdata,"",@progbits
; Kernel info:
; codeLenInByte = 0
; TotalNumSgprs: 0
; NumVgprs: 0
; ScratchSize: 0
; MemoryBound: 0
; FloatMode: 240
; IeeeMode: 1
; LDSByteSize: 0 bytes/workgroup (compile time only)
; SGPRBlocks: 0
; VGPRBlocks: 0
; NumSGPRsForWavesPerEU: 1
; NumVGPRsForWavesPerEU: 1
; Occupancy: 16
; WaveLimiterHint : 0
; COMPUTE_PGM_RSRC2:SCRATCH_EN: 0
; COMPUTE_PGM_RSRC2:USER_SGPR: 6
; COMPUTE_PGM_RSRC2:TRAP_HANDLER: 0
; COMPUTE_PGM_RSRC2:TGID_X_EN: 1
; COMPUTE_PGM_RSRC2:TGID_Y_EN: 0
; COMPUTE_PGM_RSRC2:TGID_Z_EN: 0
; COMPUTE_PGM_RSRC2:TIDIG_COMP_CNT: 0
	.section	.text._ZN7rocprim17ROCPRIM_400000_NS6detail17trampoline_kernelINS0_14default_configENS1_20scan_config_selectorIN3c107complexIfEEEEZZNS1_9scan_implILNS1_25lookback_scan_determinismE0ELb0ELb0ES3_PKS7_PS7_S7_ZZZN2at6native31launch_logcumsumexp_cuda_kernelERKNSE_10TensorBaseESI_lENKUlvE_clEvENKUlvE2_clEvEUlS7_S7_E_S7_EEDaPvRmT3_T4_T5_mT6_P12ihipStream_tbENKUlT_T0_E_clISt17integral_constantIbLb1EESZ_EEDaSU_SV_EUlSU_E0_NS1_11comp_targetILNS1_3genE3ELNS1_11target_archE908ELNS1_3gpuE7ELNS1_3repE0EEENS1_30default_config_static_selectorELNS0_4arch9wavefront6targetE0EEEvT1_,"axG",@progbits,_ZN7rocprim17ROCPRIM_400000_NS6detail17trampoline_kernelINS0_14default_configENS1_20scan_config_selectorIN3c107complexIfEEEEZZNS1_9scan_implILNS1_25lookback_scan_determinismE0ELb0ELb0ES3_PKS7_PS7_S7_ZZZN2at6native31launch_logcumsumexp_cuda_kernelERKNSE_10TensorBaseESI_lENKUlvE_clEvENKUlvE2_clEvEUlS7_S7_E_S7_EEDaPvRmT3_T4_T5_mT6_P12ihipStream_tbENKUlT_T0_E_clISt17integral_constantIbLb1EESZ_EEDaSU_SV_EUlSU_E0_NS1_11comp_targetILNS1_3genE3ELNS1_11target_archE908ELNS1_3gpuE7ELNS1_3repE0EEENS1_30default_config_static_selectorELNS0_4arch9wavefront6targetE0EEEvT1_,comdat
	.globl	_ZN7rocprim17ROCPRIM_400000_NS6detail17trampoline_kernelINS0_14default_configENS1_20scan_config_selectorIN3c107complexIfEEEEZZNS1_9scan_implILNS1_25lookback_scan_determinismE0ELb0ELb0ES3_PKS7_PS7_S7_ZZZN2at6native31launch_logcumsumexp_cuda_kernelERKNSE_10TensorBaseESI_lENKUlvE_clEvENKUlvE2_clEvEUlS7_S7_E_S7_EEDaPvRmT3_T4_T5_mT6_P12ihipStream_tbENKUlT_T0_E_clISt17integral_constantIbLb1EESZ_EEDaSU_SV_EUlSU_E0_NS1_11comp_targetILNS1_3genE3ELNS1_11target_archE908ELNS1_3gpuE7ELNS1_3repE0EEENS1_30default_config_static_selectorELNS0_4arch9wavefront6targetE0EEEvT1_ ; -- Begin function _ZN7rocprim17ROCPRIM_400000_NS6detail17trampoline_kernelINS0_14default_configENS1_20scan_config_selectorIN3c107complexIfEEEEZZNS1_9scan_implILNS1_25lookback_scan_determinismE0ELb0ELb0ES3_PKS7_PS7_S7_ZZZN2at6native31launch_logcumsumexp_cuda_kernelERKNSE_10TensorBaseESI_lENKUlvE_clEvENKUlvE2_clEvEUlS7_S7_E_S7_EEDaPvRmT3_T4_T5_mT6_P12ihipStream_tbENKUlT_T0_E_clISt17integral_constantIbLb1EESZ_EEDaSU_SV_EUlSU_E0_NS1_11comp_targetILNS1_3genE3ELNS1_11target_archE908ELNS1_3gpuE7ELNS1_3repE0EEENS1_30default_config_static_selectorELNS0_4arch9wavefront6targetE0EEEvT1_
	.p2align	8
	.type	_ZN7rocprim17ROCPRIM_400000_NS6detail17trampoline_kernelINS0_14default_configENS1_20scan_config_selectorIN3c107complexIfEEEEZZNS1_9scan_implILNS1_25lookback_scan_determinismE0ELb0ELb0ES3_PKS7_PS7_S7_ZZZN2at6native31launch_logcumsumexp_cuda_kernelERKNSE_10TensorBaseESI_lENKUlvE_clEvENKUlvE2_clEvEUlS7_S7_E_S7_EEDaPvRmT3_T4_T5_mT6_P12ihipStream_tbENKUlT_T0_E_clISt17integral_constantIbLb1EESZ_EEDaSU_SV_EUlSU_E0_NS1_11comp_targetILNS1_3genE3ELNS1_11target_archE908ELNS1_3gpuE7ELNS1_3repE0EEENS1_30default_config_static_selectorELNS0_4arch9wavefront6targetE0EEEvT1_,@function
_ZN7rocprim17ROCPRIM_400000_NS6detail17trampoline_kernelINS0_14default_configENS1_20scan_config_selectorIN3c107complexIfEEEEZZNS1_9scan_implILNS1_25lookback_scan_determinismE0ELb0ELb0ES3_PKS7_PS7_S7_ZZZN2at6native31launch_logcumsumexp_cuda_kernelERKNSE_10TensorBaseESI_lENKUlvE_clEvENKUlvE2_clEvEUlS7_S7_E_S7_EEDaPvRmT3_T4_T5_mT6_P12ihipStream_tbENKUlT_T0_E_clISt17integral_constantIbLb1EESZ_EEDaSU_SV_EUlSU_E0_NS1_11comp_targetILNS1_3genE3ELNS1_11target_archE908ELNS1_3gpuE7ELNS1_3repE0EEENS1_30default_config_static_selectorELNS0_4arch9wavefront6targetE0EEEvT1_: ; @_ZN7rocprim17ROCPRIM_400000_NS6detail17trampoline_kernelINS0_14default_configENS1_20scan_config_selectorIN3c107complexIfEEEEZZNS1_9scan_implILNS1_25lookback_scan_determinismE0ELb0ELb0ES3_PKS7_PS7_S7_ZZZN2at6native31launch_logcumsumexp_cuda_kernelERKNSE_10TensorBaseESI_lENKUlvE_clEvENKUlvE2_clEvEUlS7_S7_E_S7_EEDaPvRmT3_T4_T5_mT6_P12ihipStream_tbENKUlT_T0_E_clISt17integral_constantIbLb1EESZ_EEDaSU_SV_EUlSU_E0_NS1_11comp_targetILNS1_3genE3ELNS1_11target_archE908ELNS1_3gpuE7ELNS1_3repE0EEENS1_30default_config_static_selectorELNS0_4arch9wavefront6targetE0EEEvT1_
; %bb.0:
	.section	.rodata,"a",@progbits
	.p2align	6, 0x0
	.amdhsa_kernel _ZN7rocprim17ROCPRIM_400000_NS6detail17trampoline_kernelINS0_14default_configENS1_20scan_config_selectorIN3c107complexIfEEEEZZNS1_9scan_implILNS1_25lookback_scan_determinismE0ELb0ELb0ES3_PKS7_PS7_S7_ZZZN2at6native31launch_logcumsumexp_cuda_kernelERKNSE_10TensorBaseESI_lENKUlvE_clEvENKUlvE2_clEvEUlS7_S7_E_S7_EEDaPvRmT3_T4_T5_mT6_P12ihipStream_tbENKUlT_T0_E_clISt17integral_constantIbLb1EESZ_EEDaSU_SV_EUlSU_E0_NS1_11comp_targetILNS1_3genE3ELNS1_11target_archE908ELNS1_3gpuE7ELNS1_3repE0EEENS1_30default_config_static_selectorELNS0_4arch9wavefront6targetE0EEEvT1_
		.amdhsa_group_segment_fixed_size 0
		.amdhsa_private_segment_fixed_size 0
		.amdhsa_kernarg_size 40
		.amdhsa_user_sgpr_count 6
		.amdhsa_user_sgpr_private_segment_buffer 1
		.amdhsa_user_sgpr_dispatch_ptr 0
		.amdhsa_user_sgpr_queue_ptr 0
		.amdhsa_user_sgpr_kernarg_segment_ptr 1
		.amdhsa_user_sgpr_dispatch_id 0
		.amdhsa_user_sgpr_flat_scratch_init 0
		.amdhsa_user_sgpr_private_segment_size 0
		.amdhsa_wavefront_size32 1
		.amdhsa_uses_dynamic_stack 0
		.amdhsa_system_sgpr_private_segment_wavefront_offset 0
		.amdhsa_system_sgpr_workgroup_id_x 1
		.amdhsa_system_sgpr_workgroup_id_y 0
		.amdhsa_system_sgpr_workgroup_id_z 0
		.amdhsa_system_sgpr_workgroup_info 0
		.amdhsa_system_vgpr_workitem_id 0
		.amdhsa_next_free_vgpr 1
		.amdhsa_next_free_sgpr 1
		.amdhsa_reserve_vcc 0
		.amdhsa_reserve_flat_scratch 0
		.amdhsa_float_round_mode_32 0
		.amdhsa_float_round_mode_16_64 0
		.amdhsa_float_denorm_mode_32 3
		.amdhsa_float_denorm_mode_16_64 3
		.amdhsa_dx10_clamp 1
		.amdhsa_ieee_mode 1
		.amdhsa_fp16_overflow 0
		.amdhsa_workgroup_processor_mode 1
		.amdhsa_memory_ordered 1
		.amdhsa_forward_progress 1
		.amdhsa_shared_vgpr_count 0
		.amdhsa_exception_fp_ieee_invalid_op 0
		.amdhsa_exception_fp_denorm_src 0
		.amdhsa_exception_fp_ieee_div_zero 0
		.amdhsa_exception_fp_ieee_overflow 0
		.amdhsa_exception_fp_ieee_underflow 0
		.amdhsa_exception_fp_ieee_inexact 0
		.amdhsa_exception_int_div_zero 0
	.end_amdhsa_kernel
	.section	.text._ZN7rocprim17ROCPRIM_400000_NS6detail17trampoline_kernelINS0_14default_configENS1_20scan_config_selectorIN3c107complexIfEEEEZZNS1_9scan_implILNS1_25lookback_scan_determinismE0ELb0ELb0ES3_PKS7_PS7_S7_ZZZN2at6native31launch_logcumsumexp_cuda_kernelERKNSE_10TensorBaseESI_lENKUlvE_clEvENKUlvE2_clEvEUlS7_S7_E_S7_EEDaPvRmT3_T4_T5_mT6_P12ihipStream_tbENKUlT_T0_E_clISt17integral_constantIbLb1EESZ_EEDaSU_SV_EUlSU_E0_NS1_11comp_targetILNS1_3genE3ELNS1_11target_archE908ELNS1_3gpuE7ELNS1_3repE0EEENS1_30default_config_static_selectorELNS0_4arch9wavefront6targetE0EEEvT1_,"axG",@progbits,_ZN7rocprim17ROCPRIM_400000_NS6detail17trampoline_kernelINS0_14default_configENS1_20scan_config_selectorIN3c107complexIfEEEEZZNS1_9scan_implILNS1_25lookback_scan_determinismE0ELb0ELb0ES3_PKS7_PS7_S7_ZZZN2at6native31launch_logcumsumexp_cuda_kernelERKNSE_10TensorBaseESI_lENKUlvE_clEvENKUlvE2_clEvEUlS7_S7_E_S7_EEDaPvRmT3_T4_T5_mT6_P12ihipStream_tbENKUlT_T0_E_clISt17integral_constantIbLb1EESZ_EEDaSU_SV_EUlSU_E0_NS1_11comp_targetILNS1_3genE3ELNS1_11target_archE908ELNS1_3gpuE7ELNS1_3repE0EEENS1_30default_config_static_selectorELNS0_4arch9wavefront6targetE0EEEvT1_,comdat
.Lfunc_end303:
	.size	_ZN7rocprim17ROCPRIM_400000_NS6detail17trampoline_kernelINS0_14default_configENS1_20scan_config_selectorIN3c107complexIfEEEEZZNS1_9scan_implILNS1_25lookback_scan_determinismE0ELb0ELb0ES3_PKS7_PS7_S7_ZZZN2at6native31launch_logcumsumexp_cuda_kernelERKNSE_10TensorBaseESI_lENKUlvE_clEvENKUlvE2_clEvEUlS7_S7_E_S7_EEDaPvRmT3_T4_T5_mT6_P12ihipStream_tbENKUlT_T0_E_clISt17integral_constantIbLb1EESZ_EEDaSU_SV_EUlSU_E0_NS1_11comp_targetILNS1_3genE3ELNS1_11target_archE908ELNS1_3gpuE7ELNS1_3repE0EEENS1_30default_config_static_selectorELNS0_4arch9wavefront6targetE0EEEvT1_, .Lfunc_end303-_ZN7rocprim17ROCPRIM_400000_NS6detail17trampoline_kernelINS0_14default_configENS1_20scan_config_selectorIN3c107complexIfEEEEZZNS1_9scan_implILNS1_25lookback_scan_determinismE0ELb0ELb0ES3_PKS7_PS7_S7_ZZZN2at6native31launch_logcumsumexp_cuda_kernelERKNSE_10TensorBaseESI_lENKUlvE_clEvENKUlvE2_clEvEUlS7_S7_E_S7_EEDaPvRmT3_T4_T5_mT6_P12ihipStream_tbENKUlT_T0_E_clISt17integral_constantIbLb1EESZ_EEDaSU_SV_EUlSU_E0_NS1_11comp_targetILNS1_3genE3ELNS1_11target_archE908ELNS1_3gpuE7ELNS1_3repE0EEENS1_30default_config_static_selectorELNS0_4arch9wavefront6targetE0EEEvT1_
                                        ; -- End function
	.set _ZN7rocprim17ROCPRIM_400000_NS6detail17trampoline_kernelINS0_14default_configENS1_20scan_config_selectorIN3c107complexIfEEEEZZNS1_9scan_implILNS1_25lookback_scan_determinismE0ELb0ELb0ES3_PKS7_PS7_S7_ZZZN2at6native31launch_logcumsumexp_cuda_kernelERKNSE_10TensorBaseESI_lENKUlvE_clEvENKUlvE2_clEvEUlS7_S7_E_S7_EEDaPvRmT3_T4_T5_mT6_P12ihipStream_tbENKUlT_T0_E_clISt17integral_constantIbLb1EESZ_EEDaSU_SV_EUlSU_E0_NS1_11comp_targetILNS1_3genE3ELNS1_11target_archE908ELNS1_3gpuE7ELNS1_3repE0EEENS1_30default_config_static_selectorELNS0_4arch9wavefront6targetE0EEEvT1_.num_vgpr, 0
	.set _ZN7rocprim17ROCPRIM_400000_NS6detail17trampoline_kernelINS0_14default_configENS1_20scan_config_selectorIN3c107complexIfEEEEZZNS1_9scan_implILNS1_25lookback_scan_determinismE0ELb0ELb0ES3_PKS7_PS7_S7_ZZZN2at6native31launch_logcumsumexp_cuda_kernelERKNSE_10TensorBaseESI_lENKUlvE_clEvENKUlvE2_clEvEUlS7_S7_E_S7_EEDaPvRmT3_T4_T5_mT6_P12ihipStream_tbENKUlT_T0_E_clISt17integral_constantIbLb1EESZ_EEDaSU_SV_EUlSU_E0_NS1_11comp_targetILNS1_3genE3ELNS1_11target_archE908ELNS1_3gpuE7ELNS1_3repE0EEENS1_30default_config_static_selectorELNS0_4arch9wavefront6targetE0EEEvT1_.num_agpr, 0
	.set _ZN7rocprim17ROCPRIM_400000_NS6detail17trampoline_kernelINS0_14default_configENS1_20scan_config_selectorIN3c107complexIfEEEEZZNS1_9scan_implILNS1_25lookback_scan_determinismE0ELb0ELb0ES3_PKS7_PS7_S7_ZZZN2at6native31launch_logcumsumexp_cuda_kernelERKNSE_10TensorBaseESI_lENKUlvE_clEvENKUlvE2_clEvEUlS7_S7_E_S7_EEDaPvRmT3_T4_T5_mT6_P12ihipStream_tbENKUlT_T0_E_clISt17integral_constantIbLb1EESZ_EEDaSU_SV_EUlSU_E0_NS1_11comp_targetILNS1_3genE3ELNS1_11target_archE908ELNS1_3gpuE7ELNS1_3repE0EEENS1_30default_config_static_selectorELNS0_4arch9wavefront6targetE0EEEvT1_.numbered_sgpr, 0
	.set _ZN7rocprim17ROCPRIM_400000_NS6detail17trampoline_kernelINS0_14default_configENS1_20scan_config_selectorIN3c107complexIfEEEEZZNS1_9scan_implILNS1_25lookback_scan_determinismE0ELb0ELb0ES3_PKS7_PS7_S7_ZZZN2at6native31launch_logcumsumexp_cuda_kernelERKNSE_10TensorBaseESI_lENKUlvE_clEvENKUlvE2_clEvEUlS7_S7_E_S7_EEDaPvRmT3_T4_T5_mT6_P12ihipStream_tbENKUlT_T0_E_clISt17integral_constantIbLb1EESZ_EEDaSU_SV_EUlSU_E0_NS1_11comp_targetILNS1_3genE3ELNS1_11target_archE908ELNS1_3gpuE7ELNS1_3repE0EEENS1_30default_config_static_selectorELNS0_4arch9wavefront6targetE0EEEvT1_.num_named_barrier, 0
	.set _ZN7rocprim17ROCPRIM_400000_NS6detail17trampoline_kernelINS0_14default_configENS1_20scan_config_selectorIN3c107complexIfEEEEZZNS1_9scan_implILNS1_25lookback_scan_determinismE0ELb0ELb0ES3_PKS7_PS7_S7_ZZZN2at6native31launch_logcumsumexp_cuda_kernelERKNSE_10TensorBaseESI_lENKUlvE_clEvENKUlvE2_clEvEUlS7_S7_E_S7_EEDaPvRmT3_T4_T5_mT6_P12ihipStream_tbENKUlT_T0_E_clISt17integral_constantIbLb1EESZ_EEDaSU_SV_EUlSU_E0_NS1_11comp_targetILNS1_3genE3ELNS1_11target_archE908ELNS1_3gpuE7ELNS1_3repE0EEENS1_30default_config_static_selectorELNS0_4arch9wavefront6targetE0EEEvT1_.private_seg_size, 0
	.set _ZN7rocprim17ROCPRIM_400000_NS6detail17trampoline_kernelINS0_14default_configENS1_20scan_config_selectorIN3c107complexIfEEEEZZNS1_9scan_implILNS1_25lookback_scan_determinismE0ELb0ELb0ES3_PKS7_PS7_S7_ZZZN2at6native31launch_logcumsumexp_cuda_kernelERKNSE_10TensorBaseESI_lENKUlvE_clEvENKUlvE2_clEvEUlS7_S7_E_S7_EEDaPvRmT3_T4_T5_mT6_P12ihipStream_tbENKUlT_T0_E_clISt17integral_constantIbLb1EESZ_EEDaSU_SV_EUlSU_E0_NS1_11comp_targetILNS1_3genE3ELNS1_11target_archE908ELNS1_3gpuE7ELNS1_3repE0EEENS1_30default_config_static_selectorELNS0_4arch9wavefront6targetE0EEEvT1_.uses_vcc, 0
	.set _ZN7rocprim17ROCPRIM_400000_NS6detail17trampoline_kernelINS0_14default_configENS1_20scan_config_selectorIN3c107complexIfEEEEZZNS1_9scan_implILNS1_25lookback_scan_determinismE0ELb0ELb0ES3_PKS7_PS7_S7_ZZZN2at6native31launch_logcumsumexp_cuda_kernelERKNSE_10TensorBaseESI_lENKUlvE_clEvENKUlvE2_clEvEUlS7_S7_E_S7_EEDaPvRmT3_T4_T5_mT6_P12ihipStream_tbENKUlT_T0_E_clISt17integral_constantIbLb1EESZ_EEDaSU_SV_EUlSU_E0_NS1_11comp_targetILNS1_3genE3ELNS1_11target_archE908ELNS1_3gpuE7ELNS1_3repE0EEENS1_30default_config_static_selectorELNS0_4arch9wavefront6targetE0EEEvT1_.uses_flat_scratch, 0
	.set _ZN7rocprim17ROCPRIM_400000_NS6detail17trampoline_kernelINS0_14default_configENS1_20scan_config_selectorIN3c107complexIfEEEEZZNS1_9scan_implILNS1_25lookback_scan_determinismE0ELb0ELb0ES3_PKS7_PS7_S7_ZZZN2at6native31launch_logcumsumexp_cuda_kernelERKNSE_10TensorBaseESI_lENKUlvE_clEvENKUlvE2_clEvEUlS7_S7_E_S7_EEDaPvRmT3_T4_T5_mT6_P12ihipStream_tbENKUlT_T0_E_clISt17integral_constantIbLb1EESZ_EEDaSU_SV_EUlSU_E0_NS1_11comp_targetILNS1_3genE3ELNS1_11target_archE908ELNS1_3gpuE7ELNS1_3repE0EEENS1_30default_config_static_selectorELNS0_4arch9wavefront6targetE0EEEvT1_.has_dyn_sized_stack, 0
	.set _ZN7rocprim17ROCPRIM_400000_NS6detail17trampoline_kernelINS0_14default_configENS1_20scan_config_selectorIN3c107complexIfEEEEZZNS1_9scan_implILNS1_25lookback_scan_determinismE0ELb0ELb0ES3_PKS7_PS7_S7_ZZZN2at6native31launch_logcumsumexp_cuda_kernelERKNSE_10TensorBaseESI_lENKUlvE_clEvENKUlvE2_clEvEUlS7_S7_E_S7_EEDaPvRmT3_T4_T5_mT6_P12ihipStream_tbENKUlT_T0_E_clISt17integral_constantIbLb1EESZ_EEDaSU_SV_EUlSU_E0_NS1_11comp_targetILNS1_3genE3ELNS1_11target_archE908ELNS1_3gpuE7ELNS1_3repE0EEENS1_30default_config_static_selectorELNS0_4arch9wavefront6targetE0EEEvT1_.has_recursion, 0
	.set _ZN7rocprim17ROCPRIM_400000_NS6detail17trampoline_kernelINS0_14default_configENS1_20scan_config_selectorIN3c107complexIfEEEEZZNS1_9scan_implILNS1_25lookback_scan_determinismE0ELb0ELb0ES3_PKS7_PS7_S7_ZZZN2at6native31launch_logcumsumexp_cuda_kernelERKNSE_10TensorBaseESI_lENKUlvE_clEvENKUlvE2_clEvEUlS7_S7_E_S7_EEDaPvRmT3_T4_T5_mT6_P12ihipStream_tbENKUlT_T0_E_clISt17integral_constantIbLb1EESZ_EEDaSU_SV_EUlSU_E0_NS1_11comp_targetILNS1_3genE3ELNS1_11target_archE908ELNS1_3gpuE7ELNS1_3repE0EEENS1_30default_config_static_selectorELNS0_4arch9wavefront6targetE0EEEvT1_.has_indirect_call, 0
	.section	.AMDGPU.csdata,"",@progbits
; Kernel info:
; codeLenInByte = 0
; TotalNumSgprs: 0
; NumVgprs: 0
; ScratchSize: 0
; MemoryBound: 0
; FloatMode: 240
; IeeeMode: 1
; LDSByteSize: 0 bytes/workgroup (compile time only)
; SGPRBlocks: 0
; VGPRBlocks: 0
; NumSGPRsForWavesPerEU: 1
; NumVGPRsForWavesPerEU: 1
; Occupancy: 16
; WaveLimiterHint : 0
; COMPUTE_PGM_RSRC2:SCRATCH_EN: 0
; COMPUTE_PGM_RSRC2:USER_SGPR: 6
; COMPUTE_PGM_RSRC2:TRAP_HANDLER: 0
; COMPUTE_PGM_RSRC2:TGID_X_EN: 1
; COMPUTE_PGM_RSRC2:TGID_Y_EN: 0
; COMPUTE_PGM_RSRC2:TGID_Z_EN: 0
; COMPUTE_PGM_RSRC2:TIDIG_COMP_CNT: 0
	.section	.text._ZN7rocprim17ROCPRIM_400000_NS6detail17trampoline_kernelINS0_14default_configENS1_20scan_config_selectorIN3c107complexIfEEEEZZNS1_9scan_implILNS1_25lookback_scan_determinismE0ELb0ELb0ES3_PKS7_PS7_S7_ZZZN2at6native31launch_logcumsumexp_cuda_kernelERKNSE_10TensorBaseESI_lENKUlvE_clEvENKUlvE2_clEvEUlS7_S7_E_S7_EEDaPvRmT3_T4_T5_mT6_P12ihipStream_tbENKUlT_T0_E_clISt17integral_constantIbLb1EESZ_EEDaSU_SV_EUlSU_E0_NS1_11comp_targetILNS1_3genE2ELNS1_11target_archE906ELNS1_3gpuE6ELNS1_3repE0EEENS1_30default_config_static_selectorELNS0_4arch9wavefront6targetE0EEEvT1_,"axG",@progbits,_ZN7rocprim17ROCPRIM_400000_NS6detail17trampoline_kernelINS0_14default_configENS1_20scan_config_selectorIN3c107complexIfEEEEZZNS1_9scan_implILNS1_25lookback_scan_determinismE0ELb0ELb0ES3_PKS7_PS7_S7_ZZZN2at6native31launch_logcumsumexp_cuda_kernelERKNSE_10TensorBaseESI_lENKUlvE_clEvENKUlvE2_clEvEUlS7_S7_E_S7_EEDaPvRmT3_T4_T5_mT6_P12ihipStream_tbENKUlT_T0_E_clISt17integral_constantIbLb1EESZ_EEDaSU_SV_EUlSU_E0_NS1_11comp_targetILNS1_3genE2ELNS1_11target_archE906ELNS1_3gpuE6ELNS1_3repE0EEENS1_30default_config_static_selectorELNS0_4arch9wavefront6targetE0EEEvT1_,comdat
	.globl	_ZN7rocprim17ROCPRIM_400000_NS6detail17trampoline_kernelINS0_14default_configENS1_20scan_config_selectorIN3c107complexIfEEEEZZNS1_9scan_implILNS1_25lookback_scan_determinismE0ELb0ELb0ES3_PKS7_PS7_S7_ZZZN2at6native31launch_logcumsumexp_cuda_kernelERKNSE_10TensorBaseESI_lENKUlvE_clEvENKUlvE2_clEvEUlS7_S7_E_S7_EEDaPvRmT3_T4_T5_mT6_P12ihipStream_tbENKUlT_T0_E_clISt17integral_constantIbLb1EESZ_EEDaSU_SV_EUlSU_E0_NS1_11comp_targetILNS1_3genE2ELNS1_11target_archE906ELNS1_3gpuE6ELNS1_3repE0EEENS1_30default_config_static_selectorELNS0_4arch9wavefront6targetE0EEEvT1_ ; -- Begin function _ZN7rocprim17ROCPRIM_400000_NS6detail17trampoline_kernelINS0_14default_configENS1_20scan_config_selectorIN3c107complexIfEEEEZZNS1_9scan_implILNS1_25lookback_scan_determinismE0ELb0ELb0ES3_PKS7_PS7_S7_ZZZN2at6native31launch_logcumsumexp_cuda_kernelERKNSE_10TensorBaseESI_lENKUlvE_clEvENKUlvE2_clEvEUlS7_S7_E_S7_EEDaPvRmT3_T4_T5_mT6_P12ihipStream_tbENKUlT_T0_E_clISt17integral_constantIbLb1EESZ_EEDaSU_SV_EUlSU_E0_NS1_11comp_targetILNS1_3genE2ELNS1_11target_archE906ELNS1_3gpuE6ELNS1_3repE0EEENS1_30default_config_static_selectorELNS0_4arch9wavefront6targetE0EEEvT1_
	.p2align	8
	.type	_ZN7rocprim17ROCPRIM_400000_NS6detail17trampoline_kernelINS0_14default_configENS1_20scan_config_selectorIN3c107complexIfEEEEZZNS1_9scan_implILNS1_25lookback_scan_determinismE0ELb0ELb0ES3_PKS7_PS7_S7_ZZZN2at6native31launch_logcumsumexp_cuda_kernelERKNSE_10TensorBaseESI_lENKUlvE_clEvENKUlvE2_clEvEUlS7_S7_E_S7_EEDaPvRmT3_T4_T5_mT6_P12ihipStream_tbENKUlT_T0_E_clISt17integral_constantIbLb1EESZ_EEDaSU_SV_EUlSU_E0_NS1_11comp_targetILNS1_3genE2ELNS1_11target_archE906ELNS1_3gpuE6ELNS1_3repE0EEENS1_30default_config_static_selectorELNS0_4arch9wavefront6targetE0EEEvT1_,@function
_ZN7rocprim17ROCPRIM_400000_NS6detail17trampoline_kernelINS0_14default_configENS1_20scan_config_selectorIN3c107complexIfEEEEZZNS1_9scan_implILNS1_25lookback_scan_determinismE0ELb0ELb0ES3_PKS7_PS7_S7_ZZZN2at6native31launch_logcumsumexp_cuda_kernelERKNSE_10TensorBaseESI_lENKUlvE_clEvENKUlvE2_clEvEUlS7_S7_E_S7_EEDaPvRmT3_T4_T5_mT6_P12ihipStream_tbENKUlT_T0_E_clISt17integral_constantIbLb1EESZ_EEDaSU_SV_EUlSU_E0_NS1_11comp_targetILNS1_3genE2ELNS1_11target_archE906ELNS1_3gpuE6ELNS1_3repE0EEENS1_30default_config_static_selectorELNS0_4arch9wavefront6targetE0EEEvT1_: ; @_ZN7rocprim17ROCPRIM_400000_NS6detail17trampoline_kernelINS0_14default_configENS1_20scan_config_selectorIN3c107complexIfEEEEZZNS1_9scan_implILNS1_25lookback_scan_determinismE0ELb0ELb0ES3_PKS7_PS7_S7_ZZZN2at6native31launch_logcumsumexp_cuda_kernelERKNSE_10TensorBaseESI_lENKUlvE_clEvENKUlvE2_clEvEUlS7_S7_E_S7_EEDaPvRmT3_T4_T5_mT6_P12ihipStream_tbENKUlT_T0_E_clISt17integral_constantIbLb1EESZ_EEDaSU_SV_EUlSU_E0_NS1_11comp_targetILNS1_3genE2ELNS1_11target_archE906ELNS1_3gpuE6ELNS1_3repE0EEENS1_30default_config_static_selectorELNS0_4arch9wavefront6targetE0EEEvT1_
; %bb.0:
	.section	.rodata,"a",@progbits
	.p2align	6, 0x0
	.amdhsa_kernel _ZN7rocprim17ROCPRIM_400000_NS6detail17trampoline_kernelINS0_14default_configENS1_20scan_config_selectorIN3c107complexIfEEEEZZNS1_9scan_implILNS1_25lookback_scan_determinismE0ELb0ELb0ES3_PKS7_PS7_S7_ZZZN2at6native31launch_logcumsumexp_cuda_kernelERKNSE_10TensorBaseESI_lENKUlvE_clEvENKUlvE2_clEvEUlS7_S7_E_S7_EEDaPvRmT3_T4_T5_mT6_P12ihipStream_tbENKUlT_T0_E_clISt17integral_constantIbLb1EESZ_EEDaSU_SV_EUlSU_E0_NS1_11comp_targetILNS1_3genE2ELNS1_11target_archE906ELNS1_3gpuE6ELNS1_3repE0EEENS1_30default_config_static_selectorELNS0_4arch9wavefront6targetE0EEEvT1_
		.amdhsa_group_segment_fixed_size 0
		.amdhsa_private_segment_fixed_size 0
		.amdhsa_kernarg_size 40
		.amdhsa_user_sgpr_count 6
		.amdhsa_user_sgpr_private_segment_buffer 1
		.amdhsa_user_sgpr_dispatch_ptr 0
		.amdhsa_user_sgpr_queue_ptr 0
		.amdhsa_user_sgpr_kernarg_segment_ptr 1
		.amdhsa_user_sgpr_dispatch_id 0
		.amdhsa_user_sgpr_flat_scratch_init 0
		.amdhsa_user_sgpr_private_segment_size 0
		.amdhsa_wavefront_size32 1
		.amdhsa_uses_dynamic_stack 0
		.amdhsa_system_sgpr_private_segment_wavefront_offset 0
		.amdhsa_system_sgpr_workgroup_id_x 1
		.amdhsa_system_sgpr_workgroup_id_y 0
		.amdhsa_system_sgpr_workgroup_id_z 0
		.amdhsa_system_sgpr_workgroup_info 0
		.amdhsa_system_vgpr_workitem_id 0
		.amdhsa_next_free_vgpr 1
		.amdhsa_next_free_sgpr 1
		.amdhsa_reserve_vcc 0
		.amdhsa_reserve_flat_scratch 0
		.amdhsa_float_round_mode_32 0
		.amdhsa_float_round_mode_16_64 0
		.amdhsa_float_denorm_mode_32 3
		.amdhsa_float_denorm_mode_16_64 3
		.amdhsa_dx10_clamp 1
		.amdhsa_ieee_mode 1
		.amdhsa_fp16_overflow 0
		.amdhsa_workgroup_processor_mode 1
		.amdhsa_memory_ordered 1
		.amdhsa_forward_progress 1
		.amdhsa_shared_vgpr_count 0
		.amdhsa_exception_fp_ieee_invalid_op 0
		.amdhsa_exception_fp_denorm_src 0
		.amdhsa_exception_fp_ieee_div_zero 0
		.amdhsa_exception_fp_ieee_overflow 0
		.amdhsa_exception_fp_ieee_underflow 0
		.amdhsa_exception_fp_ieee_inexact 0
		.amdhsa_exception_int_div_zero 0
	.end_amdhsa_kernel
	.section	.text._ZN7rocprim17ROCPRIM_400000_NS6detail17trampoline_kernelINS0_14default_configENS1_20scan_config_selectorIN3c107complexIfEEEEZZNS1_9scan_implILNS1_25lookback_scan_determinismE0ELb0ELb0ES3_PKS7_PS7_S7_ZZZN2at6native31launch_logcumsumexp_cuda_kernelERKNSE_10TensorBaseESI_lENKUlvE_clEvENKUlvE2_clEvEUlS7_S7_E_S7_EEDaPvRmT3_T4_T5_mT6_P12ihipStream_tbENKUlT_T0_E_clISt17integral_constantIbLb1EESZ_EEDaSU_SV_EUlSU_E0_NS1_11comp_targetILNS1_3genE2ELNS1_11target_archE906ELNS1_3gpuE6ELNS1_3repE0EEENS1_30default_config_static_selectorELNS0_4arch9wavefront6targetE0EEEvT1_,"axG",@progbits,_ZN7rocprim17ROCPRIM_400000_NS6detail17trampoline_kernelINS0_14default_configENS1_20scan_config_selectorIN3c107complexIfEEEEZZNS1_9scan_implILNS1_25lookback_scan_determinismE0ELb0ELb0ES3_PKS7_PS7_S7_ZZZN2at6native31launch_logcumsumexp_cuda_kernelERKNSE_10TensorBaseESI_lENKUlvE_clEvENKUlvE2_clEvEUlS7_S7_E_S7_EEDaPvRmT3_T4_T5_mT6_P12ihipStream_tbENKUlT_T0_E_clISt17integral_constantIbLb1EESZ_EEDaSU_SV_EUlSU_E0_NS1_11comp_targetILNS1_3genE2ELNS1_11target_archE906ELNS1_3gpuE6ELNS1_3repE0EEENS1_30default_config_static_selectorELNS0_4arch9wavefront6targetE0EEEvT1_,comdat
.Lfunc_end304:
	.size	_ZN7rocprim17ROCPRIM_400000_NS6detail17trampoline_kernelINS0_14default_configENS1_20scan_config_selectorIN3c107complexIfEEEEZZNS1_9scan_implILNS1_25lookback_scan_determinismE0ELb0ELb0ES3_PKS7_PS7_S7_ZZZN2at6native31launch_logcumsumexp_cuda_kernelERKNSE_10TensorBaseESI_lENKUlvE_clEvENKUlvE2_clEvEUlS7_S7_E_S7_EEDaPvRmT3_T4_T5_mT6_P12ihipStream_tbENKUlT_T0_E_clISt17integral_constantIbLb1EESZ_EEDaSU_SV_EUlSU_E0_NS1_11comp_targetILNS1_3genE2ELNS1_11target_archE906ELNS1_3gpuE6ELNS1_3repE0EEENS1_30default_config_static_selectorELNS0_4arch9wavefront6targetE0EEEvT1_, .Lfunc_end304-_ZN7rocprim17ROCPRIM_400000_NS6detail17trampoline_kernelINS0_14default_configENS1_20scan_config_selectorIN3c107complexIfEEEEZZNS1_9scan_implILNS1_25lookback_scan_determinismE0ELb0ELb0ES3_PKS7_PS7_S7_ZZZN2at6native31launch_logcumsumexp_cuda_kernelERKNSE_10TensorBaseESI_lENKUlvE_clEvENKUlvE2_clEvEUlS7_S7_E_S7_EEDaPvRmT3_T4_T5_mT6_P12ihipStream_tbENKUlT_T0_E_clISt17integral_constantIbLb1EESZ_EEDaSU_SV_EUlSU_E0_NS1_11comp_targetILNS1_3genE2ELNS1_11target_archE906ELNS1_3gpuE6ELNS1_3repE0EEENS1_30default_config_static_selectorELNS0_4arch9wavefront6targetE0EEEvT1_
                                        ; -- End function
	.set _ZN7rocprim17ROCPRIM_400000_NS6detail17trampoline_kernelINS0_14default_configENS1_20scan_config_selectorIN3c107complexIfEEEEZZNS1_9scan_implILNS1_25lookback_scan_determinismE0ELb0ELb0ES3_PKS7_PS7_S7_ZZZN2at6native31launch_logcumsumexp_cuda_kernelERKNSE_10TensorBaseESI_lENKUlvE_clEvENKUlvE2_clEvEUlS7_S7_E_S7_EEDaPvRmT3_T4_T5_mT6_P12ihipStream_tbENKUlT_T0_E_clISt17integral_constantIbLb1EESZ_EEDaSU_SV_EUlSU_E0_NS1_11comp_targetILNS1_3genE2ELNS1_11target_archE906ELNS1_3gpuE6ELNS1_3repE0EEENS1_30default_config_static_selectorELNS0_4arch9wavefront6targetE0EEEvT1_.num_vgpr, 0
	.set _ZN7rocprim17ROCPRIM_400000_NS6detail17trampoline_kernelINS0_14default_configENS1_20scan_config_selectorIN3c107complexIfEEEEZZNS1_9scan_implILNS1_25lookback_scan_determinismE0ELb0ELb0ES3_PKS7_PS7_S7_ZZZN2at6native31launch_logcumsumexp_cuda_kernelERKNSE_10TensorBaseESI_lENKUlvE_clEvENKUlvE2_clEvEUlS7_S7_E_S7_EEDaPvRmT3_T4_T5_mT6_P12ihipStream_tbENKUlT_T0_E_clISt17integral_constantIbLb1EESZ_EEDaSU_SV_EUlSU_E0_NS1_11comp_targetILNS1_3genE2ELNS1_11target_archE906ELNS1_3gpuE6ELNS1_3repE0EEENS1_30default_config_static_selectorELNS0_4arch9wavefront6targetE0EEEvT1_.num_agpr, 0
	.set _ZN7rocprim17ROCPRIM_400000_NS6detail17trampoline_kernelINS0_14default_configENS1_20scan_config_selectorIN3c107complexIfEEEEZZNS1_9scan_implILNS1_25lookback_scan_determinismE0ELb0ELb0ES3_PKS7_PS7_S7_ZZZN2at6native31launch_logcumsumexp_cuda_kernelERKNSE_10TensorBaseESI_lENKUlvE_clEvENKUlvE2_clEvEUlS7_S7_E_S7_EEDaPvRmT3_T4_T5_mT6_P12ihipStream_tbENKUlT_T0_E_clISt17integral_constantIbLb1EESZ_EEDaSU_SV_EUlSU_E0_NS1_11comp_targetILNS1_3genE2ELNS1_11target_archE906ELNS1_3gpuE6ELNS1_3repE0EEENS1_30default_config_static_selectorELNS0_4arch9wavefront6targetE0EEEvT1_.numbered_sgpr, 0
	.set _ZN7rocprim17ROCPRIM_400000_NS6detail17trampoline_kernelINS0_14default_configENS1_20scan_config_selectorIN3c107complexIfEEEEZZNS1_9scan_implILNS1_25lookback_scan_determinismE0ELb0ELb0ES3_PKS7_PS7_S7_ZZZN2at6native31launch_logcumsumexp_cuda_kernelERKNSE_10TensorBaseESI_lENKUlvE_clEvENKUlvE2_clEvEUlS7_S7_E_S7_EEDaPvRmT3_T4_T5_mT6_P12ihipStream_tbENKUlT_T0_E_clISt17integral_constantIbLb1EESZ_EEDaSU_SV_EUlSU_E0_NS1_11comp_targetILNS1_3genE2ELNS1_11target_archE906ELNS1_3gpuE6ELNS1_3repE0EEENS1_30default_config_static_selectorELNS0_4arch9wavefront6targetE0EEEvT1_.num_named_barrier, 0
	.set _ZN7rocprim17ROCPRIM_400000_NS6detail17trampoline_kernelINS0_14default_configENS1_20scan_config_selectorIN3c107complexIfEEEEZZNS1_9scan_implILNS1_25lookback_scan_determinismE0ELb0ELb0ES3_PKS7_PS7_S7_ZZZN2at6native31launch_logcumsumexp_cuda_kernelERKNSE_10TensorBaseESI_lENKUlvE_clEvENKUlvE2_clEvEUlS7_S7_E_S7_EEDaPvRmT3_T4_T5_mT6_P12ihipStream_tbENKUlT_T0_E_clISt17integral_constantIbLb1EESZ_EEDaSU_SV_EUlSU_E0_NS1_11comp_targetILNS1_3genE2ELNS1_11target_archE906ELNS1_3gpuE6ELNS1_3repE0EEENS1_30default_config_static_selectorELNS0_4arch9wavefront6targetE0EEEvT1_.private_seg_size, 0
	.set _ZN7rocprim17ROCPRIM_400000_NS6detail17trampoline_kernelINS0_14default_configENS1_20scan_config_selectorIN3c107complexIfEEEEZZNS1_9scan_implILNS1_25lookback_scan_determinismE0ELb0ELb0ES3_PKS7_PS7_S7_ZZZN2at6native31launch_logcumsumexp_cuda_kernelERKNSE_10TensorBaseESI_lENKUlvE_clEvENKUlvE2_clEvEUlS7_S7_E_S7_EEDaPvRmT3_T4_T5_mT6_P12ihipStream_tbENKUlT_T0_E_clISt17integral_constantIbLb1EESZ_EEDaSU_SV_EUlSU_E0_NS1_11comp_targetILNS1_3genE2ELNS1_11target_archE906ELNS1_3gpuE6ELNS1_3repE0EEENS1_30default_config_static_selectorELNS0_4arch9wavefront6targetE0EEEvT1_.uses_vcc, 0
	.set _ZN7rocprim17ROCPRIM_400000_NS6detail17trampoline_kernelINS0_14default_configENS1_20scan_config_selectorIN3c107complexIfEEEEZZNS1_9scan_implILNS1_25lookback_scan_determinismE0ELb0ELb0ES3_PKS7_PS7_S7_ZZZN2at6native31launch_logcumsumexp_cuda_kernelERKNSE_10TensorBaseESI_lENKUlvE_clEvENKUlvE2_clEvEUlS7_S7_E_S7_EEDaPvRmT3_T4_T5_mT6_P12ihipStream_tbENKUlT_T0_E_clISt17integral_constantIbLb1EESZ_EEDaSU_SV_EUlSU_E0_NS1_11comp_targetILNS1_3genE2ELNS1_11target_archE906ELNS1_3gpuE6ELNS1_3repE0EEENS1_30default_config_static_selectorELNS0_4arch9wavefront6targetE0EEEvT1_.uses_flat_scratch, 0
	.set _ZN7rocprim17ROCPRIM_400000_NS6detail17trampoline_kernelINS0_14default_configENS1_20scan_config_selectorIN3c107complexIfEEEEZZNS1_9scan_implILNS1_25lookback_scan_determinismE0ELb0ELb0ES3_PKS7_PS7_S7_ZZZN2at6native31launch_logcumsumexp_cuda_kernelERKNSE_10TensorBaseESI_lENKUlvE_clEvENKUlvE2_clEvEUlS7_S7_E_S7_EEDaPvRmT3_T4_T5_mT6_P12ihipStream_tbENKUlT_T0_E_clISt17integral_constantIbLb1EESZ_EEDaSU_SV_EUlSU_E0_NS1_11comp_targetILNS1_3genE2ELNS1_11target_archE906ELNS1_3gpuE6ELNS1_3repE0EEENS1_30default_config_static_selectorELNS0_4arch9wavefront6targetE0EEEvT1_.has_dyn_sized_stack, 0
	.set _ZN7rocprim17ROCPRIM_400000_NS6detail17trampoline_kernelINS0_14default_configENS1_20scan_config_selectorIN3c107complexIfEEEEZZNS1_9scan_implILNS1_25lookback_scan_determinismE0ELb0ELb0ES3_PKS7_PS7_S7_ZZZN2at6native31launch_logcumsumexp_cuda_kernelERKNSE_10TensorBaseESI_lENKUlvE_clEvENKUlvE2_clEvEUlS7_S7_E_S7_EEDaPvRmT3_T4_T5_mT6_P12ihipStream_tbENKUlT_T0_E_clISt17integral_constantIbLb1EESZ_EEDaSU_SV_EUlSU_E0_NS1_11comp_targetILNS1_3genE2ELNS1_11target_archE906ELNS1_3gpuE6ELNS1_3repE0EEENS1_30default_config_static_selectorELNS0_4arch9wavefront6targetE0EEEvT1_.has_recursion, 0
	.set _ZN7rocprim17ROCPRIM_400000_NS6detail17trampoline_kernelINS0_14default_configENS1_20scan_config_selectorIN3c107complexIfEEEEZZNS1_9scan_implILNS1_25lookback_scan_determinismE0ELb0ELb0ES3_PKS7_PS7_S7_ZZZN2at6native31launch_logcumsumexp_cuda_kernelERKNSE_10TensorBaseESI_lENKUlvE_clEvENKUlvE2_clEvEUlS7_S7_E_S7_EEDaPvRmT3_T4_T5_mT6_P12ihipStream_tbENKUlT_T0_E_clISt17integral_constantIbLb1EESZ_EEDaSU_SV_EUlSU_E0_NS1_11comp_targetILNS1_3genE2ELNS1_11target_archE906ELNS1_3gpuE6ELNS1_3repE0EEENS1_30default_config_static_selectorELNS0_4arch9wavefront6targetE0EEEvT1_.has_indirect_call, 0
	.section	.AMDGPU.csdata,"",@progbits
; Kernel info:
; codeLenInByte = 0
; TotalNumSgprs: 0
; NumVgprs: 0
; ScratchSize: 0
; MemoryBound: 0
; FloatMode: 240
; IeeeMode: 1
; LDSByteSize: 0 bytes/workgroup (compile time only)
; SGPRBlocks: 0
; VGPRBlocks: 0
; NumSGPRsForWavesPerEU: 1
; NumVGPRsForWavesPerEU: 1
; Occupancy: 16
; WaveLimiterHint : 0
; COMPUTE_PGM_RSRC2:SCRATCH_EN: 0
; COMPUTE_PGM_RSRC2:USER_SGPR: 6
; COMPUTE_PGM_RSRC2:TRAP_HANDLER: 0
; COMPUTE_PGM_RSRC2:TGID_X_EN: 1
; COMPUTE_PGM_RSRC2:TGID_Y_EN: 0
; COMPUTE_PGM_RSRC2:TGID_Z_EN: 0
; COMPUTE_PGM_RSRC2:TIDIG_COMP_CNT: 0
	.section	.text._ZN7rocprim17ROCPRIM_400000_NS6detail17trampoline_kernelINS0_14default_configENS1_20scan_config_selectorIN3c107complexIfEEEEZZNS1_9scan_implILNS1_25lookback_scan_determinismE0ELb0ELb0ES3_PKS7_PS7_S7_ZZZN2at6native31launch_logcumsumexp_cuda_kernelERKNSE_10TensorBaseESI_lENKUlvE_clEvENKUlvE2_clEvEUlS7_S7_E_S7_EEDaPvRmT3_T4_T5_mT6_P12ihipStream_tbENKUlT_T0_E_clISt17integral_constantIbLb1EESZ_EEDaSU_SV_EUlSU_E0_NS1_11comp_targetILNS1_3genE10ELNS1_11target_archE1201ELNS1_3gpuE5ELNS1_3repE0EEENS1_30default_config_static_selectorELNS0_4arch9wavefront6targetE0EEEvT1_,"axG",@progbits,_ZN7rocprim17ROCPRIM_400000_NS6detail17trampoline_kernelINS0_14default_configENS1_20scan_config_selectorIN3c107complexIfEEEEZZNS1_9scan_implILNS1_25lookback_scan_determinismE0ELb0ELb0ES3_PKS7_PS7_S7_ZZZN2at6native31launch_logcumsumexp_cuda_kernelERKNSE_10TensorBaseESI_lENKUlvE_clEvENKUlvE2_clEvEUlS7_S7_E_S7_EEDaPvRmT3_T4_T5_mT6_P12ihipStream_tbENKUlT_T0_E_clISt17integral_constantIbLb1EESZ_EEDaSU_SV_EUlSU_E0_NS1_11comp_targetILNS1_3genE10ELNS1_11target_archE1201ELNS1_3gpuE5ELNS1_3repE0EEENS1_30default_config_static_selectorELNS0_4arch9wavefront6targetE0EEEvT1_,comdat
	.globl	_ZN7rocprim17ROCPRIM_400000_NS6detail17trampoline_kernelINS0_14default_configENS1_20scan_config_selectorIN3c107complexIfEEEEZZNS1_9scan_implILNS1_25lookback_scan_determinismE0ELb0ELb0ES3_PKS7_PS7_S7_ZZZN2at6native31launch_logcumsumexp_cuda_kernelERKNSE_10TensorBaseESI_lENKUlvE_clEvENKUlvE2_clEvEUlS7_S7_E_S7_EEDaPvRmT3_T4_T5_mT6_P12ihipStream_tbENKUlT_T0_E_clISt17integral_constantIbLb1EESZ_EEDaSU_SV_EUlSU_E0_NS1_11comp_targetILNS1_3genE10ELNS1_11target_archE1201ELNS1_3gpuE5ELNS1_3repE0EEENS1_30default_config_static_selectorELNS0_4arch9wavefront6targetE0EEEvT1_ ; -- Begin function _ZN7rocprim17ROCPRIM_400000_NS6detail17trampoline_kernelINS0_14default_configENS1_20scan_config_selectorIN3c107complexIfEEEEZZNS1_9scan_implILNS1_25lookback_scan_determinismE0ELb0ELb0ES3_PKS7_PS7_S7_ZZZN2at6native31launch_logcumsumexp_cuda_kernelERKNSE_10TensorBaseESI_lENKUlvE_clEvENKUlvE2_clEvEUlS7_S7_E_S7_EEDaPvRmT3_T4_T5_mT6_P12ihipStream_tbENKUlT_T0_E_clISt17integral_constantIbLb1EESZ_EEDaSU_SV_EUlSU_E0_NS1_11comp_targetILNS1_3genE10ELNS1_11target_archE1201ELNS1_3gpuE5ELNS1_3repE0EEENS1_30default_config_static_selectorELNS0_4arch9wavefront6targetE0EEEvT1_
	.p2align	8
	.type	_ZN7rocprim17ROCPRIM_400000_NS6detail17trampoline_kernelINS0_14default_configENS1_20scan_config_selectorIN3c107complexIfEEEEZZNS1_9scan_implILNS1_25lookback_scan_determinismE0ELb0ELb0ES3_PKS7_PS7_S7_ZZZN2at6native31launch_logcumsumexp_cuda_kernelERKNSE_10TensorBaseESI_lENKUlvE_clEvENKUlvE2_clEvEUlS7_S7_E_S7_EEDaPvRmT3_T4_T5_mT6_P12ihipStream_tbENKUlT_T0_E_clISt17integral_constantIbLb1EESZ_EEDaSU_SV_EUlSU_E0_NS1_11comp_targetILNS1_3genE10ELNS1_11target_archE1201ELNS1_3gpuE5ELNS1_3repE0EEENS1_30default_config_static_selectorELNS0_4arch9wavefront6targetE0EEEvT1_,@function
_ZN7rocprim17ROCPRIM_400000_NS6detail17trampoline_kernelINS0_14default_configENS1_20scan_config_selectorIN3c107complexIfEEEEZZNS1_9scan_implILNS1_25lookback_scan_determinismE0ELb0ELb0ES3_PKS7_PS7_S7_ZZZN2at6native31launch_logcumsumexp_cuda_kernelERKNSE_10TensorBaseESI_lENKUlvE_clEvENKUlvE2_clEvEUlS7_S7_E_S7_EEDaPvRmT3_T4_T5_mT6_P12ihipStream_tbENKUlT_T0_E_clISt17integral_constantIbLb1EESZ_EEDaSU_SV_EUlSU_E0_NS1_11comp_targetILNS1_3genE10ELNS1_11target_archE1201ELNS1_3gpuE5ELNS1_3repE0EEENS1_30default_config_static_selectorELNS0_4arch9wavefront6targetE0EEEvT1_: ; @_ZN7rocprim17ROCPRIM_400000_NS6detail17trampoline_kernelINS0_14default_configENS1_20scan_config_selectorIN3c107complexIfEEEEZZNS1_9scan_implILNS1_25lookback_scan_determinismE0ELb0ELb0ES3_PKS7_PS7_S7_ZZZN2at6native31launch_logcumsumexp_cuda_kernelERKNSE_10TensorBaseESI_lENKUlvE_clEvENKUlvE2_clEvEUlS7_S7_E_S7_EEDaPvRmT3_T4_T5_mT6_P12ihipStream_tbENKUlT_T0_E_clISt17integral_constantIbLb1EESZ_EEDaSU_SV_EUlSU_E0_NS1_11comp_targetILNS1_3genE10ELNS1_11target_archE1201ELNS1_3gpuE5ELNS1_3repE0EEENS1_30default_config_static_selectorELNS0_4arch9wavefront6targetE0EEEvT1_
; %bb.0:
	.section	.rodata,"a",@progbits
	.p2align	6, 0x0
	.amdhsa_kernel _ZN7rocprim17ROCPRIM_400000_NS6detail17trampoline_kernelINS0_14default_configENS1_20scan_config_selectorIN3c107complexIfEEEEZZNS1_9scan_implILNS1_25lookback_scan_determinismE0ELb0ELb0ES3_PKS7_PS7_S7_ZZZN2at6native31launch_logcumsumexp_cuda_kernelERKNSE_10TensorBaseESI_lENKUlvE_clEvENKUlvE2_clEvEUlS7_S7_E_S7_EEDaPvRmT3_T4_T5_mT6_P12ihipStream_tbENKUlT_T0_E_clISt17integral_constantIbLb1EESZ_EEDaSU_SV_EUlSU_E0_NS1_11comp_targetILNS1_3genE10ELNS1_11target_archE1201ELNS1_3gpuE5ELNS1_3repE0EEENS1_30default_config_static_selectorELNS0_4arch9wavefront6targetE0EEEvT1_
		.amdhsa_group_segment_fixed_size 0
		.amdhsa_private_segment_fixed_size 0
		.amdhsa_kernarg_size 40
		.amdhsa_user_sgpr_count 6
		.amdhsa_user_sgpr_private_segment_buffer 1
		.amdhsa_user_sgpr_dispatch_ptr 0
		.amdhsa_user_sgpr_queue_ptr 0
		.amdhsa_user_sgpr_kernarg_segment_ptr 1
		.amdhsa_user_sgpr_dispatch_id 0
		.amdhsa_user_sgpr_flat_scratch_init 0
		.amdhsa_user_sgpr_private_segment_size 0
		.amdhsa_wavefront_size32 1
		.amdhsa_uses_dynamic_stack 0
		.amdhsa_system_sgpr_private_segment_wavefront_offset 0
		.amdhsa_system_sgpr_workgroup_id_x 1
		.amdhsa_system_sgpr_workgroup_id_y 0
		.amdhsa_system_sgpr_workgroup_id_z 0
		.amdhsa_system_sgpr_workgroup_info 0
		.amdhsa_system_vgpr_workitem_id 0
		.amdhsa_next_free_vgpr 1
		.amdhsa_next_free_sgpr 1
		.amdhsa_reserve_vcc 0
		.amdhsa_reserve_flat_scratch 0
		.amdhsa_float_round_mode_32 0
		.amdhsa_float_round_mode_16_64 0
		.amdhsa_float_denorm_mode_32 3
		.amdhsa_float_denorm_mode_16_64 3
		.amdhsa_dx10_clamp 1
		.amdhsa_ieee_mode 1
		.amdhsa_fp16_overflow 0
		.amdhsa_workgroup_processor_mode 1
		.amdhsa_memory_ordered 1
		.amdhsa_forward_progress 1
		.amdhsa_shared_vgpr_count 0
		.amdhsa_exception_fp_ieee_invalid_op 0
		.amdhsa_exception_fp_denorm_src 0
		.amdhsa_exception_fp_ieee_div_zero 0
		.amdhsa_exception_fp_ieee_overflow 0
		.amdhsa_exception_fp_ieee_underflow 0
		.amdhsa_exception_fp_ieee_inexact 0
		.amdhsa_exception_int_div_zero 0
	.end_amdhsa_kernel
	.section	.text._ZN7rocprim17ROCPRIM_400000_NS6detail17trampoline_kernelINS0_14default_configENS1_20scan_config_selectorIN3c107complexIfEEEEZZNS1_9scan_implILNS1_25lookback_scan_determinismE0ELb0ELb0ES3_PKS7_PS7_S7_ZZZN2at6native31launch_logcumsumexp_cuda_kernelERKNSE_10TensorBaseESI_lENKUlvE_clEvENKUlvE2_clEvEUlS7_S7_E_S7_EEDaPvRmT3_T4_T5_mT6_P12ihipStream_tbENKUlT_T0_E_clISt17integral_constantIbLb1EESZ_EEDaSU_SV_EUlSU_E0_NS1_11comp_targetILNS1_3genE10ELNS1_11target_archE1201ELNS1_3gpuE5ELNS1_3repE0EEENS1_30default_config_static_selectorELNS0_4arch9wavefront6targetE0EEEvT1_,"axG",@progbits,_ZN7rocprim17ROCPRIM_400000_NS6detail17trampoline_kernelINS0_14default_configENS1_20scan_config_selectorIN3c107complexIfEEEEZZNS1_9scan_implILNS1_25lookback_scan_determinismE0ELb0ELb0ES3_PKS7_PS7_S7_ZZZN2at6native31launch_logcumsumexp_cuda_kernelERKNSE_10TensorBaseESI_lENKUlvE_clEvENKUlvE2_clEvEUlS7_S7_E_S7_EEDaPvRmT3_T4_T5_mT6_P12ihipStream_tbENKUlT_T0_E_clISt17integral_constantIbLb1EESZ_EEDaSU_SV_EUlSU_E0_NS1_11comp_targetILNS1_3genE10ELNS1_11target_archE1201ELNS1_3gpuE5ELNS1_3repE0EEENS1_30default_config_static_selectorELNS0_4arch9wavefront6targetE0EEEvT1_,comdat
.Lfunc_end305:
	.size	_ZN7rocprim17ROCPRIM_400000_NS6detail17trampoline_kernelINS0_14default_configENS1_20scan_config_selectorIN3c107complexIfEEEEZZNS1_9scan_implILNS1_25lookback_scan_determinismE0ELb0ELb0ES3_PKS7_PS7_S7_ZZZN2at6native31launch_logcumsumexp_cuda_kernelERKNSE_10TensorBaseESI_lENKUlvE_clEvENKUlvE2_clEvEUlS7_S7_E_S7_EEDaPvRmT3_T4_T5_mT6_P12ihipStream_tbENKUlT_T0_E_clISt17integral_constantIbLb1EESZ_EEDaSU_SV_EUlSU_E0_NS1_11comp_targetILNS1_3genE10ELNS1_11target_archE1201ELNS1_3gpuE5ELNS1_3repE0EEENS1_30default_config_static_selectorELNS0_4arch9wavefront6targetE0EEEvT1_, .Lfunc_end305-_ZN7rocprim17ROCPRIM_400000_NS6detail17trampoline_kernelINS0_14default_configENS1_20scan_config_selectorIN3c107complexIfEEEEZZNS1_9scan_implILNS1_25lookback_scan_determinismE0ELb0ELb0ES3_PKS7_PS7_S7_ZZZN2at6native31launch_logcumsumexp_cuda_kernelERKNSE_10TensorBaseESI_lENKUlvE_clEvENKUlvE2_clEvEUlS7_S7_E_S7_EEDaPvRmT3_T4_T5_mT6_P12ihipStream_tbENKUlT_T0_E_clISt17integral_constantIbLb1EESZ_EEDaSU_SV_EUlSU_E0_NS1_11comp_targetILNS1_3genE10ELNS1_11target_archE1201ELNS1_3gpuE5ELNS1_3repE0EEENS1_30default_config_static_selectorELNS0_4arch9wavefront6targetE0EEEvT1_
                                        ; -- End function
	.set _ZN7rocprim17ROCPRIM_400000_NS6detail17trampoline_kernelINS0_14default_configENS1_20scan_config_selectorIN3c107complexIfEEEEZZNS1_9scan_implILNS1_25lookback_scan_determinismE0ELb0ELb0ES3_PKS7_PS7_S7_ZZZN2at6native31launch_logcumsumexp_cuda_kernelERKNSE_10TensorBaseESI_lENKUlvE_clEvENKUlvE2_clEvEUlS7_S7_E_S7_EEDaPvRmT3_T4_T5_mT6_P12ihipStream_tbENKUlT_T0_E_clISt17integral_constantIbLb1EESZ_EEDaSU_SV_EUlSU_E0_NS1_11comp_targetILNS1_3genE10ELNS1_11target_archE1201ELNS1_3gpuE5ELNS1_3repE0EEENS1_30default_config_static_selectorELNS0_4arch9wavefront6targetE0EEEvT1_.num_vgpr, 0
	.set _ZN7rocprim17ROCPRIM_400000_NS6detail17trampoline_kernelINS0_14default_configENS1_20scan_config_selectorIN3c107complexIfEEEEZZNS1_9scan_implILNS1_25lookback_scan_determinismE0ELb0ELb0ES3_PKS7_PS7_S7_ZZZN2at6native31launch_logcumsumexp_cuda_kernelERKNSE_10TensorBaseESI_lENKUlvE_clEvENKUlvE2_clEvEUlS7_S7_E_S7_EEDaPvRmT3_T4_T5_mT6_P12ihipStream_tbENKUlT_T0_E_clISt17integral_constantIbLb1EESZ_EEDaSU_SV_EUlSU_E0_NS1_11comp_targetILNS1_3genE10ELNS1_11target_archE1201ELNS1_3gpuE5ELNS1_3repE0EEENS1_30default_config_static_selectorELNS0_4arch9wavefront6targetE0EEEvT1_.num_agpr, 0
	.set _ZN7rocprim17ROCPRIM_400000_NS6detail17trampoline_kernelINS0_14default_configENS1_20scan_config_selectorIN3c107complexIfEEEEZZNS1_9scan_implILNS1_25lookback_scan_determinismE0ELb0ELb0ES3_PKS7_PS7_S7_ZZZN2at6native31launch_logcumsumexp_cuda_kernelERKNSE_10TensorBaseESI_lENKUlvE_clEvENKUlvE2_clEvEUlS7_S7_E_S7_EEDaPvRmT3_T4_T5_mT6_P12ihipStream_tbENKUlT_T0_E_clISt17integral_constantIbLb1EESZ_EEDaSU_SV_EUlSU_E0_NS1_11comp_targetILNS1_3genE10ELNS1_11target_archE1201ELNS1_3gpuE5ELNS1_3repE0EEENS1_30default_config_static_selectorELNS0_4arch9wavefront6targetE0EEEvT1_.numbered_sgpr, 0
	.set _ZN7rocprim17ROCPRIM_400000_NS6detail17trampoline_kernelINS0_14default_configENS1_20scan_config_selectorIN3c107complexIfEEEEZZNS1_9scan_implILNS1_25lookback_scan_determinismE0ELb0ELb0ES3_PKS7_PS7_S7_ZZZN2at6native31launch_logcumsumexp_cuda_kernelERKNSE_10TensorBaseESI_lENKUlvE_clEvENKUlvE2_clEvEUlS7_S7_E_S7_EEDaPvRmT3_T4_T5_mT6_P12ihipStream_tbENKUlT_T0_E_clISt17integral_constantIbLb1EESZ_EEDaSU_SV_EUlSU_E0_NS1_11comp_targetILNS1_3genE10ELNS1_11target_archE1201ELNS1_3gpuE5ELNS1_3repE0EEENS1_30default_config_static_selectorELNS0_4arch9wavefront6targetE0EEEvT1_.num_named_barrier, 0
	.set _ZN7rocprim17ROCPRIM_400000_NS6detail17trampoline_kernelINS0_14default_configENS1_20scan_config_selectorIN3c107complexIfEEEEZZNS1_9scan_implILNS1_25lookback_scan_determinismE0ELb0ELb0ES3_PKS7_PS7_S7_ZZZN2at6native31launch_logcumsumexp_cuda_kernelERKNSE_10TensorBaseESI_lENKUlvE_clEvENKUlvE2_clEvEUlS7_S7_E_S7_EEDaPvRmT3_T4_T5_mT6_P12ihipStream_tbENKUlT_T0_E_clISt17integral_constantIbLb1EESZ_EEDaSU_SV_EUlSU_E0_NS1_11comp_targetILNS1_3genE10ELNS1_11target_archE1201ELNS1_3gpuE5ELNS1_3repE0EEENS1_30default_config_static_selectorELNS0_4arch9wavefront6targetE0EEEvT1_.private_seg_size, 0
	.set _ZN7rocprim17ROCPRIM_400000_NS6detail17trampoline_kernelINS0_14default_configENS1_20scan_config_selectorIN3c107complexIfEEEEZZNS1_9scan_implILNS1_25lookback_scan_determinismE0ELb0ELb0ES3_PKS7_PS7_S7_ZZZN2at6native31launch_logcumsumexp_cuda_kernelERKNSE_10TensorBaseESI_lENKUlvE_clEvENKUlvE2_clEvEUlS7_S7_E_S7_EEDaPvRmT3_T4_T5_mT6_P12ihipStream_tbENKUlT_T0_E_clISt17integral_constantIbLb1EESZ_EEDaSU_SV_EUlSU_E0_NS1_11comp_targetILNS1_3genE10ELNS1_11target_archE1201ELNS1_3gpuE5ELNS1_3repE0EEENS1_30default_config_static_selectorELNS0_4arch9wavefront6targetE0EEEvT1_.uses_vcc, 0
	.set _ZN7rocprim17ROCPRIM_400000_NS6detail17trampoline_kernelINS0_14default_configENS1_20scan_config_selectorIN3c107complexIfEEEEZZNS1_9scan_implILNS1_25lookback_scan_determinismE0ELb0ELb0ES3_PKS7_PS7_S7_ZZZN2at6native31launch_logcumsumexp_cuda_kernelERKNSE_10TensorBaseESI_lENKUlvE_clEvENKUlvE2_clEvEUlS7_S7_E_S7_EEDaPvRmT3_T4_T5_mT6_P12ihipStream_tbENKUlT_T0_E_clISt17integral_constantIbLb1EESZ_EEDaSU_SV_EUlSU_E0_NS1_11comp_targetILNS1_3genE10ELNS1_11target_archE1201ELNS1_3gpuE5ELNS1_3repE0EEENS1_30default_config_static_selectorELNS0_4arch9wavefront6targetE0EEEvT1_.uses_flat_scratch, 0
	.set _ZN7rocprim17ROCPRIM_400000_NS6detail17trampoline_kernelINS0_14default_configENS1_20scan_config_selectorIN3c107complexIfEEEEZZNS1_9scan_implILNS1_25lookback_scan_determinismE0ELb0ELb0ES3_PKS7_PS7_S7_ZZZN2at6native31launch_logcumsumexp_cuda_kernelERKNSE_10TensorBaseESI_lENKUlvE_clEvENKUlvE2_clEvEUlS7_S7_E_S7_EEDaPvRmT3_T4_T5_mT6_P12ihipStream_tbENKUlT_T0_E_clISt17integral_constantIbLb1EESZ_EEDaSU_SV_EUlSU_E0_NS1_11comp_targetILNS1_3genE10ELNS1_11target_archE1201ELNS1_3gpuE5ELNS1_3repE0EEENS1_30default_config_static_selectorELNS0_4arch9wavefront6targetE0EEEvT1_.has_dyn_sized_stack, 0
	.set _ZN7rocprim17ROCPRIM_400000_NS6detail17trampoline_kernelINS0_14default_configENS1_20scan_config_selectorIN3c107complexIfEEEEZZNS1_9scan_implILNS1_25lookback_scan_determinismE0ELb0ELb0ES3_PKS7_PS7_S7_ZZZN2at6native31launch_logcumsumexp_cuda_kernelERKNSE_10TensorBaseESI_lENKUlvE_clEvENKUlvE2_clEvEUlS7_S7_E_S7_EEDaPvRmT3_T4_T5_mT6_P12ihipStream_tbENKUlT_T0_E_clISt17integral_constantIbLb1EESZ_EEDaSU_SV_EUlSU_E0_NS1_11comp_targetILNS1_3genE10ELNS1_11target_archE1201ELNS1_3gpuE5ELNS1_3repE0EEENS1_30default_config_static_selectorELNS0_4arch9wavefront6targetE0EEEvT1_.has_recursion, 0
	.set _ZN7rocprim17ROCPRIM_400000_NS6detail17trampoline_kernelINS0_14default_configENS1_20scan_config_selectorIN3c107complexIfEEEEZZNS1_9scan_implILNS1_25lookback_scan_determinismE0ELb0ELb0ES3_PKS7_PS7_S7_ZZZN2at6native31launch_logcumsumexp_cuda_kernelERKNSE_10TensorBaseESI_lENKUlvE_clEvENKUlvE2_clEvEUlS7_S7_E_S7_EEDaPvRmT3_T4_T5_mT6_P12ihipStream_tbENKUlT_T0_E_clISt17integral_constantIbLb1EESZ_EEDaSU_SV_EUlSU_E0_NS1_11comp_targetILNS1_3genE10ELNS1_11target_archE1201ELNS1_3gpuE5ELNS1_3repE0EEENS1_30default_config_static_selectorELNS0_4arch9wavefront6targetE0EEEvT1_.has_indirect_call, 0
	.section	.AMDGPU.csdata,"",@progbits
; Kernel info:
; codeLenInByte = 0
; TotalNumSgprs: 0
; NumVgprs: 0
; ScratchSize: 0
; MemoryBound: 0
; FloatMode: 240
; IeeeMode: 1
; LDSByteSize: 0 bytes/workgroup (compile time only)
; SGPRBlocks: 0
; VGPRBlocks: 0
; NumSGPRsForWavesPerEU: 1
; NumVGPRsForWavesPerEU: 1
; Occupancy: 16
; WaveLimiterHint : 0
; COMPUTE_PGM_RSRC2:SCRATCH_EN: 0
; COMPUTE_PGM_RSRC2:USER_SGPR: 6
; COMPUTE_PGM_RSRC2:TRAP_HANDLER: 0
; COMPUTE_PGM_RSRC2:TGID_X_EN: 1
; COMPUTE_PGM_RSRC2:TGID_Y_EN: 0
; COMPUTE_PGM_RSRC2:TGID_Z_EN: 0
; COMPUTE_PGM_RSRC2:TIDIG_COMP_CNT: 0
	.section	.text._ZN7rocprim17ROCPRIM_400000_NS6detail17trampoline_kernelINS0_14default_configENS1_20scan_config_selectorIN3c107complexIfEEEEZZNS1_9scan_implILNS1_25lookback_scan_determinismE0ELb0ELb0ES3_PKS7_PS7_S7_ZZZN2at6native31launch_logcumsumexp_cuda_kernelERKNSE_10TensorBaseESI_lENKUlvE_clEvENKUlvE2_clEvEUlS7_S7_E_S7_EEDaPvRmT3_T4_T5_mT6_P12ihipStream_tbENKUlT_T0_E_clISt17integral_constantIbLb1EESZ_EEDaSU_SV_EUlSU_E0_NS1_11comp_targetILNS1_3genE10ELNS1_11target_archE1200ELNS1_3gpuE4ELNS1_3repE0EEENS1_30default_config_static_selectorELNS0_4arch9wavefront6targetE0EEEvT1_,"axG",@progbits,_ZN7rocprim17ROCPRIM_400000_NS6detail17trampoline_kernelINS0_14default_configENS1_20scan_config_selectorIN3c107complexIfEEEEZZNS1_9scan_implILNS1_25lookback_scan_determinismE0ELb0ELb0ES3_PKS7_PS7_S7_ZZZN2at6native31launch_logcumsumexp_cuda_kernelERKNSE_10TensorBaseESI_lENKUlvE_clEvENKUlvE2_clEvEUlS7_S7_E_S7_EEDaPvRmT3_T4_T5_mT6_P12ihipStream_tbENKUlT_T0_E_clISt17integral_constantIbLb1EESZ_EEDaSU_SV_EUlSU_E0_NS1_11comp_targetILNS1_3genE10ELNS1_11target_archE1200ELNS1_3gpuE4ELNS1_3repE0EEENS1_30default_config_static_selectorELNS0_4arch9wavefront6targetE0EEEvT1_,comdat
	.globl	_ZN7rocprim17ROCPRIM_400000_NS6detail17trampoline_kernelINS0_14default_configENS1_20scan_config_selectorIN3c107complexIfEEEEZZNS1_9scan_implILNS1_25lookback_scan_determinismE0ELb0ELb0ES3_PKS7_PS7_S7_ZZZN2at6native31launch_logcumsumexp_cuda_kernelERKNSE_10TensorBaseESI_lENKUlvE_clEvENKUlvE2_clEvEUlS7_S7_E_S7_EEDaPvRmT3_T4_T5_mT6_P12ihipStream_tbENKUlT_T0_E_clISt17integral_constantIbLb1EESZ_EEDaSU_SV_EUlSU_E0_NS1_11comp_targetILNS1_3genE10ELNS1_11target_archE1200ELNS1_3gpuE4ELNS1_3repE0EEENS1_30default_config_static_selectorELNS0_4arch9wavefront6targetE0EEEvT1_ ; -- Begin function _ZN7rocprim17ROCPRIM_400000_NS6detail17trampoline_kernelINS0_14default_configENS1_20scan_config_selectorIN3c107complexIfEEEEZZNS1_9scan_implILNS1_25lookback_scan_determinismE0ELb0ELb0ES3_PKS7_PS7_S7_ZZZN2at6native31launch_logcumsumexp_cuda_kernelERKNSE_10TensorBaseESI_lENKUlvE_clEvENKUlvE2_clEvEUlS7_S7_E_S7_EEDaPvRmT3_T4_T5_mT6_P12ihipStream_tbENKUlT_T0_E_clISt17integral_constantIbLb1EESZ_EEDaSU_SV_EUlSU_E0_NS1_11comp_targetILNS1_3genE10ELNS1_11target_archE1200ELNS1_3gpuE4ELNS1_3repE0EEENS1_30default_config_static_selectorELNS0_4arch9wavefront6targetE0EEEvT1_
	.p2align	8
	.type	_ZN7rocprim17ROCPRIM_400000_NS6detail17trampoline_kernelINS0_14default_configENS1_20scan_config_selectorIN3c107complexIfEEEEZZNS1_9scan_implILNS1_25lookback_scan_determinismE0ELb0ELb0ES3_PKS7_PS7_S7_ZZZN2at6native31launch_logcumsumexp_cuda_kernelERKNSE_10TensorBaseESI_lENKUlvE_clEvENKUlvE2_clEvEUlS7_S7_E_S7_EEDaPvRmT3_T4_T5_mT6_P12ihipStream_tbENKUlT_T0_E_clISt17integral_constantIbLb1EESZ_EEDaSU_SV_EUlSU_E0_NS1_11comp_targetILNS1_3genE10ELNS1_11target_archE1200ELNS1_3gpuE4ELNS1_3repE0EEENS1_30default_config_static_selectorELNS0_4arch9wavefront6targetE0EEEvT1_,@function
_ZN7rocprim17ROCPRIM_400000_NS6detail17trampoline_kernelINS0_14default_configENS1_20scan_config_selectorIN3c107complexIfEEEEZZNS1_9scan_implILNS1_25lookback_scan_determinismE0ELb0ELb0ES3_PKS7_PS7_S7_ZZZN2at6native31launch_logcumsumexp_cuda_kernelERKNSE_10TensorBaseESI_lENKUlvE_clEvENKUlvE2_clEvEUlS7_S7_E_S7_EEDaPvRmT3_T4_T5_mT6_P12ihipStream_tbENKUlT_T0_E_clISt17integral_constantIbLb1EESZ_EEDaSU_SV_EUlSU_E0_NS1_11comp_targetILNS1_3genE10ELNS1_11target_archE1200ELNS1_3gpuE4ELNS1_3repE0EEENS1_30default_config_static_selectorELNS0_4arch9wavefront6targetE0EEEvT1_: ; @_ZN7rocprim17ROCPRIM_400000_NS6detail17trampoline_kernelINS0_14default_configENS1_20scan_config_selectorIN3c107complexIfEEEEZZNS1_9scan_implILNS1_25lookback_scan_determinismE0ELb0ELb0ES3_PKS7_PS7_S7_ZZZN2at6native31launch_logcumsumexp_cuda_kernelERKNSE_10TensorBaseESI_lENKUlvE_clEvENKUlvE2_clEvEUlS7_S7_E_S7_EEDaPvRmT3_T4_T5_mT6_P12ihipStream_tbENKUlT_T0_E_clISt17integral_constantIbLb1EESZ_EEDaSU_SV_EUlSU_E0_NS1_11comp_targetILNS1_3genE10ELNS1_11target_archE1200ELNS1_3gpuE4ELNS1_3repE0EEENS1_30default_config_static_selectorELNS0_4arch9wavefront6targetE0EEEvT1_
; %bb.0:
	.section	.rodata,"a",@progbits
	.p2align	6, 0x0
	.amdhsa_kernel _ZN7rocprim17ROCPRIM_400000_NS6detail17trampoline_kernelINS0_14default_configENS1_20scan_config_selectorIN3c107complexIfEEEEZZNS1_9scan_implILNS1_25lookback_scan_determinismE0ELb0ELb0ES3_PKS7_PS7_S7_ZZZN2at6native31launch_logcumsumexp_cuda_kernelERKNSE_10TensorBaseESI_lENKUlvE_clEvENKUlvE2_clEvEUlS7_S7_E_S7_EEDaPvRmT3_T4_T5_mT6_P12ihipStream_tbENKUlT_T0_E_clISt17integral_constantIbLb1EESZ_EEDaSU_SV_EUlSU_E0_NS1_11comp_targetILNS1_3genE10ELNS1_11target_archE1200ELNS1_3gpuE4ELNS1_3repE0EEENS1_30default_config_static_selectorELNS0_4arch9wavefront6targetE0EEEvT1_
		.amdhsa_group_segment_fixed_size 0
		.amdhsa_private_segment_fixed_size 0
		.amdhsa_kernarg_size 40
		.amdhsa_user_sgpr_count 6
		.amdhsa_user_sgpr_private_segment_buffer 1
		.amdhsa_user_sgpr_dispatch_ptr 0
		.amdhsa_user_sgpr_queue_ptr 0
		.amdhsa_user_sgpr_kernarg_segment_ptr 1
		.amdhsa_user_sgpr_dispatch_id 0
		.amdhsa_user_sgpr_flat_scratch_init 0
		.amdhsa_user_sgpr_private_segment_size 0
		.amdhsa_wavefront_size32 1
		.amdhsa_uses_dynamic_stack 0
		.amdhsa_system_sgpr_private_segment_wavefront_offset 0
		.amdhsa_system_sgpr_workgroup_id_x 1
		.amdhsa_system_sgpr_workgroup_id_y 0
		.amdhsa_system_sgpr_workgroup_id_z 0
		.amdhsa_system_sgpr_workgroup_info 0
		.amdhsa_system_vgpr_workitem_id 0
		.amdhsa_next_free_vgpr 1
		.amdhsa_next_free_sgpr 1
		.amdhsa_reserve_vcc 0
		.amdhsa_reserve_flat_scratch 0
		.amdhsa_float_round_mode_32 0
		.amdhsa_float_round_mode_16_64 0
		.amdhsa_float_denorm_mode_32 3
		.amdhsa_float_denorm_mode_16_64 3
		.amdhsa_dx10_clamp 1
		.amdhsa_ieee_mode 1
		.amdhsa_fp16_overflow 0
		.amdhsa_workgroup_processor_mode 1
		.amdhsa_memory_ordered 1
		.amdhsa_forward_progress 1
		.amdhsa_shared_vgpr_count 0
		.amdhsa_exception_fp_ieee_invalid_op 0
		.amdhsa_exception_fp_denorm_src 0
		.amdhsa_exception_fp_ieee_div_zero 0
		.amdhsa_exception_fp_ieee_overflow 0
		.amdhsa_exception_fp_ieee_underflow 0
		.amdhsa_exception_fp_ieee_inexact 0
		.amdhsa_exception_int_div_zero 0
	.end_amdhsa_kernel
	.section	.text._ZN7rocprim17ROCPRIM_400000_NS6detail17trampoline_kernelINS0_14default_configENS1_20scan_config_selectorIN3c107complexIfEEEEZZNS1_9scan_implILNS1_25lookback_scan_determinismE0ELb0ELb0ES3_PKS7_PS7_S7_ZZZN2at6native31launch_logcumsumexp_cuda_kernelERKNSE_10TensorBaseESI_lENKUlvE_clEvENKUlvE2_clEvEUlS7_S7_E_S7_EEDaPvRmT3_T4_T5_mT6_P12ihipStream_tbENKUlT_T0_E_clISt17integral_constantIbLb1EESZ_EEDaSU_SV_EUlSU_E0_NS1_11comp_targetILNS1_3genE10ELNS1_11target_archE1200ELNS1_3gpuE4ELNS1_3repE0EEENS1_30default_config_static_selectorELNS0_4arch9wavefront6targetE0EEEvT1_,"axG",@progbits,_ZN7rocprim17ROCPRIM_400000_NS6detail17trampoline_kernelINS0_14default_configENS1_20scan_config_selectorIN3c107complexIfEEEEZZNS1_9scan_implILNS1_25lookback_scan_determinismE0ELb0ELb0ES3_PKS7_PS7_S7_ZZZN2at6native31launch_logcumsumexp_cuda_kernelERKNSE_10TensorBaseESI_lENKUlvE_clEvENKUlvE2_clEvEUlS7_S7_E_S7_EEDaPvRmT3_T4_T5_mT6_P12ihipStream_tbENKUlT_T0_E_clISt17integral_constantIbLb1EESZ_EEDaSU_SV_EUlSU_E0_NS1_11comp_targetILNS1_3genE10ELNS1_11target_archE1200ELNS1_3gpuE4ELNS1_3repE0EEENS1_30default_config_static_selectorELNS0_4arch9wavefront6targetE0EEEvT1_,comdat
.Lfunc_end306:
	.size	_ZN7rocprim17ROCPRIM_400000_NS6detail17trampoline_kernelINS0_14default_configENS1_20scan_config_selectorIN3c107complexIfEEEEZZNS1_9scan_implILNS1_25lookback_scan_determinismE0ELb0ELb0ES3_PKS7_PS7_S7_ZZZN2at6native31launch_logcumsumexp_cuda_kernelERKNSE_10TensorBaseESI_lENKUlvE_clEvENKUlvE2_clEvEUlS7_S7_E_S7_EEDaPvRmT3_T4_T5_mT6_P12ihipStream_tbENKUlT_T0_E_clISt17integral_constantIbLb1EESZ_EEDaSU_SV_EUlSU_E0_NS1_11comp_targetILNS1_3genE10ELNS1_11target_archE1200ELNS1_3gpuE4ELNS1_3repE0EEENS1_30default_config_static_selectorELNS0_4arch9wavefront6targetE0EEEvT1_, .Lfunc_end306-_ZN7rocprim17ROCPRIM_400000_NS6detail17trampoline_kernelINS0_14default_configENS1_20scan_config_selectorIN3c107complexIfEEEEZZNS1_9scan_implILNS1_25lookback_scan_determinismE0ELb0ELb0ES3_PKS7_PS7_S7_ZZZN2at6native31launch_logcumsumexp_cuda_kernelERKNSE_10TensorBaseESI_lENKUlvE_clEvENKUlvE2_clEvEUlS7_S7_E_S7_EEDaPvRmT3_T4_T5_mT6_P12ihipStream_tbENKUlT_T0_E_clISt17integral_constantIbLb1EESZ_EEDaSU_SV_EUlSU_E0_NS1_11comp_targetILNS1_3genE10ELNS1_11target_archE1200ELNS1_3gpuE4ELNS1_3repE0EEENS1_30default_config_static_selectorELNS0_4arch9wavefront6targetE0EEEvT1_
                                        ; -- End function
	.set _ZN7rocprim17ROCPRIM_400000_NS6detail17trampoline_kernelINS0_14default_configENS1_20scan_config_selectorIN3c107complexIfEEEEZZNS1_9scan_implILNS1_25lookback_scan_determinismE0ELb0ELb0ES3_PKS7_PS7_S7_ZZZN2at6native31launch_logcumsumexp_cuda_kernelERKNSE_10TensorBaseESI_lENKUlvE_clEvENKUlvE2_clEvEUlS7_S7_E_S7_EEDaPvRmT3_T4_T5_mT6_P12ihipStream_tbENKUlT_T0_E_clISt17integral_constantIbLb1EESZ_EEDaSU_SV_EUlSU_E0_NS1_11comp_targetILNS1_3genE10ELNS1_11target_archE1200ELNS1_3gpuE4ELNS1_3repE0EEENS1_30default_config_static_selectorELNS0_4arch9wavefront6targetE0EEEvT1_.num_vgpr, 0
	.set _ZN7rocprim17ROCPRIM_400000_NS6detail17trampoline_kernelINS0_14default_configENS1_20scan_config_selectorIN3c107complexIfEEEEZZNS1_9scan_implILNS1_25lookback_scan_determinismE0ELb0ELb0ES3_PKS7_PS7_S7_ZZZN2at6native31launch_logcumsumexp_cuda_kernelERKNSE_10TensorBaseESI_lENKUlvE_clEvENKUlvE2_clEvEUlS7_S7_E_S7_EEDaPvRmT3_T4_T5_mT6_P12ihipStream_tbENKUlT_T0_E_clISt17integral_constantIbLb1EESZ_EEDaSU_SV_EUlSU_E0_NS1_11comp_targetILNS1_3genE10ELNS1_11target_archE1200ELNS1_3gpuE4ELNS1_3repE0EEENS1_30default_config_static_selectorELNS0_4arch9wavefront6targetE0EEEvT1_.num_agpr, 0
	.set _ZN7rocprim17ROCPRIM_400000_NS6detail17trampoline_kernelINS0_14default_configENS1_20scan_config_selectorIN3c107complexIfEEEEZZNS1_9scan_implILNS1_25lookback_scan_determinismE0ELb0ELb0ES3_PKS7_PS7_S7_ZZZN2at6native31launch_logcumsumexp_cuda_kernelERKNSE_10TensorBaseESI_lENKUlvE_clEvENKUlvE2_clEvEUlS7_S7_E_S7_EEDaPvRmT3_T4_T5_mT6_P12ihipStream_tbENKUlT_T0_E_clISt17integral_constantIbLb1EESZ_EEDaSU_SV_EUlSU_E0_NS1_11comp_targetILNS1_3genE10ELNS1_11target_archE1200ELNS1_3gpuE4ELNS1_3repE0EEENS1_30default_config_static_selectorELNS0_4arch9wavefront6targetE0EEEvT1_.numbered_sgpr, 0
	.set _ZN7rocprim17ROCPRIM_400000_NS6detail17trampoline_kernelINS0_14default_configENS1_20scan_config_selectorIN3c107complexIfEEEEZZNS1_9scan_implILNS1_25lookback_scan_determinismE0ELb0ELb0ES3_PKS7_PS7_S7_ZZZN2at6native31launch_logcumsumexp_cuda_kernelERKNSE_10TensorBaseESI_lENKUlvE_clEvENKUlvE2_clEvEUlS7_S7_E_S7_EEDaPvRmT3_T4_T5_mT6_P12ihipStream_tbENKUlT_T0_E_clISt17integral_constantIbLb1EESZ_EEDaSU_SV_EUlSU_E0_NS1_11comp_targetILNS1_3genE10ELNS1_11target_archE1200ELNS1_3gpuE4ELNS1_3repE0EEENS1_30default_config_static_selectorELNS0_4arch9wavefront6targetE0EEEvT1_.num_named_barrier, 0
	.set _ZN7rocprim17ROCPRIM_400000_NS6detail17trampoline_kernelINS0_14default_configENS1_20scan_config_selectorIN3c107complexIfEEEEZZNS1_9scan_implILNS1_25lookback_scan_determinismE0ELb0ELb0ES3_PKS7_PS7_S7_ZZZN2at6native31launch_logcumsumexp_cuda_kernelERKNSE_10TensorBaseESI_lENKUlvE_clEvENKUlvE2_clEvEUlS7_S7_E_S7_EEDaPvRmT3_T4_T5_mT6_P12ihipStream_tbENKUlT_T0_E_clISt17integral_constantIbLb1EESZ_EEDaSU_SV_EUlSU_E0_NS1_11comp_targetILNS1_3genE10ELNS1_11target_archE1200ELNS1_3gpuE4ELNS1_3repE0EEENS1_30default_config_static_selectorELNS0_4arch9wavefront6targetE0EEEvT1_.private_seg_size, 0
	.set _ZN7rocprim17ROCPRIM_400000_NS6detail17trampoline_kernelINS0_14default_configENS1_20scan_config_selectorIN3c107complexIfEEEEZZNS1_9scan_implILNS1_25lookback_scan_determinismE0ELb0ELb0ES3_PKS7_PS7_S7_ZZZN2at6native31launch_logcumsumexp_cuda_kernelERKNSE_10TensorBaseESI_lENKUlvE_clEvENKUlvE2_clEvEUlS7_S7_E_S7_EEDaPvRmT3_T4_T5_mT6_P12ihipStream_tbENKUlT_T0_E_clISt17integral_constantIbLb1EESZ_EEDaSU_SV_EUlSU_E0_NS1_11comp_targetILNS1_3genE10ELNS1_11target_archE1200ELNS1_3gpuE4ELNS1_3repE0EEENS1_30default_config_static_selectorELNS0_4arch9wavefront6targetE0EEEvT1_.uses_vcc, 0
	.set _ZN7rocprim17ROCPRIM_400000_NS6detail17trampoline_kernelINS0_14default_configENS1_20scan_config_selectorIN3c107complexIfEEEEZZNS1_9scan_implILNS1_25lookback_scan_determinismE0ELb0ELb0ES3_PKS7_PS7_S7_ZZZN2at6native31launch_logcumsumexp_cuda_kernelERKNSE_10TensorBaseESI_lENKUlvE_clEvENKUlvE2_clEvEUlS7_S7_E_S7_EEDaPvRmT3_T4_T5_mT6_P12ihipStream_tbENKUlT_T0_E_clISt17integral_constantIbLb1EESZ_EEDaSU_SV_EUlSU_E0_NS1_11comp_targetILNS1_3genE10ELNS1_11target_archE1200ELNS1_3gpuE4ELNS1_3repE0EEENS1_30default_config_static_selectorELNS0_4arch9wavefront6targetE0EEEvT1_.uses_flat_scratch, 0
	.set _ZN7rocprim17ROCPRIM_400000_NS6detail17trampoline_kernelINS0_14default_configENS1_20scan_config_selectorIN3c107complexIfEEEEZZNS1_9scan_implILNS1_25lookback_scan_determinismE0ELb0ELb0ES3_PKS7_PS7_S7_ZZZN2at6native31launch_logcumsumexp_cuda_kernelERKNSE_10TensorBaseESI_lENKUlvE_clEvENKUlvE2_clEvEUlS7_S7_E_S7_EEDaPvRmT3_T4_T5_mT6_P12ihipStream_tbENKUlT_T0_E_clISt17integral_constantIbLb1EESZ_EEDaSU_SV_EUlSU_E0_NS1_11comp_targetILNS1_3genE10ELNS1_11target_archE1200ELNS1_3gpuE4ELNS1_3repE0EEENS1_30default_config_static_selectorELNS0_4arch9wavefront6targetE0EEEvT1_.has_dyn_sized_stack, 0
	.set _ZN7rocprim17ROCPRIM_400000_NS6detail17trampoline_kernelINS0_14default_configENS1_20scan_config_selectorIN3c107complexIfEEEEZZNS1_9scan_implILNS1_25lookback_scan_determinismE0ELb0ELb0ES3_PKS7_PS7_S7_ZZZN2at6native31launch_logcumsumexp_cuda_kernelERKNSE_10TensorBaseESI_lENKUlvE_clEvENKUlvE2_clEvEUlS7_S7_E_S7_EEDaPvRmT3_T4_T5_mT6_P12ihipStream_tbENKUlT_T0_E_clISt17integral_constantIbLb1EESZ_EEDaSU_SV_EUlSU_E0_NS1_11comp_targetILNS1_3genE10ELNS1_11target_archE1200ELNS1_3gpuE4ELNS1_3repE0EEENS1_30default_config_static_selectorELNS0_4arch9wavefront6targetE0EEEvT1_.has_recursion, 0
	.set _ZN7rocprim17ROCPRIM_400000_NS6detail17trampoline_kernelINS0_14default_configENS1_20scan_config_selectorIN3c107complexIfEEEEZZNS1_9scan_implILNS1_25lookback_scan_determinismE0ELb0ELb0ES3_PKS7_PS7_S7_ZZZN2at6native31launch_logcumsumexp_cuda_kernelERKNSE_10TensorBaseESI_lENKUlvE_clEvENKUlvE2_clEvEUlS7_S7_E_S7_EEDaPvRmT3_T4_T5_mT6_P12ihipStream_tbENKUlT_T0_E_clISt17integral_constantIbLb1EESZ_EEDaSU_SV_EUlSU_E0_NS1_11comp_targetILNS1_3genE10ELNS1_11target_archE1200ELNS1_3gpuE4ELNS1_3repE0EEENS1_30default_config_static_selectorELNS0_4arch9wavefront6targetE0EEEvT1_.has_indirect_call, 0
	.section	.AMDGPU.csdata,"",@progbits
; Kernel info:
; codeLenInByte = 0
; TotalNumSgprs: 0
; NumVgprs: 0
; ScratchSize: 0
; MemoryBound: 0
; FloatMode: 240
; IeeeMode: 1
; LDSByteSize: 0 bytes/workgroup (compile time only)
; SGPRBlocks: 0
; VGPRBlocks: 0
; NumSGPRsForWavesPerEU: 1
; NumVGPRsForWavesPerEU: 1
; Occupancy: 16
; WaveLimiterHint : 0
; COMPUTE_PGM_RSRC2:SCRATCH_EN: 0
; COMPUTE_PGM_RSRC2:USER_SGPR: 6
; COMPUTE_PGM_RSRC2:TRAP_HANDLER: 0
; COMPUTE_PGM_RSRC2:TGID_X_EN: 1
; COMPUTE_PGM_RSRC2:TGID_Y_EN: 0
; COMPUTE_PGM_RSRC2:TGID_Z_EN: 0
; COMPUTE_PGM_RSRC2:TIDIG_COMP_CNT: 0
	.section	.text._ZN7rocprim17ROCPRIM_400000_NS6detail17trampoline_kernelINS0_14default_configENS1_20scan_config_selectorIN3c107complexIfEEEEZZNS1_9scan_implILNS1_25lookback_scan_determinismE0ELb0ELb0ES3_PKS7_PS7_S7_ZZZN2at6native31launch_logcumsumexp_cuda_kernelERKNSE_10TensorBaseESI_lENKUlvE_clEvENKUlvE2_clEvEUlS7_S7_E_S7_EEDaPvRmT3_T4_T5_mT6_P12ihipStream_tbENKUlT_T0_E_clISt17integral_constantIbLb1EESZ_EEDaSU_SV_EUlSU_E0_NS1_11comp_targetILNS1_3genE9ELNS1_11target_archE1100ELNS1_3gpuE3ELNS1_3repE0EEENS1_30default_config_static_selectorELNS0_4arch9wavefront6targetE0EEEvT1_,"axG",@progbits,_ZN7rocprim17ROCPRIM_400000_NS6detail17trampoline_kernelINS0_14default_configENS1_20scan_config_selectorIN3c107complexIfEEEEZZNS1_9scan_implILNS1_25lookback_scan_determinismE0ELb0ELb0ES3_PKS7_PS7_S7_ZZZN2at6native31launch_logcumsumexp_cuda_kernelERKNSE_10TensorBaseESI_lENKUlvE_clEvENKUlvE2_clEvEUlS7_S7_E_S7_EEDaPvRmT3_T4_T5_mT6_P12ihipStream_tbENKUlT_T0_E_clISt17integral_constantIbLb1EESZ_EEDaSU_SV_EUlSU_E0_NS1_11comp_targetILNS1_3genE9ELNS1_11target_archE1100ELNS1_3gpuE3ELNS1_3repE0EEENS1_30default_config_static_selectorELNS0_4arch9wavefront6targetE0EEEvT1_,comdat
	.globl	_ZN7rocprim17ROCPRIM_400000_NS6detail17trampoline_kernelINS0_14default_configENS1_20scan_config_selectorIN3c107complexIfEEEEZZNS1_9scan_implILNS1_25lookback_scan_determinismE0ELb0ELb0ES3_PKS7_PS7_S7_ZZZN2at6native31launch_logcumsumexp_cuda_kernelERKNSE_10TensorBaseESI_lENKUlvE_clEvENKUlvE2_clEvEUlS7_S7_E_S7_EEDaPvRmT3_T4_T5_mT6_P12ihipStream_tbENKUlT_T0_E_clISt17integral_constantIbLb1EESZ_EEDaSU_SV_EUlSU_E0_NS1_11comp_targetILNS1_3genE9ELNS1_11target_archE1100ELNS1_3gpuE3ELNS1_3repE0EEENS1_30default_config_static_selectorELNS0_4arch9wavefront6targetE0EEEvT1_ ; -- Begin function _ZN7rocprim17ROCPRIM_400000_NS6detail17trampoline_kernelINS0_14default_configENS1_20scan_config_selectorIN3c107complexIfEEEEZZNS1_9scan_implILNS1_25lookback_scan_determinismE0ELb0ELb0ES3_PKS7_PS7_S7_ZZZN2at6native31launch_logcumsumexp_cuda_kernelERKNSE_10TensorBaseESI_lENKUlvE_clEvENKUlvE2_clEvEUlS7_S7_E_S7_EEDaPvRmT3_T4_T5_mT6_P12ihipStream_tbENKUlT_T0_E_clISt17integral_constantIbLb1EESZ_EEDaSU_SV_EUlSU_E0_NS1_11comp_targetILNS1_3genE9ELNS1_11target_archE1100ELNS1_3gpuE3ELNS1_3repE0EEENS1_30default_config_static_selectorELNS0_4arch9wavefront6targetE0EEEvT1_
	.p2align	8
	.type	_ZN7rocprim17ROCPRIM_400000_NS6detail17trampoline_kernelINS0_14default_configENS1_20scan_config_selectorIN3c107complexIfEEEEZZNS1_9scan_implILNS1_25lookback_scan_determinismE0ELb0ELb0ES3_PKS7_PS7_S7_ZZZN2at6native31launch_logcumsumexp_cuda_kernelERKNSE_10TensorBaseESI_lENKUlvE_clEvENKUlvE2_clEvEUlS7_S7_E_S7_EEDaPvRmT3_T4_T5_mT6_P12ihipStream_tbENKUlT_T0_E_clISt17integral_constantIbLb1EESZ_EEDaSU_SV_EUlSU_E0_NS1_11comp_targetILNS1_3genE9ELNS1_11target_archE1100ELNS1_3gpuE3ELNS1_3repE0EEENS1_30default_config_static_selectorELNS0_4arch9wavefront6targetE0EEEvT1_,@function
_ZN7rocprim17ROCPRIM_400000_NS6detail17trampoline_kernelINS0_14default_configENS1_20scan_config_selectorIN3c107complexIfEEEEZZNS1_9scan_implILNS1_25lookback_scan_determinismE0ELb0ELb0ES3_PKS7_PS7_S7_ZZZN2at6native31launch_logcumsumexp_cuda_kernelERKNSE_10TensorBaseESI_lENKUlvE_clEvENKUlvE2_clEvEUlS7_S7_E_S7_EEDaPvRmT3_T4_T5_mT6_P12ihipStream_tbENKUlT_T0_E_clISt17integral_constantIbLb1EESZ_EEDaSU_SV_EUlSU_E0_NS1_11comp_targetILNS1_3genE9ELNS1_11target_archE1100ELNS1_3gpuE3ELNS1_3repE0EEENS1_30default_config_static_selectorELNS0_4arch9wavefront6targetE0EEEvT1_: ; @_ZN7rocprim17ROCPRIM_400000_NS6detail17trampoline_kernelINS0_14default_configENS1_20scan_config_selectorIN3c107complexIfEEEEZZNS1_9scan_implILNS1_25lookback_scan_determinismE0ELb0ELb0ES3_PKS7_PS7_S7_ZZZN2at6native31launch_logcumsumexp_cuda_kernelERKNSE_10TensorBaseESI_lENKUlvE_clEvENKUlvE2_clEvEUlS7_S7_E_S7_EEDaPvRmT3_T4_T5_mT6_P12ihipStream_tbENKUlT_T0_E_clISt17integral_constantIbLb1EESZ_EEDaSU_SV_EUlSU_E0_NS1_11comp_targetILNS1_3genE9ELNS1_11target_archE1100ELNS1_3gpuE3ELNS1_3repE0EEENS1_30default_config_static_selectorELNS0_4arch9wavefront6targetE0EEEvT1_
; %bb.0:
	.section	.rodata,"a",@progbits
	.p2align	6, 0x0
	.amdhsa_kernel _ZN7rocprim17ROCPRIM_400000_NS6detail17trampoline_kernelINS0_14default_configENS1_20scan_config_selectorIN3c107complexIfEEEEZZNS1_9scan_implILNS1_25lookback_scan_determinismE0ELb0ELb0ES3_PKS7_PS7_S7_ZZZN2at6native31launch_logcumsumexp_cuda_kernelERKNSE_10TensorBaseESI_lENKUlvE_clEvENKUlvE2_clEvEUlS7_S7_E_S7_EEDaPvRmT3_T4_T5_mT6_P12ihipStream_tbENKUlT_T0_E_clISt17integral_constantIbLb1EESZ_EEDaSU_SV_EUlSU_E0_NS1_11comp_targetILNS1_3genE9ELNS1_11target_archE1100ELNS1_3gpuE3ELNS1_3repE0EEENS1_30default_config_static_selectorELNS0_4arch9wavefront6targetE0EEEvT1_
		.amdhsa_group_segment_fixed_size 0
		.amdhsa_private_segment_fixed_size 0
		.amdhsa_kernarg_size 40
		.amdhsa_user_sgpr_count 6
		.amdhsa_user_sgpr_private_segment_buffer 1
		.amdhsa_user_sgpr_dispatch_ptr 0
		.amdhsa_user_sgpr_queue_ptr 0
		.amdhsa_user_sgpr_kernarg_segment_ptr 1
		.amdhsa_user_sgpr_dispatch_id 0
		.amdhsa_user_sgpr_flat_scratch_init 0
		.amdhsa_user_sgpr_private_segment_size 0
		.amdhsa_wavefront_size32 1
		.amdhsa_uses_dynamic_stack 0
		.amdhsa_system_sgpr_private_segment_wavefront_offset 0
		.amdhsa_system_sgpr_workgroup_id_x 1
		.amdhsa_system_sgpr_workgroup_id_y 0
		.amdhsa_system_sgpr_workgroup_id_z 0
		.amdhsa_system_sgpr_workgroup_info 0
		.amdhsa_system_vgpr_workitem_id 0
		.amdhsa_next_free_vgpr 1
		.amdhsa_next_free_sgpr 1
		.amdhsa_reserve_vcc 0
		.amdhsa_reserve_flat_scratch 0
		.amdhsa_float_round_mode_32 0
		.amdhsa_float_round_mode_16_64 0
		.amdhsa_float_denorm_mode_32 3
		.amdhsa_float_denorm_mode_16_64 3
		.amdhsa_dx10_clamp 1
		.amdhsa_ieee_mode 1
		.amdhsa_fp16_overflow 0
		.amdhsa_workgroup_processor_mode 1
		.amdhsa_memory_ordered 1
		.amdhsa_forward_progress 1
		.amdhsa_shared_vgpr_count 0
		.amdhsa_exception_fp_ieee_invalid_op 0
		.amdhsa_exception_fp_denorm_src 0
		.amdhsa_exception_fp_ieee_div_zero 0
		.amdhsa_exception_fp_ieee_overflow 0
		.amdhsa_exception_fp_ieee_underflow 0
		.amdhsa_exception_fp_ieee_inexact 0
		.amdhsa_exception_int_div_zero 0
	.end_amdhsa_kernel
	.section	.text._ZN7rocprim17ROCPRIM_400000_NS6detail17trampoline_kernelINS0_14default_configENS1_20scan_config_selectorIN3c107complexIfEEEEZZNS1_9scan_implILNS1_25lookback_scan_determinismE0ELb0ELb0ES3_PKS7_PS7_S7_ZZZN2at6native31launch_logcumsumexp_cuda_kernelERKNSE_10TensorBaseESI_lENKUlvE_clEvENKUlvE2_clEvEUlS7_S7_E_S7_EEDaPvRmT3_T4_T5_mT6_P12ihipStream_tbENKUlT_T0_E_clISt17integral_constantIbLb1EESZ_EEDaSU_SV_EUlSU_E0_NS1_11comp_targetILNS1_3genE9ELNS1_11target_archE1100ELNS1_3gpuE3ELNS1_3repE0EEENS1_30default_config_static_selectorELNS0_4arch9wavefront6targetE0EEEvT1_,"axG",@progbits,_ZN7rocprim17ROCPRIM_400000_NS6detail17trampoline_kernelINS0_14default_configENS1_20scan_config_selectorIN3c107complexIfEEEEZZNS1_9scan_implILNS1_25lookback_scan_determinismE0ELb0ELb0ES3_PKS7_PS7_S7_ZZZN2at6native31launch_logcumsumexp_cuda_kernelERKNSE_10TensorBaseESI_lENKUlvE_clEvENKUlvE2_clEvEUlS7_S7_E_S7_EEDaPvRmT3_T4_T5_mT6_P12ihipStream_tbENKUlT_T0_E_clISt17integral_constantIbLb1EESZ_EEDaSU_SV_EUlSU_E0_NS1_11comp_targetILNS1_3genE9ELNS1_11target_archE1100ELNS1_3gpuE3ELNS1_3repE0EEENS1_30default_config_static_selectorELNS0_4arch9wavefront6targetE0EEEvT1_,comdat
.Lfunc_end307:
	.size	_ZN7rocprim17ROCPRIM_400000_NS6detail17trampoline_kernelINS0_14default_configENS1_20scan_config_selectorIN3c107complexIfEEEEZZNS1_9scan_implILNS1_25lookback_scan_determinismE0ELb0ELb0ES3_PKS7_PS7_S7_ZZZN2at6native31launch_logcumsumexp_cuda_kernelERKNSE_10TensorBaseESI_lENKUlvE_clEvENKUlvE2_clEvEUlS7_S7_E_S7_EEDaPvRmT3_T4_T5_mT6_P12ihipStream_tbENKUlT_T0_E_clISt17integral_constantIbLb1EESZ_EEDaSU_SV_EUlSU_E0_NS1_11comp_targetILNS1_3genE9ELNS1_11target_archE1100ELNS1_3gpuE3ELNS1_3repE0EEENS1_30default_config_static_selectorELNS0_4arch9wavefront6targetE0EEEvT1_, .Lfunc_end307-_ZN7rocprim17ROCPRIM_400000_NS6detail17trampoline_kernelINS0_14default_configENS1_20scan_config_selectorIN3c107complexIfEEEEZZNS1_9scan_implILNS1_25lookback_scan_determinismE0ELb0ELb0ES3_PKS7_PS7_S7_ZZZN2at6native31launch_logcumsumexp_cuda_kernelERKNSE_10TensorBaseESI_lENKUlvE_clEvENKUlvE2_clEvEUlS7_S7_E_S7_EEDaPvRmT3_T4_T5_mT6_P12ihipStream_tbENKUlT_T0_E_clISt17integral_constantIbLb1EESZ_EEDaSU_SV_EUlSU_E0_NS1_11comp_targetILNS1_3genE9ELNS1_11target_archE1100ELNS1_3gpuE3ELNS1_3repE0EEENS1_30default_config_static_selectorELNS0_4arch9wavefront6targetE0EEEvT1_
                                        ; -- End function
	.set _ZN7rocprim17ROCPRIM_400000_NS6detail17trampoline_kernelINS0_14default_configENS1_20scan_config_selectorIN3c107complexIfEEEEZZNS1_9scan_implILNS1_25lookback_scan_determinismE0ELb0ELb0ES3_PKS7_PS7_S7_ZZZN2at6native31launch_logcumsumexp_cuda_kernelERKNSE_10TensorBaseESI_lENKUlvE_clEvENKUlvE2_clEvEUlS7_S7_E_S7_EEDaPvRmT3_T4_T5_mT6_P12ihipStream_tbENKUlT_T0_E_clISt17integral_constantIbLb1EESZ_EEDaSU_SV_EUlSU_E0_NS1_11comp_targetILNS1_3genE9ELNS1_11target_archE1100ELNS1_3gpuE3ELNS1_3repE0EEENS1_30default_config_static_selectorELNS0_4arch9wavefront6targetE0EEEvT1_.num_vgpr, 0
	.set _ZN7rocprim17ROCPRIM_400000_NS6detail17trampoline_kernelINS0_14default_configENS1_20scan_config_selectorIN3c107complexIfEEEEZZNS1_9scan_implILNS1_25lookback_scan_determinismE0ELb0ELb0ES3_PKS7_PS7_S7_ZZZN2at6native31launch_logcumsumexp_cuda_kernelERKNSE_10TensorBaseESI_lENKUlvE_clEvENKUlvE2_clEvEUlS7_S7_E_S7_EEDaPvRmT3_T4_T5_mT6_P12ihipStream_tbENKUlT_T0_E_clISt17integral_constantIbLb1EESZ_EEDaSU_SV_EUlSU_E0_NS1_11comp_targetILNS1_3genE9ELNS1_11target_archE1100ELNS1_3gpuE3ELNS1_3repE0EEENS1_30default_config_static_selectorELNS0_4arch9wavefront6targetE0EEEvT1_.num_agpr, 0
	.set _ZN7rocprim17ROCPRIM_400000_NS6detail17trampoline_kernelINS0_14default_configENS1_20scan_config_selectorIN3c107complexIfEEEEZZNS1_9scan_implILNS1_25lookback_scan_determinismE0ELb0ELb0ES3_PKS7_PS7_S7_ZZZN2at6native31launch_logcumsumexp_cuda_kernelERKNSE_10TensorBaseESI_lENKUlvE_clEvENKUlvE2_clEvEUlS7_S7_E_S7_EEDaPvRmT3_T4_T5_mT6_P12ihipStream_tbENKUlT_T0_E_clISt17integral_constantIbLb1EESZ_EEDaSU_SV_EUlSU_E0_NS1_11comp_targetILNS1_3genE9ELNS1_11target_archE1100ELNS1_3gpuE3ELNS1_3repE0EEENS1_30default_config_static_selectorELNS0_4arch9wavefront6targetE0EEEvT1_.numbered_sgpr, 0
	.set _ZN7rocprim17ROCPRIM_400000_NS6detail17trampoline_kernelINS0_14default_configENS1_20scan_config_selectorIN3c107complexIfEEEEZZNS1_9scan_implILNS1_25lookback_scan_determinismE0ELb0ELb0ES3_PKS7_PS7_S7_ZZZN2at6native31launch_logcumsumexp_cuda_kernelERKNSE_10TensorBaseESI_lENKUlvE_clEvENKUlvE2_clEvEUlS7_S7_E_S7_EEDaPvRmT3_T4_T5_mT6_P12ihipStream_tbENKUlT_T0_E_clISt17integral_constantIbLb1EESZ_EEDaSU_SV_EUlSU_E0_NS1_11comp_targetILNS1_3genE9ELNS1_11target_archE1100ELNS1_3gpuE3ELNS1_3repE0EEENS1_30default_config_static_selectorELNS0_4arch9wavefront6targetE0EEEvT1_.num_named_barrier, 0
	.set _ZN7rocprim17ROCPRIM_400000_NS6detail17trampoline_kernelINS0_14default_configENS1_20scan_config_selectorIN3c107complexIfEEEEZZNS1_9scan_implILNS1_25lookback_scan_determinismE0ELb0ELb0ES3_PKS7_PS7_S7_ZZZN2at6native31launch_logcumsumexp_cuda_kernelERKNSE_10TensorBaseESI_lENKUlvE_clEvENKUlvE2_clEvEUlS7_S7_E_S7_EEDaPvRmT3_T4_T5_mT6_P12ihipStream_tbENKUlT_T0_E_clISt17integral_constantIbLb1EESZ_EEDaSU_SV_EUlSU_E0_NS1_11comp_targetILNS1_3genE9ELNS1_11target_archE1100ELNS1_3gpuE3ELNS1_3repE0EEENS1_30default_config_static_selectorELNS0_4arch9wavefront6targetE0EEEvT1_.private_seg_size, 0
	.set _ZN7rocprim17ROCPRIM_400000_NS6detail17trampoline_kernelINS0_14default_configENS1_20scan_config_selectorIN3c107complexIfEEEEZZNS1_9scan_implILNS1_25lookback_scan_determinismE0ELb0ELb0ES3_PKS7_PS7_S7_ZZZN2at6native31launch_logcumsumexp_cuda_kernelERKNSE_10TensorBaseESI_lENKUlvE_clEvENKUlvE2_clEvEUlS7_S7_E_S7_EEDaPvRmT3_T4_T5_mT6_P12ihipStream_tbENKUlT_T0_E_clISt17integral_constantIbLb1EESZ_EEDaSU_SV_EUlSU_E0_NS1_11comp_targetILNS1_3genE9ELNS1_11target_archE1100ELNS1_3gpuE3ELNS1_3repE0EEENS1_30default_config_static_selectorELNS0_4arch9wavefront6targetE0EEEvT1_.uses_vcc, 0
	.set _ZN7rocprim17ROCPRIM_400000_NS6detail17trampoline_kernelINS0_14default_configENS1_20scan_config_selectorIN3c107complexIfEEEEZZNS1_9scan_implILNS1_25lookback_scan_determinismE0ELb0ELb0ES3_PKS7_PS7_S7_ZZZN2at6native31launch_logcumsumexp_cuda_kernelERKNSE_10TensorBaseESI_lENKUlvE_clEvENKUlvE2_clEvEUlS7_S7_E_S7_EEDaPvRmT3_T4_T5_mT6_P12ihipStream_tbENKUlT_T0_E_clISt17integral_constantIbLb1EESZ_EEDaSU_SV_EUlSU_E0_NS1_11comp_targetILNS1_3genE9ELNS1_11target_archE1100ELNS1_3gpuE3ELNS1_3repE0EEENS1_30default_config_static_selectorELNS0_4arch9wavefront6targetE0EEEvT1_.uses_flat_scratch, 0
	.set _ZN7rocprim17ROCPRIM_400000_NS6detail17trampoline_kernelINS0_14default_configENS1_20scan_config_selectorIN3c107complexIfEEEEZZNS1_9scan_implILNS1_25lookback_scan_determinismE0ELb0ELb0ES3_PKS7_PS7_S7_ZZZN2at6native31launch_logcumsumexp_cuda_kernelERKNSE_10TensorBaseESI_lENKUlvE_clEvENKUlvE2_clEvEUlS7_S7_E_S7_EEDaPvRmT3_T4_T5_mT6_P12ihipStream_tbENKUlT_T0_E_clISt17integral_constantIbLb1EESZ_EEDaSU_SV_EUlSU_E0_NS1_11comp_targetILNS1_3genE9ELNS1_11target_archE1100ELNS1_3gpuE3ELNS1_3repE0EEENS1_30default_config_static_selectorELNS0_4arch9wavefront6targetE0EEEvT1_.has_dyn_sized_stack, 0
	.set _ZN7rocprim17ROCPRIM_400000_NS6detail17trampoline_kernelINS0_14default_configENS1_20scan_config_selectorIN3c107complexIfEEEEZZNS1_9scan_implILNS1_25lookback_scan_determinismE0ELb0ELb0ES3_PKS7_PS7_S7_ZZZN2at6native31launch_logcumsumexp_cuda_kernelERKNSE_10TensorBaseESI_lENKUlvE_clEvENKUlvE2_clEvEUlS7_S7_E_S7_EEDaPvRmT3_T4_T5_mT6_P12ihipStream_tbENKUlT_T0_E_clISt17integral_constantIbLb1EESZ_EEDaSU_SV_EUlSU_E0_NS1_11comp_targetILNS1_3genE9ELNS1_11target_archE1100ELNS1_3gpuE3ELNS1_3repE0EEENS1_30default_config_static_selectorELNS0_4arch9wavefront6targetE0EEEvT1_.has_recursion, 0
	.set _ZN7rocprim17ROCPRIM_400000_NS6detail17trampoline_kernelINS0_14default_configENS1_20scan_config_selectorIN3c107complexIfEEEEZZNS1_9scan_implILNS1_25lookback_scan_determinismE0ELb0ELb0ES3_PKS7_PS7_S7_ZZZN2at6native31launch_logcumsumexp_cuda_kernelERKNSE_10TensorBaseESI_lENKUlvE_clEvENKUlvE2_clEvEUlS7_S7_E_S7_EEDaPvRmT3_T4_T5_mT6_P12ihipStream_tbENKUlT_T0_E_clISt17integral_constantIbLb1EESZ_EEDaSU_SV_EUlSU_E0_NS1_11comp_targetILNS1_3genE9ELNS1_11target_archE1100ELNS1_3gpuE3ELNS1_3repE0EEENS1_30default_config_static_selectorELNS0_4arch9wavefront6targetE0EEEvT1_.has_indirect_call, 0
	.section	.AMDGPU.csdata,"",@progbits
; Kernel info:
; codeLenInByte = 0
; TotalNumSgprs: 0
; NumVgprs: 0
; ScratchSize: 0
; MemoryBound: 0
; FloatMode: 240
; IeeeMode: 1
; LDSByteSize: 0 bytes/workgroup (compile time only)
; SGPRBlocks: 0
; VGPRBlocks: 0
; NumSGPRsForWavesPerEU: 1
; NumVGPRsForWavesPerEU: 1
; Occupancy: 16
; WaveLimiterHint : 0
; COMPUTE_PGM_RSRC2:SCRATCH_EN: 0
; COMPUTE_PGM_RSRC2:USER_SGPR: 6
; COMPUTE_PGM_RSRC2:TRAP_HANDLER: 0
; COMPUTE_PGM_RSRC2:TGID_X_EN: 1
; COMPUTE_PGM_RSRC2:TGID_Y_EN: 0
; COMPUTE_PGM_RSRC2:TGID_Z_EN: 0
; COMPUTE_PGM_RSRC2:TIDIG_COMP_CNT: 0
	.section	.text._ZN7rocprim17ROCPRIM_400000_NS6detail17trampoline_kernelINS0_14default_configENS1_20scan_config_selectorIN3c107complexIfEEEEZZNS1_9scan_implILNS1_25lookback_scan_determinismE0ELb0ELb0ES3_PKS7_PS7_S7_ZZZN2at6native31launch_logcumsumexp_cuda_kernelERKNSE_10TensorBaseESI_lENKUlvE_clEvENKUlvE2_clEvEUlS7_S7_E_S7_EEDaPvRmT3_T4_T5_mT6_P12ihipStream_tbENKUlT_T0_E_clISt17integral_constantIbLb1EESZ_EEDaSU_SV_EUlSU_E0_NS1_11comp_targetILNS1_3genE8ELNS1_11target_archE1030ELNS1_3gpuE2ELNS1_3repE0EEENS1_30default_config_static_selectorELNS0_4arch9wavefront6targetE0EEEvT1_,"axG",@progbits,_ZN7rocprim17ROCPRIM_400000_NS6detail17trampoline_kernelINS0_14default_configENS1_20scan_config_selectorIN3c107complexIfEEEEZZNS1_9scan_implILNS1_25lookback_scan_determinismE0ELb0ELb0ES3_PKS7_PS7_S7_ZZZN2at6native31launch_logcumsumexp_cuda_kernelERKNSE_10TensorBaseESI_lENKUlvE_clEvENKUlvE2_clEvEUlS7_S7_E_S7_EEDaPvRmT3_T4_T5_mT6_P12ihipStream_tbENKUlT_T0_E_clISt17integral_constantIbLb1EESZ_EEDaSU_SV_EUlSU_E0_NS1_11comp_targetILNS1_3genE8ELNS1_11target_archE1030ELNS1_3gpuE2ELNS1_3repE0EEENS1_30default_config_static_selectorELNS0_4arch9wavefront6targetE0EEEvT1_,comdat
	.globl	_ZN7rocprim17ROCPRIM_400000_NS6detail17trampoline_kernelINS0_14default_configENS1_20scan_config_selectorIN3c107complexIfEEEEZZNS1_9scan_implILNS1_25lookback_scan_determinismE0ELb0ELb0ES3_PKS7_PS7_S7_ZZZN2at6native31launch_logcumsumexp_cuda_kernelERKNSE_10TensorBaseESI_lENKUlvE_clEvENKUlvE2_clEvEUlS7_S7_E_S7_EEDaPvRmT3_T4_T5_mT6_P12ihipStream_tbENKUlT_T0_E_clISt17integral_constantIbLb1EESZ_EEDaSU_SV_EUlSU_E0_NS1_11comp_targetILNS1_3genE8ELNS1_11target_archE1030ELNS1_3gpuE2ELNS1_3repE0EEENS1_30default_config_static_selectorELNS0_4arch9wavefront6targetE0EEEvT1_ ; -- Begin function _ZN7rocprim17ROCPRIM_400000_NS6detail17trampoline_kernelINS0_14default_configENS1_20scan_config_selectorIN3c107complexIfEEEEZZNS1_9scan_implILNS1_25lookback_scan_determinismE0ELb0ELb0ES3_PKS7_PS7_S7_ZZZN2at6native31launch_logcumsumexp_cuda_kernelERKNSE_10TensorBaseESI_lENKUlvE_clEvENKUlvE2_clEvEUlS7_S7_E_S7_EEDaPvRmT3_T4_T5_mT6_P12ihipStream_tbENKUlT_T0_E_clISt17integral_constantIbLb1EESZ_EEDaSU_SV_EUlSU_E0_NS1_11comp_targetILNS1_3genE8ELNS1_11target_archE1030ELNS1_3gpuE2ELNS1_3repE0EEENS1_30default_config_static_selectorELNS0_4arch9wavefront6targetE0EEEvT1_
	.p2align	8
	.type	_ZN7rocprim17ROCPRIM_400000_NS6detail17trampoline_kernelINS0_14default_configENS1_20scan_config_selectorIN3c107complexIfEEEEZZNS1_9scan_implILNS1_25lookback_scan_determinismE0ELb0ELb0ES3_PKS7_PS7_S7_ZZZN2at6native31launch_logcumsumexp_cuda_kernelERKNSE_10TensorBaseESI_lENKUlvE_clEvENKUlvE2_clEvEUlS7_S7_E_S7_EEDaPvRmT3_T4_T5_mT6_P12ihipStream_tbENKUlT_T0_E_clISt17integral_constantIbLb1EESZ_EEDaSU_SV_EUlSU_E0_NS1_11comp_targetILNS1_3genE8ELNS1_11target_archE1030ELNS1_3gpuE2ELNS1_3repE0EEENS1_30default_config_static_selectorELNS0_4arch9wavefront6targetE0EEEvT1_,@function
_ZN7rocprim17ROCPRIM_400000_NS6detail17trampoline_kernelINS0_14default_configENS1_20scan_config_selectorIN3c107complexIfEEEEZZNS1_9scan_implILNS1_25lookback_scan_determinismE0ELb0ELb0ES3_PKS7_PS7_S7_ZZZN2at6native31launch_logcumsumexp_cuda_kernelERKNSE_10TensorBaseESI_lENKUlvE_clEvENKUlvE2_clEvEUlS7_S7_E_S7_EEDaPvRmT3_T4_T5_mT6_P12ihipStream_tbENKUlT_T0_E_clISt17integral_constantIbLb1EESZ_EEDaSU_SV_EUlSU_E0_NS1_11comp_targetILNS1_3genE8ELNS1_11target_archE1030ELNS1_3gpuE2ELNS1_3repE0EEENS1_30default_config_static_selectorELNS0_4arch9wavefront6targetE0EEEvT1_: ; @_ZN7rocprim17ROCPRIM_400000_NS6detail17trampoline_kernelINS0_14default_configENS1_20scan_config_selectorIN3c107complexIfEEEEZZNS1_9scan_implILNS1_25lookback_scan_determinismE0ELb0ELb0ES3_PKS7_PS7_S7_ZZZN2at6native31launch_logcumsumexp_cuda_kernelERKNSE_10TensorBaseESI_lENKUlvE_clEvENKUlvE2_clEvEUlS7_S7_E_S7_EEDaPvRmT3_T4_T5_mT6_P12ihipStream_tbENKUlT_T0_E_clISt17integral_constantIbLb1EESZ_EEDaSU_SV_EUlSU_E0_NS1_11comp_targetILNS1_3genE8ELNS1_11target_archE1030ELNS1_3gpuE2ELNS1_3repE0EEENS1_30default_config_static_selectorELNS0_4arch9wavefront6targetE0EEEvT1_
; %bb.0:
	s_load_dwordx4 s[8:11], s[4:5], 0x0
	s_add_u32 s0, s0, s7
	v_mov_b32_e32 v36, v0
	s_addc_u32 s1, s1, 0
	s_mov_b32 s32, 0
	v_lshlrev_b32_e32 v43, 3, v36
	s_waitcnt lgkmcnt(0)
	s_load_dwordx2 s[6:7], s[8:9], 0x0
	v_cmp_gt_u32_e64 s11, s10, v36
	s_waitcnt lgkmcnt(0)
	v_mov_b32_e32 v1, s7
	v_mov_b32_e32 v0, s6
	s_and_saveexec_b32 s12, s11
	s_cbranch_execz .LBB308_2
; %bb.1:
	global_load_dwordx2 v[0:1], v43, s[8:9]
.LBB308_2:
	s_or_b32 exec_lo, exec_lo, s12
	v_or_b32_e32 v8, 0x100, v36
	v_mov_b32_e32 v3, s7
	v_mov_b32_e32 v2, s6
	v_cmp_gt_u32_e64 s12, s10, v8
	s_and_saveexec_b32 s13, s12
	s_cbranch_execz .LBB308_4
; %bb.3:
	v_lshlrev_b32_e32 v2, 3, v8
	global_load_dwordx2 v[2:3], v2, s[8:9]
.LBB308_4:
	s_or_b32 exec_lo, exec_lo, s13
	v_or_b32_e32 v9, 0x200, v36
	v_mov_b32_e32 v5, s7
	v_mov_b32_e32 v4, s6
	v_cmp_gt_u32_e64 s13, s10, v9
	s_and_saveexec_b32 s14, s13
	s_cbranch_execz .LBB308_6
; %bb.5:
	v_lshlrev_b32_e32 v4, 3, v9
	global_load_dwordx2 v[4:5], v4, s[8:9]
.LBB308_6:
	s_or_b32 exec_lo, exec_lo, s14
	v_or_b32_e32 v10, 0x300, v36
	v_mov_b32_e32 v7, s7
	v_mov_b32_e32 v6, s6
	v_cmp_gt_u32_e64 s14, s10, v10
	s_and_saveexec_b32 s6, s14
	s_cbranch_execz .LBB308_8
; %bb.7:
	v_lshlrev_b32_e32 v6, 3, v10
	global_load_dwordx2 v[6:7], v6, s[8:9]
.LBB308_8:
	s_or_b32 exec_lo, exec_lo, s6
	v_lshrrev_b32_e32 v8, 2, v8
	v_lshrrev_b32_e32 v11, 2, v36
	;; [unrolled: 1-line block ×4, first 2 shown]
	v_and_b32_e32 v12, 0xf8, v36
	v_and_b32_e32 v8, 0x78, v8
	;; [unrolled: 1-line block ×5, first 2 shown]
	s_load_dwordx2 s[16:17], s[4:5], 0x20
	v_add_nc_u32_e32 v45, v8, v43
	v_lshlrev_b32_e32 v8, 5, v36
	v_add_nc_u32_e32 v44, v11, v43
	v_add_nc_u32_e32 v47, v10, v43
	;; [unrolled: 1-line block ×3, first 2 shown]
	s_waitcnt vmcnt(0)
	ds_write_b64 v44, v[0:1]
	ds_write_b64 v45, v[2:3] offset:2048
	ds_write_b64 v46, v[4:5] offset:4096
	v_add_nc_u32_e32 v48, v12, v8
	ds_write_b64 v47, v[6:7] offset:6144
	s_waitcnt lgkmcnt(0)
	s_barrier
	buffer_gl0_inv
	ds_read2_b64 v[22:25], v48 offset1:1
	ds_read2_b64 v[26:29], v48 offset0:2 offset1:3
	s_getpc_b64 s[18:19]
	s_add_u32 s18, s18, _ZZZZN2at6native31launch_logcumsumexp_cuda_kernelERKNS_10TensorBaseES3_lENKUlvE_clEvENKUlvE2_clEvENKUlN3c107complexIfEES8_E_clES8_S8_@rel32@lo+4
	s_addc_u32 s19, s19, _ZZZZN2at6native31launch_logcumsumexp_cuda_kernelERKNS_10TensorBaseES3_lENKUlvE_clEvENKUlvE2_clEvENKUlN3c107complexIfEES8_E_clES8_S8_@rel32@hi+12
	s_waitcnt lgkmcnt(0)
	s_barrier
	buffer_gl0_inv
	v_mov_b32_e32 v0, v22
	v_mov_b32_e32 v1, v23
	v_mov_b32_e32 v2, v24
	v_mov_b32_e32 v3, v25
	s_swappc_b64 s[30:31], s[18:19]
	v_mov_b32_e32 v2, v26
	v_mov_b32_e32 v3, v27
	v_mov_b32_e32 v37, v0
	v_mov_b32_e32 v38, v1
	s_swappc_b64 s[30:31], s[18:19]
	;; [unrolled: 5-line block ×3, first 2 shown]
	v_mov_b32_e32 v32, v0
	v_mov_b32_e32 v33, v1
	s_mov_b32 s15, exec_lo
	ds_write_b64 v44, v[32:33]
	s_waitcnt lgkmcnt(0)
	s_waitcnt_vscnt null, 0x0
	s_barrier
	buffer_gl0_inv
	v_cmpx_gt_u32_e32 32, v36
	s_cbranch_execz .LBB308_20
; %bb.9:
	v_lshlrev_b32_e32 v0, 1, v36
	v_lshlrev_b32_e32 v1, 6, v36
	v_and_b32_e32 v0, 0x1f8, v0
	v_add_nc_u32_e32 v49, v0, v1
	ds_read_b64 v[34:35], v49
	ds_read2_b64 v[39:42], v49 offset0:1 offset1:2
	s_waitcnt lgkmcnt(1)
	v_mov_b32_e32 v0, v34
	v_mov_b32_e32 v1, v35
	s_waitcnt lgkmcnt(0)
	v_mov_b32_e32 v2, v39
	v_mov_b32_e32 v3, v40
	s_swappc_b64 s[30:31], s[18:19]
	v_mov_b32_e32 v2, v41
	v_mov_b32_e32 v3, v42
	s_swappc_b64 s[30:31], s[18:19]
	ds_read2_b64 v[39:42], v49 offset0:3 offset1:4
	s_waitcnt lgkmcnt(0)
	v_mov_b32_e32 v2, v39
	v_mov_b32_e32 v3, v40
	s_swappc_b64 s[30:31], s[18:19]
	v_mov_b32_e32 v2, v41
	v_mov_b32_e32 v3, v42
	s_swappc_b64 s[30:31], s[18:19]
	ds_read2_b64 v[39:42], v49 offset0:5 offset1:6
	s_waitcnt lgkmcnt(0)
	v_mov_b32_e32 v2, v39
	v_mov_b32_e32 v3, v40
	s_swappc_b64 s[30:31], s[18:19]
	v_mov_b32_e32 v2, v41
	v_mov_b32_e32 v3, v42
	s_swappc_b64 s[30:31], s[18:19]
	ds_read_b64 v[2:3], v49 offset:56
	s_swappc_b64 s[30:31], s[18:19]
	v_mov_b32_e32 v2, v0
	v_mov_b32_e32 v3, v1
	v_mbcnt_lo_u32_b32 v39, -1, 0
	s_mov_b32 s18, exec_lo
	v_mov_b32_dpp v0, v2 row_shr:1 row_mask:0xf bank_mask:0xf
	v_mov_b32_dpp v1, v3 row_shr:1 row_mask:0xf bank_mask:0xf
	v_and_b32_e32 v40, 15, v39
	v_cmpx_ne_u32_e32 0, v40
	s_cbranch_execz .LBB308_11
; %bb.10:
	s_getpc_b64 s[4:5]
	s_add_u32 s4, s4, _ZZZZN2at6native31launch_logcumsumexp_cuda_kernelERKNS_10TensorBaseES3_lENKUlvE_clEvENKUlvE2_clEvENKUlN3c107complexIfEES8_E_clES8_S8_@rel32@lo+4
	s_addc_u32 s5, s5, _ZZZZN2at6native31launch_logcumsumexp_cuda_kernelERKNS_10TensorBaseES3_lENKUlvE_clEvENKUlvE2_clEvENKUlN3c107complexIfEES8_E_clES8_S8_@rel32@hi+12
	s_swappc_b64 s[30:31], s[4:5]
	v_mov_b32_e32 v2, v0
	v_mov_b32_e32 v3, v1
.LBB308_11:
	s_or_b32 exec_lo, exec_lo, s18
	v_mov_b32_dpp v0, v2 row_shr:2 row_mask:0xf bank_mask:0xf
	v_mov_b32_dpp v1, v3 row_shr:2 row_mask:0xf bank_mask:0xf
	s_mov_b32 s18, exec_lo
	v_cmpx_lt_u32_e32 1, v40
	s_cbranch_execz .LBB308_13
; %bb.12:
	s_getpc_b64 s[4:5]
	s_add_u32 s4, s4, _ZZZZN2at6native31launch_logcumsumexp_cuda_kernelERKNS_10TensorBaseES3_lENKUlvE_clEvENKUlvE2_clEvENKUlN3c107complexIfEES8_E_clES8_S8_@rel32@lo+4
	s_addc_u32 s5, s5, _ZZZZN2at6native31launch_logcumsumexp_cuda_kernelERKNS_10TensorBaseES3_lENKUlvE_clEvENKUlvE2_clEvENKUlN3c107complexIfEES8_E_clES8_S8_@rel32@hi+12
	s_swappc_b64 s[30:31], s[4:5]
	v_mov_b32_e32 v2, v0
	v_mov_b32_e32 v3, v1
.LBB308_13:
	s_or_b32 exec_lo, exec_lo, s18
	v_mov_b32_dpp v0, v2 row_shr:4 row_mask:0xf bank_mask:0xf
	v_mov_b32_dpp v1, v3 row_shr:4 row_mask:0xf bank_mask:0xf
	s_mov_b32 s18, exec_lo
	v_cmpx_lt_u32_e32 3, v40
	;; [unrolled: 14-line block ×3, first 2 shown]
	s_cbranch_execz .LBB308_17
; %bb.16:
	s_getpc_b64 s[4:5]
	s_add_u32 s4, s4, _ZZZZN2at6native31launch_logcumsumexp_cuda_kernelERKNS_10TensorBaseES3_lENKUlvE_clEvENKUlvE2_clEvENKUlN3c107complexIfEES8_E_clES8_S8_@rel32@lo+4
	s_addc_u32 s5, s5, _ZZZZN2at6native31launch_logcumsumexp_cuda_kernelERKNS_10TensorBaseES3_lENKUlvE_clEvENKUlvE2_clEvENKUlN3c107complexIfEES8_E_clES8_S8_@rel32@hi+12
	s_swappc_b64 s[30:31], s[4:5]
	v_mov_b32_e32 v2, v0
	v_mov_b32_e32 v3, v1
.LBB308_17:
	s_or_b32 exec_lo, exec_lo, s18
	ds_swizzle_b32 v0, v2 offset:swizzle(BROADCAST,32,15)
	ds_swizzle_b32 v1, v3 offset:swizzle(BROADCAST,32,15)
	v_and_b32_e32 v4, 16, v39
	s_mov_b32 s18, exec_lo
	v_cmpx_ne_u32_e32 0, v4
	s_cbranch_execz .LBB308_19
; %bb.18:
	s_getpc_b64 s[4:5]
	s_add_u32 s4, s4, _ZZZZN2at6native31launch_logcumsumexp_cuda_kernelERKNS_10TensorBaseES3_lENKUlvE_clEvENKUlvE2_clEvENKUlN3c107complexIfEES8_E_clES8_S8_@rel32@lo+4
	s_addc_u32 s5, s5, _ZZZZN2at6native31launch_logcumsumexp_cuda_kernelERKNS_10TensorBaseES3_lENKUlvE_clEvENKUlvE2_clEvENKUlN3c107complexIfEES8_E_clES8_S8_@rel32@hi+12
	s_swappc_b64 s[30:31], s[4:5]
	v_mov_b32_e32 v2, v0
	v_mov_b32_e32 v3, v1
.LBB308_19:
	s_or_b32 exec_lo, exec_lo, s18
	s_waitcnt lgkmcnt(1)
	v_add_nc_u32_e32 v0, -1, v39
	s_getpc_b64 s[18:19]
	s_add_u32 s18, s18, _ZZZZN2at6native31launch_logcumsumexp_cuda_kernelERKNS_10TensorBaseES3_lENKUlvE_clEvENKUlvE2_clEvENKUlN3c107complexIfEES8_E_clES8_S8_@rel32@lo+4
	s_addc_u32 s19, s19, _ZZZZN2at6native31launch_logcumsumexp_cuda_kernelERKNS_10TensorBaseES3_lENKUlvE_clEvENKUlvE2_clEvENKUlN3c107complexIfEES8_E_clES8_S8_@rel32@hi+12
	v_cmp_gt_i32_e32 vcc_lo, 0, v0
	v_cndmask_b32_e32 v0, v0, v39, vcc_lo
	s_waitcnt lgkmcnt(0)
	v_lshlrev_b32_e32 v1, 2, v0
	ds_bpermute_b32 v0, v1, v2
	ds_bpermute_b32 v1, v1, v3
	v_mov_b32_e32 v2, v34
	v_mov_b32_e32 v3, v35
	s_swappc_b64 s[30:31], s[18:19]
	v_cmp_eq_u32_e32 vcc_lo, 0, v36
	; wave barrier
	v_cndmask_b32_e32 v0, v0, v32, vcc_lo
	v_cndmask_b32_e32 v1, v1, v33, vcc_lo
	ds_write_b64 v49, v[0:1]
	; wave barrier
	ds_read2_b64 v[39:42], v49 offset0:1 offset1:2
	s_waitcnt lgkmcnt(0)
	v_mov_b32_e32 v2, v39
	v_mov_b32_e32 v3, v40
	s_swappc_b64 s[30:31], s[18:19]
	v_mov_b32_e32 v2, v41
	v_mov_b32_e32 v3, v42
	;; [unrolled: 1-line block ×4, first 2 shown]
	s_swappc_b64 s[30:31], s[18:19]
	ds_read2_b64 v[39:42], v49 offset0:3 offset1:4
	ds_write2_b64 v49, v[34:35], v[0:1] offset0:1 offset1:2
	s_waitcnt lgkmcnt(1)
	v_mov_b32_e32 v2, v39
	v_mov_b32_e32 v3, v40
	s_swappc_b64 s[30:31], s[18:19]
	v_mov_b32_e32 v2, v41
	v_mov_b32_e32 v3, v42
	;; [unrolled: 1-line block ×4, first 2 shown]
	s_swappc_b64 s[30:31], s[18:19]
	ds_read2_b64 v[39:42], v49 offset0:5 offset1:6
	ds_write2_b64 v49, v[34:35], v[0:1] offset0:3 offset1:4
	s_waitcnt lgkmcnt(1)
	v_mov_b32_e32 v2, v39
	v_mov_b32_e32 v3, v40
	s_swappc_b64 s[30:31], s[18:19]
	v_mov_b32_e32 v2, v41
	v_mov_b32_e32 v3, v42
	;; [unrolled: 1-line block ×4, first 2 shown]
	s_swappc_b64 s[30:31], s[18:19]
	ds_read_b64 v[2:3], v49 offset:56
	ds_write2_b64 v49, v[34:35], v[0:1] offset0:5 offset1:6
	s_swappc_b64 s[30:31], s[18:19]
	ds_write_b64 v49, v[0:1] offset:56
.LBB308_20:
	s_or_b32 exec_lo, exec_lo, s15
	s_mov_b32 s15, exec_lo
	s_waitcnt lgkmcnt(0)
	s_waitcnt_vscnt null, 0x0
	s_barrier
	buffer_gl0_inv
	v_cmpx_ne_u32_e32 0, v36
	s_cbranch_execz .LBB308_22
; %bb.21:
	v_add_nc_u32_e32 v0, -1, v36
	v_mov_b32_e32 v2, v22
	v_mov_b32_e32 v3, v23
	s_getpc_b64 s[18:19]
	s_add_u32 s18, s18, _ZZZZN2at6native31launch_logcumsumexp_cuda_kernelERKNS_10TensorBaseES3_lENKUlvE_clEvENKUlvE2_clEvENKUlN3c107complexIfEES8_E_clES8_S8_@rel32@lo+4
	s_addc_u32 s19, s19, _ZZZZN2at6native31launch_logcumsumexp_cuda_kernelERKNS_10TensorBaseES3_lENKUlvE_clEvENKUlvE2_clEvENKUlN3c107complexIfEES8_E_clES8_S8_@rel32@hi+12
	v_lshrrev_b32_e32 v1, 2, v0
	v_and_b32_e32 v1, 0x3ffffff8, v1
	v_lshl_add_u32 v0, v0, 3, v1
	ds_read_b64 v[0:1], v0
	s_swappc_b64 s[30:31], s[18:19]
	v_mov_b32_e32 v2, v24
	v_mov_b32_e32 v3, v25
	;; [unrolled: 1-line block ×4, first 2 shown]
	;;#ASMSTART
	;;#ASMEND
	s_swappc_b64 s[30:31], s[18:19]
	v_mov_b32_e32 v2, v26
	v_mov_b32_e32 v3, v27
	;; [unrolled: 1-line block ×4, first 2 shown]
	s_swappc_b64 s[30:31], s[18:19]
	v_mov_b32_e32 v2, v28
	v_mov_b32_e32 v3, v29
	v_mov_b32_e32 v30, v0
	v_mov_b32_e32 v31, v1
	s_swappc_b64 s[30:31], s[18:19]
	v_mov_b32_e32 v32, v0
	v_mov_b32_e32 v33, v1
.LBB308_22:
	s_or_b32 exec_lo, exec_lo, s15
	v_mov_b32_e32 v0, v37
	v_mov_b32_e32 v1, v38
	s_waitcnt_vscnt null, 0x0
	s_barrier
	buffer_gl0_inv
	ds_write2_b64 v48, v[22:23], v[0:1] offset1:1
	ds_write2_b64 v48, v[30:31], v[32:33] offset0:2 offset1:3
	s_waitcnt lgkmcnt(0)
	s_barrier
	buffer_gl0_inv
	ds_read_b64 v[6:7], v45 offset:2048
	ds_read_b64 v[4:5], v46 offset:4096
	;; [unrolled: 1-line block ×3, first 2 shown]
	v_add_co_u32 v2, s4, s16, v43
	v_add_co_ci_u32_e64 v3, null, s17, 0, s4
	s_and_saveexec_b32 s4, s11
	s_cbranch_execnz .LBB308_27
; %bb.23:
	s_or_b32 exec_lo, exec_lo, s4
	s_and_saveexec_b32 s4, s12
	s_cbranch_execnz .LBB308_28
.LBB308_24:
	s_or_b32 exec_lo, exec_lo, s4
	s_and_saveexec_b32 s4, s13
	s_cbranch_execnz .LBB308_29
.LBB308_25:
	s_or_b32 exec_lo, exec_lo, s4
	s_and_saveexec_b32 s4, s14
	s_cbranch_execnz .LBB308_30
.LBB308_26:
	s_endpgm
.LBB308_27:
	ds_read_b64 v[8:9], v44
	s_waitcnt lgkmcnt(0)
	global_store_dwordx2 v[2:3], v[8:9], off
	s_or_b32 exec_lo, exec_lo, s4
	s_and_saveexec_b32 s4, s12
	s_cbranch_execz .LBB308_24
.LBB308_28:
	v_add_co_u32 v8, vcc_lo, 0x800, v2
	v_add_co_ci_u32_e64 v9, null, 0, v3, vcc_lo
	s_waitcnt lgkmcnt(2)
	global_store_dwordx2 v[8:9], v[6:7], off
	s_or_b32 exec_lo, exec_lo, s4
	s_and_saveexec_b32 s4, s13
	s_cbranch_execz .LBB308_25
.LBB308_29:
	s_waitcnt lgkmcnt(2)
	v_add_co_u32 v6, vcc_lo, 0x1000, v2
	v_add_co_ci_u32_e64 v7, null, 0, v3, vcc_lo
	s_waitcnt lgkmcnt(1)
	global_store_dwordx2 v[6:7], v[4:5], off
	s_or_b32 exec_lo, exec_lo, s4
	s_and_saveexec_b32 s4, s14
	s_cbranch_execz .LBB308_26
.LBB308_30:
	v_add_co_u32 v2, vcc_lo, 0x1800, v2
	v_add_co_ci_u32_e64 v3, null, 0, v3, vcc_lo
	s_waitcnt lgkmcnt(0)
	global_store_dwordx2 v[2:3], v[0:1], off
	s_endpgm
	.section	.rodata,"a",@progbits
	.p2align	6, 0x0
	.amdhsa_kernel _ZN7rocprim17ROCPRIM_400000_NS6detail17trampoline_kernelINS0_14default_configENS1_20scan_config_selectorIN3c107complexIfEEEEZZNS1_9scan_implILNS1_25lookback_scan_determinismE0ELb0ELb0ES3_PKS7_PS7_S7_ZZZN2at6native31launch_logcumsumexp_cuda_kernelERKNSE_10TensorBaseESI_lENKUlvE_clEvENKUlvE2_clEvEUlS7_S7_E_S7_EEDaPvRmT3_T4_T5_mT6_P12ihipStream_tbENKUlT_T0_E_clISt17integral_constantIbLb1EESZ_EEDaSU_SV_EUlSU_E0_NS1_11comp_targetILNS1_3genE8ELNS1_11target_archE1030ELNS1_3gpuE2ELNS1_3repE0EEENS1_30default_config_static_selectorELNS0_4arch9wavefront6targetE0EEEvT1_
		.amdhsa_group_segment_fixed_size 8448
		.amdhsa_private_segment_fixed_size 0
		.amdhsa_kernarg_size 40
		.amdhsa_user_sgpr_count 6
		.amdhsa_user_sgpr_private_segment_buffer 1
		.amdhsa_user_sgpr_dispatch_ptr 0
		.amdhsa_user_sgpr_queue_ptr 0
		.amdhsa_user_sgpr_kernarg_segment_ptr 1
		.amdhsa_user_sgpr_dispatch_id 0
		.amdhsa_user_sgpr_flat_scratch_init 0
		.amdhsa_user_sgpr_private_segment_size 0
		.amdhsa_wavefront_size32 1
		.amdhsa_uses_dynamic_stack 0
		.amdhsa_system_sgpr_private_segment_wavefront_offset 0
		.amdhsa_system_sgpr_workgroup_id_x 1
		.amdhsa_system_sgpr_workgroup_id_y 0
		.amdhsa_system_sgpr_workgroup_id_z 0
		.amdhsa_system_sgpr_workgroup_info 0
		.amdhsa_system_vgpr_workitem_id 0
		.amdhsa_next_free_vgpr 50
		.amdhsa_next_free_sgpr 33
		.amdhsa_reserve_vcc 1
		.amdhsa_reserve_flat_scratch 0
		.amdhsa_float_round_mode_32 0
		.amdhsa_float_round_mode_16_64 0
		.amdhsa_float_denorm_mode_32 3
		.amdhsa_float_denorm_mode_16_64 3
		.amdhsa_dx10_clamp 1
		.amdhsa_ieee_mode 1
		.amdhsa_fp16_overflow 0
		.amdhsa_workgroup_processor_mode 1
		.amdhsa_memory_ordered 1
		.amdhsa_forward_progress 1
		.amdhsa_shared_vgpr_count 0
		.amdhsa_exception_fp_ieee_invalid_op 0
		.amdhsa_exception_fp_denorm_src 0
		.amdhsa_exception_fp_ieee_div_zero 0
		.amdhsa_exception_fp_ieee_overflow 0
		.amdhsa_exception_fp_ieee_underflow 0
		.amdhsa_exception_fp_ieee_inexact 0
		.amdhsa_exception_int_div_zero 0
	.end_amdhsa_kernel
	.section	.text._ZN7rocprim17ROCPRIM_400000_NS6detail17trampoline_kernelINS0_14default_configENS1_20scan_config_selectorIN3c107complexIfEEEEZZNS1_9scan_implILNS1_25lookback_scan_determinismE0ELb0ELb0ES3_PKS7_PS7_S7_ZZZN2at6native31launch_logcumsumexp_cuda_kernelERKNSE_10TensorBaseESI_lENKUlvE_clEvENKUlvE2_clEvEUlS7_S7_E_S7_EEDaPvRmT3_T4_T5_mT6_P12ihipStream_tbENKUlT_T0_E_clISt17integral_constantIbLb1EESZ_EEDaSU_SV_EUlSU_E0_NS1_11comp_targetILNS1_3genE8ELNS1_11target_archE1030ELNS1_3gpuE2ELNS1_3repE0EEENS1_30default_config_static_selectorELNS0_4arch9wavefront6targetE0EEEvT1_,"axG",@progbits,_ZN7rocprim17ROCPRIM_400000_NS6detail17trampoline_kernelINS0_14default_configENS1_20scan_config_selectorIN3c107complexIfEEEEZZNS1_9scan_implILNS1_25lookback_scan_determinismE0ELb0ELb0ES3_PKS7_PS7_S7_ZZZN2at6native31launch_logcumsumexp_cuda_kernelERKNSE_10TensorBaseESI_lENKUlvE_clEvENKUlvE2_clEvEUlS7_S7_E_S7_EEDaPvRmT3_T4_T5_mT6_P12ihipStream_tbENKUlT_T0_E_clISt17integral_constantIbLb1EESZ_EEDaSU_SV_EUlSU_E0_NS1_11comp_targetILNS1_3genE8ELNS1_11target_archE1030ELNS1_3gpuE2ELNS1_3repE0EEENS1_30default_config_static_selectorELNS0_4arch9wavefront6targetE0EEEvT1_,comdat
.Lfunc_end308:
	.size	_ZN7rocprim17ROCPRIM_400000_NS6detail17trampoline_kernelINS0_14default_configENS1_20scan_config_selectorIN3c107complexIfEEEEZZNS1_9scan_implILNS1_25lookback_scan_determinismE0ELb0ELb0ES3_PKS7_PS7_S7_ZZZN2at6native31launch_logcumsumexp_cuda_kernelERKNSE_10TensorBaseESI_lENKUlvE_clEvENKUlvE2_clEvEUlS7_S7_E_S7_EEDaPvRmT3_T4_T5_mT6_P12ihipStream_tbENKUlT_T0_E_clISt17integral_constantIbLb1EESZ_EEDaSU_SV_EUlSU_E0_NS1_11comp_targetILNS1_3genE8ELNS1_11target_archE1030ELNS1_3gpuE2ELNS1_3repE0EEENS1_30default_config_static_selectorELNS0_4arch9wavefront6targetE0EEEvT1_, .Lfunc_end308-_ZN7rocprim17ROCPRIM_400000_NS6detail17trampoline_kernelINS0_14default_configENS1_20scan_config_selectorIN3c107complexIfEEEEZZNS1_9scan_implILNS1_25lookback_scan_determinismE0ELb0ELb0ES3_PKS7_PS7_S7_ZZZN2at6native31launch_logcumsumexp_cuda_kernelERKNSE_10TensorBaseESI_lENKUlvE_clEvENKUlvE2_clEvEUlS7_S7_E_S7_EEDaPvRmT3_T4_T5_mT6_P12ihipStream_tbENKUlT_T0_E_clISt17integral_constantIbLb1EESZ_EEDaSU_SV_EUlSU_E0_NS1_11comp_targetILNS1_3genE8ELNS1_11target_archE1030ELNS1_3gpuE2ELNS1_3repE0EEENS1_30default_config_static_selectorELNS0_4arch9wavefront6targetE0EEEvT1_
                                        ; -- End function
	.set _ZN7rocprim17ROCPRIM_400000_NS6detail17trampoline_kernelINS0_14default_configENS1_20scan_config_selectorIN3c107complexIfEEEEZZNS1_9scan_implILNS1_25lookback_scan_determinismE0ELb0ELb0ES3_PKS7_PS7_S7_ZZZN2at6native31launch_logcumsumexp_cuda_kernelERKNSE_10TensorBaseESI_lENKUlvE_clEvENKUlvE2_clEvEUlS7_S7_E_S7_EEDaPvRmT3_T4_T5_mT6_P12ihipStream_tbENKUlT_T0_E_clISt17integral_constantIbLb1EESZ_EEDaSU_SV_EUlSU_E0_NS1_11comp_targetILNS1_3genE8ELNS1_11target_archE1030ELNS1_3gpuE2ELNS1_3repE0EEENS1_30default_config_static_selectorELNS0_4arch9wavefront6targetE0EEEvT1_.num_vgpr, max(50, .L_ZZZZN2at6native31launch_logcumsumexp_cuda_kernelERKNS_10TensorBaseES3_lENKUlvE_clEvENKUlvE2_clEvENKUlN3c107complexIfEES8_E_clES8_S8_.num_vgpr)
	.set _ZN7rocprim17ROCPRIM_400000_NS6detail17trampoline_kernelINS0_14default_configENS1_20scan_config_selectorIN3c107complexIfEEEEZZNS1_9scan_implILNS1_25lookback_scan_determinismE0ELb0ELb0ES3_PKS7_PS7_S7_ZZZN2at6native31launch_logcumsumexp_cuda_kernelERKNSE_10TensorBaseESI_lENKUlvE_clEvENKUlvE2_clEvEUlS7_S7_E_S7_EEDaPvRmT3_T4_T5_mT6_P12ihipStream_tbENKUlT_T0_E_clISt17integral_constantIbLb1EESZ_EEDaSU_SV_EUlSU_E0_NS1_11comp_targetILNS1_3genE8ELNS1_11target_archE1030ELNS1_3gpuE2ELNS1_3repE0EEENS1_30default_config_static_selectorELNS0_4arch9wavefront6targetE0EEEvT1_.num_agpr, max(0, .L_ZZZZN2at6native31launch_logcumsumexp_cuda_kernelERKNS_10TensorBaseES3_lENKUlvE_clEvENKUlvE2_clEvENKUlN3c107complexIfEES8_E_clES8_S8_.num_agpr)
	.set _ZN7rocprim17ROCPRIM_400000_NS6detail17trampoline_kernelINS0_14default_configENS1_20scan_config_selectorIN3c107complexIfEEEEZZNS1_9scan_implILNS1_25lookback_scan_determinismE0ELb0ELb0ES3_PKS7_PS7_S7_ZZZN2at6native31launch_logcumsumexp_cuda_kernelERKNSE_10TensorBaseESI_lENKUlvE_clEvENKUlvE2_clEvEUlS7_S7_E_S7_EEDaPvRmT3_T4_T5_mT6_P12ihipStream_tbENKUlT_T0_E_clISt17integral_constantIbLb1EESZ_EEDaSU_SV_EUlSU_E0_NS1_11comp_targetILNS1_3genE8ELNS1_11target_archE1030ELNS1_3gpuE2ELNS1_3repE0EEENS1_30default_config_static_selectorELNS0_4arch9wavefront6targetE0EEEvT1_.numbered_sgpr, max(33, .L_ZZZZN2at6native31launch_logcumsumexp_cuda_kernelERKNS_10TensorBaseES3_lENKUlvE_clEvENKUlvE2_clEvENKUlN3c107complexIfEES8_E_clES8_S8_.numbered_sgpr)
	.set _ZN7rocprim17ROCPRIM_400000_NS6detail17trampoline_kernelINS0_14default_configENS1_20scan_config_selectorIN3c107complexIfEEEEZZNS1_9scan_implILNS1_25lookback_scan_determinismE0ELb0ELb0ES3_PKS7_PS7_S7_ZZZN2at6native31launch_logcumsumexp_cuda_kernelERKNSE_10TensorBaseESI_lENKUlvE_clEvENKUlvE2_clEvEUlS7_S7_E_S7_EEDaPvRmT3_T4_T5_mT6_P12ihipStream_tbENKUlT_T0_E_clISt17integral_constantIbLb1EESZ_EEDaSU_SV_EUlSU_E0_NS1_11comp_targetILNS1_3genE8ELNS1_11target_archE1030ELNS1_3gpuE2ELNS1_3repE0EEENS1_30default_config_static_selectorELNS0_4arch9wavefront6targetE0EEEvT1_.num_named_barrier, max(0, .L_ZZZZN2at6native31launch_logcumsumexp_cuda_kernelERKNS_10TensorBaseES3_lENKUlvE_clEvENKUlvE2_clEvENKUlN3c107complexIfEES8_E_clES8_S8_.num_named_barrier)
	.set _ZN7rocprim17ROCPRIM_400000_NS6detail17trampoline_kernelINS0_14default_configENS1_20scan_config_selectorIN3c107complexIfEEEEZZNS1_9scan_implILNS1_25lookback_scan_determinismE0ELb0ELb0ES3_PKS7_PS7_S7_ZZZN2at6native31launch_logcumsumexp_cuda_kernelERKNSE_10TensorBaseESI_lENKUlvE_clEvENKUlvE2_clEvEUlS7_S7_E_S7_EEDaPvRmT3_T4_T5_mT6_P12ihipStream_tbENKUlT_T0_E_clISt17integral_constantIbLb1EESZ_EEDaSU_SV_EUlSU_E0_NS1_11comp_targetILNS1_3genE8ELNS1_11target_archE1030ELNS1_3gpuE2ELNS1_3repE0EEENS1_30default_config_static_selectorELNS0_4arch9wavefront6targetE0EEEvT1_.private_seg_size, 0+max(.L_ZZZZN2at6native31launch_logcumsumexp_cuda_kernelERKNS_10TensorBaseES3_lENKUlvE_clEvENKUlvE2_clEvENKUlN3c107complexIfEES8_E_clES8_S8_.private_seg_size)
	.set _ZN7rocprim17ROCPRIM_400000_NS6detail17trampoline_kernelINS0_14default_configENS1_20scan_config_selectorIN3c107complexIfEEEEZZNS1_9scan_implILNS1_25lookback_scan_determinismE0ELb0ELb0ES3_PKS7_PS7_S7_ZZZN2at6native31launch_logcumsumexp_cuda_kernelERKNSE_10TensorBaseESI_lENKUlvE_clEvENKUlvE2_clEvEUlS7_S7_E_S7_EEDaPvRmT3_T4_T5_mT6_P12ihipStream_tbENKUlT_T0_E_clISt17integral_constantIbLb1EESZ_EEDaSU_SV_EUlSU_E0_NS1_11comp_targetILNS1_3genE8ELNS1_11target_archE1030ELNS1_3gpuE2ELNS1_3repE0EEENS1_30default_config_static_selectorELNS0_4arch9wavefront6targetE0EEEvT1_.uses_vcc, or(1, .L_ZZZZN2at6native31launch_logcumsumexp_cuda_kernelERKNS_10TensorBaseES3_lENKUlvE_clEvENKUlvE2_clEvENKUlN3c107complexIfEES8_E_clES8_S8_.uses_vcc)
	.set _ZN7rocprim17ROCPRIM_400000_NS6detail17trampoline_kernelINS0_14default_configENS1_20scan_config_selectorIN3c107complexIfEEEEZZNS1_9scan_implILNS1_25lookback_scan_determinismE0ELb0ELb0ES3_PKS7_PS7_S7_ZZZN2at6native31launch_logcumsumexp_cuda_kernelERKNSE_10TensorBaseESI_lENKUlvE_clEvENKUlvE2_clEvEUlS7_S7_E_S7_EEDaPvRmT3_T4_T5_mT6_P12ihipStream_tbENKUlT_T0_E_clISt17integral_constantIbLb1EESZ_EEDaSU_SV_EUlSU_E0_NS1_11comp_targetILNS1_3genE8ELNS1_11target_archE1030ELNS1_3gpuE2ELNS1_3repE0EEENS1_30default_config_static_selectorELNS0_4arch9wavefront6targetE0EEEvT1_.uses_flat_scratch, or(0, .L_ZZZZN2at6native31launch_logcumsumexp_cuda_kernelERKNS_10TensorBaseES3_lENKUlvE_clEvENKUlvE2_clEvENKUlN3c107complexIfEES8_E_clES8_S8_.uses_flat_scratch)
	.set _ZN7rocprim17ROCPRIM_400000_NS6detail17trampoline_kernelINS0_14default_configENS1_20scan_config_selectorIN3c107complexIfEEEEZZNS1_9scan_implILNS1_25lookback_scan_determinismE0ELb0ELb0ES3_PKS7_PS7_S7_ZZZN2at6native31launch_logcumsumexp_cuda_kernelERKNSE_10TensorBaseESI_lENKUlvE_clEvENKUlvE2_clEvEUlS7_S7_E_S7_EEDaPvRmT3_T4_T5_mT6_P12ihipStream_tbENKUlT_T0_E_clISt17integral_constantIbLb1EESZ_EEDaSU_SV_EUlSU_E0_NS1_11comp_targetILNS1_3genE8ELNS1_11target_archE1030ELNS1_3gpuE2ELNS1_3repE0EEENS1_30default_config_static_selectorELNS0_4arch9wavefront6targetE0EEEvT1_.has_dyn_sized_stack, or(0, .L_ZZZZN2at6native31launch_logcumsumexp_cuda_kernelERKNS_10TensorBaseES3_lENKUlvE_clEvENKUlvE2_clEvENKUlN3c107complexIfEES8_E_clES8_S8_.has_dyn_sized_stack)
	.set _ZN7rocprim17ROCPRIM_400000_NS6detail17trampoline_kernelINS0_14default_configENS1_20scan_config_selectorIN3c107complexIfEEEEZZNS1_9scan_implILNS1_25lookback_scan_determinismE0ELb0ELb0ES3_PKS7_PS7_S7_ZZZN2at6native31launch_logcumsumexp_cuda_kernelERKNSE_10TensorBaseESI_lENKUlvE_clEvENKUlvE2_clEvEUlS7_S7_E_S7_EEDaPvRmT3_T4_T5_mT6_P12ihipStream_tbENKUlT_T0_E_clISt17integral_constantIbLb1EESZ_EEDaSU_SV_EUlSU_E0_NS1_11comp_targetILNS1_3genE8ELNS1_11target_archE1030ELNS1_3gpuE2ELNS1_3repE0EEENS1_30default_config_static_selectorELNS0_4arch9wavefront6targetE0EEEvT1_.has_recursion, or(0, .L_ZZZZN2at6native31launch_logcumsumexp_cuda_kernelERKNS_10TensorBaseES3_lENKUlvE_clEvENKUlvE2_clEvENKUlN3c107complexIfEES8_E_clES8_S8_.has_recursion)
	.set _ZN7rocprim17ROCPRIM_400000_NS6detail17trampoline_kernelINS0_14default_configENS1_20scan_config_selectorIN3c107complexIfEEEEZZNS1_9scan_implILNS1_25lookback_scan_determinismE0ELb0ELb0ES3_PKS7_PS7_S7_ZZZN2at6native31launch_logcumsumexp_cuda_kernelERKNSE_10TensorBaseESI_lENKUlvE_clEvENKUlvE2_clEvEUlS7_S7_E_S7_EEDaPvRmT3_T4_T5_mT6_P12ihipStream_tbENKUlT_T0_E_clISt17integral_constantIbLb1EESZ_EEDaSU_SV_EUlSU_E0_NS1_11comp_targetILNS1_3genE8ELNS1_11target_archE1030ELNS1_3gpuE2ELNS1_3repE0EEENS1_30default_config_static_selectorELNS0_4arch9wavefront6targetE0EEEvT1_.has_indirect_call, or(0, .L_ZZZZN2at6native31launch_logcumsumexp_cuda_kernelERKNS_10TensorBaseES3_lENKUlvE_clEvENKUlvE2_clEvENKUlN3c107complexIfEES8_E_clES8_S8_.has_indirect_call)
	.section	.AMDGPU.csdata,"",@progbits
; Kernel info:
; codeLenInByte = 1768
; TotalNumSgprs: 35
; NumVgprs: 50
; ScratchSize: 0
; MemoryBound: 0
; FloatMode: 240
; IeeeMode: 1
; LDSByteSize: 8448 bytes/workgroup (compile time only)
; SGPRBlocks: 0
; VGPRBlocks: 6
; NumSGPRsForWavesPerEU: 35
; NumVGPRsForWavesPerEU: 50
; Occupancy: 16
; WaveLimiterHint : 0
; COMPUTE_PGM_RSRC2:SCRATCH_EN: 0
; COMPUTE_PGM_RSRC2:USER_SGPR: 6
; COMPUTE_PGM_RSRC2:TRAP_HANDLER: 0
; COMPUTE_PGM_RSRC2:TGID_X_EN: 1
; COMPUTE_PGM_RSRC2:TGID_Y_EN: 0
; COMPUTE_PGM_RSRC2:TGID_Z_EN: 0
; COMPUTE_PGM_RSRC2:TIDIG_COMP_CNT: 0
	.section	.text._ZN7rocprim17ROCPRIM_400000_NS6detail31init_lookback_scan_state_kernelINS1_19lookback_scan_stateIN3c107complexIfEELb1ELb1EEENS1_16block_id_wrapperIjLb0EEEEEvT_jT0_jPNSA_10value_typeE,"axG",@progbits,_ZN7rocprim17ROCPRIM_400000_NS6detail31init_lookback_scan_state_kernelINS1_19lookback_scan_stateIN3c107complexIfEELb1ELb1EEENS1_16block_id_wrapperIjLb0EEEEEvT_jT0_jPNSA_10value_typeE,comdat
	.protected	_ZN7rocprim17ROCPRIM_400000_NS6detail31init_lookback_scan_state_kernelINS1_19lookback_scan_stateIN3c107complexIfEELb1ELb1EEENS1_16block_id_wrapperIjLb0EEEEEvT_jT0_jPNSA_10value_typeE ; -- Begin function _ZN7rocprim17ROCPRIM_400000_NS6detail31init_lookback_scan_state_kernelINS1_19lookback_scan_stateIN3c107complexIfEELb1ELb1EEENS1_16block_id_wrapperIjLb0EEEEEvT_jT0_jPNSA_10value_typeE
	.globl	_ZN7rocprim17ROCPRIM_400000_NS6detail31init_lookback_scan_state_kernelINS1_19lookback_scan_stateIN3c107complexIfEELb1ELb1EEENS1_16block_id_wrapperIjLb0EEEEEvT_jT0_jPNSA_10value_typeE
	.p2align	8
	.type	_ZN7rocprim17ROCPRIM_400000_NS6detail31init_lookback_scan_state_kernelINS1_19lookback_scan_stateIN3c107complexIfEELb1ELb1EEENS1_16block_id_wrapperIjLb0EEEEEvT_jT0_jPNSA_10value_typeE,@function
_ZN7rocprim17ROCPRIM_400000_NS6detail31init_lookback_scan_state_kernelINS1_19lookback_scan_stateIN3c107complexIfEELb1ELb1EEENS1_16block_id_wrapperIjLb0EEEEEvT_jT0_jPNSA_10value_typeE: ; @_ZN7rocprim17ROCPRIM_400000_NS6detail31init_lookback_scan_state_kernelINS1_19lookback_scan_stateIN3c107complexIfEELb1ELb1EEENS1_16block_id_wrapperIjLb0EEEEEvT_jT0_jPNSA_10value_typeE
; %bb.0:
	s_clause 0x3
	s_load_dword s8, s[4:5], 0x2c
	s_load_dwordx2 s[2:3], s[4:5], 0x18
	s_load_dwordx2 s[0:1], s[4:5], 0x0
	s_load_dword s7, s[4:5], 0x8
	s_waitcnt lgkmcnt(0)
	s_and_b32 s8, s8, 0xffff
	s_cmp_eq_u64 s[2:3], 0
	v_mad_u64_u32 v[0:1], null, s6, s8, v[0:1]
	s_cbranch_scc1 .LBB309_10
; %bb.1:
	s_load_dword s4, s[4:5], 0x10
	s_waitcnt lgkmcnt(0)
	s_cmp_lt_u32 s4, s7
	s_cselect_b32 s5, s4, 0
	v_cmp_eq_u32_e32 vcc_lo, s5, v0
	s_mov_b32 s5, 0
	s_and_saveexec_b32 s6, vcc_lo
	s_cbranch_execz .LBB309_9
; %bb.2:
	s_add_i32 s4, s4, 32
	v_mov_b32_e32 v5, 0
	s_lshl_b64 s[4:5], s[4:5], 4
	s_mov_b32 s8, exec_lo
	s_add_u32 s4, s0, s4
	s_addc_u32 s5, s1, s5
	v_mov_b32_e32 v1, s4
	v_mov_b32_e32 v2, s5
	;;#ASMSTART
	global_load_dwordx4 v[1:4], v[1:2] off glc dlc	
s_waitcnt vmcnt(0)
	;;#ASMEND
	v_and_b32_e32 v4, 0xff, v3
	v_cmpx_eq_u64_e32 0, v[4:5]
	s_cbranch_execz .LBB309_8
; %bb.3:
	v_mov_b32_e32 v7, s5
	v_mov_b32_e32 v6, s4
	s_mov_b32 s5, 1
	s_mov_b32 s4, 0
	.p2align	6
.LBB309_4:                              ; =>This Loop Header: Depth=1
                                        ;     Child Loop BB309_5 Depth 2
	s_mov_b32 s9, s5
.LBB309_5:                              ;   Parent Loop BB309_4 Depth=1
                                        ; =>  This Inner Loop Header: Depth=2
	s_add_i32 s9, s9, -1
	s_sleep 1
	s_cmp_eq_u32 s9, 0
	s_cbranch_scc0 .LBB309_5
; %bb.6:                                ;   in Loop: Header=BB309_4 Depth=1
	;;#ASMSTART
	global_load_dwordx4 v[1:4], v[6:7] off glc dlc	
s_waitcnt vmcnt(0)
	;;#ASMEND
	v_and_b32_e32 v4, 0xff, v3
	s_cmp_lt_u32 s5, 32
	s_cselect_b32 s9, -1, 0
	s_cmp_lg_u32 s9, 0
	v_cmp_ne_u64_e32 vcc_lo, 0, v[4:5]
	s_addc_u32 s5, s5, 0
	s_or_b32 s4, vcc_lo, s4
	s_andn2_b32 exec_lo, exec_lo, s4
	s_cbranch_execnz .LBB309_4
; %bb.7:
	s_or_b32 exec_lo, exec_lo, s4
.LBB309_8:
	s_or_b32 exec_lo, exec_lo, s8
	v_mov_b32_e32 v3, 0
	global_store_dwordx2 v3, v[1:2], s[2:3]
.LBB309_9:
	s_or_b32 exec_lo, exec_lo, s6
.LBB309_10:
	s_mov_b32 s2, exec_lo
	v_cmpx_gt_u32_e64 s7, v0
	s_cbranch_execz .LBB309_12
; %bb.11:
	v_add_nc_u32_e32 v1, 32, v0
	v_mov_b32_e32 v2, 0
	v_lshlrev_b64 v[4:5], 4, v[1:2]
	v_mov_b32_e32 v1, v2
	v_mov_b32_e32 v3, v2
	v_add_co_u32 v6, vcc_lo, s0, v4
	v_add_co_ci_u32_e64 v7, null, s1, v5, vcc_lo
	v_mov_b32_e32 v4, v2
	global_store_dwordx4 v[6:7], v[1:4], off
.LBB309_12:
	s_or_b32 exec_lo, exec_lo, s2
	s_mov_b32 s2, exec_lo
	v_cmpx_gt_u32_e32 32, v0
	s_cbranch_execz .LBB309_14
; %bb.13:
	v_mov_b32_e32 v1, 0
	v_mov_b32_e32 v2, 0xff
	v_lshlrev_b64 v[3:4], 4, v[0:1]
	v_mov_b32_e32 v0, v1
	v_add_co_u32 v5, vcc_lo, s0, v3
	v_add_co_ci_u32_e64 v6, null, s1, v4, vcc_lo
	v_mov_b32_e32 v3, v1
	global_store_dwordx4 v[5:6], v[0:3], off
.LBB309_14:
	s_endpgm
	.section	.rodata,"a",@progbits
	.p2align	6, 0x0
	.amdhsa_kernel _ZN7rocprim17ROCPRIM_400000_NS6detail31init_lookback_scan_state_kernelINS1_19lookback_scan_stateIN3c107complexIfEELb1ELb1EEENS1_16block_id_wrapperIjLb0EEEEEvT_jT0_jPNSA_10value_typeE
		.amdhsa_group_segment_fixed_size 0
		.amdhsa_private_segment_fixed_size 0
		.amdhsa_kernarg_size 288
		.amdhsa_user_sgpr_count 6
		.amdhsa_user_sgpr_private_segment_buffer 1
		.amdhsa_user_sgpr_dispatch_ptr 0
		.amdhsa_user_sgpr_queue_ptr 0
		.amdhsa_user_sgpr_kernarg_segment_ptr 1
		.amdhsa_user_sgpr_dispatch_id 0
		.amdhsa_user_sgpr_flat_scratch_init 0
		.amdhsa_user_sgpr_private_segment_size 0
		.amdhsa_wavefront_size32 1
		.amdhsa_uses_dynamic_stack 0
		.amdhsa_system_sgpr_private_segment_wavefront_offset 0
		.amdhsa_system_sgpr_workgroup_id_x 1
		.amdhsa_system_sgpr_workgroup_id_y 0
		.amdhsa_system_sgpr_workgroup_id_z 0
		.amdhsa_system_sgpr_workgroup_info 0
		.amdhsa_system_vgpr_workitem_id 0
		.amdhsa_next_free_vgpr 8
		.amdhsa_next_free_sgpr 10
		.amdhsa_reserve_vcc 1
		.amdhsa_reserve_flat_scratch 0
		.amdhsa_float_round_mode_32 0
		.amdhsa_float_round_mode_16_64 0
		.amdhsa_float_denorm_mode_32 3
		.amdhsa_float_denorm_mode_16_64 3
		.amdhsa_dx10_clamp 1
		.amdhsa_ieee_mode 1
		.amdhsa_fp16_overflow 0
		.amdhsa_workgroup_processor_mode 1
		.amdhsa_memory_ordered 1
		.amdhsa_forward_progress 1
		.amdhsa_shared_vgpr_count 0
		.amdhsa_exception_fp_ieee_invalid_op 0
		.amdhsa_exception_fp_denorm_src 0
		.amdhsa_exception_fp_ieee_div_zero 0
		.amdhsa_exception_fp_ieee_overflow 0
		.amdhsa_exception_fp_ieee_underflow 0
		.amdhsa_exception_fp_ieee_inexact 0
		.amdhsa_exception_int_div_zero 0
	.end_amdhsa_kernel
	.section	.text._ZN7rocprim17ROCPRIM_400000_NS6detail31init_lookback_scan_state_kernelINS1_19lookback_scan_stateIN3c107complexIfEELb1ELb1EEENS1_16block_id_wrapperIjLb0EEEEEvT_jT0_jPNSA_10value_typeE,"axG",@progbits,_ZN7rocprim17ROCPRIM_400000_NS6detail31init_lookback_scan_state_kernelINS1_19lookback_scan_stateIN3c107complexIfEELb1ELb1EEENS1_16block_id_wrapperIjLb0EEEEEvT_jT0_jPNSA_10value_typeE,comdat
.Lfunc_end309:
	.size	_ZN7rocprim17ROCPRIM_400000_NS6detail31init_lookback_scan_state_kernelINS1_19lookback_scan_stateIN3c107complexIfEELb1ELb1EEENS1_16block_id_wrapperIjLb0EEEEEvT_jT0_jPNSA_10value_typeE, .Lfunc_end309-_ZN7rocprim17ROCPRIM_400000_NS6detail31init_lookback_scan_state_kernelINS1_19lookback_scan_stateIN3c107complexIfEELb1ELb1EEENS1_16block_id_wrapperIjLb0EEEEEvT_jT0_jPNSA_10value_typeE
                                        ; -- End function
	.set _ZN7rocprim17ROCPRIM_400000_NS6detail31init_lookback_scan_state_kernelINS1_19lookback_scan_stateIN3c107complexIfEELb1ELb1EEENS1_16block_id_wrapperIjLb0EEEEEvT_jT0_jPNSA_10value_typeE.num_vgpr, 8
	.set _ZN7rocprim17ROCPRIM_400000_NS6detail31init_lookback_scan_state_kernelINS1_19lookback_scan_stateIN3c107complexIfEELb1ELb1EEENS1_16block_id_wrapperIjLb0EEEEEvT_jT0_jPNSA_10value_typeE.num_agpr, 0
	.set _ZN7rocprim17ROCPRIM_400000_NS6detail31init_lookback_scan_state_kernelINS1_19lookback_scan_stateIN3c107complexIfEELb1ELb1EEENS1_16block_id_wrapperIjLb0EEEEEvT_jT0_jPNSA_10value_typeE.numbered_sgpr, 10
	.set _ZN7rocprim17ROCPRIM_400000_NS6detail31init_lookback_scan_state_kernelINS1_19lookback_scan_stateIN3c107complexIfEELb1ELb1EEENS1_16block_id_wrapperIjLb0EEEEEvT_jT0_jPNSA_10value_typeE.num_named_barrier, 0
	.set _ZN7rocprim17ROCPRIM_400000_NS6detail31init_lookback_scan_state_kernelINS1_19lookback_scan_stateIN3c107complexIfEELb1ELb1EEENS1_16block_id_wrapperIjLb0EEEEEvT_jT0_jPNSA_10value_typeE.private_seg_size, 0
	.set _ZN7rocprim17ROCPRIM_400000_NS6detail31init_lookback_scan_state_kernelINS1_19lookback_scan_stateIN3c107complexIfEELb1ELb1EEENS1_16block_id_wrapperIjLb0EEEEEvT_jT0_jPNSA_10value_typeE.uses_vcc, 1
	.set _ZN7rocprim17ROCPRIM_400000_NS6detail31init_lookback_scan_state_kernelINS1_19lookback_scan_stateIN3c107complexIfEELb1ELb1EEENS1_16block_id_wrapperIjLb0EEEEEvT_jT0_jPNSA_10value_typeE.uses_flat_scratch, 0
	.set _ZN7rocprim17ROCPRIM_400000_NS6detail31init_lookback_scan_state_kernelINS1_19lookback_scan_stateIN3c107complexIfEELb1ELb1EEENS1_16block_id_wrapperIjLb0EEEEEvT_jT0_jPNSA_10value_typeE.has_dyn_sized_stack, 0
	.set _ZN7rocprim17ROCPRIM_400000_NS6detail31init_lookback_scan_state_kernelINS1_19lookback_scan_stateIN3c107complexIfEELb1ELb1EEENS1_16block_id_wrapperIjLb0EEEEEvT_jT0_jPNSA_10value_typeE.has_recursion, 0
	.set _ZN7rocprim17ROCPRIM_400000_NS6detail31init_lookback_scan_state_kernelINS1_19lookback_scan_stateIN3c107complexIfEELb1ELb1EEENS1_16block_id_wrapperIjLb0EEEEEvT_jT0_jPNSA_10value_typeE.has_indirect_call, 0
	.section	.AMDGPU.csdata,"",@progbits
; Kernel info:
; codeLenInByte = 520
; TotalNumSgprs: 12
; NumVgprs: 8
; ScratchSize: 0
; MemoryBound: 0
; FloatMode: 240
; IeeeMode: 1
; LDSByteSize: 0 bytes/workgroup (compile time only)
; SGPRBlocks: 0
; VGPRBlocks: 0
; NumSGPRsForWavesPerEU: 12
; NumVGPRsForWavesPerEU: 8
; Occupancy: 16
; WaveLimiterHint : 0
; COMPUTE_PGM_RSRC2:SCRATCH_EN: 0
; COMPUTE_PGM_RSRC2:USER_SGPR: 6
; COMPUTE_PGM_RSRC2:TRAP_HANDLER: 0
; COMPUTE_PGM_RSRC2:TGID_X_EN: 1
; COMPUTE_PGM_RSRC2:TGID_Y_EN: 0
; COMPUTE_PGM_RSRC2:TGID_Z_EN: 0
; COMPUTE_PGM_RSRC2:TIDIG_COMP_CNT: 0
	.section	.text._ZN7rocprim17ROCPRIM_400000_NS6detail17trampoline_kernelINS0_14default_configENS1_20scan_config_selectorIN3c107complexIfEEEEZZNS1_9scan_implILNS1_25lookback_scan_determinismE0ELb0ELb0ES3_PKS7_PS7_S7_ZZZN2at6native31launch_logcumsumexp_cuda_kernelERKNSE_10TensorBaseESI_lENKUlvE_clEvENKUlvE2_clEvEUlS7_S7_E_S7_EEDaPvRmT3_T4_T5_mT6_P12ihipStream_tbENKUlT_T0_E_clISt17integral_constantIbLb1EESY_IbLb0EEEEDaSU_SV_EUlSU_E_NS1_11comp_targetILNS1_3genE0ELNS1_11target_archE4294967295ELNS1_3gpuE0ELNS1_3repE0EEENS1_30default_config_static_selectorELNS0_4arch9wavefront6targetE0EEEvT1_,"axG",@progbits,_ZN7rocprim17ROCPRIM_400000_NS6detail17trampoline_kernelINS0_14default_configENS1_20scan_config_selectorIN3c107complexIfEEEEZZNS1_9scan_implILNS1_25lookback_scan_determinismE0ELb0ELb0ES3_PKS7_PS7_S7_ZZZN2at6native31launch_logcumsumexp_cuda_kernelERKNSE_10TensorBaseESI_lENKUlvE_clEvENKUlvE2_clEvEUlS7_S7_E_S7_EEDaPvRmT3_T4_T5_mT6_P12ihipStream_tbENKUlT_T0_E_clISt17integral_constantIbLb1EESY_IbLb0EEEEDaSU_SV_EUlSU_E_NS1_11comp_targetILNS1_3genE0ELNS1_11target_archE4294967295ELNS1_3gpuE0ELNS1_3repE0EEENS1_30default_config_static_selectorELNS0_4arch9wavefront6targetE0EEEvT1_,comdat
	.globl	_ZN7rocprim17ROCPRIM_400000_NS6detail17trampoline_kernelINS0_14default_configENS1_20scan_config_selectorIN3c107complexIfEEEEZZNS1_9scan_implILNS1_25lookback_scan_determinismE0ELb0ELb0ES3_PKS7_PS7_S7_ZZZN2at6native31launch_logcumsumexp_cuda_kernelERKNSE_10TensorBaseESI_lENKUlvE_clEvENKUlvE2_clEvEUlS7_S7_E_S7_EEDaPvRmT3_T4_T5_mT6_P12ihipStream_tbENKUlT_T0_E_clISt17integral_constantIbLb1EESY_IbLb0EEEEDaSU_SV_EUlSU_E_NS1_11comp_targetILNS1_3genE0ELNS1_11target_archE4294967295ELNS1_3gpuE0ELNS1_3repE0EEENS1_30default_config_static_selectorELNS0_4arch9wavefront6targetE0EEEvT1_ ; -- Begin function _ZN7rocprim17ROCPRIM_400000_NS6detail17trampoline_kernelINS0_14default_configENS1_20scan_config_selectorIN3c107complexIfEEEEZZNS1_9scan_implILNS1_25lookback_scan_determinismE0ELb0ELb0ES3_PKS7_PS7_S7_ZZZN2at6native31launch_logcumsumexp_cuda_kernelERKNSE_10TensorBaseESI_lENKUlvE_clEvENKUlvE2_clEvEUlS7_S7_E_S7_EEDaPvRmT3_T4_T5_mT6_P12ihipStream_tbENKUlT_T0_E_clISt17integral_constantIbLb1EESY_IbLb0EEEEDaSU_SV_EUlSU_E_NS1_11comp_targetILNS1_3genE0ELNS1_11target_archE4294967295ELNS1_3gpuE0ELNS1_3repE0EEENS1_30default_config_static_selectorELNS0_4arch9wavefront6targetE0EEEvT1_
	.p2align	8
	.type	_ZN7rocprim17ROCPRIM_400000_NS6detail17trampoline_kernelINS0_14default_configENS1_20scan_config_selectorIN3c107complexIfEEEEZZNS1_9scan_implILNS1_25lookback_scan_determinismE0ELb0ELb0ES3_PKS7_PS7_S7_ZZZN2at6native31launch_logcumsumexp_cuda_kernelERKNSE_10TensorBaseESI_lENKUlvE_clEvENKUlvE2_clEvEUlS7_S7_E_S7_EEDaPvRmT3_T4_T5_mT6_P12ihipStream_tbENKUlT_T0_E_clISt17integral_constantIbLb1EESY_IbLb0EEEEDaSU_SV_EUlSU_E_NS1_11comp_targetILNS1_3genE0ELNS1_11target_archE4294967295ELNS1_3gpuE0ELNS1_3repE0EEENS1_30default_config_static_selectorELNS0_4arch9wavefront6targetE0EEEvT1_,@function
_ZN7rocprim17ROCPRIM_400000_NS6detail17trampoline_kernelINS0_14default_configENS1_20scan_config_selectorIN3c107complexIfEEEEZZNS1_9scan_implILNS1_25lookback_scan_determinismE0ELb0ELb0ES3_PKS7_PS7_S7_ZZZN2at6native31launch_logcumsumexp_cuda_kernelERKNSE_10TensorBaseESI_lENKUlvE_clEvENKUlvE2_clEvEUlS7_S7_E_S7_EEDaPvRmT3_T4_T5_mT6_P12ihipStream_tbENKUlT_T0_E_clISt17integral_constantIbLb1EESY_IbLb0EEEEDaSU_SV_EUlSU_E_NS1_11comp_targetILNS1_3genE0ELNS1_11target_archE4294967295ELNS1_3gpuE0ELNS1_3repE0EEENS1_30default_config_static_selectorELNS0_4arch9wavefront6targetE0EEEvT1_: ; @_ZN7rocprim17ROCPRIM_400000_NS6detail17trampoline_kernelINS0_14default_configENS1_20scan_config_selectorIN3c107complexIfEEEEZZNS1_9scan_implILNS1_25lookback_scan_determinismE0ELb0ELb0ES3_PKS7_PS7_S7_ZZZN2at6native31launch_logcumsumexp_cuda_kernelERKNSE_10TensorBaseESI_lENKUlvE_clEvENKUlvE2_clEvEUlS7_S7_E_S7_EEDaPvRmT3_T4_T5_mT6_P12ihipStream_tbENKUlT_T0_E_clISt17integral_constantIbLb1EESY_IbLb0EEEEDaSU_SV_EUlSU_E_NS1_11comp_targetILNS1_3genE0ELNS1_11target_archE4294967295ELNS1_3gpuE0ELNS1_3repE0EEENS1_30default_config_static_selectorELNS0_4arch9wavefront6targetE0EEEvT1_
; %bb.0:
	.section	.rodata,"a",@progbits
	.p2align	6, 0x0
	.amdhsa_kernel _ZN7rocprim17ROCPRIM_400000_NS6detail17trampoline_kernelINS0_14default_configENS1_20scan_config_selectorIN3c107complexIfEEEEZZNS1_9scan_implILNS1_25lookback_scan_determinismE0ELb0ELb0ES3_PKS7_PS7_S7_ZZZN2at6native31launch_logcumsumexp_cuda_kernelERKNSE_10TensorBaseESI_lENKUlvE_clEvENKUlvE2_clEvEUlS7_S7_E_S7_EEDaPvRmT3_T4_T5_mT6_P12ihipStream_tbENKUlT_T0_E_clISt17integral_constantIbLb1EESY_IbLb0EEEEDaSU_SV_EUlSU_E_NS1_11comp_targetILNS1_3genE0ELNS1_11target_archE4294967295ELNS1_3gpuE0ELNS1_3repE0EEENS1_30default_config_static_selectorELNS0_4arch9wavefront6targetE0EEEvT1_
		.amdhsa_group_segment_fixed_size 0
		.amdhsa_private_segment_fixed_size 0
		.amdhsa_kernarg_size 104
		.amdhsa_user_sgpr_count 6
		.amdhsa_user_sgpr_private_segment_buffer 1
		.amdhsa_user_sgpr_dispatch_ptr 0
		.amdhsa_user_sgpr_queue_ptr 0
		.amdhsa_user_sgpr_kernarg_segment_ptr 1
		.amdhsa_user_sgpr_dispatch_id 0
		.amdhsa_user_sgpr_flat_scratch_init 0
		.amdhsa_user_sgpr_private_segment_size 0
		.amdhsa_wavefront_size32 1
		.amdhsa_uses_dynamic_stack 0
		.amdhsa_system_sgpr_private_segment_wavefront_offset 0
		.amdhsa_system_sgpr_workgroup_id_x 1
		.amdhsa_system_sgpr_workgroup_id_y 0
		.amdhsa_system_sgpr_workgroup_id_z 0
		.amdhsa_system_sgpr_workgroup_info 0
		.amdhsa_system_vgpr_workitem_id 0
		.amdhsa_next_free_vgpr 1
		.amdhsa_next_free_sgpr 1
		.amdhsa_reserve_vcc 0
		.amdhsa_reserve_flat_scratch 0
		.amdhsa_float_round_mode_32 0
		.amdhsa_float_round_mode_16_64 0
		.amdhsa_float_denorm_mode_32 3
		.amdhsa_float_denorm_mode_16_64 3
		.amdhsa_dx10_clamp 1
		.amdhsa_ieee_mode 1
		.amdhsa_fp16_overflow 0
		.amdhsa_workgroup_processor_mode 1
		.amdhsa_memory_ordered 1
		.amdhsa_forward_progress 1
		.amdhsa_shared_vgpr_count 0
		.amdhsa_exception_fp_ieee_invalid_op 0
		.amdhsa_exception_fp_denorm_src 0
		.amdhsa_exception_fp_ieee_div_zero 0
		.amdhsa_exception_fp_ieee_overflow 0
		.amdhsa_exception_fp_ieee_underflow 0
		.amdhsa_exception_fp_ieee_inexact 0
		.amdhsa_exception_int_div_zero 0
	.end_amdhsa_kernel
	.section	.text._ZN7rocprim17ROCPRIM_400000_NS6detail17trampoline_kernelINS0_14default_configENS1_20scan_config_selectorIN3c107complexIfEEEEZZNS1_9scan_implILNS1_25lookback_scan_determinismE0ELb0ELb0ES3_PKS7_PS7_S7_ZZZN2at6native31launch_logcumsumexp_cuda_kernelERKNSE_10TensorBaseESI_lENKUlvE_clEvENKUlvE2_clEvEUlS7_S7_E_S7_EEDaPvRmT3_T4_T5_mT6_P12ihipStream_tbENKUlT_T0_E_clISt17integral_constantIbLb1EESY_IbLb0EEEEDaSU_SV_EUlSU_E_NS1_11comp_targetILNS1_3genE0ELNS1_11target_archE4294967295ELNS1_3gpuE0ELNS1_3repE0EEENS1_30default_config_static_selectorELNS0_4arch9wavefront6targetE0EEEvT1_,"axG",@progbits,_ZN7rocprim17ROCPRIM_400000_NS6detail17trampoline_kernelINS0_14default_configENS1_20scan_config_selectorIN3c107complexIfEEEEZZNS1_9scan_implILNS1_25lookback_scan_determinismE0ELb0ELb0ES3_PKS7_PS7_S7_ZZZN2at6native31launch_logcumsumexp_cuda_kernelERKNSE_10TensorBaseESI_lENKUlvE_clEvENKUlvE2_clEvEUlS7_S7_E_S7_EEDaPvRmT3_T4_T5_mT6_P12ihipStream_tbENKUlT_T0_E_clISt17integral_constantIbLb1EESY_IbLb0EEEEDaSU_SV_EUlSU_E_NS1_11comp_targetILNS1_3genE0ELNS1_11target_archE4294967295ELNS1_3gpuE0ELNS1_3repE0EEENS1_30default_config_static_selectorELNS0_4arch9wavefront6targetE0EEEvT1_,comdat
.Lfunc_end310:
	.size	_ZN7rocprim17ROCPRIM_400000_NS6detail17trampoline_kernelINS0_14default_configENS1_20scan_config_selectorIN3c107complexIfEEEEZZNS1_9scan_implILNS1_25lookback_scan_determinismE0ELb0ELb0ES3_PKS7_PS7_S7_ZZZN2at6native31launch_logcumsumexp_cuda_kernelERKNSE_10TensorBaseESI_lENKUlvE_clEvENKUlvE2_clEvEUlS7_S7_E_S7_EEDaPvRmT3_T4_T5_mT6_P12ihipStream_tbENKUlT_T0_E_clISt17integral_constantIbLb1EESY_IbLb0EEEEDaSU_SV_EUlSU_E_NS1_11comp_targetILNS1_3genE0ELNS1_11target_archE4294967295ELNS1_3gpuE0ELNS1_3repE0EEENS1_30default_config_static_selectorELNS0_4arch9wavefront6targetE0EEEvT1_, .Lfunc_end310-_ZN7rocprim17ROCPRIM_400000_NS6detail17trampoline_kernelINS0_14default_configENS1_20scan_config_selectorIN3c107complexIfEEEEZZNS1_9scan_implILNS1_25lookback_scan_determinismE0ELb0ELb0ES3_PKS7_PS7_S7_ZZZN2at6native31launch_logcumsumexp_cuda_kernelERKNSE_10TensorBaseESI_lENKUlvE_clEvENKUlvE2_clEvEUlS7_S7_E_S7_EEDaPvRmT3_T4_T5_mT6_P12ihipStream_tbENKUlT_T0_E_clISt17integral_constantIbLb1EESY_IbLb0EEEEDaSU_SV_EUlSU_E_NS1_11comp_targetILNS1_3genE0ELNS1_11target_archE4294967295ELNS1_3gpuE0ELNS1_3repE0EEENS1_30default_config_static_selectorELNS0_4arch9wavefront6targetE0EEEvT1_
                                        ; -- End function
	.set _ZN7rocprim17ROCPRIM_400000_NS6detail17trampoline_kernelINS0_14default_configENS1_20scan_config_selectorIN3c107complexIfEEEEZZNS1_9scan_implILNS1_25lookback_scan_determinismE0ELb0ELb0ES3_PKS7_PS7_S7_ZZZN2at6native31launch_logcumsumexp_cuda_kernelERKNSE_10TensorBaseESI_lENKUlvE_clEvENKUlvE2_clEvEUlS7_S7_E_S7_EEDaPvRmT3_T4_T5_mT6_P12ihipStream_tbENKUlT_T0_E_clISt17integral_constantIbLb1EESY_IbLb0EEEEDaSU_SV_EUlSU_E_NS1_11comp_targetILNS1_3genE0ELNS1_11target_archE4294967295ELNS1_3gpuE0ELNS1_3repE0EEENS1_30default_config_static_selectorELNS0_4arch9wavefront6targetE0EEEvT1_.num_vgpr, 0
	.set _ZN7rocprim17ROCPRIM_400000_NS6detail17trampoline_kernelINS0_14default_configENS1_20scan_config_selectorIN3c107complexIfEEEEZZNS1_9scan_implILNS1_25lookback_scan_determinismE0ELb0ELb0ES3_PKS7_PS7_S7_ZZZN2at6native31launch_logcumsumexp_cuda_kernelERKNSE_10TensorBaseESI_lENKUlvE_clEvENKUlvE2_clEvEUlS7_S7_E_S7_EEDaPvRmT3_T4_T5_mT6_P12ihipStream_tbENKUlT_T0_E_clISt17integral_constantIbLb1EESY_IbLb0EEEEDaSU_SV_EUlSU_E_NS1_11comp_targetILNS1_3genE0ELNS1_11target_archE4294967295ELNS1_3gpuE0ELNS1_3repE0EEENS1_30default_config_static_selectorELNS0_4arch9wavefront6targetE0EEEvT1_.num_agpr, 0
	.set _ZN7rocprim17ROCPRIM_400000_NS6detail17trampoline_kernelINS0_14default_configENS1_20scan_config_selectorIN3c107complexIfEEEEZZNS1_9scan_implILNS1_25lookback_scan_determinismE0ELb0ELb0ES3_PKS7_PS7_S7_ZZZN2at6native31launch_logcumsumexp_cuda_kernelERKNSE_10TensorBaseESI_lENKUlvE_clEvENKUlvE2_clEvEUlS7_S7_E_S7_EEDaPvRmT3_T4_T5_mT6_P12ihipStream_tbENKUlT_T0_E_clISt17integral_constantIbLb1EESY_IbLb0EEEEDaSU_SV_EUlSU_E_NS1_11comp_targetILNS1_3genE0ELNS1_11target_archE4294967295ELNS1_3gpuE0ELNS1_3repE0EEENS1_30default_config_static_selectorELNS0_4arch9wavefront6targetE0EEEvT1_.numbered_sgpr, 0
	.set _ZN7rocprim17ROCPRIM_400000_NS6detail17trampoline_kernelINS0_14default_configENS1_20scan_config_selectorIN3c107complexIfEEEEZZNS1_9scan_implILNS1_25lookback_scan_determinismE0ELb0ELb0ES3_PKS7_PS7_S7_ZZZN2at6native31launch_logcumsumexp_cuda_kernelERKNSE_10TensorBaseESI_lENKUlvE_clEvENKUlvE2_clEvEUlS7_S7_E_S7_EEDaPvRmT3_T4_T5_mT6_P12ihipStream_tbENKUlT_T0_E_clISt17integral_constantIbLb1EESY_IbLb0EEEEDaSU_SV_EUlSU_E_NS1_11comp_targetILNS1_3genE0ELNS1_11target_archE4294967295ELNS1_3gpuE0ELNS1_3repE0EEENS1_30default_config_static_selectorELNS0_4arch9wavefront6targetE0EEEvT1_.num_named_barrier, 0
	.set _ZN7rocprim17ROCPRIM_400000_NS6detail17trampoline_kernelINS0_14default_configENS1_20scan_config_selectorIN3c107complexIfEEEEZZNS1_9scan_implILNS1_25lookback_scan_determinismE0ELb0ELb0ES3_PKS7_PS7_S7_ZZZN2at6native31launch_logcumsumexp_cuda_kernelERKNSE_10TensorBaseESI_lENKUlvE_clEvENKUlvE2_clEvEUlS7_S7_E_S7_EEDaPvRmT3_T4_T5_mT6_P12ihipStream_tbENKUlT_T0_E_clISt17integral_constantIbLb1EESY_IbLb0EEEEDaSU_SV_EUlSU_E_NS1_11comp_targetILNS1_3genE0ELNS1_11target_archE4294967295ELNS1_3gpuE0ELNS1_3repE0EEENS1_30default_config_static_selectorELNS0_4arch9wavefront6targetE0EEEvT1_.private_seg_size, 0
	.set _ZN7rocprim17ROCPRIM_400000_NS6detail17trampoline_kernelINS0_14default_configENS1_20scan_config_selectorIN3c107complexIfEEEEZZNS1_9scan_implILNS1_25lookback_scan_determinismE0ELb0ELb0ES3_PKS7_PS7_S7_ZZZN2at6native31launch_logcumsumexp_cuda_kernelERKNSE_10TensorBaseESI_lENKUlvE_clEvENKUlvE2_clEvEUlS7_S7_E_S7_EEDaPvRmT3_T4_T5_mT6_P12ihipStream_tbENKUlT_T0_E_clISt17integral_constantIbLb1EESY_IbLb0EEEEDaSU_SV_EUlSU_E_NS1_11comp_targetILNS1_3genE0ELNS1_11target_archE4294967295ELNS1_3gpuE0ELNS1_3repE0EEENS1_30default_config_static_selectorELNS0_4arch9wavefront6targetE0EEEvT1_.uses_vcc, 0
	.set _ZN7rocprim17ROCPRIM_400000_NS6detail17trampoline_kernelINS0_14default_configENS1_20scan_config_selectorIN3c107complexIfEEEEZZNS1_9scan_implILNS1_25lookback_scan_determinismE0ELb0ELb0ES3_PKS7_PS7_S7_ZZZN2at6native31launch_logcumsumexp_cuda_kernelERKNSE_10TensorBaseESI_lENKUlvE_clEvENKUlvE2_clEvEUlS7_S7_E_S7_EEDaPvRmT3_T4_T5_mT6_P12ihipStream_tbENKUlT_T0_E_clISt17integral_constantIbLb1EESY_IbLb0EEEEDaSU_SV_EUlSU_E_NS1_11comp_targetILNS1_3genE0ELNS1_11target_archE4294967295ELNS1_3gpuE0ELNS1_3repE0EEENS1_30default_config_static_selectorELNS0_4arch9wavefront6targetE0EEEvT1_.uses_flat_scratch, 0
	.set _ZN7rocprim17ROCPRIM_400000_NS6detail17trampoline_kernelINS0_14default_configENS1_20scan_config_selectorIN3c107complexIfEEEEZZNS1_9scan_implILNS1_25lookback_scan_determinismE0ELb0ELb0ES3_PKS7_PS7_S7_ZZZN2at6native31launch_logcumsumexp_cuda_kernelERKNSE_10TensorBaseESI_lENKUlvE_clEvENKUlvE2_clEvEUlS7_S7_E_S7_EEDaPvRmT3_T4_T5_mT6_P12ihipStream_tbENKUlT_T0_E_clISt17integral_constantIbLb1EESY_IbLb0EEEEDaSU_SV_EUlSU_E_NS1_11comp_targetILNS1_3genE0ELNS1_11target_archE4294967295ELNS1_3gpuE0ELNS1_3repE0EEENS1_30default_config_static_selectorELNS0_4arch9wavefront6targetE0EEEvT1_.has_dyn_sized_stack, 0
	.set _ZN7rocprim17ROCPRIM_400000_NS6detail17trampoline_kernelINS0_14default_configENS1_20scan_config_selectorIN3c107complexIfEEEEZZNS1_9scan_implILNS1_25lookback_scan_determinismE0ELb0ELb0ES3_PKS7_PS7_S7_ZZZN2at6native31launch_logcumsumexp_cuda_kernelERKNSE_10TensorBaseESI_lENKUlvE_clEvENKUlvE2_clEvEUlS7_S7_E_S7_EEDaPvRmT3_T4_T5_mT6_P12ihipStream_tbENKUlT_T0_E_clISt17integral_constantIbLb1EESY_IbLb0EEEEDaSU_SV_EUlSU_E_NS1_11comp_targetILNS1_3genE0ELNS1_11target_archE4294967295ELNS1_3gpuE0ELNS1_3repE0EEENS1_30default_config_static_selectorELNS0_4arch9wavefront6targetE0EEEvT1_.has_recursion, 0
	.set _ZN7rocprim17ROCPRIM_400000_NS6detail17trampoline_kernelINS0_14default_configENS1_20scan_config_selectorIN3c107complexIfEEEEZZNS1_9scan_implILNS1_25lookback_scan_determinismE0ELb0ELb0ES3_PKS7_PS7_S7_ZZZN2at6native31launch_logcumsumexp_cuda_kernelERKNSE_10TensorBaseESI_lENKUlvE_clEvENKUlvE2_clEvEUlS7_S7_E_S7_EEDaPvRmT3_T4_T5_mT6_P12ihipStream_tbENKUlT_T0_E_clISt17integral_constantIbLb1EESY_IbLb0EEEEDaSU_SV_EUlSU_E_NS1_11comp_targetILNS1_3genE0ELNS1_11target_archE4294967295ELNS1_3gpuE0ELNS1_3repE0EEENS1_30default_config_static_selectorELNS0_4arch9wavefront6targetE0EEEvT1_.has_indirect_call, 0
	.section	.AMDGPU.csdata,"",@progbits
; Kernel info:
; codeLenInByte = 0
; TotalNumSgprs: 0
; NumVgprs: 0
; ScratchSize: 0
; MemoryBound: 0
; FloatMode: 240
; IeeeMode: 1
; LDSByteSize: 0 bytes/workgroup (compile time only)
; SGPRBlocks: 0
; VGPRBlocks: 0
; NumSGPRsForWavesPerEU: 1
; NumVGPRsForWavesPerEU: 1
; Occupancy: 16
; WaveLimiterHint : 0
; COMPUTE_PGM_RSRC2:SCRATCH_EN: 0
; COMPUTE_PGM_RSRC2:USER_SGPR: 6
; COMPUTE_PGM_RSRC2:TRAP_HANDLER: 0
; COMPUTE_PGM_RSRC2:TGID_X_EN: 1
; COMPUTE_PGM_RSRC2:TGID_Y_EN: 0
; COMPUTE_PGM_RSRC2:TGID_Z_EN: 0
; COMPUTE_PGM_RSRC2:TIDIG_COMP_CNT: 0
	.section	.text._ZN7rocprim17ROCPRIM_400000_NS6detail17trampoline_kernelINS0_14default_configENS1_20scan_config_selectorIN3c107complexIfEEEEZZNS1_9scan_implILNS1_25lookback_scan_determinismE0ELb0ELb0ES3_PKS7_PS7_S7_ZZZN2at6native31launch_logcumsumexp_cuda_kernelERKNSE_10TensorBaseESI_lENKUlvE_clEvENKUlvE2_clEvEUlS7_S7_E_S7_EEDaPvRmT3_T4_T5_mT6_P12ihipStream_tbENKUlT_T0_E_clISt17integral_constantIbLb1EESY_IbLb0EEEEDaSU_SV_EUlSU_E_NS1_11comp_targetILNS1_3genE5ELNS1_11target_archE942ELNS1_3gpuE9ELNS1_3repE0EEENS1_30default_config_static_selectorELNS0_4arch9wavefront6targetE0EEEvT1_,"axG",@progbits,_ZN7rocprim17ROCPRIM_400000_NS6detail17trampoline_kernelINS0_14default_configENS1_20scan_config_selectorIN3c107complexIfEEEEZZNS1_9scan_implILNS1_25lookback_scan_determinismE0ELb0ELb0ES3_PKS7_PS7_S7_ZZZN2at6native31launch_logcumsumexp_cuda_kernelERKNSE_10TensorBaseESI_lENKUlvE_clEvENKUlvE2_clEvEUlS7_S7_E_S7_EEDaPvRmT3_T4_T5_mT6_P12ihipStream_tbENKUlT_T0_E_clISt17integral_constantIbLb1EESY_IbLb0EEEEDaSU_SV_EUlSU_E_NS1_11comp_targetILNS1_3genE5ELNS1_11target_archE942ELNS1_3gpuE9ELNS1_3repE0EEENS1_30default_config_static_selectorELNS0_4arch9wavefront6targetE0EEEvT1_,comdat
	.globl	_ZN7rocprim17ROCPRIM_400000_NS6detail17trampoline_kernelINS0_14default_configENS1_20scan_config_selectorIN3c107complexIfEEEEZZNS1_9scan_implILNS1_25lookback_scan_determinismE0ELb0ELb0ES3_PKS7_PS7_S7_ZZZN2at6native31launch_logcumsumexp_cuda_kernelERKNSE_10TensorBaseESI_lENKUlvE_clEvENKUlvE2_clEvEUlS7_S7_E_S7_EEDaPvRmT3_T4_T5_mT6_P12ihipStream_tbENKUlT_T0_E_clISt17integral_constantIbLb1EESY_IbLb0EEEEDaSU_SV_EUlSU_E_NS1_11comp_targetILNS1_3genE5ELNS1_11target_archE942ELNS1_3gpuE9ELNS1_3repE0EEENS1_30default_config_static_selectorELNS0_4arch9wavefront6targetE0EEEvT1_ ; -- Begin function _ZN7rocprim17ROCPRIM_400000_NS6detail17trampoline_kernelINS0_14default_configENS1_20scan_config_selectorIN3c107complexIfEEEEZZNS1_9scan_implILNS1_25lookback_scan_determinismE0ELb0ELb0ES3_PKS7_PS7_S7_ZZZN2at6native31launch_logcumsumexp_cuda_kernelERKNSE_10TensorBaseESI_lENKUlvE_clEvENKUlvE2_clEvEUlS7_S7_E_S7_EEDaPvRmT3_T4_T5_mT6_P12ihipStream_tbENKUlT_T0_E_clISt17integral_constantIbLb1EESY_IbLb0EEEEDaSU_SV_EUlSU_E_NS1_11comp_targetILNS1_3genE5ELNS1_11target_archE942ELNS1_3gpuE9ELNS1_3repE0EEENS1_30default_config_static_selectorELNS0_4arch9wavefront6targetE0EEEvT1_
	.p2align	8
	.type	_ZN7rocprim17ROCPRIM_400000_NS6detail17trampoline_kernelINS0_14default_configENS1_20scan_config_selectorIN3c107complexIfEEEEZZNS1_9scan_implILNS1_25lookback_scan_determinismE0ELb0ELb0ES3_PKS7_PS7_S7_ZZZN2at6native31launch_logcumsumexp_cuda_kernelERKNSE_10TensorBaseESI_lENKUlvE_clEvENKUlvE2_clEvEUlS7_S7_E_S7_EEDaPvRmT3_T4_T5_mT6_P12ihipStream_tbENKUlT_T0_E_clISt17integral_constantIbLb1EESY_IbLb0EEEEDaSU_SV_EUlSU_E_NS1_11comp_targetILNS1_3genE5ELNS1_11target_archE942ELNS1_3gpuE9ELNS1_3repE0EEENS1_30default_config_static_selectorELNS0_4arch9wavefront6targetE0EEEvT1_,@function
_ZN7rocprim17ROCPRIM_400000_NS6detail17trampoline_kernelINS0_14default_configENS1_20scan_config_selectorIN3c107complexIfEEEEZZNS1_9scan_implILNS1_25lookback_scan_determinismE0ELb0ELb0ES3_PKS7_PS7_S7_ZZZN2at6native31launch_logcumsumexp_cuda_kernelERKNSE_10TensorBaseESI_lENKUlvE_clEvENKUlvE2_clEvEUlS7_S7_E_S7_EEDaPvRmT3_T4_T5_mT6_P12ihipStream_tbENKUlT_T0_E_clISt17integral_constantIbLb1EESY_IbLb0EEEEDaSU_SV_EUlSU_E_NS1_11comp_targetILNS1_3genE5ELNS1_11target_archE942ELNS1_3gpuE9ELNS1_3repE0EEENS1_30default_config_static_selectorELNS0_4arch9wavefront6targetE0EEEvT1_: ; @_ZN7rocprim17ROCPRIM_400000_NS6detail17trampoline_kernelINS0_14default_configENS1_20scan_config_selectorIN3c107complexIfEEEEZZNS1_9scan_implILNS1_25lookback_scan_determinismE0ELb0ELb0ES3_PKS7_PS7_S7_ZZZN2at6native31launch_logcumsumexp_cuda_kernelERKNSE_10TensorBaseESI_lENKUlvE_clEvENKUlvE2_clEvEUlS7_S7_E_S7_EEDaPvRmT3_T4_T5_mT6_P12ihipStream_tbENKUlT_T0_E_clISt17integral_constantIbLb1EESY_IbLb0EEEEDaSU_SV_EUlSU_E_NS1_11comp_targetILNS1_3genE5ELNS1_11target_archE942ELNS1_3gpuE9ELNS1_3repE0EEENS1_30default_config_static_selectorELNS0_4arch9wavefront6targetE0EEEvT1_
; %bb.0:
	.section	.rodata,"a",@progbits
	.p2align	6, 0x0
	.amdhsa_kernel _ZN7rocprim17ROCPRIM_400000_NS6detail17trampoline_kernelINS0_14default_configENS1_20scan_config_selectorIN3c107complexIfEEEEZZNS1_9scan_implILNS1_25lookback_scan_determinismE0ELb0ELb0ES3_PKS7_PS7_S7_ZZZN2at6native31launch_logcumsumexp_cuda_kernelERKNSE_10TensorBaseESI_lENKUlvE_clEvENKUlvE2_clEvEUlS7_S7_E_S7_EEDaPvRmT3_T4_T5_mT6_P12ihipStream_tbENKUlT_T0_E_clISt17integral_constantIbLb1EESY_IbLb0EEEEDaSU_SV_EUlSU_E_NS1_11comp_targetILNS1_3genE5ELNS1_11target_archE942ELNS1_3gpuE9ELNS1_3repE0EEENS1_30default_config_static_selectorELNS0_4arch9wavefront6targetE0EEEvT1_
		.amdhsa_group_segment_fixed_size 0
		.amdhsa_private_segment_fixed_size 0
		.amdhsa_kernarg_size 104
		.amdhsa_user_sgpr_count 6
		.amdhsa_user_sgpr_private_segment_buffer 1
		.amdhsa_user_sgpr_dispatch_ptr 0
		.amdhsa_user_sgpr_queue_ptr 0
		.amdhsa_user_sgpr_kernarg_segment_ptr 1
		.amdhsa_user_sgpr_dispatch_id 0
		.amdhsa_user_sgpr_flat_scratch_init 0
		.amdhsa_user_sgpr_private_segment_size 0
		.amdhsa_wavefront_size32 1
		.amdhsa_uses_dynamic_stack 0
		.amdhsa_system_sgpr_private_segment_wavefront_offset 0
		.amdhsa_system_sgpr_workgroup_id_x 1
		.amdhsa_system_sgpr_workgroup_id_y 0
		.amdhsa_system_sgpr_workgroup_id_z 0
		.amdhsa_system_sgpr_workgroup_info 0
		.amdhsa_system_vgpr_workitem_id 0
		.amdhsa_next_free_vgpr 1
		.amdhsa_next_free_sgpr 1
		.amdhsa_reserve_vcc 0
		.amdhsa_reserve_flat_scratch 0
		.amdhsa_float_round_mode_32 0
		.amdhsa_float_round_mode_16_64 0
		.amdhsa_float_denorm_mode_32 3
		.amdhsa_float_denorm_mode_16_64 3
		.amdhsa_dx10_clamp 1
		.amdhsa_ieee_mode 1
		.amdhsa_fp16_overflow 0
		.amdhsa_workgroup_processor_mode 1
		.amdhsa_memory_ordered 1
		.amdhsa_forward_progress 1
		.amdhsa_shared_vgpr_count 0
		.amdhsa_exception_fp_ieee_invalid_op 0
		.amdhsa_exception_fp_denorm_src 0
		.amdhsa_exception_fp_ieee_div_zero 0
		.amdhsa_exception_fp_ieee_overflow 0
		.amdhsa_exception_fp_ieee_underflow 0
		.amdhsa_exception_fp_ieee_inexact 0
		.amdhsa_exception_int_div_zero 0
	.end_amdhsa_kernel
	.section	.text._ZN7rocprim17ROCPRIM_400000_NS6detail17trampoline_kernelINS0_14default_configENS1_20scan_config_selectorIN3c107complexIfEEEEZZNS1_9scan_implILNS1_25lookback_scan_determinismE0ELb0ELb0ES3_PKS7_PS7_S7_ZZZN2at6native31launch_logcumsumexp_cuda_kernelERKNSE_10TensorBaseESI_lENKUlvE_clEvENKUlvE2_clEvEUlS7_S7_E_S7_EEDaPvRmT3_T4_T5_mT6_P12ihipStream_tbENKUlT_T0_E_clISt17integral_constantIbLb1EESY_IbLb0EEEEDaSU_SV_EUlSU_E_NS1_11comp_targetILNS1_3genE5ELNS1_11target_archE942ELNS1_3gpuE9ELNS1_3repE0EEENS1_30default_config_static_selectorELNS0_4arch9wavefront6targetE0EEEvT1_,"axG",@progbits,_ZN7rocprim17ROCPRIM_400000_NS6detail17trampoline_kernelINS0_14default_configENS1_20scan_config_selectorIN3c107complexIfEEEEZZNS1_9scan_implILNS1_25lookback_scan_determinismE0ELb0ELb0ES3_PKS7_PS7_S7_ZZZN2at6native31launch_logcumsumexp_cuda_kernelERKNSE_10TensorBaseESI_lENKUlvE_clEvENKUlvE2_clEvEUlS7_S7_E_S7_EEDaPvRmT3_T4_T5_mT6_P12ihipStream_tbENKUlT_T0_E_clISt17integral_constantIbLb1EESY_IbLb0EEEEDaSU_SV_EUlSU_E_NS1_11comp_targetILNS1_3genE5ELNS1_11target_archE942ELNS1_3gpuE9ELNS1_3repE0EEENS1_30default_config_static_selectorELNS0_4arch9wavefront6targetE0EEEvT1_,comdat
.Lfunc_end311:
	.size	_ZN7rocprim17ROCPRIM_400000_NS6detail17trampoline_kernelINS0_14default_configENS1_20scan_config_selectorIN3c107complexIfEEEEZZNS1_9scan_implILNS1_25lookback_scan_determinismE0ELb0ELb0ES3_PKS7_PS7_S7_ZZZN2at6native31launch_logcumsumexp_cuda_kernelERKNSE_10TensorBaseESI_lENKUlvE_clEvENKUlvE2_clEvEUlS7_S7_E_S7_EEDaPvRmT3_T4_T5_mT6_P12ihipStream_tbENKUlT_T0_E_clISt17integral_constantIbLb1EESY_IbLb0EEEEDaSU_SV_EUlSU_E_NS1_11comp_targetILNS1_3genE5ELNS1_11target_archE942ELNS1_3gpuE9ELNS1_3repE0EEENS1_30default_config_static_selectorELNS0_4arch9wavefront6targetE0EEEvT1_, .Lfunc_end311-_ZN7rocprim17ROCPRIM_400000_NS6detail17trampoline_kernelINS0_14default_configENS1_20scan_config_selectorIN3c107complexIfEEEEZZNS1_9scan_implILNS1_25lookback_scan_determinismE0ELb0ELb0ES3_PKS7_PS7_S7_ZZZN2at6native31launch_logcumsumexp_cuda_kernelERKNSE_10TensorBaseESI_lENKUlvE_clEvENKUlvE2_clEvEUlS7_S7_E_S7_EEDaPvRmT3_T4_T5_mT6_P12ihipStream_tbENKUlT_T0_E_clISt17integral_constantIbLb1EESY_IbLb0EEEEDaSU_SV_EUlSU_E_NS1_11comp_targetILNS1_3genE5ELNS1_11target_archE942ELNS1_3gpuE9ELNS1_3repE0EEENS1_30default_config_static_selectorELNS0_4arch9wavefront6targetE0EEEvT1_
                                        ; -- End function
	.set _ZN7rocprim17ROCPRIM_400000_NS6detail17trampoline_kernelINS0_14default_configENS1_20scan_config_selectorIN3c107complexIfEEEEZZNS1_9scan_implILNS1_25lookback_scan_determinismE0ELb0ELb0ES3_PKS7_PS7_S7_ZZZN2at6native31launch_logcumsumexp_cuda_kernelERKNSE_10TensorBaseESI_lENKUlvE_clEvENKUlvE2_clEvEUlS7_S7_E_S7_EEDaPvRmT3_T4_T5_mT6_P12ihipStream_tbENKUlT_T0_E_clISt17integral_constantIbLb1EESY_IbLb0EEEEDaSU_SV_EUlSU_E_NS1_11comp_targetILNS1_3genE5ELNS1_11target_archE942ELNS1_3gpuE9ELNS1_3repE0EEENS1_30default_config_static_selectorELNS0_4arch9wavefront6targetE0EEEvT1_.num_vgpr, 0
	.set _ZN7rocprim17ROCPRIM_400000_NS6detail17trampoline_kernelINS0_14default_configENS1_20scan_config_selectorIN3c107complexIfEEEEZZNS1_9scan_implILNS1_25lookback_scan_determinismE0ELb0ELb0ES3_PKS7_PS7_S7_ZZZN2at6native31launch_logcumsumexp_cuda_kernelERKNSE_10TensorBaseESI_lENKUlvE_clEvENKUlvE2_clEvEUlS7_S7_E_S7_EEDaPvRmT3_T4_T5_mT6_P12ihipStream_tbENKUlT_T0_E_clISt17integral_constantIbLb1EESY_IbLb0EEEEDaSU_SV_EUlSU_E_NS1_11comp_targetILNS1_3genE5ELNS1_11target_archE942ELNS1_3gpuE9ELNS1_3repE0EEENS1_30default_config_static_selectorELNS0_4arch9wavefront6targetE0EEEvT1_.num_agpr, 0
	.set _ZN7rocprim17ROCPRIM_400000_NS6detail17trampoline_kernelINS0_14default_configENS1_20scan_config_selectorIN3c107complexIfEEEEZZNS1_9scan_implILNS1_25lookback_scan_determinismE0ELb0ELb0ES3_PKS7_PS7_S7_ZZZN2at6native31launch_logcumsumexp_cuda_kernelERKNSE_10TensorBaseESI_lENKUlvE_clEvENKUlvE2_clEvEUlS7_S7_E_S7_EEDaPvRmT3_T4_T5_mT6_P12ihipStream_tbENKUlT_T0_E_clISt17integral_constantIbLb1EESY_IbLb0EEEEDaSU_SV_EUlSU_E_NS1_11comp_targetILNS1_3genE5ELNS1_11target_archE942ELNS1_3gpuE9ELNS1_3repE0EEENS1_30default_config_static_selectorELNS0_4arch9wavefront6targetE0EEEvT1_.numbered_sgpr, 0
	.set _ZN7rocprim17ROCPRIM_400000_NS6detail17trampoline_kernelINS0_14default_configENS1_20scan_config_selectorIN3c107complexIfEEEEZZNS1_9scan_implILNS1_25lookback_scan_determinismE0ELb0ELb0ES3_PKS7_PS7_S7_ZZZN2at6native31launch_logcumsumexp_cuda_kernelERKNSE_10TensorBaseESI_lENKUlvE_clEvENKUlvE2_clEvEUlS7_S7_E_S7_EEDaPvRmT3_T4_T5_mT6_P12ihipStream_tbENKUlT_T0_E_clISt17integral_constantIbLb1EESY_IbLb0EEEEDaSU_SV_EUlSU_E_NS1_11comp_targetILNS1_3genE5ELNS1_11target_archE942ELNS1_3gpuE9ELNS1_3repE0EEENS1_30default_config_static_selectorELNS0_4arch9wavefront6targetE0EEEvT1_.num_named_barrier, 0
	.set _ZN7rocprim17ROCPRIM_400000_NS6detail17trampoline_kernelINS0_14default_configENS1_20scan_config_selectorIN3c107complexIfEEEEZZNS1_9scan_implILNS1_25lookback_scan_determinismE0ELb0ELb0ES3_PKS7_PS7_S7_ZZZN2at6native31launch_logcumsumexp_cuda_kernelERKNSE_10TensorBaseESI_lENKUlvE_clEvENKUlvE2_clEvEUlS7_S7_E_S7_EEDaPvRmT3_T4_T5_mT6_P12ihipStream_tbENKUlT_T0_E_clISt17integral_constantIbLb1EESY_IbLb0EEEEDaSU_SV_EUlSU_E_NS1_11comp_targetILNS1_3genE5ELNS1_11target_archE942ELNS1_3gpuE9ELNS1_3repE0EEENS1_30default_config_static_selectorELNS0_4arch9wavefront6targetE0EEEvT1_.private_seg_size, 0
	.set _ZN7rocprim17ROCPRIM_400000_NS6detail17trampoline_kernelINS0_14default_configENS1_20scan_config_selectorIN3c107complexIfEEEEZZNS1_9scan_implILNS1_25lookback_scan_determinismE0ELb0ELb0ES3_PKS7_PS7_S7_ZZZN2at6native31launch_logcumsumexp_cuda_kernelERKNSE_10TensorBaseESI_lENKUlvE_clEvENKUlvE2_clEvEUlS7_S7_E_S7_EEDaPvRmT3_T4_T5_mT6_P12ihipStream_tbENKUlT_T0_E_clISt17integral_constantIbLb1EESY_IbLb0EEEEDaSU_SV_EUlSU_E_NS1_11comp_targetILNS1_3genE5ELNS1_11target_archE942ELNS1_3gpuE9ELNS1_3repE0EEENS1_30default_config_static_selectorELNS0_4arch9wavefront6targetE0EEEvT1_.uses_vcc, 0
	.set _ZN7rocprim17ROCPRIM_400000_NS6detail17trampoline_kernelINS0_14default_configENS1_20scan_config_selectorIN3c107complexIfEEEEZZNS1_9scan_implILNS1_25lookback_scan_determinismE0ELb0ELb0ES3_PKS7_PS7_S7_ZZZN2at6native31launch_logcumsumexp_cuda_kernelERKNSE_10TensorBaseESI_lENKUlvE_clEvENKUlvE2_clEvEUlS7_S7_E_S7_EEDaPvRmT3_T4_T5_mT6_P12ihipStream_tbENKUlT_T0_E_clISt17integral_constantIbLb1EESY_IbLb0EEEEDaSU_SV_EUlSU_E_NS1_11comp_targetILNS1_3genE5ELNS1_11target_archE942ELNS1_3gpuE9ELNS1_3repE0EEENS1_30default_config_static_selectorELNS0_4arch9wavefront6targetE0EEEvT1_.uses_flat_scratch, 0
	.set _ZN7rocprim17ROCPRIM_400000_NS6detail17trampoline_kernelINS0_14default_configENS1_20scan_config_selectorIN3c107complexIfEEEEZZNS1_9scan_implILNS1_25lookback_scan_determinismE0ELb0ELb0ES3_PKS7_PS7_S7_ZZZN2at6native31launch_logcumsumexp_cuda_kernelERKNSE_10TensorBaseESI_lENKUlvE_clEvENKUlvE2_clEvEUlS7_S7_E_S7_EEDaPvRmT3_T4_T5_mT6_P12ihipStream_tbENKUlT_T0_E_clISt17integral_constantIbLb1EESY_IbLb0EEEEDaSU_SV_EUlSU_E_NS1_11comp_targetILNS1_3genE5ELNS1_11target_archE942ELNS1_3gpuE9ELNS1_3repE0EEENS1_30default_config_static_selectorELNS0_4arch9wavefront6targetE0EEEvT1_.has_dyn_sized_stack, 0
	.set _ZN7rocprim17ROCPRIM_400000_NS6detail17trampoline_kernelINS0_14default_configENS1_20scan_config_selectorIN3c107complexIfEEEEZZNS1_9scan_implILNS1_25lookback_scan_determinismE0ELb0ELb0ES3_PKS7_PS7_S7_ZZZN2at6native31launch_logcumsumexp_cuda_kernelERKNSE_10TensorBaseESI_lENKUlvE_clEvENKUlvE2_clEvEUlS7_S7_E_S7_EEDaPvRmT3_T4_T5_mT6_P12ihipStream_tbENKUlT_T0_E_clISt17integral_constantIbLb1EESY_IbLb0EEEEDaSU_SV_EUlSU_E_NS1_11comp_targetILNS1_3genE5ELNS1_11target_archE942ELNS1_3gpuE9ELNS1_3repE0EEENS1_30default_config_static_selectorELNS0_4arch9wavefront6targetE0EEEvT1_.has_recursion, 0
	.set _ZN7rocprim17ROCPRIM_400000_NS6detail17trampoline_kernelINS0_14default_configENS1_20scan_config_selectorIN3c107complexIfEEEEZZNS1_9scan_implILNS1_25lookback_scan_determinismE0ELb0ELb0ES3_PKS7_PS7_S7_ZZZN2at6native31launch_logcumsumexp_cuda_kernelERKNSE_10TensorBaseESI_lENKUlvE_clEvENKUlvE2_clEvEUlS7_S7_E_S7_EEDaPvRmT3_T4_T5_mT6_P12ihipStream_tbENKUlT_T0_E_clISt17integral_constantIbLb1EESY_IbLb0EEEEDaSU_SV_EUlSU_E_NS1_11comp_targetILNS1_3genE5ELNS1_11target_archE942ELNS1_3gpuE9ELNS1_3repE0EEENS1_30default_config_static_selectorELNS0_4arch9wavefront6targetE0EEEvT1_.has_indirect_call, 0
	.section	.AMDGPU.csdata,"",@progbits
; Kernel info:
; codeLenInByte = 0
; TotalNumSgprs: 0
; NumVgprs: 0
; ScratchSize: 0
; MemoryBound: 0
; FloatMode: 240
; IeeeMode: 1
; LDSByteSize: 0 bytes/workgroup (compile time only)
; SGPRBlocks: 0
; VGPRBlocks: 0
; NumSGPRsForWavesPerEU: 1
; NumVGPRsForWavesPerEU: 1
; Occupancy: 16
; WaveLimiterHint : 0
; COMPUTE_PGM_RSRC2:SCRATCH_EN: 0
; COMPUTE_PGM_RSRC2:USER_SGPR: 6
; COMPUTE_PGM_RSRC2:TRAP_HANDLER: 0
; COMPUTE_PGM_RSRC2:TGID_X_EN: 1
; COMPUTE_PGM_RSRC2:TGID_Y_EN: 0
; COMPUTE_PGM_RSRC2:TGID_Z_EN: 0
; COMPUTE_PGM_RSRC2:TIDIG_COMP_CNT: 0
	.section	.text._ZN7rocprim17ROCPRIM_400000_NS6detail17trampoline_kernelINS0_14default_configENS1_20scan_config_selectorIN3c107complexIfEEEEZZNS1_9scan_implILNS1_25lookback_scan_determinismE0ELb0ELb0ES3_PKS7_PS7_S7_ZZZN2at6native31launch_logcumsumexp_cuda_kernelERKNSE_10TensorBaseESI_lENKUlvE_clEvENKUlvE2_clEvEUlS7_S7_E_S7_EEDaPvRmT3_T4_T5_mT6_P12ihipStream_tbENKUlT_T0_E_clISt17integral_constantIbLb1EESY_IbLb0EEEEDaSU_SV_EUlSU_E_NS1_11comp_targetILNS1_3genE4ELNS1_11target_archE910ELNS1_3gpuE8ELNS1_3repE0EEENS1_30default_config_static_selectorELNS0_4arch9wavefront6targetE0EEEvT1_,"axG",@progbits,_ZN7rocprim17ROCPRIM_400000_NS6detail17trampoline_kernelINS0_14default_configENS1_20scan_config_selectorIN3c107complexIfEEEEZZNS1_9scan_implILNS1_25lookback_scan_determinismE0ELb0ELb0ES3_PKS7_PS7_S7_ZZZN2at6native31launch_logcumsumexp_cuda_kernelERKNSE_10TensorBaseESI_lENKUlvE_clEvENKUlvE2_clEvEUlS7_S7_E_S7_EEDaPvRmT3_T4_T5_mT6_P12ihipStream_tbENKUlT_T0_E_clISt17integral_constantIbLb1EESY_IbLb0EEEEDaSU_SV_EUlSU_E_NS1_11comp_targetILNS1_3genE4ELNS1_11target_archE910ELNS1_3gpuE8ELNS1_3repE0EEENS1_30default_config_static_selectorELNS0_4arch9wavefront6targetE0EEEvT1_,comdat
	.globl	_ZN7rocprim17ROCPRIM_400000_NS6detail17trampoline_kernelINS0_14default_configENS1_20scan_config_selectorIN3c107complexIfEEEEZZNS1_9scan_implILNS1_25lookback_scan_determinismE0ELb0ELb0ES3_PKS7_PS7_S7_ZZZN2at6native31launch_logcumsumexp_cuda_kernelERKNSE_10TensorBaseESI_lENKUlvE_clEvENKUlvE2_clEvEUlS7_S7_E_S7_EEDaPvRmT3_T4_T5_mT6_P12ihipStream_tbENKUlT_T0_E_clISt17integral_constantIbLb1EESY_IbLb0EEEEDaSU_SV_EUlSU_E_NS1_11comp_targetILNS1_3genE4ELNS1_11target_archE910ELNS1_3gpuE8ELNS1_3repE0EEENS1_30default_config_static_selectorELNS0_4arch9wavefront6targetE0EEEvT1_ ; -- Begin function _ZN7rocprim17ROCPRIM_400000_NS6detail17trampoline_kernelINS0_14default_configENS1_20scan_config_selectorIN3c107complexIfEEEEZZNS1_9scan_implILNS1_25lookback_scan_determinismE0ELb0ELb0ES3_PKS7_PS7_S7_ZZZN2at6native31launch_logcumsumexp_cuda_kernelERKNSE_10TensorBaseESI_lENKUlvE_clEvENKUlvE2_clEvEUlS7_S7_E_S7_EEDaPvRmT3_T4_T5_mT6_P12ihipStream_tbENKUlT_T0_E_clISt17integral_constantIbLb1EESY_IbLb0EEEEDaSU_SV_EUlSU_E_NS1_11comp_targetILNS1_3genE4ELNS1_11target_archE910ELNS1_3gpuE8ELNS1_3repE0EEENS1_30default_config_static_selectorELNS0_4arch9wavefront6targetE0EEEvT1_
	.p2align	8
	.type	_ZN7rocprim17ROCPRIM_400000_NS6detail17trampoline_kernelINS0_14default_configENS1_20scan_config_selectorIN3c107complexIfEEEEZZNS1_9scan_implILNS1_25lookback_scan_determinismE0ELb0ELb0ES3_PKS7_PS7_S7_ZZZN2at6native31launch_logcumsumexp_cuda_kernelERKNSE_10TensorBaseESI_lENKUlvE_clEvENKUlvE2_clEvEUlS7_S7_E_S7_EEDaPvRmT3_T4_T5_mT6_P12ihipStream_tbENKUlT_T0_E_clISt17integral_constantIbLb1EESY_IbLb0EEEEDaSU_SV_EUlSU_E_NS1_11comp_targetILNS1_3genE4ELNS1_11target_archE910ELNS1_3gpuE8ELNS1_3repE0EEENS1_30default_config_static_selectorELNS0_4arch9wavefront6targetE0EEEvT1_,@function
_ZN7rocprim17ROCPRIM_400000_NS6detail17trampoline_kernelINS0_14default_configENS1_20scan_config_selectorIN3c107complexIfEEEEZZNS1_9scan_implILNS1_25lookback_scan_determinismE0ELb0ELb0ES3_PKS7_PS7_S7_ZZZN2at6native31launch_logcumsumexp_cuda_kernelERKNSE_10TensorBaseESI_lENKUlvE_clEvENKUlvE2_clEvEUlS7_S7_E_S7_EEDaPvRmT3_T4_T5_mT6_P12ihipStream_tbENKUlT_T0_E_clISt17integral_constantIbLb1EESY_IbLb0EEEEDaSU_SV_EUlSU_E_NS1_11comp_targetILNS1_3genE4ELNS1_11target_archE910ELNS1_3gpuE8ELNS1_3repE0EEENS1_30default_config_static_selectorELNS0_4arch9wavefront6targetE0EEEvT1_: ; @_ZN7rocprim17ROCPRIM_400000_NS6detail17trampoline_kernelINS0_14default_configENS1_20scan_config_selectorIN3c107complexIfEEEEZZNS1_9scan_implILNS1_25lookback_scan_determinismE0ELb0ELb0ES3_PKS7_PS7_S7_ZZZN2at6native31launch_logcumsumexp_cuda_kernelERKNSE_10TensorBaseESI_lENKUlvE_clEvENKUlvE2_clEvEUlS7_S7_E_S7_EEDaPvRmT3_T4_T5_mT6_P12ihipStream_tbENKUlT_T0_E_clISt17integral_constantIbLb1EESY_IbLb0EEEEDaSU_SV_EUlSU_E_NS1_11comp_targetILNS1_3genE4ELNS1_11target_archE910ELNS1_3gpuE8ELNS1_3repE0EEENS1_30default_config_static_selectorELNS0_4arch9wavefront6targetE0EEEvT1_
; %bb.0:
	.section	.rodata,"a",@progbits
	.p2align	6, 0x0
	.amdhsa_kernel _ZN7rocprim17ROCPRIM_400000_NS6detail17trampoline_kernelINS0_14default_configENS1_20scan_config_selectorIN3c107complexIfEEEEZZNS1_9scan_implILNS1_25lookback_scan_determinismE0ELb0ELb0ES3_PKS7_PS7_S7_ZZZN2at6native31launch_logcumsumexp_cuda_kernelERKNSE_10TensorBaseESI_lENKUlvE_clEvENKUlvE2_clEvEUlS7_S7_E_S7_EEDaPvRmT3_T4_T5_mT6_P12ihipStream_tbENKUlT_T0_E_clISt17integral_constantIbLb1EESY_IbLb0EEEEDaSU_SV_EUlSU_E_NS1_11comp_targetILNS1_3genE4ELNS1_11target_archE910ELNS1_3gpuE8ELNS1_3repE0EEENS1_30default_config_static_selectorELNS0_4arch9wavefront6targetE0EEEvT1_
		.amdhsa_group_segment_fixed_size 0
		.amdhsa_private_segment_fixed_size 0
		.amdhsa_kernarg_size 104
		.amdhsa_user_sgpr_count 6
		.amdhsa_user_sgpr_private_segment_buffer 1
		.amdhsa_user_sgpr_dispatch_ptr 0
		.amdhsa_user_sgpr_queue_ptr 0
		.amdhsa_user_sgpr_kernarg_segment_ptr 1
		.amdhsa_user_sgpr_dispatch_id 0
		.amdhsa_user_sgpr_flat_scratch_init 0
		.amdhsa_user_sgpr_private_segment_size 0
		.amdhsa_wavefront_size32 1
		.amdhsa_uses_dynamic_stack 0
		.amdhsa_system_sgpr_private_segment_wavefront_offset 0
		.amdhsa_system_sgpr_workgroup_id_x 1
		.amdhsa_system_sgpr_workgroup_id_y 0
		.amdhsa_system_sgpr_workgroup_id_z 0
		.amdhsa_system_sgpr_workgroup_info 0
		.amdhsa_system_vgpr_workitem_id 0
		.amdhsa_next_free_vgpr 1
		.amdhsa_next_free_sgpr 1
		.amdhsa_reserve_vcc 0
		.amdhsa_reserve_flat_scratch 0
		.amdhsa_float_round_mode_32 0
		.amdhsa_float_round_mode_16_64 0
		.amdhsa_float_denorm_mode_32 3
		.amdhsa_float_denorm_mode_16_64 3
		.amdhsa_dx10_clamp 1
		.amdhsa_ieee_mode 1
		.amdhsa_fp16_overflow 0
		.amdhsa_workgroup_processor_mode 1
		.amdhsa_memory_ordered 1
		.amdhsa_forward_progress 1
		.amdhsa_shared_vgpr_count 0
		.amdhsa_exception_fp_ieee_invalid_op 0
		.amdhsa_exception_fp_denorm_src 0
		.amdhsa_exception_fp_ieee_div_zero 0
		.amdhsa_exception_fp_ieee_overflow 0
		.amdhsa_exception_fp_ieee_underflow 0
		.amdhsa_exception_fp_ieee_inexact 0
		.amdhsa_exception_int_div_zero 0
	.end_amdhsa_kernel
	.section	.text._ZN7rocprim17ROCPRIM_400000_NS6detail17trampoline_kernelINS0_14default_configENS1_20scan_config_selectorIN3c107complexIfEEEEZZNS1_9scan_implILNS1_25lookback_scan_determinismE0ELb0ELb0ES3_PKS7_PS7_S7_ZZZN2at6native31launch_logcumsumexp_cuda_kernelERKNSE_10TensorBaseESI_lENKUlvE_clEvENKUlvE2_clEvEUlS7_S7_E_S7_EEDaPvRmT3_T4_T5_mT6_P12ihipStream_tbENKUlT_T0_E_clISt17integral_constantIbLb1EESY_IbLb0EEEEDaSU_SV_EUlSU_E_NS1_11comp_targetILNS1_3genE4ELNS1_11target_archE910ELNS1_3gpuE8ELNS1_3repE0EEENS1_30default_config_static_selectorELNS0_4arch9wavefront6targetE0EEEvT1_,"axG",@progbits,_ZN7rocprim17ROCPRIM_400000_NS6detail17trampoline_kernelINS0_14default_configENS1_20scan_config_selectorIN3c107complexIfEEEEZZNS1_9scan_implILNS1_25lookback_scan_determinismE0ELb0ELb0ES3_PKS7_PS7_S7_ZZZN2at6native31launch_logcumsumexp_cuda_kernelERKNSE_10TensorBaseESI_lENKUlvE_clEvENKUlvE2_clEvEUlS7_S7_E_S7_EEDaPvRmT3_T4_T5_mT6_P12ihipStream_tbENKUlT_T0_E_clISt17integral_constantIbLb1EESY_IbLb0EEEEDaSU_SV_EUlSU_E_NS1_11comp_targetILNS1_3genE4ELNS1_11target_archE910ELNS1_3gpuE8ELNS1_3repE0EEENS1_30default_config_static_selectorELNS0_4arch9wavefront6targetE0EEEvT1_,comdat
.Lfunc_end312:
	.size	_ZN7rocprim17ROCPRIM_400000_NS6detail17trampoline_kernelINS0_14default_configENS1_20scan_config_selectorIN3c107complexIfEEEEZZNS1_9scan_implILNS1_25lookback_scan_determinismE0ELb0ELb0ES3_PKS7_PS7_S7_ZZZN2at6native31launch_logcumsumexp_cuda_kernelERKNSE_10TensorBaseESI_lENKUlvE_clEvENKUlvE2_clEvEUlS7_S7_E_S7_EEDaPvRmT3_T4_T5_mT6_P12ihipStream_tbENKUlT_T0_E_clISt17integral_constantIbLb1EESY_IbLb0EEEEDaSU_SV_EUlSU_E_NS1_11comp_targetILNS1_3genE4ELNS1_11target_archE910ELNS1_3gpuE8ELNS1_3repE0EEENS1_30default_config_static_selectorELNS0_4arch9wavefront6targetE0EEEvT1_, .Lfunc_end312-_ZN7rocprim17ROCPRIM_400000_NS6detail17trampoline_kernelINS0_14default_configENS1_20scan_config_selectorIN3c107complexIfEEEEZZNS1_9scan_implILNS1_25lookback_scan_determinismE0ELb0ELb0ES3_PKS7_PS7_S7_ZZZN2at6native31launch_logcumsumexp_cuda_kernelERKNSE_10TensorBaseESI_lENKUlvE_clEvENKUlvE2_clEvEUlS7_S7_E_S7_EEDaPvRmT3_T4_T5_mT6_P12ihipStream_tbENKUlT_T0_E_clISt17integral_constantIbLb1EESY_IbLb0EEEEDaSU_SV_EUlSU_E_NS1_11comp_targetILNS1_3genE4ELNS1_11target_archE910ELNS1_3gpuE8ELNS1_3repE0EEENS1_30default_config_static_selectorELNS0_4arch9wavefront6targetE0EEEvT1_
                                        ; -- End function
	.set _ZN7rocprim17ROCPRIM_400000_NS6detail17trampoline_kernelINS0_14default_configENS1_20scan_config_selectorIN3c107complexIfEEEEZZNS1_9scan_implILNS1_25lookback_scan_determinismE0ELb0ELb0ES3_PKS7_PS7_S7_ZZZN2at6native31launch_logcumsumexp_cuda_kernelERKNSE_10TensorBaseESI_lENKUlvE_clEvENKUlvE2_clEvEUlS7_S7_E_S7_EEDaPvRmT3_T4_T5_mT6_P12ihipStream_tbENKUlT_T0_E_clISt17integral_constantIbLb1EESY_IbLb0EEEEDaSU_SV_EUlSU_E_NS1_11comp_targetILNS1_3genE4ELNS1_11target_archE910ELNS1_3gpuE8ELNS1_3repE0EEENS1_30default_config_static_selectorELNS0_4arch9wavefront6targetE0EEEvT1_.num_vgpr, 0
	.set _ZN7rocprim17ROCPRIM_400000_NS6detail17trampoline_kernelINS0_14default_configENS1_20scan_config_selectorIN3c107complexIfEEEEZZNS1_9scan_implILNS1_25lookback_scan_determinismE0ELb0ELb0ES3_PKS7_PS7_S7_ZZZN2at6native31launch_logcumsumexp_cuda_kernelERKNSE_10TensorBaseESI_lENKUlvE_clEvENKUlvE2_clEvEUlS7_S7_E_S7_EEDaPvRmT3_T4_T5_mT6_P12ihipStream_tbENKUlT_T0_E_clISt17integral_constantIbLb1EESY_IbLb0EEEEDaSU_SV_EUlSU_E_NS1_11comp_targetILNS1_3genE4ELNS1_11target_archE910ELNS1_3gpuE8ELNS1_3repE0EEENS1_30default_config_static_selectorELNS0_4arch9wavefront6targetE0EEEvT1_.num_agpr, 0
	.set _ZN7rocprim17ROCPRIM_400000_NS6detail17trampoline_kernelINS0_14default_configENS1_20scan_config_selectorIN3c107complexIfEEEEZZNS1_9scan_implILNS1_25lookback_scan_determinismE0ELb0ELb0ES3_PKS7_PS7_S7_ZZZN2at6native31launch_logcumsumexp_cuda_kernelERKNSE_10TensorBaseESI_lENKUlvE_clEvENKUlvE2_clEvEUlS7_S7_E_S7_EEDaPvRmT3_T4_T5_mT6_P12ihipStream_tbENKUlT_T0_E_clISt17integral_constantIbLb1EESY_IbLb0EEEEDaSU_SV_EUlSU_E_NS1_11comp_targetILNS1_3genE4ELNS1_11target_archE910ELNS1_3gpuE8ELNS1_3repE0EEENS1_30default_config_static_selectorELNS0_4arch9wavefront6targetE0EEEvT1_.numbered_sgpr, 0
	.set _ZN7rocprim17ROCPRIM_400000_NS6detail17trampoline_kernelINS0_14default_configENS1_20scan_config_selectorIN3c107complexIfEEEEZZNS1_9scan_implILNS1_25lookback_scan_determinismE0ELb0ELb0ES3_PKS7_PS7_S7_ZZZN2at6native31launch_logcumsumexp_cuda_kernelERKNSE_10TensorBaseESI_lENKUlvE_clEvENKUlvE2_clEvEUlS7_S7_E_S7_EEDaPvRmT3_T4_T5_mT6_P12ihipStream_tbENKUlT_T0_E_clISt17integral_constantIbLb1EESY_IbLb0EEEEDaSU_SV_EUlSU_E_NS1_11comp_targetILNS1_3genE4ELNS1_11target_archE910ELNS1_3gpuE8ELNS1_3repE0EEENS1_30default_config_static_selectorELNS0_4arch9wavefront6targetE0EEEvT1_.num_named_barrier, 0
	.set _ZN7rocprim17ROCPRIM_400000_NS6detail17trampoline_kernelINS0_14default_configENS1_20scan_config_selectorIN3c107complexIfEEEEZZNS1_9scan_implILNS1_25lookback_scan_determinismE0ELb0ELb0ES3_PKS7_PS7_S7_ZZZN2at6native31launch_logcumsumexp_cuda_kernelERKNSE_10TensorBaseESI_lENKUlvE_clEvENKUlvE2_clEvEUlS7_S7_E_S7_EEDaPvRmT3_T4_T5_mT6_P12ihipStream_tbENKUlT_T0_E_clISt17integral_constantIbLb1EESY_IbLb0EEEEDaSU_SV_EUlSU_E_NS1_11comp_targetILNS1_3genE4ELNS1_11target_archE910ELNS1_3gpuE8ELNS1_3repE0EEENS1_30default_config_static_selectorELNS0_4arch9wavefront6targetE0EEEvT1_.private_seg_size, 0
	.set _ZN7rocprim17ROCPRIM_400000_NS6detail17trampoline_kernelINS0_14default_configENS1_20scan_config_selectorIN3c107complexIfEEEEZZNS1_9scan_implILNS1_25lookback_scan_determinismE0ELb0ELb0ES3_PKS7_PS7_S7_ZZZN2at6native31launch_logcumsumexp_cuda_kernelERKNSE_10TensorBaseESI_lENKUlvE_clEvENKUlvE2_clEvEUlS7_S7_E_S7_EEDaPvRmT3_T4_T5_mT6_P12ihipStream_tbENKUlT_T0_E_clISt17integral_constantIbLb1EESY_IbLb0EEEEDaSU_SV_EUlSU_E_NS1_11comp_targetILNS1_3genE4ELNS1_11target_archE910ELNS1_3gpuE8ELNS1_3repE0EEENS1_30default_config_static_selectorELNS0_4arch9wavefront6targetE0EEEvT1_.uses_vcc, 0
	.set _ZN7rocprim17ROCPRIM_400000_NS6detail17trampoline_kernelINS0_14default_configENS1_20scan_config_selectorIN3c107complexIfEEEEZZNS1_9scan_implILNS1_25lookback_scan_determinismE0ELb0ELb0ES3_PKS7_PS7_S7_ZZZN2at6native31launch_logcumsumexp_cuda_kernelERKNSE_10TensorBaseESI_lENKUlvE_clEvENKUlvE2_clEvEUlS7_S7_E_S7_EEDaPvRmT3_T4_T5_mT6_P12ihipStream_tbENKUlT_T0_E_clISt17integral_constantIbLb1EESY_IbLb0EEEEDaSU_SV_EUlSU_E_NS1_11comp_targetILNS1_3genE4ELNS1_11target_archE910ELNS1_3gpuE8ELNS1_3repE0EEENS1_30default_config_static_selectorELNS0_4arch9wavefront6targetE0EEEvT1_.uses_flat_scratch, 0
	.set _ZN7rocprim17ROCPRIM_400000_NS6detail17trampoline_kernelINS0_14default_configENS1_20scan_config_selectorIN3c107complexIfEEEEZZNS1_9scan_implILNS1_25lookback_scan_determinismE0ELb0ELb0ES3_PKS7_PS7_S7_ZZZN2at6native31launch_logcumsumexp_cuda_kernelERKNSE_10TensorBaseESI_lENKUlvE_clEvENKUlvE2_clEvEUlS7_S7_E_S7_EEDaPvRmT3_T4_T5_mT6_P12ihipStream_tbENKUlT_T0_E_clISt17integral_constantIbLb1EESY_IbLb0EEEEDaSU_SV_EUlSU_E_NS1_11comp_targetILNS1_3genE4ELNS1_11target_archE910ELNS1_3gpuE8ELNS1_3repE0EEENS1_30default_config_static_selectorELNS0_4arch9wavefront6targetE0EEEvT1_.has_dyn_sized_stack, 0
	.set _ZN7rocprim17ROCPRIM_400000_NS6detail17trampoline_kernelINS0_14default_configENS1_20scan_config_selectorIN3c107complexIfEEEEZZNS1_9scan_implILNS1_25lookback_scan_determinismE0ELb0ELb0ES3_PKS7_PS7_S7_ZZZN2at6native31launch_logcumsumexp_cuda_kernelERKNSE_10TensorBaseESI_lENKUlvE_clEvENKUlvE2_clEvEUlS7_S7_E_S7_EEDaPvRmT3_T4_T5_mT6_P12ihipStream_tbENKUlT_T0_E_clISt17integral_constantIbLb1EESY_IbLb0EEEEDaSU_SV_EUlSU_E_NS1_11comp_targetILNS1_3genE4ELNS1_11target_archE910ELNS1_3gpuE8ELNS1_3repE0EEENS1_30default_config_static_selectorELNS0_4arch9wavefront6targetE0EEEvT1_.has_recursion, 0
	.set _ZN7rocprim17ROCPRIM_400000_NS6detail17trampoline_kernelINS0_14default_configENS1_20scan_config_selectorIN3c107complexIfEEEEZZNS1_9scan_implILNS1_25lookback_scan_determinismE0ELb0ELb0ES3_PKS7_PS7_S7_ZZZN2at6native31launch_logcumsumexp_cuda_kernelERKNSE_10TensorBaseESI_lENKUlvE_clEvENKUlvE2_clEvEUlS7_S7_E_S7_EEDaPvRmT3_T4_T5_mT6_P12ihipStream_tbENKUlT_T0_E_clISt17integral_constantIbLb1EESY_IbLb0EEEEDaSU_SV_EUlSU_E_NS1_11comp_targetILNS1_3genE4ELNS1_11target_archE910ELNS1_3gpuE8ELNS1_3repE0EEENS1_30default_config_static_selectorELNS0_4arch9wavefront6targetE0EEEvT1_.has_indirect_call, 0
	.section	.AMDGPU.csdata,"",@progbits
; Kernel info:
; codeLenInByte = 0
; TotalNumSgprs: 0
; NumVgprs: 0
; ScratchSize: 0
; MemoryBound: 0
; FloatMode: 240
; IeeeMode: 1
; LDSByteSize: 0 bytes/workgroup (compile time only)
; SGPRBlocks: 0
; VGPRBlocks: 0
; NumSGPRsForWavesPerEU: 1
; NumVGPRsForWavesPerEU: 1
; Occupancy: 16
; WaveLimiterHint : 0
; COMPUTE_PGM_RSRC2:SCRATCH_EN: 0
; COMPUTE_PGM_RSRC2:USER_SGPR: 6
; COMPUTE_PGM_RSRC2:TRAP_HANDLER: 0
; COMPUTE_PGM_RSRC2:TGID_X_EN: 1
; COMPUTE_PGM_RSRC2:TGID_Y_EN: 0
; COMPUTE_PGM_RSRC2:TGID_Z_EN: 0
; COMPUTE_PGM_RSRC2:TIDIG_COMP_CNT: 0
	.section	.text._ZN7rocprim17ROCPRIM_400000_NS6detail17trampoline_kernelINS0_14default_configENS1_20scan_config_selectorIN3c107complexIfEEEEZZNS1_9scan_implILNS1_25lookback_scan_determinismE0ELb0ELb0ES3_PKS7_PS7_S7_ZZZN2at6native31launch_logcumsumexp_cuda_kernelERKNSE_10TensorBaseESI_lENKUlvE_clEvENKUlvE2_clEvEUlS7_S7_E_S7_EEDaPvRmT3_T4_T5_mT6_P12ihipStream_tbENKUlT_T0_E_clISt17integral_constantIbLb1EESY_IbLb0EEEEDaSU_SV_EUlSU_E_NS1_11comp_targetILNS1_3genE3ELNS1_11target_archE908ELNS1_3gpuE7ELNS1_3repE0EEENS1_30default_config_static_selectorELNS0_4arch9wavefront6targetE0EEEvT1_,"axG",@progbits,_ZN7rocprim17ROCPRIM_400000_NS6detail17trampoline_kernelINS0_14default_configENS1_20scan_config_selectorIN3c107complexIfEEEEZZNS1_9scan_implILNS1_25lookback_scan_determinismE0ELb0ELb0ES3_PKS7_PS7_S7_ZZZN2at6native31launch_logcumsumexp_cuda_kernelERKNSE_10TensorBaseESI_lENKUlvE_clEvENKUlvE2_clEvEUlS7_S7_E_S7_EEDaPvRmT3_T4_T5_mT6_P12ihipStream_tbENKUlT_T0_E_clISt17integral_constantIbLb1EESY_IbLb0EEEEDaSU_SV_EUlSU_E_NS1_11comp_targetILNS1_3genE3ELNS1_11target_archE908ELNS1_3gpuE7ELNS1_3repE0EEENS1_30default_config_static_selectorELNS0_4arch9wavefront6targetE0EEEvT1_,comdat
	.globl	_ZN7rocprim17ROCPRIM_400000_NS6detail17trampoline_kernelINS0_14default_configENS1_20scan_config_selectorIN3c107complexIfEEEEZZNS1_9scan_implILNS1_25lookback_scan_determinismE0ELb0ELb0ES3_PKS7_PS7_S7_ZZZN2at6native31launch_logcumsumexp_cuda_kernelERKNSE_10TensorBaseESI_lENKUlvE_clEvENKUlvE2_clEvEUlS7_S7_E_S7_EEDaPvRmT3_T4_T5_mT6_P12ihipStream_tbENKUlT_T0_E_clISt17integral_constantIbLb1EESY_IbLb0EEEEDaSU_SV_EUlSU_E_NS1_11comp_targetILNS1_3genE3ELNS1_11target_archE908ELNS1_3gpuE7ELNS1_3repE0EEENS1_30default_config_static_selectorELNS0_4arch9wavefront6targetE0EEEvT1_ ; -- Begin function _ZN7rocprim17ROCPRIM_400000_NS6detail17trampoline_kernelINS0_14default_configENS1_20scan_config_selectorIN3c107complexIfEEEEZZNS1_9scan_implILNS1_25lookback_scan_determinismE0ELb0ELb0ES3_PKS7_PS7_S7_ZZZN2at6native31launch_logcumsumexp_cuda_kernelERKNSE_10TensorBaseESI_lENKUlvE_clEvENKUlvE2_clEvEUlS7_S7_E_S7_EEDaPvRmT3_T4_T5_mT6_P12ihipStream_tbENKUlT_T0_E_clISt17integral_constantIbLb1EESY_IbLb0EEEEDaSU_SV_EUlSU_E_NS1_11comp_targetILNS1_3genE3ELNS1_11target_archE908ELNS1_3gpuE7ELNS1_3repE0EEENS1_30default_config_static_selectorELNS0_4arch9wavefront6targetE0EEEvT1_
	.p2align	8
	.type	_ZN7rocprim17ROCPRIM_400000_NS6detail17trampoline_kernelINS0_14default_configENS1_20scan_config_selectorIN3c107complexIfEEEEZZNS1_9scan_implILNS1_25lookback_scan_determinismE0ELb0ELb0ES3_PKS7_PS7_S7_ZZZN2at6native31launch_logcumsumexp_cuda_kernelERKNSE_10TensorBaseESI_lENKUlvE_clEvENKUlvE2_clEvEUlS7_S7_E_S7_EEDaPvRmT3_T4_T5_mT6_P12ihipStream_tbENKUlT_T0_E_clISt17integral_constantIbLb1EESY_IbLb0EEEEDaSU_SV_EUlSU_E_NS1_11comp_targetILNS1_3genE3ELNS1_11target_archE908ELNS1_3gpuE7ELNS1_3repE0EEENS1_30default_config_static_selectorELNS0_4arch9wavefront6targetE0EEEvT1_,@function
_ZN7rocprim17ROCPRIM_400000_NS6detail17trampoline_kernelINS0_14default_configENS1_20scan_config_selectorIN3c107complexIfEEEEZZNS1_9scan_implILNS1_25lookback_scan_determinismE0ELb0ELb0ES3_PKS7_PS7_S7_ZZZN2at6native31launch_logcumsumexp_cuda_kernelERKNSE_10TensorBaseESI_lENKUlvE_clEvENKUlvE2_clEvEUlS7_S7_E_S7_EEDaPvRmT3_T4_T5_mT6_P12ihipStream_tbENKUlT_T0_E_clISt17integral_constantIbLb1EESY_IbLb0EEEEDaSU_SV_EUlSU_E_NS1_11comp_targetILNS1_3genE3ELNS1_11target_archE908ELNS1_3gpuE7ELNS1_3repE0EEENS1_30default_config_static_selectorELNS0_4arch9wavefront6targetE0EEEvT1_: ; @_ZN7rocprim17ROCPRIM_400000_NS6detail17trampoline_kernelINS0_14default_configENS1_20scan_config_selectorIN3c107complexIfEEEEZZNS1_9scan_implILNS1_25lookback_scan_determinismE0ELb0ELb0ES3_PKS7_PS7_S7_ZZZN2at6native31launch_logcumsumexp_cuda_kernelERKNSE_10TensorBaseESI_lENKUlvE_clEvENKUlvE2_clEvEUlS7_S7_E_S7_EEDaPvRmT3_T4_T5_mT6_P12ihipStream_tbENKUlT_T0_E_clISt17integral_constantIbLb1EESY_IbLb0EEEEDaSU_SV_EUlSU_E_NS1_11comp_targetILNS1_3genE3ELNS1_11target_archE908ELNS1_3gpuE7ELNS1_3repE0EEENS1_30default_config_static_selectorELNS0_4arch9wavefront6targetE0EEEvT1_
; %bb.0:
	.section	.rodata,"a",@progbits
	.p2align	6, 0x0
	.amdhsa_kernel _ZN7rocprim17ROCPRIM_400000_NS6detail17trampoline_kernelINS0_14default_configENS1_20scan_config_selectorIN3c107complexIfEEEEZZNS1_9scan_implILNS1_25lookback_scan_determinismE0ELb0ELb0ES3_PKS7_PS7_S7_ZZZN2at6native31launch_logcumsumexp_cuda_kernelERKNSE_10TensorBaseESI_lENKUlvE_clEvENKUlvE2_clEvEUlS7_S7_E_S7_EEDaPvRmT3_T4_T5_mT6_P12ihipStream_tbENKUlT_T0_E_clISt17integral_constantIbLb1EESY_IbLb0EEEEDaSU_SV_EUlSU_E_NS1_11comp_targetILNS1_3genE3ELNS1_11target_archE908ELNS1_3gpuE7ELNS1_3repE0EEENS1_30default_config_static_selectorELNS0_4arch9wavefront6targetE0EEEvT1_
		.amdhsa_group_segment_fixed_size 0
		.amdhsa_private_segment_fixed_size 0
		.amdhsa_kernarg_size 104
		.amdhsa_user_sgpr_count 6
		.amdhsa_user_sgpr_private_segment_buffer 1
		.amdhsa_user_sgpr_dispatch_ptr 0
		.amdhsa_user_sgpr_queue_ptr 0
		.amdhsa_user_sgpr_kernarg_segment_ptr 1
		.amdhsa_user_sgpr_dispatch_id 0
		.amdhsa_user_sgpr_flat_scratch_init 0
		.amdhsa_user_sgpr_private_segment_size 0
		.amdhsa_wavefront_size32 1
		.amdhsa_uses_dynamic_stack 0
		.amdhsa_system_sgpr_private_segment_wavefront_offset 0
		.amdhsa_system_sgpr_workgroup_id_x 1
		.amdhsa_system_sgpr_workgroup_id_y 0
		.amdhsa_system_sgpr_workgroup_id_z 0
		.amdhsa_system_sgpr_workgroup_info 0
		.amdhsa_system_vgpr_workitem_id 0
		.amdhsa_next_free_vgpr 1
		.amdhsa_next_free_sgpr 1
		.amdhsa_reserve_vcc 0
		.amdhsa_reserve_flat_scratch 0
		.amdhsa_float_round_mode_32 0
		.amdhsa_float_round_mode_16_64 0
		.amdhsa_float_denorm_mode_32 3
		.amdhsa_float_denorm_mode_16_64 3
		.amdhsa_dx10_clamp 1
		.amdhsa_ieee_mode 1
		.amdhsa_fp16_overflow 0
		.amdhsa_workgroup_processor_mode 1
		.amdhsa_memory_ordered 1
		.amdhsa_forward_progress 1
		.amdhsa_shared_vgpr_count 0
		.amdhsa_exception_fp_ieee_invalid_op 0
		.amdhsa_exception_fp_denorm_src 0
		.amdhsa_exception_fp_ieee_div_zero 0
		.amdhsa_exception_fp_ieee_overflow 0
		.amdhsa_exception_fp_ieee_underflow 0
		.amdhsa_exception_fp_ieee_inexact 0
		.amdhsa_exception_int_div_zero 0
	.end_amdhsa_kernel
	.section	.text._ZN7rocprim17ROCPRIM_400000_NS6detail17trampoline_kernelINS0_14default_configENS1_20scan_config_selectorIN3c107complexIfEEEEZZNS1_9scan_implILNS1_25lookback_scan_determinismE0ELb0ELb0ES3_PKS7_PS7_S7_ZZZN2at6native31launch_logcumsumexp_cuda_kernelERKNSE_10TensorBaseESI_lENKUlvE_clEvENKUlvE2_clEvEUlS7_S7_E_S7_EEDaPvRmT3_T4_T5_mT6_P12ihipStream_tbENKUlT_T0_E_clISt17integral_constantIbLb1EESY_IbLb0EEEEDaSU_SV_EUlSU_E_NS1_11comp_targetILNS1_3genE3ELNS1_11target_archE908ELNS1_3gpuE7ELNS1_3repE0EEENS1_30default_config_static_selectorELNS0_4arch9wavefront6targetE0EEEvT1_,"axG",@progbits,_ZN7rocprim17ROCPRIM_400000_NS6detail17trampoline_kernelINS0_14default_configENS1_20scan_config_selectorIN3c107complexIfEEEEZZNS1_9scan_implILNS1_25lookback_scan_determinismE0ELb0ELb0ES3_PKS7_PS7_S7_ZZZN2at6native31launch_logcumsumexp_cuda_kernelERKNSE_10TensorBaseESI_lENKUlvE_clEvENKUlvE2_clEvEUlS7_S7_E_S7_EEDaPvRmT3_T4_T5_mT6_P12ihipStream_tbENKUlT_T0_E_clISt17integral_constantIbLb1EESY_IbLb0EEEEDaSU_SV_EUlSU_E_NS1_11comp_targetILNS1_3genE3ELNS1_11target_archE908ELNS1_3gpuE7ELNS1_3repE0EEENS1_30default_config_static_selectorELNS0_4arch9wavefront6targetE0EEEvT1_,comdat
.Lfunc_end313:
	.size	_ZN7rocprim17ROCPRIM_400000_NS6detail17trampoline_kernelINS0_14default_configENS1_20scan_config_selectorIN3c107complexIfEEEEZZNS1_9scan_implILNS1_25lookback_scan_determinismE0ELb0ELb0ES3_PKS7_PS7_S7_ZZZN2at6native31launch_logcumsumexp_cuda_kernelERKNSE_10TensorBaseESI_lENKUlvE_clEvENKUlvE2_clEvEUlS7_S7_E_S7_EEDaPvRmT3_T4_T5_mT6_P12ihipStream_tbENKUlT_T0_E_clISt17integral_constantIbLb1EESY_IbLb0EEEEDaSU_SV_EUlSU_E_NS1_11comp_targetILNS1_3genE3ELNS1_11target_archE908ELNS1_3gpuE7ELNS1_3repE0EEENS1_30default_config_static_selectorELNS0_4arch9wavefront6targetE0EEEvT1_, .Lfunc_end313-_ZN7rocprim17ROCPRIM_400000_NS6detail17trampoline_kernelINS0_14default_configENS1_20scan_config_selectorIN3c107complexIfEEEEZZNS1_9scan_implILNS1_25lookback_scan_determinismE0ELb0ELb0ES3_PKS7_PS7_S7_ZZZN2at6native31launch_logcumsumexp_cuda_kernelERKNSE_10TensorBaseESI_lENKUlvE_clEvENKUlvE2_clEvEUlS7_S7_E_S7_EEDaPvRmT3_T4_T5_mT6_P12ihipStream_tbENKUlT_T0_E_clISt17integral_constantIbLb1EESY_IbLb0EEEEDaSU_SV_EUlSU_E_NS1_11comp_targetILNS1_3genE3ELNS1_11target_archE908ELNS1_3gpuE7ELNS1_3repE0EEENS1_30default_config_static_selectorELNS0_4arch9wavefront6targetE0EEEvT1_
                                        ; -- End function
	.set _ZN7rocprim17ROCPRIM_400000_NS6detail17trampoline_kernelINS0_14default_configENS1_20scan_config_selectorIN3c107complexIfEEEEZZNS1_9scan_implILNS1_25lookback_scan_determinismE0ELb0ELb0ES3_PKS7_PS7_S7_ZZZN2at6native31launch_logcumsumexp_cuda_kernelERKNSE_10TensorBaseESI_lENKUlvE_clEvENKUlvE2_clEvEUlS7_S7_E_S7_EEDaPvRmT3_T4_T5_mT6_P12ihipStream_tbENKUlT_T0_E_clISt17integral_constantIbLb1EESY_IbLb0EEEEDaSU_SV_EUlSU_E_NS1_11comp_targetILNS1_3genE3ELNS1_11target_archE908ELNS1_3gpuE7ELNS1_3repE0EEENS1_30default_config_static_selectorELNS0_4arch9wavefront6targetE0EEEvT1_.num_vgpr, 0
	.set _ZN7rocprim17ROCPRIM_400000_NS6detail17trampoline_kernelINS0_14default_configENS1_20scan_config_selectorIN3c107complexIfEEEEZZNS1_9scan_implILNS1_25lookback_scan_determinismE0ELb0ELb0ES3_PKS7_PS7_S7_ZZZN2at6native31launch_logcumsumexp_cuda_kernelERKNSE_10TensorBaseESI_lENKUlvE_clEvENKUlvE2_clEvEUlS7_S7_E_S7_EEDaPvRmT3_T4_T5_mT6_P12ihipStream_tbENKUlT_T0_E_clISt17integral_constantIbLb1EESY_IbLb0EEEEDaSU_SV_EUlSU_E_NS1_11comp_targetILNS1_3genE3ELNS1_11target_archE908ELNS1_3gpuE7ELNS1_3repE0EEENS1_30default_config_static_selectorELNS0_4arch9wavefront6targetE0EEEvT1_.num_agpr, 0
	.set _ZN7rocprim17ROCPRIM_400000_NS6detail17trampoline_kernelINS0_14default_configENS1_20scan_config_selectorIN3c107complexIfEEEEZZNS1_9scan_implILNS1_25lookback_scan_determinismE0ELb0ELb0ES3_PKS7_PS7_S7_ZZZN2at6native31launch_logcumsumexp_cuda_kernelERKNSE_10TensorBaseESI_lENKUlvE_clEvENKUlvE2_clEvEUlS7_S7_E_S7_EEDaPvRmT3_T4_T5_mT6_P12ihipStream_tbENKUlT_T0_E_clISt17integral_constantIbLb1EESY_IbLb0EEEEDaSU_SV_EUlSU_E_NS1_11comp_targetILNS1_3genE3ELNS1_11target_archE908ELNS1_3gpuE7ELNS1_3repE0EEENS1_30default_config_static_selectorELNS0_4arch9wavefront6targetE0EEEvT1_.numbered_sgpr, 0
	.set _ZN7rocprim17ROCPRIM_400000_NS6detail17trampoline_kernelINS0_14default_configENS1_20scan_config_selectorIN3c107complexIfEEEEZZNS1_9scan_implILNS1_25lookback_scan_determinismE0ELb0ELb0ES3_PKS7_PS7_S7_ZZZN2at6native31launch_logcumsumexp_cuda_kernelERKNSE_10TensorBaseESI_lENKUlvE_clEvENKUlvE2_clEvEUlS7_S7_E_S7_EEDaPvRmT3_T4_T5_mT6_P12ihipStream_tbENKUlT_T0_E_clISt17integral_constantIbLb1EESY_IbLb0EEEEDaSU_SV_EUlSU_E_NS1_11comp_targetILNS1_3genE3ELNS1_11target_archE908ELNS1_3gpuE7ELNS1_3repE0EEENS1_30default_config_static_selectorELNS0_4arch9wavefront6targetE0EEEvT1_.num_named_barrier, 0
	.set _ZN7rocprim17ROCPRIM_400000_NS6detail17trampoline_kernelINS0_14default_configENS1_20scan_config_selectorIN3c107complexIfEEEEZZNS1_9scan_implILNS1_25lookback_scan_determinismE0ELb0ELb0ES3_PKS7_PS7_S7_ZZZN2at6native31launch_logcumsumexp_cuda_kernelERKNSE_10TensorBaseESI_lENKUlvE_clEvENKUlvE2_clEvEUlS7_S7_E_S7_EEDaPvRmT3_T4_T5_mT6_P12ihipStream_tbENKUlT_T0_E_clISt17integral_constantIbLb1EESY_IbLb0EEEEDaSU_SV_EUlSU_E_NS1_11comp_targetILNS1_3genE3ELNS1_11target_archE908ELNS1_3gpuE7ELNS1_3repE0EEENS1_30default_config_static_selectorELNS0_4arch9wavefront6targetE0EEEvT1_.private_seg_size, 0
	.set _ZN7rocprim17ROCPRIM_400000_NS6detail17trampoline_kernelINS0_14default_configENS1_20scan_config_selectorIN3c107complexIfEEEEZZNS1_9scan_implILNS1_25lookback_scan_determinismE0ELb0ELb0ES3_PKS7_PS7_S7_ZZZN2at6native31launch_logcumsumexp_cuda_kernelERKNSE_10TensorBaseESI_lENKUlvE_clEvENKUlvE2_clEvEUlS7_S7_E_S7_EEDaPvRmT3_T4_T5_mT6_P12ihipStream_tbENKUlT_T0_E_clISt17integral_constantIbLb1EESY_IbLb0EEEEDaSU_SV_EUlSU_E_NS1_11comp_targetILNS1_3genE3ELNS1_11target_archE908ELNS1_3gpuE7ELNS1_3repE0EEENS1_30default_config_static_selectorELNS0_4arch9wavefront6targetE0EEEvT1_.uses_vcc, 0
	.set _ZN7rocprim17ROCPRIM_400000_NS6detail17trampoline_kernelINS0_14default_configENS1_20scan_config_selectorIN3c107complexIfEEEEZZNS1_9scan_implILNS1_25lookback_scan_determinismE0ELb0ELb0ES3_PKS7_PS7_S7_ZZZN2at6native31launch_logcumsumexp_cuda_kernelERKNSE_10TensorBaseESI_lENKUlvE_clEvENKUlvE2_clEvEUlS7_S7_E_S7_EEDaPvRmT3_T4_T5_mT6_P12ihipStream_tbENKUlT_T0_E_clISt17integral_constantIbLb1EESY_IbLb0EEEEDaSU_SV_EUlSU_E_NS1_11comp_targetILNS1_3genE3ELNS1_11target_archE908ELNS1_3gpuE7ELNS1_3repE0EEENS1_30default_config_static_selectorELNS0_4arch9wavefront6targetE0EEEvT1_.uses_flat_scratch, 0
	.set _ZN7rocprim17ROCPRIM_400000_NS6detail17trampoline_kernelINS0_14default_configENS1_20scan_config_selectorIN3c107complexIfEEEEZZNS1_9scan_implILNS1_25lookback_scan_determinismE0ELb0ELb0ES3_PKS7_PS7_S7_ZZZN2at6native31launch_logcumsumexp_cuda_kernelERKNSE_10TensorBaseESI_lENKUlvE_clEvENKUlvE2_clEvEUlS7_S7_E_S7_EEDaPvRmT3_T4_T5_mT6_P12ihipStream_tbENKUlT_T0_E_clISt17integral_constantIbLb1EESY_IbLb0EEEEDaSU_SV_EUlSU_E_NS1_11comp_targetILNS1_3genE3ELNS1_11target_archE908ELNS1_3gpuE7ELNS1_3repE0EEENS1_30default_config_static_selectorELNS0_4arch9wavefront6targetE0EEEvT1_.has_dyn_sized_stack, 0
	.set _ZN7rocprim17ROCPRIM_400000_NS6detail17trampoline_kernelINS0_14default_configENS1_20scan_config_selectorIN3c107complexIfEEEEZZNS1_9scan_implILNS1_25lookback_scan_determinismE0ELb0ELb0ES3_PKS7_PS7_S7_ZZZN2at6native31launch_logcumsumexp_cuda_kernelERKNSE_10TensorBaseESI_lENKUlvE_clEvENKUlvE2_clEvEUlS7_S7_E_S7_EEDaPvRmT3_T4_T5_mT6_P12ihipStream_tbENKUlT_T0_E_clISt17integral_constantIbLb1EESY_IbLb0EEEEDaSU_SV_EUlSU_E_NS1_11comp_targetILNS1_3genE3ELNS1_11target_archE908ELNS1_3gpuE7ELNS1_3repE0EEENS1_30default_config_static_selectorELNS0_4arch9wavefront6targetE0EEEvT1_.has_recursion, 0
	.set _ZN7rocprim17ROCPRIM_400000_NS6detail17trampoline_kernelINS0_14default_configENS1_20scan_config_selectorIN3c107complexIfEEEEZZNS1_9scan_implILNS1_25lookback_scan_determinismE0ELb0ELb0ES3_PKS7_PS7_S7_ZZZN2at6native31launch_logcumsumexp_cuda_kernelERKNSE_10TensorBaseESI_lENKUlvE_clEvENKUlvE2_clEvEUlS7_S7_E_S7_EEDaPvRmT3_T4_T5_mT6_P12ihipStream_tbENKUlT_T0_E_clISt17integral_constantIbLb1EESY_IbLb0EEEEDaSU_SV_EUlSU_E_NS1_11comp_targetILNS1_3genE3ELNS1_11target_archE908ELNS1_3gpuE7ELNS1_3repE0EEENS1_30default_config_static_selectorELNS0_4arch9wavefront6targetE0EEEvT1_.has_indirect_call, 0
	.section	.AMDGPU.csdata,"",@progbits
; Kernel info:
; codeLenInByte = 0
; TotalNumSgprs: 0
; NumVgprs: 0
; ScratchSize: 0
; MemoryBound: 0
; FloatMode: 240
; IeeeMode: 1
; LDSByteSize: 0 bytes/workgroup (compile time only)
; SGPRBlocks: 0
; VGPRBlocks: 0
; NumSGPRsForWavesPerEU: 1
; NumVGPRsForWavesPerEU: 1
; Occupancy: 16
; WaveLimiterHint : 0
; COMPUTE_PGM_RSRC2:SCRATCH_EN: 0
; COMPUTE_PGM_RSRC2:USER_SGPR: 6
; COMPUTE_PGM_RSRC2:TRAP_HANDLER: 0
; COMPUTE_PGM_RSRC2:TGID_X_EN: 1
; COMPUTE_PGM_RSRC2:TGID_Y_EN: 0
; COMPUTE_PGM_RSRC2:TGID_Z_EN: 0
; COMPUTE_PGM_RSRC2:TIDIG_COMP_CNT: 0
	.section	.text._ZN7rocprim17ROCPRIM_400000_NS6detail17trampoline_kernelINS0_14default_configENS1_20scan_config_selectorIN3c107complexIfEEEEZZNS1_9scan_implILNS1_25lookback_scan_determinismE0ELb0ELb0ES3_PKS7_PS7_S7_ZZZN2at6native31launch_logcumsumexp_cuda_kernelERKNSE_10TensorBaseESI_lENKUlvE_clEvENKUlvE2_clEvEUlS7_S7_E_S7_EEDaPvRmT3_T4_T5_mT6_P12ihipStream_tbENKUlT_T0_E_clISt17integral_constantIbLb1EESY_IbLb0EEEEDaSU_SV_EUlSU_E_NS1_11comp_targetILNS1_3genE2ELNS1_11target_archE906ELNS1_3gpuE6ELNS1_3repE0EEENS1_30default_config_static_selectorELNS0_4arch9wavefront6targetE0EEEvT1_,"axG",@progbits,_ZN7rocprim17ROCPRIM_400000_NS6detail17trampoline_kernelINS0_14default_configENS1_20scan_config_selectorIN3c107complexIfEEEEZZNS1_9scan_implILNS1_25lookback_scan_determinismE0ELb0ELb0ES3_PKS7_PS7_S7_ZZZN2at6native31launch_logcumsumexp_cuda_kernelERKNSE_10TensorBaseESI_lENKUlvE_clEvENKUlvE2_clEvEUlS7_S7_E_S7_EEDaPvRmT3_T4_T5_mT6_P12ihipStream_tbENKUlT_T0_E_clISt17integral_constantIbLb1EESY_IbLb0EEEEDaSU_SV_EUlSU_E_NS1_11comp_targetILNS1_3genE2ELNS1_11target_archE906ELNS1_3gpuE6ELNS1_3repE0EEENS1_30default_config_static_selectorELNS0_4arch9wavefront6targetE0EEEvT1_,comdat
	.globl	_ZN7rocprim17ROCPRIM_400000_NS6detail17trampoline_kernelINS0_14default_configENS1_20scan_config_selectorIN3c107complexIfEEEEZZNS1_9scan_implILNS1_25lookback_scan_determinismE0ELb0ELb0ES3_PKS7_PS7_S7_ZZZN2at6native31launch_logcumsumexp_cuda_kernelERKNSE_10TensorBaseESI_lENKUlvE_clEvENKUlvE2_clEvEUlS7_S7_E_S7_EEDaPvRmT3_T4_T5_mT6_P12ihipStream_tbENKUlT_T0_E_clISt17integral_constantIbLb1EESY_IbLb0EEEEDaSU_SV_EUlSU_E_NS1_11comp_targetILNS1_3genE2ELNS1_11target_archE906ELNS1_3gpuE6ELNS1_3repE0EEENS1_30default_config_static_selectorELNS0_4arch9wavefront6targetE0EEEvT1_ ; -- Begin function _ZN7rocprim17ROCPRIM_400000_NS6detail17trampoline_kernelINS0_14default_configENS1_20scan_config_selectorIN3c107complexIfEEEEZZNS1_9scan_implILNS1_25lookback_scan_determinismE0ELb0ELb0ES3_PKS7_PS7_S7_ZZZN2at6native31launch_logcumsumexp_cuda_kernelERKNSE_10TensorBaseESI_lENKUlvE_clEvENKUlvE2_clEvEUlS7_S7_E_S7_EEDaPvRmT3_T4_T5_mT6_P12ihipStream_tbENKUlT_T0_E_clISt17integral_constantIbLb1EESY_IbLb0EEEEDaSU_SV_EUlSU_E_NS1_11comp_targetILNS1_3genE2ELNS1_11target_archE906ELNS1_3gpuE6ELNS1_3repE0EEENS1_30default_config_static_selectorELNS0_4arch9wavefront6targetE0EEEvT1_
	.p2align	8
	.type	_ZN7rocprim17ROCPRIM_400000_NS6detail17trampoline_kernelINS0_14default_configENS1_20scan_config_selectorIN3c107complexIfEEEEZZNS1_9scan_implILNS1_25lookback_scan_determinismE0ELb0ELb0ES3_PKS7_PS7_S7_ZZZN2at6native31launch_logcumsumexp_cuda_kernelERKNSE_10TensorBaseESI_lENKUlvE_clEvENKUlvE2_clEvEUlS7_S7_E_S7_EEDaPvRmT3_T4_T5_mT6_P12ihipStream_tbENKUlT_T0_E_clISt17integral_constantIbLb1EESY_IbLb0EEEEDaSU_SV_EUlSU_E_NS1_11comp_targetILNS1_3genE2ELNS1_11target_archE906ELNS1_3gpuE6ELNS1_3repE0EEENS1_30default_config_static_selectorELNS0_4arch9wavefront6targetE0EEEvT1_,@function
_ZN7rocprim17ROCPRIM_400000_NS6detail17trampoline_kernelINS0_14default_configENS1_20scan_config_selectorIN3c107complexIfEEEEZZNS1_9scan_implILNS1_25lookback_scan_determinismE0ELb0ELb0ES3_PKS7_PS7_S7_ZZZN2at6native31launch_logcumsumexp_cuda_kernelERKNSE_10TensorBaseESI_lENKUlvE_clEvENKUlvE2_clEvEUlS7_S7_E_S7_EEDaPvRmT3_T4_T5_mT6_P12ihipStream_tbENKUlT_T0_E_clISt17integral_constantIbLb1EESY_IbLb0EEEEDaSU_SV_EUlSU_E_NS1_11comp_targetILNS1_3genE2ELNS1_11target_archE906ELNS1_3gpuE6ELNS1_3repE0EEENS1_30default_config_static_selectorELNS0_4arch9wavefront6targetE0EEEvT1_: ; @_ZN7rocprim17ROCPRIM_400000_NS6detail17trampoline_kernelINS0_14default_configENS1_20scan_config_selectorIN3c107complexIfEEEEZZNS1_9scan_implILNS1_25lookback_scan_determinismE0ELb0ELb0ES3_PKS7_PS7_S7_ZZZN2at6native31launch_logcumsumexp_cuda_kernelERKNSE_10TensorBaseESI_lENKUlvE_clEvENKUlvE2_clEvEUlS7_S7_E_S7_EEDaPvRmT3_T4_T5_mT6_P12ihipStream_tbENKUlT_T0_E_clISt17integral_constantIbLb1EESY_IbLb0EEEEDaSU_SV_EUlSU_E_NS1_11comp_targetILNS1_3genE2ELNS1_11target_archE906ELNS1_3gpuE6ELNS1_3repE0EEENS1_30default_config_static_selectorELNS0_4arch9wavefront6targetE0EEEvT1_
; %bb.0:
	.section	.rodata,"a",@progbits
	.p2align	6, 0x0
	.amdhsa_kernel _ZN7rocprim17ROCPRIM_400000_NS6detail17trampoline_kernelINS0_14default_configENS1_20scan_config_selectorIN3c107complexIfEEEEZZNS1_9scan_implILNS1_25lookback_scan_determinismE0ELb0ELb0ES3_PKS7_PS7_S7_ZZZN2at6native31launch_logcumsumexp_cuda_kernelERKNSE_10TensorBaseESI_lENKUlvE_clEvENKUlvE2_clEvEUlS7_S7_E_S7_EEDaPvRmT3_T4_T5_mT6_P12ihipStream_tbENKUlT_T0_E_clISt17integral_constantIbLb1EESY_IbLb0EEEEDaSU_SV_EUlSU_E_NS1_11comp_targetILNS1_3genE2ELNS1_11target_archE906ELNS1_3gpuE6ELNS1_3repE0EEENS1_30default_config_static_selectorELNS0_4arch9wavefront6targetE0EEEvT1_
		.amdhsa_group_segment_fixed_size 0
		.amdhsa_private_segment_fixed_size 0
		.amdhsa_kernarg_size 104
		.amdhsa_user_sgpr_count 6
		.amdhsa_user_sgpr_private_segment_buffer 1
		.amdhsa_user_sgpr_dispatch_ptr 0
		.amdhsa_user_sgpr_queue_ptr 0
		.amdhsa_user_sgpr_kernarg_segment_ptr 1
		.amdhsa_user_sgpr_dispatch_id 0
		.amdhsa_user_sgpr_flat_scratch_init 0
		.amdhsa_user_sgpr_private_segment_size 0
		.amdhsa_wavefront_size32 1
		.amdhsa_uses_dynamic_stack 0
		.amdhsa_system_sgpr_private_segment_wavefront_offset 0
		.amdhsa_system_sgpr_workgroup_id_x 1
		.amdhsa_system_sgpr_workgroup_id_y 0
		.amdhsa_system_sgpr_workgroup_id_z 0
		.amdhsa_system_sgpr_workgroup_info 0
		.amdhsa_system_vgpr_workitem_id 0
		.amdhsa_next_free_vgpr 1
		.amdhsa_next_free_sgpr 1
		.amdhsa_reserve_vcc 0
		.amdhsa_reserve_flat_scratch 0
		.amdhsa_float_round_mode_32 0
		.amdhsa_float_round_mode_16_64 0
		.amdhsa_float_denorm_mode_32 3
		.amdhsa_float_denorm_mode_16_64 3
		.amdhsa_dx10_clamp 1
		.amdhsa_ieee_mode 1
		.amdhsa_fp16_overflow 0
		.amdhsa_workgroup_processor_mode 1
		.amdhsa_memory_ordered 1
		.amdhsa_forward_progress 1
		.amdhsa_shared_vgpr_count 0
		.amdhsa_exception_fp_ieee_invalid_op 0
		.amdhsa_exception_fp_denorm_src 0
		.amdhsa_exception_fp_ieee_div_zero 0
		.amdhsa_exception_fp_ieee_overflow 0
		.amdhsa_exception_fp_ieee_underflow 0
		.amdhsa_exception_fp_ieee_inexact 0
		.amdhsa_exception_int_div_zero 0
	.end_amdhsa_kernel
	.section	.text._ZN7rocprim17ROCPRIM_400000_NS6detail17trampoline_kernelINS0_14default_configENS1_20scan_config_selectorIN3c107complexIfEEEEZZNS1_9scan_implILNS1_25lookback_scan_determinismE0ELb0ELb0ES3_PKS7_PS7_S7_ZZZN2at6native31launch_logcumsumexp_cuda_kernelERKNSE_10TensorBaseESI_lENKUlvE_clEvENKUlvE2_clEvEUlS7_S7_E_S7_EEDaPvRmT3_T4_T5_mT6_P12ihipStream_tbENKUlT_T0_E_clISt17integral_constantIbLb1EESY_IbLb0EEEEDaSU_SV_EUlSU_E_NS1_11comp_targetILNS1_3genE2ELNS1_11target_archE906ELNS1_3gpuE6ELNS1_3repE0EEENS1_30default_config_static_selectorELNS0_4arch9wavefront6targetE0EEEvT1_,"axG",@progbits,_ZN7rocprim17ROCPRIM_400000_NS6detail17trampoline_kernelINS0_14default_configENS1_20scan_config_selectorIN3c107complexIfEEEEZZNS1_9scan_implILNS1_25lookback_scan_determinismE0ELb0ELb0ES3_PKS7_PS7_S7_ZZZN2at6native31launch_logcumsumexp_cuda_kernelERKNSE_10TensorBaseESI_lENKUlvE_clEvENKUlvE2_clEvEUlS7_S7_E_S7_EEDaPvRmT3_T4_T5_mT6_P12ihipStream_tbENKUlT_T0_E_clISt17integral_constantIbLb1EESY_IbLb0EEEEDaSU_SV_EUlSU_E_NS1_11comp_targetILNS1_3genE2ELNS1_11target_archE906ELNS1_3gpuE6ELNS1_3repE0EEENS1_30default_config_static_selectorELNS0_4arch9wavefront6targetE0EEEvT1_,comdat
.Lfunc_end314:
	.size	_ZN7rocprim17ROCPRIM_400000_NS6detail17trampoline_kernelINS0_14default_configENS1_20scan_config_selectorIN3c107complexIfEEEEZZNS1_9scan_implILNS1_25lookback_scan_determinismE0ELb0ELb0ES3_PKS7_PS7_S7_ZZZN2at6native31launch_logcumsumexp_cuda_kernelERKNSE_10TensorBaseESI_lENKUlvE_clEvENKUlvE2_clEvEUlS7_S7_E_S7_EEDaPvRmT3_T4_T5_mT6_P12ihipStream_tbENKUlT_T0_E_clISt17integral_constantIbLb1EESY_IbLb0EEEEDaSU_SV_EUlSU_E_NS1_11comp_targetILNS1_3genE2ELNS1_11target_archE906ELNS1_3gpuE6ELNS1_3repE0EEENS1_30default_config_static_selectorELNS0_4arch9wavefront6targetE0EEEvT1_, .Lfunc_end314-_ZN7rocprim17ROCPRIM_400000_NS6detail17trampoline_kernelINS0_14default_configENS1_20scan_config_selectorIN3c107complexIfEEEEZZNS1_9scan_implILNS1_25lookback_scan_determinismE0ELb0ELb0ES3_PKS7_PS7_S7_ZZZN2at6native31launch_logcumsumexp_cuda_kernelERKNSE_10TensorBaseESI_lENKUlvE_clEvENKUlvE2_clEvEUlS7_S7_E_S7_EEDaPvRmT3_T4_T5_mT6_P12ihipStream_tbENKUlT_T0_E_clISt17integral_constantIbLb1EESY_IbLb0EEEEDaSU_SV_EUlSU_E_NS1_11comp_targetILNS1_3genE2ELNS1_11target_archE906ELNS1_3gpuE6ELNS1_3repE0EEENS1_30default_config_static_selectorELNS0_4arch9wavefront6targetE0EEEvT1_
                                        ; -- End function
	.set _ZN7rocprim17ROCPRIM_400000_NS6detail17trampoline_kernelINS0_14default_configENS1_20scan_config_selectorIN3c107complexIfEEEEZZNS1_9scan_implILNS1_25lookback_scan_determinismE0ELb0ELb0ES3_PKS7_PS7_S7_ZZZN2at6native31launch_logcumsumexp_cuda_kernelERKNSE_10TensorBaseESI_lENKUlvE_clEvENKUlvE2_clEvEUlS7_S7_E_S7_EEDaPvRmT3_T4_T5_mT6_P12ihipStream_tbENKUlT_T0_E_clISt17integral_constantIbLb1EESY_IbLb0EEEEDaSU_SV_EUlSU_E_NS1_11comp_targetILNS1_3genE2ELNS1_11target_archE906ELNS1_3gpuE6ELNS1_3repE0EEENS1_30default_config_static_selectorELNS0_4arch9wavefront6targetE0EEEvT1_.num_vgpr, 0
	.set _ZN7rocprim17ROCPRIM_400000_NS6detail17trampoline_kernelINS0_14default_configENS1_20scan_config_selectorIN3c107complexIfEEEEZZNS1_9scan_implILNS1_25lookback_scan_determinismE0ELb0ELb0ES3_PKS7_PS7_S7_ZZZN2at6native31launch_logcumsumexp_cuda_kernelERKNSE_10TensorBaseESI_lENKUlvE_clEvENKUlvE2_clEvEUlS7_S7_E_S7_EEDaPvRmT3_T4_T5_mT6_P12ihipStream_tbENKUlT_T0_E_clISt17integral_constantIbLb1EESY_IbLb0EEEEDaSU_SV_EUlSU_E_NS1_11comp_targetILNS1_3genE2ELNS1_11target_archE906ELNS1_3gpuE6ELNS1_3repE0EEENS1_30default_config_static_selectorELNS0_4arch9wavefront6targetE0EEEvT1_.num_agpr, 0
	.set _ZN7rocprim17ROCPRIM_400000_NS6detail17trampoline_kernelINS0_14default_configENS1_20scan_config_selectorIN3c107complexIfEEEEZZNS1_9scan_implILNS1_25lookback_scan_determinismE0ELb0ELb0ES3_PKS7_PS7_S7_ZZZN2at6native31launch_logcumsumexp_cuda_kernelERKNSE_10TensorBaseESI_lENKUlvE_clEvENKUlvE2_clEvEUlS7_S7_E_S7_EEDaPvRmT3_T4_T5_mT6_P12ihipStream_tbENKUlT_T0_E_clISt17integral_constantIbLb1EESY_IbLb0EEEEDaSU_SV_EUlSU_E_NS1_11comp_targetILNS1_3genE2ELNS1_11target_archE906ELNS1_3gpuE6ELNS1_3repE0EEENS1_30default_config_static_selectorELNS0_4arch9wavefront6targetE0EEEvT1_.numbered_sgpr, 0
	.set _ZN7rocprim17ROCPRIM_400000_NS6detail17trampoline_kernelINS0_14default_configENS1_20scan_config_selectorIN3c107complexIfEEEEZZNS1_9scan_implILNS1_25lookback_scan_determinismE0ELb0ELb0ES3_PKS7_PS7_S7_ZZZN2at6native31launch_logcumsumexp_cuda_kernelERKNSE_10TensorBaseESI_lENKUlvE_clEvENKUlvE2_clEvEUlS7_S7_E_S7_EEDaPvRmT3_T4_T5_mT6_P12ihipStream_tbENKUlT_T0_E_clISt17integral_constantIbLb1EESY_IbLb0EEEEDaSU_SV_EUlSU_E_NS1_11comp_targetILNS1_3genE2ELNS1_11target_archE906ELNS1_3gpuE6ELNS1_3repE0EEENS1_30default_config_static_selectorELNS0_4arch9wavefront6targetE0EEEvT1_.num_named_barrier, 0
	.set _ZN7rocprim17ROCPRIM_400000_NS6detail17trampoline_kernelINS0_14default_configENS1_20scan_config_selectorIN3c107complexIfEEEEZZNS1_9scan_implILNS1_25lookback_scan_determinismE0ELb0ELb0ES3_PKS7_PS7_S7_ZZZN2at6native31launch_logcumsumexp_cuda_kernelERKNSE_10TensorBaseESI_lENKUlvE_clEvENKUlvE2_clEvEUlS7_S7_E_S7_EEDaPvRmT3_T4_T5_mT6_P12ihipStream_tbENKUlT_T0_E_clISt17integral_constantIbLb1EESY_IbLb0EEEEDaSU_SV_EUlSU_E_NS1_11comp_targetILNS1_3genE2ELNS1_11target_archE906ELNS1_3gpuE6ELNS1_3repE0EEENS1_30default_config_static_selectorELNS0_4arch9wavefront6targetE0EEEvT1_.private_seg_size, 0
	.set _ZN7rocprim17ROCPRIM_400000_NS6detail17trampoline_kernelINS0_14default_configENS1_20scan_config_selectorIN3c107complexIfEEEEZZNS1_9scan_implILNS1_25lookback_scan_determinismE0ELb0ELb0ES3_PKS7_PS7_S7_ZZZN2at6native31launch_logcumsumexp_cuda_kernelERKNSE_10TensorBaseESI_lENKUlvE_clEvENKUlvE2_clEvEUlS7_S7_E_S7_EEDaPvRmT3_T4_T5_mT6_P12ihipStream_tbENKUlT_T0_E_clISt17integral_constantIbLb1EESY_IbLb0EEEEDaSU_SV_EUlSU_E_NS1_11comp_targetILNS1_3genE2ELNS1_11target_archE906ELNS1_3gpuE6ELNS1_3repE0EEENS1_30default_config_static_selectorELNS0_4arch9wavefront6targetE0EEEvT1_.uses_vcc, 0
	.set _ZN7rocprim17ROCPRIM_400000_NS6detail17trampoline_kernelINS0_14default_configENS1_20scan_config_selectorIN3c107complexIfEEEEZZNS1_9scan_implILNS1_25lookback_scan_determinismE0ELb0ELb0ES3_PKS7_PS7_S7_ZZZN2at6native31launch_logcumsumexp_cuda_kernelERKNSE_10TensorBaseESI_lENKUlvE_clEvENKUlvE2_clEvEUlS7_S7_E_S7_EEDaPvRmT3_T4_T5_mT6_P12ihipStream_tbENKUlT_T0_E_clISt17integral_constantIbLb1EESY_IbLb0EEEEDaSU_SV_EUlSU_E_NS1_11comp_targetILNS1_3genE2ELNS1_11target_archE906ELNS1_3gpuE6ELNS1_3repE0EEENS1_30default_config_static_selectorELNS0_4arch9wavefront6targetE0EEEvT1_.uses_flat_scratch, 0
	.set _ZN7rocprim17ROCPRIM_400000_NS6detail17trampoline_kernelINS0_14default_configENS1_20scan_config_selectorIN3c107complexIfEEEEZZNS1_9scan_implILNS1_25lookback_scan_determinismE0ELb0ELb0ES3_PKS7_PS7_S7_ZZZN2at6native31launch_logcumsumexp_cuda_kernelERKNSE_10TensorBaseESI_lENKUlvE_clEvENKUlvE2_clEvEUlS7_S7_E_S7_EEDaPvRmT3_T4_T5_mT6_P12ihipStream_tbENKUlT_T0_E_clISt17integral_constantIbLb1EESY_IbLb0EEEEDaSU_SV_EUlSU_E_NS1_11comp_targetILNS1_3genE2ELNS1_11target_archE906ELNS1_3gpuE6ELNS1_3repE0EEENS1_30default_config_static_selectorELNS0_4arch9wavefront6targetE0EEEvT1_.has_dyn_sized_stack, 0
	.set _ZN7rocprim17ROCPRIM_400000_NS6detail17trampoline_kernelINS0_14default_configENS1_20scan_config_selectorIN3c107complexIfEEEEZZNS1_9scan_implILNS1_25lookback_scan_determinismE0ELb0ELb0ES3_PKS7_PS7_S7_ZZZN2at6native31launch_logcumsumexp_cuda_kernelERKNSE_10TensorBaseESI_lENKUlvE_clEvENKUlvE2_clEvEUlS7_S7_E_S7_EEDaPvRmT3_T4_T5_mT6_P12ihipStream_tbENKUlT_T0_E_clISt17integral_constantIbLb1EESY_IbLb0EEEEDaSU_SV_EUlSU_E_NS1_11comp_targetILNS1_3genE2ELNS1_11target_archE906ELNS1_3gpuE6ELNS1_3repE0EEENS1_30default_config_static_selectorELNS0_4arch9wavefront6targetE0EEEvT1_.has_recursion, 0
	.set _ZN7rocprim17ROCPRIM_400000_NS6detail17trampoline_kernelINS0_14default_configENS1_20scan_config_selectorIN3c107complexIfEEEEZZNS1_9scan_implILNS1_25lookback_scan_determinismE0ELb0ELb0ES3_PKS7_PS7_S7_ZZZN2at6native31launch_logcumsumexp_cuda_kernelERKNSE_10TensorBaseESI_lENKUlvE_clEvENKUlvE2_clEvEUlS7_S7_E_S7_EEDaPvRmT3_T4_T5_mT6_P12ihipStream_tbENKUlT_T0_E_clISt17integral_constantIbLb1EESY_IbLb0EEEEDaSU_SV_EUlSU_E_NS1_11comp_targetILNS1_3genE2ELNS1_11target_archE906ELNS1_3gpuE6ELNS1_3repE0EEENS1_30default_config_static_selectorELNS0_4arch9wavefront6targetE0EEEvT1_.has_indirect_call, 0
	.section	.AMDGPU.csdata,"",@progbits
; Kernel info:
; codeLenInByte = 0
; TotalNumSgprs: 0
; NumVgprs: 0
; ScratchSize: 0
; MemoryBound: 0
; FloatMode: 240
; IeeeMode: 1
; LDSByteSize: 0 bytes/workgroup (compile time only)
; SGPRBlocks: 0
; VGPRBlocks: 0
; NumSGPRsForWavesPerEU: 1
; NumVGPRsForWavesPerEU: 1
; Occupancy: 16
; WaveLimiterHint : 0
; COMPUTE_PGM_RSRC2:SCRATCH_EN: 0
; COMPUTE_PGM_RSRC2:USER_SGPR: 6
; COMPUTE_PGM_RSRC2:TRAP_HANDLER: 0
; COMPUTE_PGM_RSRC2:TGID_X_EN: 1
; COMPUTE_PGM_RSRC2:TGID_Y_EN: 0
; COMPUTE_PGM_RSRC2:TGID_Z_EN: 0
; COMPUTE_PGM_RSRC2:TIDIG_COMP_CNT: 0
	.section	.text._ZN7rocprim17ROCPRIM_400000_NS6detail17trampoline_kernelINS0_14default_configENS1_20scan_config_selectorIN3c107complexIfEEEEZZNS1_9scan_implILNS1_25lookback_scan_determinismE0ELb0ELb0ES3_PKS7_PS7_S7_ZZZN2at6native31launch_logcumsumexp_cuda_kernelERKNSE_10TensorBaseESI_lENKUlvE_clEvENKUlvE2_clEvEUlS7_S7_E_S7_EEDaPvRmT3_T4_T5_mT6_P12ihipStream_tbENKUlT_T0_E_clISt17integral_constantIbLb1EESY_IbLb0EEEEDaSU_SV_EUlSU_E_NS1_11comp_targetILNS1_3genE10ELNS1_11target_archE1201ELNS1_3gpuE5ELNS1_3repE0EEENS1_30default_config_static_selectorELNS0_4arch9wavefront6targetE0EEEvT1_,"axG",@progbits,_ZN7rocprim17ROCPRIM_400000_NS6detail17trampoline_kernelINS0_14default_configENS1_20scan_config_selectorIN3c107complexIfEEEEZZNS1_9scan_implILNS1_25lookback_scan_determinismE0ELb0ELb0ES3_PKS7_PS7_S7_ZZZN2at6native31launch_logcumsumexp_cuda_kernelERKNSE_10TensorBaseESI_lENKUlvE_clEvENKUlvE2_clEvEUlS7_S7_E_S7_EEDaPvRmT3_T4_T5_mT6_P12ihipStream_tbENKUlT_T0_E_clISt17integral_constantIbLb1EESY_IbLb0EEEEDaSU_SV_EUlSU_E_NS1_11comp_targetILNS1_3genE10ELNS1_11target_archE1201ELNS1_3gpuE5ELNS1_3repE0EEENS1_30default_config_static_selectorELNS0_4arch9wavefront6targetE0EEEvT1_,comdat
	.globl	_ZN7rocprim17ROCPRIM_400000_NS6detail17trampoline_kernelINS0_14default_configENS1_20scan_config_selectorIN3c107complexIfEEEEZZNS1_9scan_implILNS1_25lookback_scan_determinismE0ELb0ELb0ES3_PKS7_PS7_S7_ZZZN2at6native31launch_logcumsumexp_cuda_kernelERKNSE_10TensorBaseESI_lENKUlvE_clEvENKUlvE2_clEvEUlS7_S7_E_S7_EEDaPvRmT3_T4_T5_mT6_P12ihipStream_tbENKUlT_T0_E_clISt17integral_constantIbLb1EESY_IbLb0EEEEDaSU_SV_EUlSU_E_NS1_11comp_targetILNS1_3genE10ELNS1_11target_archE1201ELNS1_3gpuE5ELNS1_3repE0EEENS1_30default_config_static_selectorELNS0_4arch9wavefront6targetE0EEEvT1_ ; -- Begin function _ZN7rocprim17ROCPRIM_400000_NS6detail17trampoline_kernelINS0_14default_configENS1_20scan_config_selectorIN3c107complexIfEEEEZZNS1_9scan_implILNS1_25lookback_scan_determinismE0ELb0ELb0ES3_PKS7_PS7_S7_ZZZN2at6native31launch_logcumsumexp_cuda_kernelERKNSE_10TensorBaseESI_lENKUlvE_clEvENKUlvE2_clEvEUlS7_S7_E_S7_EEDaPvRmT3_T4_T5_mT6_P12ihipStream_tbENKUlT_T0_E_clISt17integral_constantIbLb1EESY_IbLb0EEEEDaSU_SV_EUlSU_E_NS1_11comp_targetILNS1_3genE10ELNS1_11target_archE1201ELNS1_3gpuE5ELNS1_3repE0EEENS1_30default_config_static_selectorELNS0_4arch9wavefront6targetE0EEEvT1_
	.p2align	8
	.type	_ZN7rocprim17ROCPRIM_400000_NS6detail17trampoline_kernelINS0_14default_configENS1_20scan_config_selectorIN3c107complexIfEEEEZZNS1_9scan_implILNS1_25lookback_scan_determinismE0ELb0ELb0ES3_PKS7_PS7_S7_ZZZN2at6native31launch_logcumsumexp_cuda_kernelERKNSE_10TensorBaseESI_lENKUlvE_clEvENKUlvE2_clEvEUlS7_S7_E_S7_EEDaPvRmT3_T4_T5_mT6_P12ihipStream_tbENKUlT_T0_E_clISt17integral_constantIbLb1EESY_IbLb0EEEEDaSU_SV_EUlSU_E_NS1_11comp_targetILNS1_3genE10ELNS1_11target_archE1201ELNS1_3gpuE5ELNS1_3repE0EEENS1_30default_config_static_selectorELNS0_4arch9wavefront6targetE0EEEvT1_,@function
_ZN7rocprim17ROCPRIM_400000_NS6detail17trampoline_kernelINS0_14default_configENS1_20scan_config_selectorIN3c107complexIfEEEEZZNS1_9scan_implILNS1_25lookback_scan_determinismE0ELb0ELb0ES3_PKS7_PS7_S7_ZZZN2at6native31launch_logcumsumexp_cuda_kernelERKNSE_10TensorBaseESI_lENKUlvE_clEvENKUlvE2_clEvEUlS7_S7_E_S7_EEDaPvRmT3_T4_T5_mT6_P12ihipStream_tbENKUlT_T0_E_clISt17integral_constantIbLb1EESY_IbLb0EEEEDaSU_SV_EUlSU_E_NS1_11comp_targetILNS1_3genE10ELNS1_11target_archE1201ELNS1_3gpuE5ELNS1_3repE0EEENS1_30default_config_static_selectorELNS0_4arch9wavefront6targetE0EEEvT1_: ; @_ZN7rocprim17ROCPRIM_400000_NS6detail17trampoline_kernelINS0_14default_configENS1_20scan_config_selectorIN3c107complexIfEEEEZZNS1_9scan_implILNS1_25lookback_scan_determinismE0ELb0ELb0ES3_PKS7_PS7_S7_ZZZN2at6native31launch_logcumsumexp_cuda_kernelERKNSE_10TensorBaseESI_lENKUlvE_clEvENKUlvE2_clEvEUlS7_S7_E_S7_EEDaPvRmT3_T4_T5_mT6_P12ihipStream_tbENKUlT_T0_E_clISt17integral_constantIbLb1EESY_IbLb0EEEEDaSU_SV_EUlSU_E_NS1_11comp_targetILNS1_3genE10ELNS1_11target_archE1201ELNS1_3gpuE5ELNS1_3repE0EEENS1_30default_config_static_selectorELNS0_4arch9wavefront6targetE0EEEvT1_
; %bb.0:
	.section	.rodata,"a",@progbits
	.p2align	6, 0x0
	.amdhsa_kernel _ZN7rocprim17ROCPRIM_400000_NS6detail17trampoline_kernelINS0_14default_configENS1_20scan_config_selectorIN3c107complexIfEEEEZZNS1_9scan_implILNS1_25lookback_scan_determinismE0ELb0ELb0ES3_PKS7_PS7_S7_ZZZN2at6native31launch_logcumsumexp_cuda_kernelERKNSE_10TensorBaseESI_lENKUlvE_clEvENKUlvE2_clEvEUlS7_S7_E_S7_EEDaPvRmT3_T4_T5_mT6_P12ihipStream_tbENKUlT_T0_E_clISt17integral_constantIbLb1EESY_IbLb0EEEEDaSU_SV_EUlSU_E_NS1_11comp_targetILNS1_3genE10ELNS1_11target_archE1201ELNS1_3gpuE5ELNS1_3repE0EEENS1_30default_config_static_selectorELNS0_4arch9wavefront6targetE0EEEvT1_
		.amdhsa_group_segment_fixed_size 0
		.amdhsa_private_segment_fixed_size 0
		.amdhsa_kernarg_size 104
		.amdhsa_user_sgpr_count 6
		.amdhsa_user_sgpr_private_segment_buffer 1
		.amdhsa_user_sgpr_dispatch_ptr 0
		.amdhsa_user_sgpr_queue_ptr 0
		.amdhsa_user_sgpr_kernarg_segment_ptr 1
		.amdhsa_user_sgpr_dispatch_id 0
		.amdhsa_user_sgpr_flat_scratch_init 0
		.amdhsa_user_sgpr_private_segment_size 0
		.amdhsa_wavefront_size32 1
		.amdhsa_uses_dynamic_stack 0
		.amdhsa_system_sgpr_private_segment_wavefront_offset 0
		.amdhsa_system_sgpr_workgroup_id_x 1
		.amdhsa_system_sgpr_workgroup_id_y 0
		.amdhsa_system_sgpr_workgroup_id_z 0
		.amdhsa_system_sgpr_workgroup_info 0
		.amdhsa_system_vgpr_workitem_id 0
		.amdhsa_next_free_vgpr 1
		.amdhsa_next_free_sgpr 1
		.amdhsa_reserve_vcc 0
		.amdhsa_reserve_flat_scratch 0
		.amdhsa_float_round_mode_32 0
		.amdhsa_float_round_mode_16_64 0
		.amdhsa_float_denorm_mode_32 3
		.amdhsa_float_denorm_mode_16_64 3
		.amdhsa_dx10_clamp 1
		.amdhsa_ieee_mode 1
		.amdhsa_fp16_overflow 0
		.amdhsa_workgroup_processor_mode 1
		.amdhsa_memory_ordered 1
		.amdhsa_forward_progress 1
		.amdhsa_shared_vgpr_count 0
		.amdhsa_exception_fp_ieee_invalid_op 0
		.amdhsa_exception_fp_denorm_src 0
		.amdhsa_exception_fp_ieee_div_zero 0
		.amdhsa_exception_fp_ieee_overflow 0
		.amdhsa_exception_fp_ieee_underflow 0
		.amdhsa_exception_fp_ieee_inexact 0
		.amdhsa_exception_int_div_zero 0
	.end_amdhsa_kernel
	.section	.text._ZN7rocprim17ROCPRIM_400000_NS6detail17trampoline_kernelINS0_14default_configENS1_20scan_config_selectorIN3c107complexIfEEEEZZNS1_9scan_implILNS1_25lookback_scan_determinismE0ELb0ELb0ES3_PKS7_PS7_S7_ZZZN2at6native31launch_logcumsumexp_cuda_kernelERKNSE_10TensorBaseESI_lENKUlvE_clEvENKUlvE2_clEvEUlS7_S7_E_S7_EEDaPvRmT3_T4_T5_mT6_P12ihipStream_tbENKUlT_T0_E_clISt17integral_constantIbLb1EESY_IbLb0EEEEDaSU_SV_EUlSU_E_NS1_11comp_targetILNS1_3genE10ELNS1_11target_archE1201ELNS1_3gpuE5ELNS1_3repE0EEENS1_30default_config_static_selectorELNS0_4arch9wavefront6targetE0EEEvT1_,"axG",@progbits,_ZN7rocprim17ROCPRIM_400000_NS6detail17trampoline_kernelINS0_14default_configENS1_20scan_config_selectorIN3c107complexIfEEEEZZNS1_9scan_implILNS1_25lookback_scan_determinismE0ELb0ELb0ES3_PKS7_PS7_S7_ZZZN2at6native31launch_logcumsumexp_cuda_kernelERKNSE_10TensorBaseESI_lENKUlvE_clEvENKUlvE2_clEvEUlS7_S7_E_S7_EEDaPvRmT3_T4_T5_mT6_P12ihipStream_tbENKUlT_T0_E_clISt17integral_constantIbLb1EESY_IbLb0EEEEDaSU_SV_EUlSU_E_NS1_11comp_targetILNS1_3genE10ELNS1_11target_archE1201ELNS1_3gpuE5ELNS1_3repE0EEENS1_30default_config_static_selectorELNS0_4arch9wavefront6targetE0EEEvT1_,comdat
.Lfunc_end315:
	.size	_ZN7rocprim17ROCPRIM_400000_NS6detail17trampoline_kernelINS0_14default_configENS1_20scan_config_selectorIN3c107complexIfEEEEZZNS1_9scan_implILNS1_25lookback_scan_determinismE0ELb0ELb0ES3_PKS7_PS7_S7_ZZZN2at6native31launch_logcumsumexp_cuda_kernelERKNSE_10TensorBaseESI_lENKUlvE_clEvENKUlvE2_clEvEUlS7_S7_E_S7_EEDaPvRmT3_T4_T5_mT6_P12ihipStream_tbENKUlT_T0_E_clISt17integral_constantIbLb1EESY_IbLb0EEEEDaSU_SV_EUlSU_E_NS1_11comp_targetILNS1_3genE10ELNS1_11target_archE1201ELNS1_3gpuE5ELNS1_3repE0EEENS1_30default_config_static_selectorELNS0_4arch9wavefront6targetE0EEEvT1_, .Lfunc_end315-_ZN7rocprim17ROCPRIM_400000_NS6detail17trampoline_kernelINS0_14default_configENS1_20scan_config_selectorIN3c107complexIfEEEEZZNS1_9scan_implILNS1_25lookback_scan_determinismE0ELb0ELb0ES3_PKS7_PS7_S7_ZZZN2at6native31launch_logcumsumexp_cuda_kernelERKNSE_10TensorBaseESI_lENKUlvE_clEvENKUlvE2_clEvEUlS7_S7_E_S7_EEDaPvRmT3_T4_T5_mT6_P12ihipStream_tbENKUlT_T0_E_clISt17integral_constantIbLb1EESY_IbLb0EEEEDaSU_SV_EUlSU_E_NS1_11comp_targetILNS1_3genE10ELNS1_11target_archE1201ELNS1_3gpuE5ELNS1_3repE0EEENS1_30default_config_static_selectorELNS0_4arch9wavefront6targetE0EEEvT1_
                                        ; -- End function
	.set _ZN7rocprim17ROCPRIM_400000_NS6detail17trampoline_kernelINS0_14default_configENS1_20scan_config_selectorIN3c107complexIfEEEEZZNS1_9scan_implILNS1_25lookback_scan_determinismE0ELb0ELb0ES3_PKS7_PS7_S7_ZZZN2at6native31launch_logcumsumexp_cuda_kernelERKNSE_10TensorBaseESI_lENKUlvE_clEvENKUlvE2_clEvEUlS7_S7_E_S7_EEDaPvRmT3_T4_T5_mT6_P12ihipStream_tbENKUlT_T0_E_clISt17integral_constantIbLb1EESY_IbLb0EEEEDaSU_SV_EUlSU_E_NS1_11comp_targetILNS1_3genE10ELNS1_11target_archE1201ELNS1_3gpuE5ELNS1_3repE0EEENS1_30default_config_static_selectorELNS0_4arch9wavefront6targetE0EEEvT1_.num_vgpr, 0
	.set _ZN7rocprim17ROCPRIM_400000_NS6detail17trampoline_kernelINS0_14default_configENS1_20scan_config_selectorIN3c107complexIfEEEEZZNS1_9scan_implILNS1_25lookback_scan_determinismE0ELb0ELb0ES3_PKS7_PS7_S7_ZZZN2at6native31launch_logcumsumexp_cuda_kernelERKNSE_10TensorBaseESI_lENKUlvE_clEvENKUlvE2_clEvEUlS7_S7_E_S7_EEDaPvRmT3_T4_T5_mT6_P12ihipStream_tbENKUlT_T0_E_clISt17integral_constantIbLb1EESY_IbLb0EEEEDaSU_SV_EUlSU_E_NS1_11comp_targetILNS1_3genE10ELNS1_11target_archE1201ELNS1_3gpuE5ELNS1_3repE0EEENS1_30default_config_static_selectorELNS0_4arch9wavefront6targetE0EEEvT1_.num_agpr, 0
	.set _ZN7rocprim17ROCPRIM_400000_NS6detail17trampoline_kernelINS0_14default_configENS1_20scan_config_selectorIN3c107complexIfEEEEZZNS1_9scan_implILNS1_25lookback_scan_determinismE0ELb0ELb0ES3_PKS7_PS7_S7_ZZZN2at6native31launch_logcumsumexp_cuda_kernelERKNSE_10TensorBaseESI_lENKUlvE_clEvENKUlvE2_clEvEUlS7_S7_E_S7_EEDaPvRmT3_T4_T5_mT6_P12ihipStream_tbENKUlT_T0_E_clISt17integral_constantIbLb1EESY_IbLb0EEEEDaSU_SV_EUlSU_E_NS1_11comp_targetILNS1_3genE10ELNS1_11target_archE1201ELNS1_3gpuE5ELNS1_3repE0EEENS1_30default_config_static_selectorELNS0_4arch9wavefront6targetE0EEEvT1_.numbered_sgpr, 0
	.set _ZN7rocprim17ROCPRIM_400000_NS6detail17trampoline_kernelINS0_14default_configENS1_20scan_config_selectorIN3c107complexIfEEEEZZNS1_9scan_implILNS1_25lookback_scan_determinismE0ELb0ELb0ES3_PKS7_PS7_S7_ZZZN2at6native31launch_logcumsumexp_cuda_kernelERKNSE_10TensorBaseESI_lENKUlvE_clEvENKUlvE2_clEvEUlS7_S7_E_S7_EEDaPvRmT3_T4_T5_mT6_P12ihipStream_tbENKUlT_T0_E_clISt17integral_constantIbLb1EESY_IbLb0EEEEDaSU_SV_EUlSU_E_NS1_11comp_targetILNS1_3genE10ELNS1_11target_archE1201ELNS1_3gpuE5ELNS1_3repE0EEENS1_30default_config_static_selectorELNS0_4arch9wavefront6targetE0EEEvT1_.num_named_barrier, 0
	.set _ZN7rocprim17ROCPRIM_400000_NS6detail17trampoline_kernelINS0_14default_configENS1_20scan_config_selectorIN3c107complexIfEEEEZZNS1_9scan_implILNS1_25lookback_scan_determinismE0ELb0ELb0ES3_PKS7_PS7_S7_ZZZN2at6native31launch_logcumsumexp_cuda_kernelERKNSE_10TensorBaseESI_lENKUlvE_clEvENKUlvE2_clEvEUlS7_S7_E_S7_EEDaPvRmT3_T4_T5_mT6_P12ihipStream_tbENKUlT_T0_E_clISt17integral_constantIbLb1EESY_IbLb0EEEEDaSU_SV_EUlSU_E_NS1_11comp_targetILNS1_3genE10ELNS1_11target_archE1201ELNS1_3gpuE5ELNS1_3repE0EEENS1_30default_config_static_selectorELNS0_4arch9wavefront6targetE0EEEvT1_.private_seg_size, 0
	.set _ZN7rocprim17ROCPRIM_400000_NS6detail17trampoline_kernelINS0_14default_configENS1_20scan_config_selectorIN3c107complexIfEEEEZZNS1_9scan_implILNS1_25lookback_scan_determinismE0ELb0ELb0ES3_PKS7_PS7_S7_ZZZN2at6native31launch_logcumsumexp_cuda_kernelERKNSE_10TensorBaseESI_lENKUlvE_clEvENKUlvE2_clEvEUlS7_S7_E_S7_EEDaPvRmT3_T4_T5_mT6_P12ihipStream_tbENKUlT_T0_E_clISt17integral_constantIbLb1EESY_IbLb0EEEEDaSU_SV_EUlSU_E_NS1_11comp_targetILNS1_3genE10ELNS1_11target_archE1201ELNS1_3gpuE5ELNS1_3repE0EEENS1_30default_config_static_selectorELNS0_4arch9wavefront6targetE0EEEvT1_.uses_vcc, 0
	.set _ZN7rocprim17ROCPRIM_400000_NS6detail17trampoline_kernelINS0_14default_configENS1_20scan_config_selectorIN3c107complexIfEEEEZZNS1_9scan_implILNS1_25lookback_scan_determinismE0ELb0ELb0ES3_PKS7_PS7_S7_ZZZN2at6native31launch_logcumsumexp_cuda_kernelERKNSE_10TensorBaseESI_lENKUlvE_clEvENKUlvE2_clEvEUlS7_S7_E_S7_EEDaPvRmT3_T4_T5_mT6_P12ihipStream_tbENKUlT_T0_E_clISt17integral_constantIbLb1EESY_IbLb0EEEEDaSU_SV_EUlSU_E_NS1_11comp_targetILNS1_3genE10ELNS1_11target_archE1201ELNS1_3gpuE5ELNS1_3repE0EEENS1_30default_config_static_selectorELNS0_4arch9wavefront6targetE0EEEvT1_.uses_flat_scratch, 0
	.set _ZN7rocprim17ROCPRIM_400000_NS6detail17trampoline_kernelINS0_14default_configENS1_20scan_config_selectorIN3c107complexIfEEEEZZNS1_9scan_implILNS1_25lookback_scan_determinismE0ELb0ELb0ES3_PKS7_PS7_S7_ZZZN2at6native31launch_logcumsumexp_cuda_kernelERKNSE_10TensorBaseESI_lENKUlvE_clEvENKUlvE2_clEvEUlS7_S7_E_S7_EEDaPvRmT3_T4_T5_mT6_P12ihipStream_tbENKUlT_T0_E_clISt17integral_constantIbLb1EESY_IbLb0EEEEDaSU_SV_EUlSU_E_NS1_11comp_targetILNS1_3genE10ELNS1_11target_archE1201ELNS1_3gpuE5ELNS1_3repE0EEENS1_30default_config_static_selectorELNS0_4arch9wavefront6targetE0EEEvT1_.has_dyn_sized_stack, 0
	.set _ZN7rocprim17ROCPRIM_400000_NS6detail17trampoline_kernelINS0_14default_configENS1_20scan_config_selectorIN3c107complexIfEEEEZZNS1_9scan_implILNS1_25lookback_scan_determinismE0ELb0ELb0ES3_PKS7_PS7_S7_ZZZN2at6native31launch_logcumsumexp_cuda_kernelERKNSE_10TensorBaseESI_lENKUlvE_clEvENKUlvE2_clEvEUlS7_S7_E_S7_EEDaPvRmT3_T4_T5_mT6_P12ihipStream_tbENKUlT_T0_E_clISt17integral_constantIbLb1EESY_IbLb0EEEEDaSU_SV_EUlSU_E_NS1_11comp_targetILNS1_3genE10ELNS1_11target_archE1201ELNS1_3gpuE5ELNS1_3repE0EEENS1_30default_config_static_selectorELNS0_4arch9wavefront6targetE0EEEvT1_.has_recursion, 0
	.set _ZN7rocprim17ROCPRIM_400000_NS6detail17trampoline_kernelINS0_14default_configENS1_20scan_config_selectorIN3c107complexIfEEEEZZNS1_9scan_implILNS1_25lookback_scan_determinismE0ELb0ELb0ES3_PKS7_PS7_S7_ZZZN2at6native31launch_logcumsumexp_cuda_kernelERKNSE_10TensorBaseESI_lENKUlvE_clEvENKUlvE2_clEvEUlS7_S7_E_S7_EEDaPvRmT3_T4_T5_mT6_P12ihipStream_tbENKUlT_T0_E_clISt17integral_constantIbLb1EESY_IbLb0EEEEDaSU_SV_EUlSU_E_NS1_11comp_targetILNS1_3genE10ELNS1_11target_archE1201ELNS1_3gpuE5ELNS1_3repE0EEENS1_30default_config_static_selectorELNS0_4arch9wavefront6targetE0EEEvT1_.has_indirect_call, 0
	.section	.AMDGPU.csdata,"",@progbits
; Kernel info:
; codeLenInByte = 0
; TotalNumSgprs: 0
; NumVgprs: 0
; ScratchSize: 0
; MemoryBound: 0
; FloatMode: 240
; IeeeMode: 1
; LDSByteSize: 0 bytes/workgroup (compile time only)
; SGPRBlocks: 0
; VGPRBlocks: 0
; NumSGPRsForWavesPerEU: 1
; NumVGPRsForWavesPerEU: 1
; Occupancy: 16
; WaveLimiterHint : 0
; COMPUTE_PGM_RSRC2:SCRATCH_EN: 0
; COMPUTE_PGM_RSRC2:USER_SGPR: 6
; COMPUTE_PGM_RSRC2:TRAP_HANDLER: 0
; COMPUTE_PGM_RSRC2:TGID_X_EN: 1
; COMPUTE_PGM_RSRC2:TGID_Y_EN: 0
; COMPUTE_PGM_RSRC2:TGID_Z_EN: 0
; COMPUTE_PGM_RSRC2:TIDIG_COMP_CNT: 0
	.section	.text._ZN7rocprim17ROCPRIM_400000_NS6detail17trampoline_kernelINS0_14default_configENS1_20scan_config_selectorIN3c107complexIfEEEEZZNS1_9scan_implILNS1_25lookback_scan_determinismE0ELb0ELb0ES3_PKS7_PS7_S7_ZZZN2at6native31launch_logcumsumexp_cuda_kernelERKNSE_10TensorBaseESI_lENKUlvE_clEvENKUlvE2_clEvEUlS7_S7_E_S7_EEDaPvRmT3_T4_T5_mT6_P12ihipStream_tbENKUlT_T0_E_clISt17integral_constantIbLb1EESY_IbLb0EEEEDaSU_SV_EUlSU_E_NS1_11comp_targetILNS1_3genE10ELNS1_11target_archE1200ELNS1_3gpuE4ELNS1_3repE0EEENS1_30default_config_static_selectorELNS0_4arch9wavefront6targetE0EEEvT1_,"axG",@progbits,_ZN7rocprim17ROCPRIM_400000_NS6detail17trampoline_kernelINS0_14default_configENS1_20scan_config_selectorIN3c107complexIfEEEEZZNS1_9scan_implILNS1_25lookback_scan_determinismE0ELb0ELb0ES3_PKS7_PS7_S7_ZZZN2at6native31launch_logcumsumexp_cuda_kernelERKNSE_10TensorBaseESI_lENKUlvE_clEvENKUlvE2_clEvEUlS7_S7_E_S7_EEDaPvRmT3_T4_T5_mT6_P12ihipStream_tbENKUlT_T0_E_clISt17integral_constantIbLb1EESY_IbLb0EEEEDaSU_SV_EUlSU_E_NS1_11comp_targetILNS1_3genE10ELNS1_11target_archE1200ELNS1_3gpuE4ELNS1_3repE0EEENS1_30default_config_static_selectorELNS0_4arch9wavefront6targetE0EEEvT1_,comdat
	.globl	_ZN7rocprim17ROCPRIM_400000_NS6detail17trampoline_kernelINS0_14default_configENS1_20scan_config_selectorIN3c107complexIfEEEEZZNS1_9scan_implILNS1_25lookback_scan_determinismE0ELb0ELb0ES3_PKS7_PS7_S7_ZZZN2at6native31launch_logcumsumexp_cuda_kernelERKNSE_10TensorBaseESI_lENKUlvE_clEvENKUlvE2_clEvEUlS7_S7_E_S7_EEDaPvRmT3_T4_T5_mT6_P12ihipStream_tbENKUlT_T0_E_clISt17integral_constantIbLb1EESY_IbLb0EEEEDaSU_SV_EUlSU_E_NS1_11comp_targetILNS1_3genE10ELNS1_11target_archE1200ELNS1_3gpuE4ELNS1_3repE0EEENS1_30default_config_static_selectorELNS0_4arch9wavefront6targetE0EEEvT1_ ; -- Begin function _ZN7rocprim17ROCPRIM_400000_NS6detail17trampoline_kernelINS0_14default_configENS1_20scan_config_selectorIN3c107complexIfEEEEZZNS1_9scan_implILNS1_25lookback_scan_determinismE0ELb0ELb0ES3_PKS7_PS7_S7_ZZZN2at6native31launch_logcumsumexp_cuda_kernelERKNSE_10TensorBaseESI_lENKUlvE_clEvENKUlvE2_clEvEUlS7_S7_E_S7_EEDaPvRmT3_T4_T5_mT6_P12ihipStream_tbENKUlT_T0_E_clISt17integral_constantIbLb1EESY_IbLb0EEEEDaSU_SV_EUlSU_E_NS1_11comp_targetILNS1_3genE10ELNS1_11target_archE1200ELNS1_3gpuE4ELNS1_3repE0EEENS1_30default_config_static_selectorELNS0_4arch9wavefront6targetE0EEEvT1_
	.p2align	8
	.type	_ZN7rocprim17ROCPRIM_400000_NS6detail17trampoline_kernelINS0_14default_configENS1_20scan_config_selectorIN3c107complexIfEEEEZZNS1_9scan_implILNS1_25lookback_scan_determinismE0ELb0ELb0ES3_PKS7_PS7_S7_ZZZN2at6native31launch_logcumsumexp_cuda_kernelERKNSE_10TensorBaseESI_lENKUlvE_clEvENKUlvE2_clEvEUlS7_S7_E_S7_EEDaPvRmT3_T4_T5_mT6_P12ihipStream_tbENKUlT_T0_E_clISt17integral_constantIbLb1EESY_IbLb0EEEEDaSU_SV_EUlSU_E_NS1_11comp_targetILNS1_3genE10ELNS1_11target_archE1200ELNS1_3gpuE4ELNS1_3repE0EEENS1_30default_config_static_selectorELNS0_4arch9wavefront6targetE0EEEvT1_,@function
_ZN7rocprim17ROCPRIM_400000_NS6detail17trampoline_kernelINS0_14default_configENS1_20scan_config_selectorIN3c107complexIfEEEEZZNS1_9scan_implILNS1_25lookback_scan_determinismE0ELb0ELb0ES3_PKS7_PS7_S7_ZZZN2at6native31launch_logcumsumexp_cuda_kernelERKNSE_10TensorBaseESI_lENKUlvE_clEvENKUlvE2_clEvEUlS7_S7_E_S7_EEDaPvRmT3_T4_T5_mT6_P12ihipStream_tbENKUlT_T0_E_clISt17integral_constantIbLb1EESY_IbLb0EEEEDaSU_SV_EUlSU_E_NS1_11comp_targetILNS1_3genE10ELNS1_11target_archE1200ELNS1_3gpuE4ELNS1_3repE0EEENS1_30default_config_static_selectorELNS0_4arch9wavefront6targetE0EEEvT1_: ; @_ZN7rocprim17ROCPRIM_400000_NS6detail17trampoline_kernelINS0_14default_configENS1_20scan_config_selectorIN3c107complexIfEEEEZZNS1_9scan_implILNS1_25lookback_scan_determinismE0ELb0ELb0ES3_PKS7_PS7_S7_ZZZN2at6native31launch_logcumsumexp_cuda_kernelERKNSE_10TensorBaseESI_lENKUlvE_clEvENKUlvE2_clEvEUlS7_S7_E_S7_EEDaPvRmT3_T4_T5_mT6_P12ihipStream_tbENKUlT_T0_E_clISt17integral_constantIbLb1EESY_IbLb0EEEEDaSU_SV_EUlSU_E_NS1_11comp_targetILNS1_3genE10ELNS1_11target_archE1200ELNS1_3gpuE4ELNS1_3repE0EEENS1_30default_config_static_selectorELNS0_4arch9wavefront6targetE0EEEvT1_
; %bb.0:
	.section	.rodata,"a",@progbits
	.p2align	6, 0x0
	.amdhsa_kernel _ZN7rocprim17ROCPRIM_400000_NS6detail17trampoline_kernelINS0_14default_configENS1_20scan_config_selectorIN3c107complexIfEEEEZZNS1_9scan_implILNS1_25lookback_scan_determinismE0ELb0ELb0ES3_PKS7_PS7_S7_ZZZN2at6native31launch_logcumsumexp_cuda_kernelERKNSE_10TensorBaseESI_lENKUlvE_clEvENKUlvE2_clEvEUlS7_S7_E_S7_EEDaPvRmT3_T4_T5_mT6_P12ihipStream_tbENKUlT_T0_E_clISt17integral_constantIbLb1EESY_IbLb0EEEEDaSU_SV_EUlSU_E_NS1_11comp_targetILNS1_3genE10ELNS1_11target_archE1200ELNS1_3gpuE4ELNS1_3repE0EEENS1_30default_config_static_selectorELNS0_4arch9wavefront6targetE0EEEvT1_
		.amdhsa_group_segment_fixed_size 0
		.amdhsa_private_segment_fixed_size 0
		.amdhsa_kernarg_size 104
		.amdhsa_user_sgpr_count 6
		.amdhsa_user_sgpr_private_segment_buffer 1
		.amdhsa_user_sgpr_dispatch_ptr 0
		.amdhsa_user_sgpr_queue_ptr 0
		.amdhsa_user_sgpr_kernarg_segment_ptr 1
		.amdhsa_user_sgpr_dispatch_id 0
		.amdhsa_user_sgpr_flat_scratch_init 0
		.amdhsa_user_sgpr_private_segment_size 0
		.amdhsa_wavefront_size32 1
		.amdhsa_uses_dynamic_stack 0
		.amdhsa_system_sgpr_private_segment_wavefront_offset 0
		.amdhsa_system_sgpr_workgroup_id_x 1
		.amdhsa_system_sgpr_workgroup_id_y 0
		.amdhsa_system_sgpr_workgroup_id_z 0
		.amdhsa_system_sgpr_workgroup_info 0
		.amdhsa_system_vgpr_workitem_id 0
		.amdhsa_next_free_vgpr 1
		.amdhsa_next_free_sgpr 1
		.amdhsa_reserve_vcc 0
		.amdhsa_reserve_flat_scratch 0
		.amdhsa_float_round_mode_32 0
		.amdhsa_float_round_mode_16_64 0
		.amdhsa_float_denorm_mode_32 3
		.amdhsa_float_denorm_mode_16_64 3
		.amdhsa_dx10_clamp 1
		.amdhsa_ieee_mode 1
		.amdhsa_fp16_overflow 0
		.amdhsa_workgroup_processor_mode 1
		.amdhsa_memory_ordered 1
		.amdhsa_forward_progress 1
		.amdhsa_shared_vgpr_count 0
		.amdhsa_exception_fp_ieee_invalid_op 0
		.amdhsa_exception_fp_denorm_src 0
		.amdhsa_exception_fp_ieee_div_zero 0
		.amdhsa_exception_fp_ieee_overflow 0
		.amdhsa_exception_fp_ieee_underflow 0
		.amdhsa_exception_fp_ieee_inexact 0
		.amdhsa_exception_int_div_zero 0
	.end_amdhsa_kernel
	.section	.text._ZN7rocprim17ROCPRIM_400000_NS6detail17trampoline_kernelINS0_14default_configENS1_20scan_config_selectorIN3c107complexIfEEEEZZNS1_9scan_implILNS1_25lookback_scan_determinismE0ELb0ELb0ES3_PKS7_PS7_S7_ZZZN2at6native31launch_logcumsumexp_cuda_kernelERKNSE_10TensorBaseESI_lENKUlvE_clEvENKUlvE2_clEvEUlS7_S7_E_S7_EEDaPvRmT3_T4_T5_mT6_P12ihipStream_tbENKUlT_T0_E_clISt17integral_constantIbLb1EESY_IbLb0EEEEDaSU_SV_EUlSU_E_NS1_11comp_targetILNS1_3genE10ELNS1_11target_archE1200ELNS1_3gpuE4ELNS1_3repE0EEENS1_30default_config_static_selectorELNS0_4arch9wavefront6targetE0EEEvT1_,"axG",@progbits,_ZN7rocprim17ROCPRIM_400000_NS6detail17trampoline_kernelINS0_14default_configENS1_20scan_config_selectorIN3c107complexIfEEEEZZNS1_9scan_implILNS1_25lookback_scan_determinismE0ELb0ELb0ES3_PKS7_PS7_S7_ZZZN2at6native31launch_logcumsumexp_cuda_kernelERKNSE_10TensorBaseESI_lENKUlvE_clEvENKUlvE2_clEvEUlS7_S7_E_S7_EEDaPvRmT3_T4_T5_mT6_P12ihipStream_tbENKUlT_T0_E_clISt17integral_constantIbLb1EESY_IbLb0EEEEDaSU_SV_EUlSU_E_NS1_11comp_targetILNS1_3genE10ELNS1_11target_archE1200ELNS1_3gpuE4ELNS1_3repE0EEENS1_30default_config_static_selectorELNS0_4arch9wavefront6targetE0EEEvT1_,comdat
.Lfunc_end316:
	.size	_ZN7rocprim17ROCPRIM_400000_NS6detail17trampoline_kernelINS0_14default_configENS1_20scan_config_selectorIN3c107complexIfEEEEZZNS1_9scan_implILNS1_25lookback_scan_determinismE0ELb0ELb0ES3_PKS7_PS7_S7_ZZZN2at6native31launch_logcumsumexp_cuda_kernelERKNSE_10TensorBaseESI_lENKUlvE_clEvENKUlvE2_clEvEUlS7_S7_E_S7_EEDaPvRmT3_T4_T5_mT6_P12ihipStream_tbENKUlT_T0_E_clISt17integral_constantIbLb1EESY_IbLb0EEEEDaSU_SV_EUlSU_E_NS1_11comp_targetILNS1_3genE10ELNS1_11target_archE1200ELNS1_3gpuE4ELNS1_3repE0EEENS1_30default_config_static_selectorELNS0_4arch9wavefront6targetE0EEEvT1_, .Lfunc_end316-_ZN7rocprim17ROCPRIM_400000_NS6detail17trampoline_kernelINS0_14default_configENS1_20scan_config_selectorIN3c107complexIfEEEEZZNS1_9scan_implILNS1_25lookback_scan_determinismE0ELb0ELb0ES3_PKS7_PS7_S7_ZZZN2at6native31launch_logcumsumexp_cuda_kernelERKNSE_10TensorBaseESI_lENKUlvE_clEvENKUlvE2_clEvEUlS7_S7_E_S7_EEDaPvRmT3_T4_T5_mT6_P12ihipStream_tbENKUlT_T0_E_clISt17integral_constantIbLb1EESY_IbLb0EEEEDaSU_SV_EUlSU_E_NS1_11comp_targetILNS1_3genE10ELNS1_11target_archE1200ELNS1_3gpuE4ELNS1_3repE0EEENS1_30default_config_static_selectorELNS0_4arch9wavefront6targetE0EEEvT1_
                                        ; -- End function
	.set _ZN7rocprim17ROCPRIM_400000_NS6detail17trampoline_kernelINS0_14default_configENS1_20scan_config_selectorIN3c107complexIfEEEEZZNS1_9scan_implILNS1_25lookback_scan_determinismE0ELb0ELb0ES3_PKS7_PS7_S7_ZZZN2at6native31launch_logcumsumexp_cuda_kernelERKNSE_10TensorBaseESI_lENKUlvE_clEvENKUlvE2_clEvEUlS7_S7_E_S7_EEDaPvRmT3_T4_T5_mT6_P12ihipStream_tbENKUlT_T0_E_clISt17integral_constantIbLb1EESY_IbLb0EEEEDaSU_SV_EUlSU_E_NS1_11comp_targetILNS1_3genE10ELNS1_11target_archE1200ELNS1_3gpuE4ELNS1_3repE0EEENS1_30default_config_static_selectorELNS0_4arch9wavefront6targetE0EEEvT1_.num_vgpr, 0
	.set _ZN7rocprim17ROCPRIM_400000_NS6detail17trampoline_kernelINS0_14default_configENS1_20scan_config_selectorIN3c107complexIfEEEEZZNS1_9scan_implILNS1_25lookback_scan_determinismE0ELb0ELb0ES3_PKS7_PS7_S7_ZZZN2at6native31launch_logcumsumexp_cuda_kernelERKNSE_10TensorBaseESI_lENKUlvE_clEvENKUlvE2_clEvEUlS7_S7_E_S7_EEDaPvRmT3_T4_T5_mT6_P12ihipStream_tbENKUlT_T0_E_clISt17integral_constantIbLb1EESY_IbLb0EEEEDaSU_SV_EUlSU_E_NS1_11comp_targetILNS1_3genE10ELNS1_11target_archE1200ELNS1_3gpuE4ELNS1_3repE0EEENS1_30default_config_static_selectorELNS0_4arch9wavefront6targetE0EEEvT1_.num_agpr, 0
	.set _ZN7rocprim17ROCPRIM_400000_NS6detail17trampoline_kernelINS0_14default_configENS1_20scan_config_selectorIN3c107complexIfEEEEZZNS1_9scan_implILNS1_25lookback_scan_determinismE0ELb0ELb0ES3_PKS7_PS7_S7_ZZZN2at6native31launch_logcumsumexp_cuda_kernelERKNSE_10TensorBaseESI_lENKUlvE_clEvENKUlvE2_clEvEUlS7_S7_E_S7_EEDaPvRmT3_T4_T5_mT6_P12ihipStream_tbENKUlT_T0_E_clISt17integral_constantIbLb1EESY_IbLb0EEEEDaSU_SV_EUlSU_E_NS1_11comp_targetILNS1_3genE10ELNS1_11target_archE1200ELNS1_3gpuE4ELNS1_3repE0EEENS1_30default_config_static_selectorELNS0_4arch9wavefront6targetE0EEEvT1_.numbered_sgpr, 0
	.set _ZN7rocprim17ROCPRIM_400000_NS6detail17trampoline_kernelINS0_14default_configENS1_20scan_config_selectorIN3c107complexIfEEEEZZNS1_9scan_implILNS1_25lookback_scan_determinismE0ELb0ELb0ES3_PKS7_PS7_S7_ZZZN2at6native31launch_logcumsumexp_cuda_kernelERKNSE_10TensorBaseESI_lENKUlvE_clEvENKUlvE2_clEvEUlS7_S7_E_S7_EEDaPvRmT3_T4_T5_mT6_P12ihipStream_tbENKUlT_T0_E_clISt17integral_constantIbLb1EESY_IbLb0EEEEDaSU_SV_EUlSU_E_NS1_11comp_targetILNS1_3genE10ELNS1_11target_archE1200ELNS1_3gpuE4ELNS1_3repE0EEENS1_30default_config_static_selectorELNS0_4arch9wavefront6targetE0EEEvT1_.num_named_barrier, 0
	.set _ZN7rocprim17ROCPRIM_400000_NS6detail17trampoline_kernelINS0_14default_configENS1_20scan_config_selectorIN3c107complexIfEEEEZZNS1_9scan_implILNS1_25lookback_scan_determinismE0ELb0ELb0ES3_PKS7_PS7_S7_ZZZN2at6native31launch_logcumsumexp_cuda_kernelERKNSE_10TensorBaseESI_lENKUlvE_clEvENKUlvE2_clEvEUlS7_S7_E_S7_EEDaPvRmT3_T4_T5_mT6_P12ihipStream_tbENKUlT_T0_E_clISt17integral_constantIbLb1EESY_IbLb0EEEEDaSU_SV_EUlSU_E_NS1_11comp_targetILNS1_3genE10ELNS1_11target_archE1200ELNS1_3gpuE4ELNS1_3repE0EEENS1_30default_config_static_selectorELNS0_4arch9wavefront6targetE0EEEvT1_.private_seg_size, 0
	.set _ZN7rocprim17ROCPRIM_400000_NS6detail17trampoline_kernelINS0_14default_configENS1_20scan_config_selectorIN3c107complexIfEEEEZZNS1_9scan_implILNS1_25lookback_scan_determinismE0ELb0ELb0ES3_PKS7_PS7_S7_ZZZN2at6native31launch_logcumsumexp_cuda_kernelERKNSE_10TensorBaseESI_lENKUlvE_clEvENKUlvE2_clEvEUlS7_S7_E_S7_EEDaPvRmT3_T4_T5_mT6_P12ihipStream_tbENKUlT_T0_E_clISt17integral_constantIbLb1EESY_IbLb0EEEEDaSU_SV_EUlSU_E_NS1_11comp_targetILNS1_3genE10ELNS1_11target_archE1200ELNS1_3gpuE4ELNS1_3repE0EEENS1_30default_config_static_selectorELNS0_4arch9wavefront6targetE0EEEvT1_.uses_vcc, 0
	.set _ZN7rocprim17ROCPRIM_400000_NS6detail17trampoline_kernelINS0_14default_configENS1_20scan_config_selectorIN3c107complexIfEEEEZZNS1_9scan_implILNS1_25lookback_scan_determinismE0ELb0ELb0ES3_PKS7_PS7_S7_ZZZN2at6native31launch_logcumsumexp_cuda_kernelERKNSE_10TensorBaseESI_lENKUlvE_clEvENKUlvE2_clEvEUlS7_S7_E_S7_EEDaPvRmT3_T4_T5_mT6_P12ihipStream_tbENKUlT_T0_E_clISt17integral_constantIbLb1EESY_IbLb0EEEEDaSU_SV_EUlSU_E_NS1_11comp_targetILNS1_3genE10ELNS1_11target_archE1200ELNS1_3gpuE4ELNS1_3repE0EEENS1_30default_config_static_selectorELNS0_4arch9wavefront6targetE0EEEvT1_.uses_flat_scratch, 0
	.set _ZN7rocprim17ROCPRIM_400000_NS6detail17trampoline_kernelINS0_14default_configENS1_20scan_config_selectorIN3c107complexIfEEEEZZNS1_9scan_implILNS1_25lookback_scan_determinismE0ELb0ELb0ES3_PKS7_PS7_S7_ZZZN2at6native31launch_logcumsumexp_cuda_kernelERKNSE_10TensorBaseESI_lENKUlvE_clEvENKUlvE2_clEvEUlS7_S7_E_S7_EEDaPvRmT3_T4_T5_mT6_P12ihipStream_tbENKUlT_T0_E_clISt17integral_constantIbLb1EESY_IbLb0EEEEDaSU_SV_EUlSU_E_NS1_11comp_targetILNS1_3genE10ELNS1_11target_archE1200ELNS1_3gpuE4ELNS1_3repE0EEENS1_30default_config_static_selectorELNS0_4arch9wavefront6targetE0EEEvT1_.has_dyn_sized_stack, 0
	.set _ZN7rocprim17ROCPRIM_400000_NS6detail17trampoline_kernelINS0_14default_configENS1_20scan_config_selectorIN3c107complexIfEEEEZZNS1_9scan_implILNS1_25lookback_scan_determinismE0ELb0ELb0ES3_PKS7_PS7_S7_ZZZN2at6native31launch_logcumsumexp_cuda_kernelERKNSE_10TensorBaseESI_lENKUlvE_clEvENKUlvE2_clEvEUlS7_S7_E_S7_EEDaPvRmT3_T4_T5_mT6_P12ihipStream_tbENKUlT_T0_E_clISt17integral_constantIbLb1EESY_IbLb0EEEEDaSU_SV_EUlSU_E_NS1_11comp_targetILNS1_3genE10ELNS1_11target_archE1200ELNS1_3gpuE4ELNS1_3repE0EEENS1_30default_config_static_selectorELNS0_4arch9wavefront6targetE0EEEvT1_.has_recursion, 0
	.set _ZN7rocprim17ROCPRIM_400000_NS6detail17trampoline_kernelINS0_14default_configENS1_20scan_config_selectorIN3c107complexIfEEEEZZNS1_9scan_implILNS1_25lookback_scan_determinismE0ELb0ELb0ES3_PKS7_PS7_S7_ZZZN2at6native31launch_logcumsumexp_cuda_kernelERKNSE_10TensorBaseESI_lENKUlvE_clEvENKUlvE2_clEvEUlS7_S7_E_S7_EEDaPvRmT3_T4_T5_mT6_P12ihipStream_tbENKUlT_T0_E_clISt17integral_constantIbLb1EESY_IbLb0EEEEDaSU_SV_EUlSU_E_NS1_11comp_targetILNS1_3genE10ELNS1_11target_archE1200ELNS1_3gpuE4ELNS1_3repE0EEENS1_30default_config_static_selectorELNS0_4arch9wavefront6targetE0EEEvT1_.has_indirect_call, 0
	.section	.AMDGPU.csdata,"",@progbits
; Kernel info:
; codeLenInByte = 0
; TotalNumSgprs: 0
; NumVgprs: 0
; ScratchSize: 0
; MemoryBound: 0
; FloatMode: 240
; IeeeMode: 1
; LDSByteSize: 0 bytes/workgroup (compile time only)
; SGPRBlocks: 0
; VGPRBlocks: 0
; NumSGPRsForWavesPerEU: 1
; NumVGPRsForWavesPerEU: 1
; Occupancy: 16
; WaveLimiterHint : 0
; COMPUTE_PGM_RSRC2:SCRATCH_EN: 0
; COMPUTE_PGM_RSRC2:USER_SGPR: 6
; COMPUTE_PGM_RSRC2:TRAP_HANDLER: 0
; COMPUTE_PGM_RSRC2:TGID_X_EN: 1
; COMPUTE_PGM_RSRC2:TGID_Y_EN: 0
; COMPUTE_PGM_RSRC2:TGID_Z_EN: 0
; COMPUTE_PGM_RSRC2:TIDIG_COMP_CNT: 0
	.section	.text._ZN7rocprim17ROCPRIM_400000_NS6detail17trampoline_kernelINS0_14default_configENS1_20scan_config_selectorIN3c107complexIfEEEEZZNS1_9scan_implILNS1_25lookback_scan_determinismE0ELb0ELb0ES3_PKS7_PS7_S7_ZZZN2at6native31launch_logcumsumexp_cuda_kernelERKNSE_10TensorBaseESI_lENKUlvE_clEvENKUlvE2_clEvEUlS7_S7_E_S7_EEDaPvRmT3_T4_T5_mT6_P12ihipStream_tbENKUlT_T0_E_clISt17integral_constantIbLb1EESY_IbLb0EEEEDaSU_SV_EUlSU_E_NS1_11comp_targetILNS1_3genE9ELNS1_11target_archE1100ELNS1_3gpuE3ELNS1_3repE0EEENS1_30default_config_static_selectorELNS0_4arch9wavefront6targetE0EEEvT1_,"axG",@progbits,_ZN7rocprim17ROCPRIM_400000_NS6detail17trampoline_kernelINS0_14default_configENS1_20scan_config_selectorIN3c107complexIfEEEEZZNS1_9scan_implILNS1_25lookback_scan_determinismE0ELb0ELb0ES3_PKS7_PS7_S7_ZZZN2at6native31launch_logcumsumexp_cuda_kernelERKNSE_10TensorBaseESI_lENKUlvE_clEvENKUlvE2_clEvEUlS7_S7_E_S7_EEDaPvRmT3_T4_T5_mT6_P12ihipStream_tbENKUlT_T0_E_clISt17integral_constantIbLb1EESY_IbLb0EEEEDaSU_SV_EUlSU_E_NS1_11comp_targetILNS1_3genE9ELNS1_11target_archE1100ELNS1_3gpuE3ELNS1_3repE0EEENS1_30default_config_static_selectorELNS0_4arch9wavefront6targetE0EEEvT1_,comdat
	.globl	_ZN7rocprim17ROCPRIM_400000_NS6detail17trampoline_kernelINS0_14default_configENS1_20scan_config_selectorIN3c107complexIfEEEEZZNS1_9scan_implILNS1_25lookback_scan_determinismE0ELb0ELb0ES3_PKS7_PS7_S7_ZZZN2at6native31launch_logcumsumexp_cuda_kernelERKNSE_10TensorBaseESI_lENKUlvE_clEvENKUlvE2_clEvEUlS7_S7_E_S7_EEDaPvRmT3_T4_T5_mT6_P12ihipStream_tbENKUlT_T0_E_clISt17integral_constantIbLb1EESY_IbLb0EEEEDaSU_SV_EUlSU_E_NS1_11comp_targetILNS1_3genE9ELNS1_11target_archE1100ELNS1_3gpuE3ELNS1_3repE0EEENS1_30default_config_static_selectorELNS0_4arch9wavefront6targetE0EEEvT1_ ; -- Begin function _ZN7rocprim17ROCPRIM_400000_NS6detail17trampoline_kernelINS0_14default_configENS1_20scan_config_selectorIN3c107complexIfEEEEZZNS1_9scan_implILNS1_25lookback_scan_determinismE0ELb0ELb0ES3_PKS7_PS7_S7_ZZZN2at6native31launch_logcumsumexp_cuda_kernelERKNSE_10TensorBaseESI_lENKUlvE_clEvENKUlvE2_clEvEUlS7_S7_E_S7_EEDaPvRmT3_T4_T5_mT6_P12ihipStream_tbENKUlT_T0_E_clISt17integral_constantIbLb1EESY_IbLb0EEEEDaSU_SV_EUlSU_E_NS1_11comp_targetILNS1_3genE9ELNS1_11target_archE1100ELNS1_3gpuE3ELNS1_3repE0EEENS1_30default_config_static_selectorELNS0_4arch9wavefront6targetE0EEEvT1_
	.p2align	8
	.type	_ZN7rocprim17ROCPRIM_400000_NS6detail17trampoline_kernelINS0_14default_configENS1_20scan_config_selectorIN3c107complexIfEEEEZZNS1_9scan_implILNS1_25lookback_scan_determinismE0ELb0ELb0ES3_PKS7_PS7_S7_ZZZN2at6native31launch_logcumsumexp_cuda_kernelERKNSE_10TensorBaseESI_lENKUlvE_clEvENKUlvE2_clEvEUlS7_S7_E_S7_EEDaPvRmT3_T4_T5_mT6_P12ihipStream_tbENKUlT_T0_E_clISt17integral_constantIbLb1EESY_IbLb0EEEEDaSU_SV_EUlSU_E_NS1_11comp_targetILNS1_3genE9ELNS1_11target_archE1100ELNS1_3gpuE3ELNS1_3repE0EEENS1_30default_config_static_selectorELNS0_4arch9wavefront6targetE0EEEvT1_,@function
_ZN7rocprim17ROCPRIM_400000_NS6detail17trampoline_kernelINS0_14default_configENS1_20scan_config_selectorIN3c107complexIfEEEEZZNS1_9scan_implILNS1_25lookback_scan_determinismE0ELb0ELb0ES3_PKS7_PS7_S7_ZZZN2at6native31launch_logcumsumexp_cuda_kernelERKNSE_10TensorBaseESI_lENKUlvE_clEvENKUlvE2_clEvEUlS7_S7_E_S7_EEDaPvRmT3_T4_T5_mT6_P12ihipStream_tbENKUlT_T0_E_clISt17integral_constantIbLb1EESY_IbLb0EEEEDaSU_SV_EUlSU_E_NS1_11comp_targetILNS1_3genE9ELNS1_11target_archE1100ELNS1_3gpuE3ELNS1_3repE0EEENS1_30default_config_static_selectorELNS0_4arch9wavefront6targetE0EEEvT1_: ; @_ZN7rocprim17ROCPRIM_400000_NS6detail17trampoline_kernelINS0_14default_configENS1_20scan_config_selectorIN3c107complexIfEEEEZZNS1_9scan_implILNS1_25lookback_scan_determinismE0ELb0ELb0ES3_PKS7_PS7_S7_ZZZN2at6native31launch_logcumsumexp_cuda_kernelERKNSE_10TensorBaseESI_lENKUlvE_clEvENKUlvE2_clEvEUlS7_S7_E_S7_EEDaPvRmT3_T4_T5_mT6_P12ihipStream_tbENKUlT_T0_E_clISt17integral_constantIbLb1EESY_IbLb0EEEEDaSU_SV_EUlSU_E_NS1_11comp_targetILNS1_3genE9ELNS1_11target_archE1100ELNS1_3gpuE3ELNS1_3repE0EEENS1_30default_config_static_selectorELNS0_4arch9wavefront6targetE0EEEvT1_
; %bb.0:
	.section	.rodata,"a",@progbits
	.p2align	6, 0x0
	.amdhsa_kernel _ZN7rocprim17ROCPRIM_400000_NS6detail17trampoline_kernelINS0_14default_configENS1_20scan_config_selectorIN3c107complexIfEEEEZZNS1_9scan_implILNS1_25lookback_scan_determinismE0ELb0ELb0ES3_PKS7_PS7_S7_ZZZN2at6native31launch_logcumsumexp_cuda_kernelERKNSE_10TensorBaseESI_lENKUlvE_clEvENKUlvE2_clEvEUlS7_S7_E_S7_EEDaPvRmT3_T4_T5_mT6_P12ihipStream_tbENKUlT_T0_E_clISt17integral_constantIbLb1EESY_IbLb0EEEEDaSU_SV_EUlSU_E_NS1_11comp_targetILNS1_3genE9ELNS1_11target_archE1100ELNS1_3gpuE3ELNS1_3repE0EEENS1_30default_config_static_selectorELNS0_4arch9wavefront6targetE0EEEvT1_
		.amdhsa_group_segment_fixed_size 0
		.amdhsa_private_segment_fixed_size 0
		.amdhsa_kernarg_size 104
		.amdhsa_user_sgpr_count 6
		.amdhsa_user_sgpr_private_segment_buffer 1
		.amdhsa_user_sgpr_dispatch_ptr 0
		.amdhsa_user_sgpr_queue_ptr 0
		.amdhsa_user_sgpr_kernarg_segment_ptr 1
		.amdhsa_user_sgpr_dispatch_id 0
		.amdhsa_user_sgpr_flat_scratch_init 0
		.amdhsa_user_sgpr_private_segment_size 0
		.amdhsa_wavefront_size32 1
		.amdhsa_uses_dynamic_stack 0
		.amdhsa_system_sgpr_private_segment_wavefront_offset 0
		.amdhsa_system_sgpr_workgroup_id_x 1
		.amdhsa_system_sgpr_workgroup_id_y 0
		.amdhsa_system_sgpr_workgroup_id_z 0
		.amdhsa_system_sgpr_workgroup_info 0
		.amdhsa_system_vgpr_workitem_id 0
		.amdhsa_next_free_vgpr 1
		.amdhsa_next_free_sgpr 1
		.amdhsa_reserve_vcc 0
		.amdhsa_reserve_flat_scratch 0
		.amdhsa_float_round_mode_32 0
		.amdhsa_float_round_mode_16_64 0
		.amdhsa_float_denorm_mode_32 3
		.amdhsa_float_denorm_mode_16_64 3
		.amdhsa_dx10_clamp 1
		.amdhsa_ieee_mode 1
		.amdhsa_fp16_overflow 0
		.amdhsa_workgroup_processor_mode 1
		.amdhsa_memory_ordered 1
		.amdhsa_forward_progress 1
		.amdhsa_shared_vgpr_count 0
		.amdhsa_exception_fp_ieee_invalid_op 0
		.amdhsa_exception_fp_denorm_src 0
		.amdhsa_exception_fp_ieee_div_zero 0
		.amdhsa_exception_fp_ieee_overflow 0
		.amdhsa_exception_fp_ieee_underflow 0
		.amdhsa_exception_fp_ieee_inexact 0
		.amdhsa_exception_int_div_zero 0
	.end_amdhsa_kernel
	.section	.text._ZN7rocprim17ROCPRIM_400000_NS6detail17trampoline_kernelINS0_14default_configENS1_20scan_config_selectorIN3c107complexIfEEEEZZNS1_9scan_implILNS1_25lookback_scan_determinismE0ELb0ELb0ES3_PKS7_PS7_S7_ZZZN2at6native31launch_logcumsumexp_cuda_kernelERKNSE_10TensorBaseESI_lENKUlvE_clEvENKUlvE2_clEvEUlS7_S7_E_S7_EEDaPvRmT3_T4_T5_mT6_P12ihipStream_tbENKUlT_T0_E_clISt17integral_constantIbLb1EESY_IbLb0EEEEDaSU_SV_EUlSU_E_NS1_11comp_targetILNS1_3genE9ELNS1_11target_archE1100ELNS1_3gpuE3ELNS1_3repE0EEENS1_30default_config_static_selectorELNS0_4arch9wavefront6targetE0EEEvT1_,"axG",@progbits,_ZN7rocprim17ROCPRIM_400000_NS6detail17trampoline_kernelINS0_14default_configENS1_20scan_config_selectorIN3c107complexIfEEEEZZNS1_9scan_implILNS1_25lookback_scan_determinismE0ELb0ELb0ES3_PKS7_PS7_S7_ZZZN2at6native31launch_logcumsumexp_cuda_kernelERKNSE_10TensorBaseESI_lENKUlvE_clEvENKUlvE2_clEvEUlS7_S7_E_S7_EEDaPvRmT3_T4_T5_mT6_P12ihipStream_tbENKUlT_T0_E_clISt17integral_constantIbLb1EESY_IbLb0EEEEDaSU_SV_EUlSU_E_NS1_11comp_targetILNS1_3genE9ELNS1_11target_archE1100ELNS1_3gpuE3ELNS1_3repE0EEENS1_30default_config_static_selectorELNS0_4arch9wavefront6targetE0EEEvT1_,comdat
.Lfunc_end317:
	.size	_ZN7rocprim17ROCPRIM_400000_NS6detail17trampoline_kernelINS0_14default_configENS1_20scan_config_selectorIN3c107complexIfEEEEZZNS1_9scan_implILNS1_25lookback_scan_determinismE0ELb0ELb0ES3_PKS7_PS7_S7_ZZZN2at6native31launch_logcumsumexp_cuda_kernelERKNSE_10TensorBaseESI_lENKUlvE_clEvENKUlvE2_clEvEUlS7_S7_E_S7_EEDaPvRmT3_T4_T5_mT6_P12ihipStream_tbENKUlT_T0_E_clISt17integral_constantIbLb1EESY_IbLb0EEEEDaSU_SV_EUlSU_E_NS1_11comp_targetILNS1_3genE9ELNS1_11target_archE1100ELNS1_3gpuE3ELNS1_3repE0EEENS1_30default_config_static_selectorELNS0_4arch9wavefront6targetE0EEEvT1_, .Lfunc_end317-_ZN7rocprim17ROCPRIM_400000_NS6detail17trampoline_kernelINS0_14default_configENS1_20scan_config_selectorIN3c107complexIfEEEEZZNS1_9scan_implILNS1_25lookback_scan_determinismE0ELb0ELb0ES3_PKS7_PS7_S7_ZZZN2at6native31launch_logcumsumexp_cuda_kernelERKNSE_10TensorBaseESI_lENKUlvE_clEvENKUlvE2_clEvEUlS7_S7_E_S7_EEDaPvRmT3_T4_T5_mT6_P12ihipStream_tbENKUlT_T0_E_clISt17integral_constantIbLb1EESY_IbLb0EEEEDaSU_SV_EUlSU_E_NS1_11comp_targetILNS1_3genE9ELNS1_11target_archE1100ELNS1_3gpuE3ELNS1_3repE0EEENS1_30default_config_static_selectorELNS0_4arch9wavefront6targetE0EEEvT1_
                                        ; -- End function
	.set _ZN7rocprim17ROCPRIM_400000_NS6detail17trampoline_kernelINS0_14default_configENS1_20scan_config_selectorIN3c107complexIfEEEEZZNS1_9scan_implILNS1_25lookback_scan_determinismE0ELb0ELb0ES3_PKS7_PS7_S7_ZZZN2at6native31launch_logcumsumexp_cuda_kernelERKNSE_10TensorBaseESI_lENKUlvE_clEvENKUlvE2_clEvEUlS7_S7_E_S7_EEDaPvRmT3_T4_T5_mT6_P12ihipStream_tbENKUlT_T0_E_clISt17integral_constantIbLb1EESY_IbLb0EEEEDaSU_SV_EUlSU_E_NS1_11comp_targetILNS1_3genE9ELNS1_11target_archE1100ELNS1_3gpuE3ELNS1_3repE0EEENS1_30default_config_static_selectorELNS0_4arch9wavefront6targetE0EEEvT1_.num_vgpr, 0
	.set _ZN7rocprim17ROCPRIM_400000_NS6detail17trampoline_kernelINS0_14default_configENS1_20scan_config_selectorIN3c107complexIfEEEEZZNS1_9scan_implILNS1_25lookback_scan_determinismE0ELb0ELb0ES3_PKS7_PS7_S7_ZZZN2at6native31launch_logcumsumexp_cuda_kernelERKNSE_10TensorBaseESI_lENKUlvE_clEvENKUlvE2_clEvEUlS7_S7_E_S7_EEDaPvRmT3_T4_T5_mT6_P12ihipStream_tbENKUlT_T0_E_clISt17integral_constantIbLb1EESY_IbLb0EEEEDaSU_SV_EUlSU_E_NS1_11comp_targetILNS1_3genE9ELNS1_11target_archE1100ELNS1_3gpuE3ELNS1_3repE0EEENS1_30default_config_static_selectorELNS0_4arch9wavefront6targetE0EEEvT1_.num_agpr, 0
	.set _ZN7rocprim17ROCPRIM_400000_NS6detail17trampoline_kernelINS0_14default_configENS1_20scan_config_selectorIN3c107complexIfEEEEZZNS1_9scan_implILNS1_25lookback_scan_determinismE0ELb0ELb0ES3_PKS7_PS7_S7_ZZZN2at6native31launch_logcumsumexp_cuda_kernelERKNSE_10TensorBaseESI_lENKUlvE_clEvENKUlvE2_clEvEUlS7_S7_E_S7_EEDaPvRmT3_T4_T5_mT6_P12ihipStream_tbENKUlT_T0_E_clISt17integral_constantIbLb1EESY_IbLb0EEEEDaSU_SV_EUlSU_E_NS1_11comp_targetILNS1_3genE9ELNS1_11target_archE1100ELNS1_3gpuE3ELNS1_3repE0EEENS1_30default_config_static_selectorELNS0_4arch9wavefront6targetE0EEEvT1_.numbered_sgpr, 0
	.set _ZN7rocprim17ROCPRIM_400000_NS6detail17trampoline_kernelINS0_14default_configENS1_20scan_config_selectorIN3c107complexIfEEEEZZNS1_9scan_implILNS1_25lookback_scan_determinismE0ELb0ELb0ES3_PKS7_PS7_S7_ZZZN2at6native31launch_logcumsumexp_cuda_kernelERKNSE_10TensorBaseESI_lENKUlvE_clEvENKUlvE2_clEvEUlS7_S7_E_S7_EEDaPvRmT3_T4_T5_mT6_P12ihipStream_tbENKUlT_T0_E_clISt17integral_constantIbLb1EESY_IbLb0EEEEDaSU_SV_EUlSU_E_NS1_11comp_targetILNS1_3genE9ELNS1_11target_archE1100ELNS1_3gpuE3ELNS1_3repE0EEENS1_30default_config_static_selectorELNS0_4arch9wavefront6targetE0EEEvT1_.num_named_barrier, 0
	.set _ZN7rocprim17ROCPRIM_400000_NS6detail17trampoline_kernelINS0_14default_configENS1_20scan_config_selectorIN3c107complexIfEEEEZZNS1_9scan_implILNS1_25lookback_scan_determinismE0ELb0ELb0ES3_PKS7_PS7_S7_ZZZN2at6native31launch_logcumsumexp_cuda_kernelERKNSE_10TensorBaseESI_lENKUlvE_clEvENKUlvE2_clEvEUlS7_S7_E_S7_EEDaPvRmT3_T4_T5_mT6_P12ihipStream_tbENKUlT_T0_E_clISt17integral_constantIbLb1EESY_IbLb0EEEEDaSU_SV_EUlSU_E_NS1_11comp_targetILNS1_3genE9ELNS1_11target_archE1100ELNS1_3gpuE3ELNS1_3repE0EEENS1_30default_config_static_selectorELNS0_4arch9wavefront6targetE0EEEvT1_.private_seg_size, 0
	.set _ZN7rocprim17ROCPRIM_400000_NS6detail17trampoline_kernelINS0_14default_configENS1_20scan_config_selectorIN3c107complexIfEEEEZZNS1_9scan_implILNS1_25lookback_scan_determinismE0ELb0ELb0ES3_PKS7_PS7_S7_ZZZN2at6native31launch_logcumsumexp_cuda_kernelERKNSE_10TensorBaseESI_lENKUlvE_clEvENKUlvE2_clEvEUlS7_S7_E_S7_EEDaPvRmT3_T4_T5_mT6_P12ihipStream_tbENKUlT_T0_E_clISt17integral_constantIbLb1EESY_IbLb0EEEEDaSU_SV_EUlSU_E_NS1_11comp_targetILNS1_3genE9ELNS1_11target_archE1100ELNS1_3gpuE3ELNS1_3repE0EEENS1_30default_config_static_selectorELNS0_4arch9wavefront6targetE0EEEvT1_.uses_vcc, 0
	.set _ZN7rocprim17ROCPRIM_400000_NS6detail17trampoline_kernelINS0_14default_configENS1_20scan_config_selectorIN3c107complexIfEEEEZZNS1_9scan_implILNS1_25lookback_scan_determinismE0ELb0ELb0ES3_PKS7_PS7_S7_ZZZN2at6native31launch_logcumsumexp_cuda_kernelERKNSE_10TensorBaseESI_lENKUlvE_clEvENKUlvE2_clEvEUlS7_S7_E_S7_EEDaPvRmT3_T4_T5_mT6_P12ihipStream_tbENKUlT_T0_E_clISt17integral_constantIbLb1EESY_IbLb0EEEEDaSU_SV_EUlSU_E_NS1_11comp_targetILNS1_3genE9ELNS1_11target_archE1100ELNS1_3gpuE3ELNS1_3repE0EEENS1_30default_config_static_selectorELNS0_4arch9wavefront6targetE0EEEvT1_.uses_flat_scratch, 0
	.set _ZN7rocprim17ROCPRIM_400000_NS6detail17trampoline_kernelINS0_14default_configENS1_20scan_config_selectorIN3c107complexIfEEEEZZNS1_9scan_implILNS1_25lookback_scan_determinismE0ELb0ELb0ES3_PKS7_PS7_S7_ZZZN2at6native31launch_logcumsumexp_cuda_kernelERKNSE_10TensorBaseESI_lENKUlvE_clEvENKUlvE2_clEvEUlS7_S7_E_S7_EEDaPvRmT3_T4_T5_mT6_P12ihipStream_tbENKUlT_T0_E_clISt17integral_constantIbLb1EESY_IbLb0EEEEDaSU_SV_EUlSU_E_NS1_11comp_targetILNS1_3genE9ELNS1_11target_archE1100ELNS1_3gpuE3ELNS1_3repE0EEENS1_30default_config_static_selectorELNS0_4arch9wavefront6targetE0EEEvT1_.has_dyn_sized_stack, 0
	.set _ZN7rocprim17ROCPRIM_400000_NS6detail17trampoline_kernelINS0_14default_configENS1_20scan_config_selectorIN3c107complexIfEEEEZZNS1_9scan_implILNS1_25lookback_scan_determinismE0ELb0ELb0ES3_PKS7_PS7_S7_ZZZN2at6native31launch_logcumsumexp_cuda_kernelERKNSE_10TensorBaseESI_lENKUlvE_clEvENKUlvE2_clEvEUlS7_S7_E_S7_EEDaPvRmT3_T4_T5_mT6_P12ihipStream_tbENKUlT_T0_E_clISt17integral_constantIbLb1EESY_IbLb0EEEEDaSU_SV_EUlSU_E_NS1_11comp_targetILNS1_3genE9ELNS1_11target_archE1100ELNS1_3gpuE3ELNS1_3repE0EEENS1_30default_config_static_selectorELNS0_4arch9wavefront6targetE0EEEvT1_.has_recursion, 0
	.set _ZN7rocprim17ROCPRIM_400000_NS6detail17trampoline_kernelINS0_14default_configENS1_20scan_config_selectorIN3c107complexIfEEEEZZNS1_9scan_implILNS1_25lookback_scan_determinismE0ELb0ELb0ES3_PKS7_PS7_S7_ZZZN2at6native31launch_logcumsumexp_cuda_kernelERKNSE_10TensorBaseESI_lENKUlvE_clEvENKUlvE2_clEvEUlS7_S7_E_S7_EEDaPvRmT3_T4_T5_mT6_P12ihipStream_tbENKUlT_T0_E_clISt17integral_constantIbLb1EESY_IbLb0EEEEDaSU_SV_EUlSU_E_NS1_11comp_targetILNS1_3genE9ELNS1_11target_archE1100ELNS1_3gpuE3ELNS1_3repE0EEENS1_30default_config_static_selectorELNS0_4arch9wavefront6targetE0EEEvT1_.has_indirect_call, 0
	.section	.AMDGPU.csdata,"",@progbits
; Kernel info:
; codeLenInByte = 0
; TotalNumSgprs: 0
; NumVgprs: 0
; ScratchSize: 0
; MemoryBound: 0
; FloatMode: 240
; IeeeMode: 1
; LDSByteSize: 0 bytes/workgroup (compile time only)
; SGPRBlocks: 0
; VGPRBlocks: 0
; NumSGPRsForWavesPerEU: 1
; NumVGPRsForWavesPerEU: 1
; Occupancy: 16
; WaveLimiterHint : 0
; COMPUTE_PGM_RSRC2:SCRATCH_EN: 0
; COMPUTE_PGM_RSRC2:USER_SGPR: 6
; COMPUTE_PGM_RSRC2:TRAP_HANDLER: 0
; COMPUTE_PGM_RSRC2:TGID_X_EN: 1
; COMPUTE_PGM_RSRC2:TGID_Y_EN: 0
; COMPUTE_PGM_RSRC2:TGID_Z_EN: 0
; COMPUTE_PGM_RSRC2:TIDIG_COMP_CNT: 0
	.section	.text._ZN7rocprim17ROCPRIM_400000_NS6detail17trampoline_kernelINS0_14default_configENS1_20scan_config_selectorIN3c107complexIfEEEEZZNS1_9scan_implILNS1_25lookback_scan_determinismE0ELb0ELb0ES3_PKS7_PS7_S7_ZZZN2at6native31launch_logcumsumexp_cuda_kernelERKNSE_10TensorBaseESI_lENKUlvE_clEvENKUlvE2_clEvEUlS7_S7_E_S7_EEDaPvRmT3_T4_T5_mT6_P12ihipStream_tbENKUlT_T0_E_clISt17integral_constantIbLb1EESY_IbLb0EEEEDaSU_SV_EUlSU_E_NS1_11comp_targetILNS1_3genE8ELNS1_11target_archE1030ELNS1_3gpuE2ELNS1_3repE0EEENS1_30default_config_static_selectorELNS0_4arch9wavefront6targetE0EEEvT1_,"axG",@progbits,_ZN7rocprim17ROCPRIM_400000_NS6detail17trampoline_kernelINS0_14default_configENS1_20scan_config_selectorIN3c107complexIfEEEEZZNS1_9scan_implILNS1_25lookback_scan_determinismE0ELb0ELb0ES3_PKS7_PS7_S7_ZZZN2at6native31launch_logcumsumexp_cuda_kernelERKNSE_10TensorBaseESI_lENKUlvE_clEvENKUlvE2_clEvEUlS7_S7_E_S7_EEDaPvRmT3_T4_T5_mT6_P12ihipStream_tbENKUlT_T0_E_clISt17integral_constantIbLb1EESY_IbLb0EEEEDaSU_SV_EUlSU_E_NS1_11comp_targetILNS1_3genE8ELNS1_11target_archE1030ELNS1_3gpuE2ELNS1_3repE0EEENS1_30default_config_static_selectorELNS0_4arch9wavefront6targetE0EEEvT1_,comdat
	.globl	_ZN7rocprim17ROCPRIM_400000_NS6detail17trampoline_kernelINS0_14default_configENS1_20scan_config_selectorIN3c107complexIfEEEEZZNS1_9scan_implILNS1_25lookback_scan_determinismE0ELb0ELb0ES3_PKS7_PS7_S7_ZZZN2at6native31launch_logcumsumexp_cuda_kernelERKNSE_10TensorBaseESI_lENKUlvE_clEvENKUlvE2_clEvEUlS7_S7_E_S7_EEDaPvRmT3_T4_T5_mT6_P12ihipStream_tbENKUlT_T0_E_clISt17integral_constantIbLb1EESY_IbLb0EEEEDaSU_SV_EUlSU_E_NS1_11comp_targetILNS1_3genE8ELNS1_11target_archE1030ELNS1_3gpuE2ELNS1_3repE0EEENS1_30default_config_static_selectorELNS0_4arch9wavefront6targetE0EEEvT1_ ; -- Begin function _ZN7rocprim17ROCPRIM_400000_NS6detail17trampoline_kernelINS0_14default_configENS1_20scan_config_selectorIN3c107complexIfEEEEZZNS1_9scan_implILNS1_25lookback_scan_determinismE0ELb0ELb0ES3_PKS7_PS7_S7_ZZZN2at6native31launch_logcumsumexp_cuda_kernelERKNSE_10TensorBaseESI_lENKUlvE_clEvENKUlvE2_clEvEUlS7_S7_E_S7_EEDaPvRmT3_T4_T5_mT6_P12ihipStream_tbENKUlT_T0_E_clISt17integral_constantIbLb1EESY_IbLb0EEEEDaSU_SV_EUlSU_E_NS1_11comp_targetILNS1_3genE8ELNS1_11target_archE1030ELNS1_3gpuE2ELNS1_3repE0EEENS1_30default_config_static_selectorELNS0_4arch9wavefront6targetE0EEEvT1_
	.p2align	8
	.type	_ZN7rocprim17ROCPRIM_400000_NS6detail17trampoline_kernelINS0_14default_configENS1_20scan_config_selectorIN3c107complexIfEEEEZZNS1_9scan_implILNS1_25lookback_scan_determinismE0ELb0ELb0ES3_PKS7_PS7_S7_ZZZN2at6native31launch_logcumsumexp_cuda_kernelERKNSE_10TensorBaseESI_lENKUlvE_clEvENKUlvE2_clEvEUlS7_S7_E_S7_EEDaPvRmT3_T4_T5_mT6_P12ihipStream_tbENKUlT_T0_E_clISt17integral_constantIbLb1EESY_IbLb0EEEEDaSU_SV_EUlSU_E_NS1_11comp_targetILNS1_3genE8ELNS1_11target_archE1030ELNS1_3gpuE2ELNS1_3repE0EEENS1_30default_config_static_selectorELNS0_4arch9wavefront6targetE0EEEvT1_,@function
_ZN7rocprim17ROCPRIM_400000_NS6detail17trampoline_kernelINS0_14default_configENS1_20scan_config_selectorIN3c107complexIfEEEEZZNS1_9scan_implILNS1_25lookback_scan_determinismE0ELb0ELb0ES3_PKS7_PS7_S7_ZZZN2at6native31launch_logcumsumexp_cuda_kernelERKNSE_10TensorBaseESI_lENKUlvE_clEvENKUlvE2_clEvEUlS7_S7_E_S7_EEDaPvRmT3_T4_T5_mT6_P12ihipStream_tbENKUlT_T0_E_clISt17integral_constantIbLb1EESY_IbLb0EEEEDaSU_SV_EUlSU_E_NS1_11comp_targetILNS1_3genE8ELNS1_11target_archE1030ELNS1_3gpuE2ELNS1_3repE0EEENS1_30default_config_static_selectorELNS0_4arch9wavefront6targetE0EEEvT1_: ; @_ZN7rocprim17ROCPRIM_400000_NS6detail17trampoline_kernelINS0_14default_configENS1_20scan_config_selectorIN3c107complexIfEEEEZZNS1_9scan_implILNS1_25lookback_scan_determinismE0ELb0ELb0ES3_PKS7_PS7_S7_ZZZN2at6native31launch_logcumsumexp_cuda_kernelERKNSE_10TensorBaseESI_lENKUlvE_clEvENKUlvE2_clEvEUlS7_S7_E_S7_EEDaPvRmT3_T4_T5_mT6_P12ihipStream_tbENKUlT_T0_E_clISt17integral_constantIbLb1EESY_IbLb0EEEEDaSU_SV_EUlSU_E_NS1_11comp_targetILNS1_3genE8ELNS1_11target_archE1030ELNS1_3gpuE2ELNS1_3repE0EEENS1_30default_config_static_selectorELNS0_4arch9wavefront6targetE0EEEvT1_
; %bb.0:
	s_endpgm
	.section	.rodata,"a",@progbits
	.p2align	6, 0x0
	.amdhsa_kernel _ZN7rocprim17ROCPRIM_400000_NS6detail17trampoline_kernelINS0_14default_configENS1_20scan_config_selectorIN3c107complexIfEEEEZZNS1_9scan_implILNS1_25lookback_scan_determinismE0ELb0ELb0ES3_PKS7_PS7_S7_ZZZN2at6native31launch_logcumsumexp_cuda_kernelERKNSE_10TensorBaseESI_lENKUlvE_clEvENKUlvE2_clEvEUlS7_S7_E_S7_EEDaPvRmT3_T4_T5_mT6_P12ihipStream_tbENKUlT_T0_E_clISt17integral_constantIbLb1EESY_IbLb0EEEEDaSU_SV_EUlSU_E_NS1_11comp_targetILNS1_3genE8ELNS1_11target_archE1030ELNS1_3gpuE2ELNS1_3repE0EEENS1_30default_config_static_selectorELNS0_4arch9wavefront6targetE0EEEvT1_
		.amdhsa_group_segment_fixed_size 0
		.amdhsa_private_segment_fixed_size 0
		.amdhsa_kernarg_size 104
		.amdhsa_user_sgpr_count 6
		.amdhsa_user_sgpr_private_segment_buffer 1
		.amdhsa_user_sgpr_dispatch_ptr 0
		.amdhsa_user_sgpr_queue_ptr 0
		.amdhsa_user_sgpr_kernarg_segment_ptr 1
		.amdhsa_user_sgpr_dispatch_id 0
		.amdhsa_user_sgpr_flat_scratch_init 0
		.amdhsa_user_sgpr_private_segment_size 0
		.amdhsa_wavefront_size32 1
		.amdhsa_uses_dynamic_stack 0
		.amdhsa_system_sgpr_private_segment_wavefront_offset 0
		.amdhsa_system_sgpr_workgroup_id_x 1
		.amdhsa_system_sgpr_workgroup_id_y 0
		.amdhsa_system_sgpr_workgroup_id_z 0
		.amdhsa_system_sgpr_workgroup_info 0
		.amdhsa_system_vgpr_workitem_id 0
		.amdhsa_next_free_vgpr 1
		.amdhsa_next_free_sgpr 1
		.amdhsa_reserve_vcc 0
		.amdhsa_reserve_flat_scratch 0
		.amdhsa_float_round_mode_32 0
		.amdhsa_float_round_mode_16_64 0
		.amdhsa_float_denorm_mode_32 3
		.amdhsa_float_denorm_mode_16_64 3
		.amdhsa_dx10_clamp 1
		.amdhsa_ieee_mode 1
		.amdhsa_fp16_overflow 0
		.amdhsa_workgroup_processor_mode 1
		.amdhsa_memory_ordered 1
		.amdhsa_forward_progress 1
		.amdhsa_shared_vgpr_count 0
		.amdhsa_exception_fp_ieee_invalid_op 0
		.amdhsa_exception_fp_denorm_src 0
		.amdhsa_exception_fp_ieee_div_zero 0
		.amdhsa_exception_fp_ieee_overflow 0
		.amdhsa_exception_fp_ieee_underflow 0
		.amdhsa_exception_fp_ieee_inexact 0
		.amdhsa_exception_int_div_zero 0
	.end_amdhsa_kernel
	.section	.text._ZN7rocprim17ROCPRIM_400000_NS6detail17trampoline_kernelINS0_14default_configENS1_20scan_config_selectorIN3c107complexIfEEEEZZNS1_9scan_implILNS1_25lookback_scan_determinismE0ELb0ELb0ES3_PKS7_PS7_S7_ZZZN2at6native31launch_logcumsumexp_cuda_kernelERKNSE_10TensorBaseESI_lENKUlvE_clEvENKUlvE2_clEvEUlS7_S7_E_S7_EEDaPvRmT3_T4_T5_mT6_P12ihipStream_tbENKUlT_T0_E_clISt17integral_constantIbLb1EESY_IbLb0EEEEDaSU_SV_EUlSU_E_NS1_11comp_targetILNS1_3genE8ELNS1_11target_archE1030ELNS1_3gpuE2ELNS1_3repE0EEENS1_30default_config_static_selectorELNS0_4arch9wavefront6targetE0EEEvT1_,"axG",@progbits,_ZN7rocprim17ROCPRIM_400000_NS6detail17trampoline_kernelINS0_14default_configENS1_20scan_config_selectorIN3c107complexIfEEEEZZNS1_9scan_implILNS1_25lookback_scan_determinismE0ELb0ELb0ES3_PKS7_PS7_S7_ZZZN2at6native31launch_logcumsumexp_cuda_kernelERKNSE_10TensorBaseESI_lENKUlvE_clEvENKUlvE2_clEvEUlS7_S7_E_S7_EEDaPvRmT3_T4_T5_mT6_P12ihipStream_tbENKUlT_T0_E_clISt17integral_constantIbLb1EESY_IbLb0EEEEDaSU_SV_EUlSU_E_NS1_11comp_targetILNS1_3genE8ELNS1_11target_archE1030ELNS1_3gpuE2ELNS1_3repE0EEENS1_30default_config_static_selectorELNS0_4arch9wavefront6targetE0EEEvT1_,comdat
.Lfunc_end318:
	.size	_ZN7rocprim17ROCPRIM_400000_NS6detail17trampoline_kernelINS0_14default_configENS1_20scan_config_selectorIN3c107complexIfEEEEZZNS1_9scan_implILNS1_25lookback_scan_determinismE0ELb0ELb0ES3_PKS7_PS7_S7_ZZZN2at6native31launch_logcumsumexp_cuda_kernelERKNSE_10TensorBaseESI_lENKUlvE_clEvENKUlvE2_clEvEUlS7_S7_E_S7_EEDaPvRmT3_T4_T5_mT6_P12ihipStream_tbENKUlT_T0_E_clISt17integral_constantIbLb1EESY_IbLb0EEEEDaSU_SV_EUlSU_E_NS1_11comp_targetILNS1_3genE8ELNS1_11target_archE1030ELNS1_3gpuE2ELNS1_3repE0EEENS1_30default_config_static_selectorELNS0_4arch9wavefront6targetE0EEEvT1_, .Lfunc_end318-_ZN7rocprim17ROCPRIM_400000_NS6detail17trampoline_kernelINS0_14default_configENS1_20scan_config_selectorIN3c107complexIfEEEEZZNS1_9scan_implILNS1_25lookback_scan_determinismE0ELb0ELb0ES3_PKS7_PS7_S7_ZZZN2at6native31launch_logcumsumexp_cuda_kernelERKNSE_10TensorBaseESI_lENKUlvE_clEvENKUlvE2_clEvEUlS7_S7_E_S7_EEDaPvRmT3_T4_T5_mT6_P12ihipStream_tbENKUlT_T0_E_clISt17integral_constantIbLb1EESY_IbLb0EEEEDaSU_SV_EUlSU_E_NS1_11comp_targetILNS1_3genE8ELNS1_11target_archE1030ELNS1_3gpuE2ELNS1_3repE0EEENS1_30default_config_static_selectorELNS0_4arch9wavefront6targetE0EEEvT1_
                                        ; -- End function
	.set _ZN7rocprim17ROCPRIM_400000_NS6detail17trampoline_kernelINS0_14default_configENS1_20scan_config_selectorIN3c107complexIfEEEEZZNS1_9scan_implILNS1_25lookback_scan_determinismE0ELb0ELb0ES3_PKS7_PS7_S7_ZZZN2at6native31launch_logcumsumexp_cuda_kernelERKNSE_10TensorBaseESI_lENKUlvE_clEvENKUlvE2_clEvEUlS7_S7_E_S7_EEDaPvRmT3_T4_T5_mT6_P12ihipStream_tbENKUlT_T0_E_clISt17integral_constantIbLb1EESY_IbLb0EEEEDaSU_SV_EUlSU_E_NS1_11comp_targetILNS1_3genE8ELNS1_11target_archE1030ELNS1_3gpuE2ELNS1_3repE0EEENS1_30default_config_static_selectorELNS0_4arch9wavefront6targetE0EEEvT1_.num_vgpr, 0
	.set _ZN7rocprim17ROCPRIM_400000_NS6detail17trampoline_kernelINS0_14default_configENS1_20scan_config_selectorIN3c107complexIfEEEEZZNS1_9scan_implILNS1_25lookback_scan_determinismE0ELb0ELb0ES3_PKS7_PS7_S7_ZZZN2at6native31launch_logcumsumexp_cuda_kernelERKNSE_10TensorBaseESI_lENKUlvE_clEvENKUlvE2_clEvEUlS7_S7_E_S7_EEDaPvRmT3_T4_T5_mT6_P12ihipStream_tbENKUlT_T0_E_clISt17integral_constantIbLb1EESY_IbLb0EEEEDaSU_SV_EUlSU_E_NS1_11comp_targetILNS1_3genE8ELNS1_11target_archE1030ELNS1_3gpuE2ELNS1_3repE0EEENS1_30default_config_static_selectorELNS0_4arch9wavefront6targetE0EEEvT1_.num_agpr, 0
	.set _ZN7rocprim17ROCPRIM_400000_NS6detail17trampoline_kernelINS0_14default_configENS1_20scan_config_selectorIN3c107complexIfEEEEZZNS1_9scan_implILNS1_25lookback_scan_determinismE0ELb0ELb0ES3_PKS7_PS7_S7_ZZZN2at6native31launch_logcumsumexp_cuda_kernelERKNSE_10TensorBaseESI_lENKUlvE_clEvENKUlvE2_clEvEUlS7_S7_E_S7_EEDaPvRmT3_T4_T5_mT6_P12ihipStream_tbENKUlT_T0_E_clISt17integral_constantIbLb1EESY_IbLb0EEEEDaSU_SV_EUlSU_E_NS1_11comp_targetILNS1_3genE8ELNS1_11target_archE1030ELNS1_3gpuE2ELNS1_3repE0EEENS1_30default_config_static_selectorELNS0_4arch9wavefront6targetE0EEEvT1_.numbered_sgpr, 0
	.set _ZN7rocprim17ROCPRIM_400000_NS6detail17trampoline_kernelINS0_14default_configENS1_20scan_config_selectorIN3c107complexIfEEEEZZNS1_9scan_implILNS1_25lookback_scan_determinismE0ELb0ELb0ES3_PKS7_PS7_S7_ZZZN2at6native31launch_logcumsumexp_cuda_kernelERKNSE_10TensorBaseESI_lENKUlvE_clEvENKUlvE2_clEvEUlS7_S7_E_S7_EEDaPvRmT3_T4_T5_mT6_P12ihipStream_tbENKUlT_T0_E_clISt17integral_constantIbLb1EESY_IbLb0EEEEDaSU_SV_EUlSU_E_NS1_11comp_targetILNS1_3genE8ELNS1_11target_archE1030ELNS1_3gpuE2ELNS1_3repE0EEENS1_30default_config_static_selectorELNS0_4arch9wavefront6targetE0EEEvT1_.num_named_barrier, 0
	.set _ZN7rocprim17ROCPRIM_400000_NS6detail17trampoline_kernelINS0_14default_configENS1_20scan_config_selectorIN3c107complexIfEEEEZZNS1_9scan_implILNS1_25lookback_scan_determinismE0ELb0ELb0ES3_PKS7_PS7_S7_ZZZN2at6native31launch_logcumsumexp_cuda_kernelERKNSE_10TensorBaseESI_lENKUlvE_clEvENKUlvE2_clEvEUlS7_S7_E_S7_EEDaPvRmT3_T4_T5_mT6_P12ihipStream_tbENKUlT_T0_E_clISt17integral_constantIbLb1EESY_IbLb0EEEEDaSU_SV_EUlSU_E_NS1_11comp_targetILNS1_3genE8ELNS1_11target_archE1030ELNS1_3gpuE2ELNS1_3repE0EEENS1_30default_config_static_selectorELNS0_4arch9wavefront6targetE0EEEvT1_.private_seg_size, 0
	.set _ZN7rocprim17ROCPRIM_400000_NS6detail17trampoline_kernelINS0_14default_configENS1_20scan_config_selectorIN3c107complexIfEEEEZZNS1_9scan_implILNS1_25lookback_scan_determinismE0ELb0ELb0ES3_PKS7_PS7_S7_ZZZN2at6native31launch_logcumsumexp_cuda_kernelERKNSE_10TensorBaseESI_lENKUlvE_clEvENKUlvE2_clEvEUlS7_S7_E_S7_EEDaPvRmT3_T4_T5_mT6_P12ihipStream_tbENKUlT_T0_E_clISt17integral_constantIbLb1EESY_IbLb0EEEEDaSU_SV_EUlSU_E_NS1_11comp_targetILNS1_3genE8ELNS1_11target_archE1030ELNS1_3gpuE2ELNS1_3repE0EEENS1_30default_config_static_selectorELNS0_4arch9wavefront6targetE0EEEvT1_.uses_vcc, 0
	.set _ZN7rocprim17ROCPRIM_400000_NS6detail17trampoline_kernelINS0_14default_configENS1_20scan_config_selectorIN3c107complexIfEEEEZZNS1_9scan_implILNS1_25lookback_scan_determinismE0ELb0ELb0ES3_PKS7_PS7_S7_ZZZN2at6native31launch_logcumsumexp_cuda_kernelERKNSE_10TensorBaseESI_lENKUlvE_clEvENKUlvE2_clEvEUlS7_S7_E_S7_EEDaPvRmT3_T4_T5_mT6_P12ihipStream_tbENKUlT_T0_E_clISt17integral_constantIbLb1EESY_IbLb0EEEEDaSU_SV_EUlSU_E_NS1_11comp_targetILNS1_3genE8ELNS1_11target_archE1030ELNS1_3gpuE2ELNS1_3repE0EEENS1_30default_config_static_selectorELNS0_4arch9wavefront6targetE0EEEvT1_.uses_flat_scratch, 0
	.set _ZN7rocprim17ROCPRIM_400000_NS6detail17trampoline_kernelINS0_14default_configENS1_20scan_config_selectorIN3c107complexIfEEEEZZNS1_9scan_implILNS1_25lookback_scan_determinismE0ELb0ELb0ES3_PKS7_PS7_S7_ZZZN2at6native31launch_logcumsumexp_cuda_kernelERKNSE_10TensorBaseESI_lENKUlvE_clEvENKUlvE2_clEvEUlS7_S7_E_S7_EEDaPvRmT3_T4_T5_mT6_P12ihipStream_tbENKUlT_T0_E_clISt17integral_constantIbLb1EESY_IbLb0EEEEDaSU_SV_EUlSU_E_NS1_11comp_targetILNS1_3genE8ELNS1_11target_archE1030ELNS1_3gpuE2ELNS1_3repE0EEENS1_30default_config_static_selectorELNS0_4arch9wavefront6targetE0EEEvT1_.has_dyn_sized_stack, 0
	.set _ZN7rocprim17ROCPRIM_400000_NS6detail17trampoline_kernelINS0_14default_configENS1_20scan_config_selectorIN3c107complexIfEEEEZZNS1_9scan_implILNS1_25lookback_scan_determinismE0ELb0ELb0ES3_PKS7_PS7_S7_ZZZN2at6native31launch_logcumsumexp_cuda_kernelERKNSE_10TensorBaseESI_lENKUlvE_clEvENKUlvE2_clEvEUlS7_S7_E_S7_EEDaPvRmT3_T4_T5_mT6_P12ihipStream_tbENKUlT_T0_E_clISt17integral_constantIbLb1EESY_IbLb0EEEEDaSU_SV_EUlSU_E_NS1_11comp_targetILNS1_3genE8ELNS1_11target_archE1030ELNS1_3gpuE2ELNS1_3repE0EEENS1_30default_config_static_selectorELNS0_4arch9wavefront6targetE0EEEvT1_.has_recursion, 0
	.set _ZN7rocprim17ROCPRIM_400000_NS6detail17trampoline_kernelINS0_14default_configENS1_20scan_config_selectorIN3c107complexIfEEEEZZNS1_9scan_implILNS1_25lookback_scan_determinismE0ELb0ELb0ES3_PKS7_PS7_S7_ZZZN2at6native31launch_logcumsumexp_cuda_kernelERKNSE_10TensorBaseESI_lENKUlvE_clEvENKUlvE2_clEvEUlS7_S7_E_S7_EEDaPvRmT3_T4_T5_mT6_P12ihipStream_tbENKUlT_T0_E_clISt17integral_constantIbLb1EESY_IbLb0EEEEDaSU_SV_EUlSU_E_NS1_11comp_targetILNS1_3genE8ELNS1_11target_archE1030ELNS1_3gpuE2ELNS1_3repE0EEENS1_30default_config_static_selectorELNS0_4arch9wavefront6targetE0EEEvT1_.has_indirect_call, 0
	.section	.AMDGPU.csdata,"",@progbits
; Kernel info:
; codeLenInByte = 4
; TotalNumSgprs: 0
; NumVgprs: 0
; ScratchSize: 0
; MemoryBound: 0
; FloatMode: 240
; IeeeMode: 1
; LDSByteSize: 0 bytes/workgroup (compile time only)
; SGPRBlocks: 0
; VGPRBlocks: 0
; NumSGPRsForWavesPerEU: 1
; NumVGPRsForWavesPerEU: 1
; Occupancy: 16
; WaveLimiterHint : 0
; COMPUTE_PGM_RSRC2:SCRATCH_EN: 0
; COMPUTE_PGM_RSRC2:USER_SGPR: 6
; COMPUTE_PGM_RSRC2:TRAP_HANDLER: 0
; COMPUTE_PGM_RSRC2:TGID_X_EN: 1
; COMPUTE_PGM_RSRC2:TGID_Y_EN: 0
; COMPUTE_PGM_RSRC2:TGID_Z_EN: 0
; COMPUTE_PGM_RSRC2:TIDIG_COMP_CNT: 0
	.section	.text._ZN7rocprim17ROCPRIM_400000_NS6detail17trampoline_kernelINS0_14default_configENS1_20scan_config_selectorIN3c107complexIfEEEEZZNS1_9scan_implILNS1_25lookback_scan_determinismE0ELb0ELb0ES3_PKS7_PS7_S7_ZZZN2at6native31launch_logcumsumexp_cuda_kernelERKNSE_10TensorBaseESI_lENKUlvE_clEvENKUlvE2_clEvEUlS7_S7_E_S7_EEDaPvRmT3_T4_T5_mT6_P12ihipStream_tbENKUlT_T0_E_clISt17integral_constantIbLb1EESY_IbLb0EEEEDaSU_SV_EUlSU_E0_NS1_11comp_targetILNS1_3genE0ELNS1_11target_archE4294967295ELNS1_3gpuE0ELNS1_3repE0EEENS1_30default_config_static_selectorELNS0_4arch9wavefront6targetE0EEEvT1_,"axG",@progbits,_ZN7rocprim17ROCPRIM_400000_NS6detail17trampoline_kernelINS0_14default_configENS1_20scan_config_selectorIN3c107complexIfEEEEZZNS1_9scan_implILNS1_25lookback_scan_determinismE0ELb0ELb0ES3_PKS7_PS7_S7_ZZZN2at6native31launch_logcumsumexp_cuda_kernelERKNSE_10TensorBaseESI_lENKUlvE_clEvENKUlvE2_clEvEUlS7_S7_E_S7_EEDaPvRmT3_T4_T5_mT6_P12ihipStream_tbENKUlT_T0_E_clISt17integral_constantIbLb1EESY_IbLb0EEEEDaSU_SV_EUlSU_E0_NS1_11comp_targetILNS1_3genE0ELNS1_11target_archE4294967295ELNS1_3gpuE0ELNS1_3repE0EEENS1_30default_config_static_selectorELNS0_4arch9wavefront6targetE0EEEvT1_,comdat
	.globl	_ZN7rocprim17ROCPRIM_400000_NS6detail17trampoline_kernelINS0_14default_configENS1_20scan_config_selectorIN3c107complexIfEEEEZZNS1_9scan_implILNS1_25lookback_scan_determinismE0ELb0ELb0ES3_PKS7_PS7_S7_ZZZN2at6native31launch_logcumsumexp_cuda_kernelERKNSE_10TensorBaseESI_lENKUlvE_clEvENKUlvE2_clEvEUlS7_S7_E_S7_EEDaPvRmT3_T4_T5_mT6_P12ihipStream_tbENKUlT_T0_E_clISt17integral_constantIbLb1EESY_IbLb0EEEEDaSU_SV_EUlSU_E0_NS1_11comp_targetILNS1_3genE0ELNS1_11target_archE4294967295ELNS1_3gpuE0ELNS1_3repE0EEENS1_30default_config_static_selectorELNS0_4arch9wavefront6targetE0EEEvT1_ ; -- Begin function _ZN7rocprim17ROCPRIM_400000_NS6detail17trampoline_kernelINS0_14default_configENS1_20scan_config_selectorIN3c107complexIfEEEEZZNS1_9scan_implILNS1_25lookback_scan_determinismE0ELb0ELb0ES3_PKS7_PS7_S7_ZZZN2at6native31launch_logcumsumexp_cuda_kernelERKNSE_10TensorBaseESI_lENKUlvE_clEvENKUlvE2_clEvEUlS7_S7_E_S7_EEDaPvRmT3_T4_T5_mT6_P12ihipStream_tbENKUlT_T0_E_clISt17integral_constantIbLb1EESY_IbLb0EEEEDaSU_SV_EUlSU_E0_NS1_11comp_targetILNS1_3genE0ELNS1_11target_archE4294967295ELNS1_3gpuE0ELNS1_3repE0EEENS1_30default_config_static_selectorELNS0_4arch9wavefront6targetE0EEEvT1_
	.p2align	8
	.type	_ZN7rocprim17ROCPRIM_400000_NS6detail17trampoline_kernelINS0_14default_configENS1_20scan_config_selectorIN3c107complexIfEEEEZZNS1_9scan_implILNS1_25lookback_scan_determinismE0ELb0ELb0ES3_PKS7_PS7_S7_ZZZN2at6native31launch_logcumsumexp_cuda_kernelERKNSE_10TensorBaseESI_lENKUlvE_clEvENKUlvE2_clEvEUlS7_S7_E_S7_EEDaPvRmT3_T4_T5_mT6_P12ihipStream_tbENKUlT_T0_E_clISt17integral_constantIbLb1EESY_IbLb0EEEEDaSU_SV_EUlSU_E0_NS1_11comp_targetILNS1_3genE0ELNS1_11target_archE4294967295ELNS1_3gpuE0ELNS1_3repE0EEENS1_30default_config_static_selectorELNS0_4arch9wavefront6targetE0EEEvT1_,@function
_ZN7rocprim17ROCPRIM_400000_NS6detail17trampoline_kernelINS0_14default_configENS1_20scan_config_selectorIN3c107complexIfEEEEZZNS1_9scan_implILNS1_25lookback_scan_determinismE0ELb0ELb0ES3_PKS7_PS7_S7_ZZZN2at6native31launch_logcumsumexp_cuda_kernelERKNSE_10TensorBaseESI_lENKUlvE_clEvENKUlvE2_clEvEUlS7_S7_E_S7_EEDaPvRmT3_T4_T5_mT6_P12ihipStream_tbENKUlT_T0_E_clISt17integral_constantIbLb1EESY_IbLb0EEEEDaSU_SV_EUlSU_E0_NS1_11comp_targetILNS1_3genE0ELNS1_11target_archE4294967295ELNS1_3gpuE0ELNS1_3repE0EEENS1_30default_config_static_selectorELNS0_4arch9wavefront6targetE0EEEvT1_: ; @_ZN7rocprim17ROCPRIM_400000_NS6detail17trampoline_kernelINS0_14default_configENS1_20scan_config_selectorIN3c107complexIfEEEEZZNS1_9scan_implILNS1_25lookback_scan_determinismE0ELb0ELb0ES3_PKS7_PS7_S7_ZZZN2at6native31launch_logcumsumexp_cuda_kernelERKNSE_10TensorBaseESI_lENKUlvE_clEvENKUlvE2_clEvEUlS7_S7_E_S7_EEDaPvRmT3_T4_T5_mT6_P12ihipStream_tbENKUlT_T0_E_clISt17integral_constantIbLb1EESY_IbLb0EEEEDaSU_SV_EUlSU_E0_NS1_11comp_targetILNS1_3genE0ELNS1_11target_archE4294967295ELNS1_3gpuE0ELNS1_3repE0EEENS1_30default_config_static_selectorELNS0_4arch9wavefront6targetE0EEEvT1_
; %bb.0:
	.section	.rodata,"a",@progbits
	.p2align	6, 0x0
	.amdhsa_kernel _ZN7rocprim17ROCPRIM_400000_NS6detail17trampoline_kernelINS0_14default_configENS1_20scan_config_selectorIN3c107complexIfEEEEZZNS1_9scan_implILNS1_25lookback_scan_determinismE0ELb0ELb0ES3_PKS7_PS7_S7_ZZZN2at6native31launch_logcumsumexp_cuda_kernelERKNSE_10TensorBaseESI_lENKUlvE_clEvENKUlvE2_clEvEUlS7_S7_E_S7_EEDaPvRmT3_T4_T5_mT6_P12ihipStream_tbENKUlT_T0_E_clISt17integral_constantIbLb1EESY_IbLb0EEEEDaSU_SV_EUlSU_E0_NS1_11comp_targetILNS1_3genE0ELNS1_11target_archE4294967295ELNS1_3gpuE0ELNS1_3repE0EEENS1_30default_config_static_selectorELNS0_4arch9wavefront6targetE0EEEvT1_
		.amdhsa_group_segment_fixed_size 0
		.amdhsa_private_segment_fixed_size 0
		.amdhsa_kernarg_size 40
		.amdhsa_user_sgpr_count 6
		.amdhsa_user_sgpr_private_segment_buffer 1
		.amdhsa_user_sgpr_dispatch_ptr 0
		.amdhsa_user_sgpr_queue_ptr 0
		.amdhsa_user_sgpr_kernarg_segment_ptr 1
		.amdhsa_user_sgpr_dispatch_id 0
		.amdhsa_user_sgpr_flat_scratch_init 0
		.amdhsa_user_sgpr_private_segment_size 0
		.amdhsa_wavefront_size32 1
		.amdhsa_uses_dynamic_stack 0
		.amdhsa_system_sgpr_private_segment_wavefront_offset 0
		.amdhsa_system_sgpr_workgroup_id_x 1
		.amdhsa_system_sgpr_workgroup_id_y 0
		.amdhsa_system_sgpr_workgroup_id_z 0
		.amdhsa_system_sgpr_workgroup_info 0
		.amdhsa_system_vgpr_workitem_id 0
		.amdhsa_next_free_vgpr 1
		.amdhsa_next_free_sgpr 1
		.amdhsa_reserve_vcc 0
		.amdhsa_reserve_flat_scratch 0
		.amdhsa_float_round_mode_32 0
		.amdhsa_float_round_mode_16_64 0
		.amdhsa_float_denorm_mode_32 3
		.amdhsa_float_denorm_mode_16_64 3
		.amdhsa_dx10_clamp 1
		.amdhsa_ieee_mode 1
		.amdhsa_fp16_overflow 0
		.amdhsa_workgroup_processor_mode 1
		.amdhsa_memory_ordered 1
		.amdhsa_forward_progress 1
		.amdhsa_shared_vgpr_count 0
		.amdhsa_exception_fp_ieee_invalid_op 0
		.amdhsa_exception_fp_denorm_src 0
		.amdhsa_exception_fp_ieee_div_zero 0
		.amdhsa_exception_fp_ieee_overflow 0
		.amdhsa_exception_fp_ieee_underflow 0
		.amdhsa_exception_fp_ieee_inexact 0
		.amdhsa_exception_int_div_zero 0
	.end_amdhsa_kernel
	.section	.text._ZN7rocprim17ROCPRIM_400000_NS6detail17trampoline_kernelINS0_14default_configENS1_20scan_config_selectorIN3c107complexIfEEEEZZNS1_9scan_implILNS1_25lookback_scan_determinismE0ELb0ELb0ES3_PKS7_PS7_S7_ZZZN2at6native31launch_logcumsumexp_cuda_kernelERKNSE_10TensorBaseESI_lENKUlvE_clEvENKUlvE2_clEvEUlS7_S7_E_S7_EEDaPvRmT3_T4_T5_mT6_P12ihipStream_tbENKUlT_T0_E_clISt17integral_constantIbLb1EESY_IbLb0EEEEDaSU_SV_EUlSU_E0_NS1_11comp_targetILNS1_3genE0ELNS1_11target_archE4294967295ELNS1_3gpuE0ELNS1_3repE0EEENS1_30default_config_static_selectorELNS0_4arch9wavefront6targetE0EEEvT1_,"axG",@progbits,_ZN7rocprim17ROCPRIM_400000_NS6detail17trampoline_kernelINS0_14default_configENS1_20scan_config_selectorIN3c107complexIfEEEEZZNS1_9scan_implILNS1_25lookback_scan_determinismE0ELb0ELb0ES3_PKS7_PS7_S7_ZZZN2at6native31launch_logcumsumexp_cuda_kernelERKNSE_10TensorBaseESI_lENKUlvE_clEvENKUlvE2_clEvEUlS7_S7_E_S7_EEDaPvRmT3_T4_T5_mT6_P12ihipStream_tbENKUlT_T0_E_clISt17integral_constantIbLb1EESY_IbLb0EEEEDaSU_SV_EUlSU_E0_NS1_11comp_targetILNS1_3genE0ELNS1_11target_archE4294967295ELNS1_3gpuE0ELNS1_3repE0EEENS1_30default_config_static_selectorELNS0_4arch9wavefront6targetE0EEEvT1_,comdat
.Lfunc_end319:
	.size	_ZN7rocprim17ROCPRIM_400000_NS6detail17trampoline_kernelINS0_14default_configENS1_20scan_config_selectorIN3c107complexIfEEEEZZNS1_9scan_implILNS1_25lookback_scan_determinismE0ELb0ELb0ES3_PKS7_PS7_S7_ZZZN2at6native31launch_logcumsumexp_cuda_kernelERKNSE_10TensorBaseESI_lENKUlvE_clEvENKUlvE2_clEvEUlS7_S7_E_S7_EEDaPvRmT3_T4_T5_mT6_P12ihipStream_tbENKUlT_T0_E_clISt17integral_constantIbLb1EESY_IbLb0EEEEDaSU_SV_EUlSU_E0_NS1_11comp_targetILNS1_3genE0ELNS1_11target_archE4294967295ELNS1_3gpuE0ELNS1_3repE0EEENS1_30default_config_static_selectorELNS0_4arch9wavefront6targetE0EEEvT1_, .Lfunc_end319-_ZN7rocprim17ROCPRIM_400000_NS6detail17trampoline_kernelINS0_14default_configENS1_20scan_config_selectorIN3c107complexIfEEEEZZNS1_9scan_implILNS1_25lookback_scan_determinismE0ELb0ELb0ES3_PKS7_PS7_S7_ZZZN2at6native31launch_logcumsumexp_cuda_kernelERKNSE_10TensorBaseESI_lENKUlvE_clEvENKUlvE2_clEvEUlS7_S7_E_S7_EEDaPvRmT3_T4_T5_mT6_P12ihipStream_tbENKUlT_T0_E_clISt17integral_constantIbLb1EESY_IbLb0EEEEDaSU_SV_EUlSU_E0_NS1_11comp_targetILNS1_3genE0ELNS1_11target_archE4294967295ELNS1_3gpuE0ELNS1_3repE0EEENS1_30default_config_static_selectorELNS0_4arch9wavefront6targetE0EEEvT1_
                                        ; -- End function
	.set _ZN7rocprim17ROCPRIM_400000_NS6detail17trampoline_kernelINS0_14default_configENS1_20scan_config_selectorIN3c107complexIfEEEEZZNS1_9scan_implILNS1_25lookback_scan_determinismE0ELb0ELb0ES3_PKS7_PS7_S7_ZZZN2at6native31launch_logcumsumexp_cuda_kernelERKNSE_10TensorBaseESI_lENKUlvE_clEvENKUlvE2_clEvEUlS7_S7_E_S7_EEDaPvRmT3_T4_T5_mT6_P12ihipStream_tbENKUlT_T0_E_clISt17integral_constantIbLb1EESY_IbLb0EEEEDaSU_SV_EUlSU_E0_NS1_11comp_targetILNS1_3genE0ELNS1_11target_archE4294967295ELNS1_3gpuE0ELNS1_3repE0EEENS1_30default_config_static_selectorELNS0_4arch9wavefront6targetE0EEEvT1_.num_vgpr, 0
	.set _ZN7rocprim17ROCPRIM_400000_NS6detail17trampoline_kernelINS0_14default_configENS1_20scan_config_selectorIN3c107complexIfEEEEZZNS1_9scan_implILNS1_25lookback_scan_determinismE0ELb0ELb0ES3_PKS7_PS7_S7_ZZZN2at6native31launch_logcumsumexp_cuda_kernelERKNSE_10TensorBaseESI_lENKUlvE_clEvENKUlvE2_clEvEUlS7_S7_E_S7_EEDaPvRmT3_T4_T5_mT6_P12ihipStream_tbENKUlT_T0_E_clISt17integral_constantIbLb1EESY_IbLb0EEEEDaSU_SV_EUlSU_E0_NS1_11comp_targetILNS1_3genE0ELNS1_11target_archE4294967295ELNS1_3gpuE0ELNS1_3repE0EEENS1_30default_config_static_selectorELNS0_4arch9wavefront6targetE0EEEvT1_.num_agpr, 0
	.set _ZN7rocprim17ROCPRIM_400000_NS6detail17trampoline_kernelINS0_14default_configENS1_20scan_config_selectorIN3c107complexIfEEEEZZNS1_9scan_implILNS1_25lookback_scan_determinismE0ELb0ELb0ES3_PKS7_PS7_S7_ZZZN2at6native31launch_logcumsumexp_cuda_kernelERKNSE_10TensorBaseESI_lENKUlvE_clEvENKUlvE2_clEvEUlS7_S7_E_S7_EEDaPvRmT3_T4_T5_mT6_P12ihipStream_tbENKUlT_T0_E_clISt17integral_constantIbLb1EESY_IbLb0EEEEDaSU_SV_EUlSU_E0_NS1_11comp_targetILNS1_3genE0ELNS1_11target_archE4294967295ELNS1_3gpuE0ELNS1_3repE0EEENS1_30default_config_static_selectorELNS0_4arch9wavefront6targetE0EEEvT1_.numbered_sgpr, 0
	.set _ZN7rocprim17ROCPRIM_400000_NS6detail17trampoline_kernelINS0_14default_configENS1_20scan_config_selectorIN3c107complexIfEEEEZZNS1_9scan_implILNS1_25lookback_scan_determinismE0ELb0ELb0ES3_PKS7_PS7_S7_ZZZN2at6native31launch_logcumsumexp_cuda_kernelERKNSE_10TensorBaseESI_lENKUlvE_clEvENKUlvE2_clEvEUlS7_S7_E_S7_EEDaPvRmT3_T4_T5_mT6_P12ihipStream_tbENKUlT_T0_E_clISt17integral_constantIbLb1EESY_IbLb0EEEEDaSU_SV_EUlSU_E0_NS1_11comp_targetILNS1_3genE0ELNS1_11target_archE4294967295ELNS1_3gpuE0ELNS1_3repE0EEENS1_30default_config_static_selectorELNS0_4arch9wavefront6targetE0EEEvT1_.num_named_barrier, 0
	.set _ZN7rocprim17ROCPRIM_400000_NS6detail17trampoline_kernelINS0_14default_configENS1_20scan_config_selectorIN3c107complexIfEEEEZZNS1_9scan_implILNS1_25lookback_scan_determinismE0ELb0ELb0ES3_PKS7_PS7_S7_ZZZN2at6native31launch_logcumsumexp_cuda_kernelERKNSE_10TensorBaseESI_lENKUlvE_clEvENKUlvE2_clEvEUlS7_S7_E_S7_EEDaPvRmT3_T4_T5_mT6_P12ihipStream_tbENKUlT_T0_E_clISt17integral_constantIbLb1EESY_IbLb0EEEEDaSU_SV_EUlSU_E0_NS1_11comp_targetILNS1_3genE0ELNS1_11target_archE4294967295ELNS1_3gpuE0ELNS1_3repE0EEENS1_30default_config_static_selectorELNS0_4arch9wavefront6targetE0EEEvT1_.private_seg_size, 0
	.set _ZN7rocprim17ROCPRIM_400000_NS6detail17trampoline_kernelINS0_14default_configENS1_20scan_config_selectorIN3c107complexIfEEEEZZNS1_9scan_implILNS1_25lookback_scan_determinismE0ELb0ELb0ES3_PKS7_PS7_S7_ZZZN2at6native31launch_logcumsumexp_cuda_kernelERKNSE_10TensorBaseESI_lENKUlvE_clEvENKUlvE2_clEvEUlS7_S7_E_S7_EEDaPvRmT3_T4_T5_mT6_P12ihipStream_tbENKUlT_T0_E_clISt17integral_constantIbLb1EESY_IbLb0EEEEDaSU_SV_EUlSU_E0_NS1_11comp_targetILNS1_3genE0ELNS1_11target_archE4294967295ELNS1_3gpuE0ELNS1_3repE0EEENS1_30default_config_static_selectorELNS0_4arch9wavefront6targetE0EEEvT1_.uses_vcc, 0
	.set _ZN7rocprim17ROCPRIM_400000_NS6detail17trampoline_kernelINS0_14default_configENS1_20scan_config_selectorIN3c107complexIfEEEEZZNS1_9scan_implILNS1_25lookback_scan_determinismE0ELb0ELb0ES3_PKS7_PS7_S7_ZZZN2at6native31launch_logcumsumexp_cuda_kernelERKNSE_10TensorBaseESI_lENKUlvE_clEvENKUlvE2_clEvEUlS7_S7_E_S7_EEDaPvRmT3_T4_T5_mT6_P12ihipStream_tbENKUlT_T0_E_clISt17integral_constantIbLb1EESY_IbLb0EEEEDaSU_SV_EUlSU_E0_NS1_11comp_targetILNS1_3genE0ELNS1_11target_archE4294967295ELNS1_3gpuE0ELNS1_3repE0EEENS1_30default_config_static_selectorELNS0_4arch9wavefront6targetE0EEEvT1_.uses_flat_scratch, 0
	.set _ZN7rocprim17ROCPRIM_400000_NS6detail17trampoline_kernelINS0_14default_configENS1_20scan_config_selectorIN3c107complexIfEEEEZZNS1_9scan_implILNS1_25lookback_scan_determinismE0ELb0ELb0ES3_PKS7_PS7_S7_ZZZN2at6native31launch_logcumsumexp_cuda_kernelERKNSE_10TensorBaseESI_lENKUlvE_clEvENKUlvE2_clEvEUlS7_S7_E_S7_EEDaPvRmT3_T4_T5_mT6_P12ihipStream_tbENKUlT_T0_E_clISt17integral_constantIbLb1EESY_IbLb0EEEEDaSU_SV_EUlSU_E0_NS1_11comp_targetILNS1_3genE0ELNS1_11target_archE4294967295ELNS1_3gpuE0ELNS1_3repE0EEENS1_30default_config_static_selectorELNS0_4arch9wavefront6targetE0EEEvT1_.has_dyn_sized_stack, 0
	.set _ZN7rocprim17ROCPRIM_400000_NS6detail17trampoline_kernelINS0_14default_configENS1_20scan_config_selectorIN3c107complexIfEEEEZZNS1_9scan_implILNS1_25lookback_scan_determinismE0ELb0ELb0ES3_PKS7_PS7_S7_ZZZN2at6native31launch_logcumsumexp_cuda_kernelERKNSE_10TensorBaseESI_lENKUlvE_clEvENKUlvE2_clEvEUlS7_S7_E_S7_EEDaPvRmT3_T4_T5_mT6_P12ihipStream_tbENKUlT_T0_E_clISt17integral_constantIbLb1EESY_IbLb0EEEEDaSU_SV_EUlSU_E0_NS1_11comp_targetILNS1_3genE0ELNS1_11target_archE4294967295ELNS1_3gpuE0ELNS1_3repE0EEENS1_30default_config_static_selectorELNS0_4arch9wavefront6targetE0EEEvT1_.has_recursion, 0
	.set _ZN7rocprim17ROCPRIM_400000_NS6detail17trampoline_kernelINS0_14default_configENS1_20scan_config_selectorIN3c107complexIfEEEEZZNS1_9scan_implILNS1_25lookback_scan_determinismE0ELb0ELb0ES3_PKS7_PS7_S7_ZZZN2at6native31launch_logcumsumexp_cuda_kernelERKNSE_10TensorBaseESI_lENKUlvE_clEvENKUlvE2_clEvEUlS7_S7_E_S7_EEDaPvRmT3_T4_T5_mT6_P12ihipStream_tbENKUlT_T0_E_clISt17integral_constantIbLb1EESY_IbLb0EEEEDaSU_SV_EUlSU_E0_NS1_11comp_targetILNS1_3genE0ELNS1_11target_archE4294967295ELNS1_3gpuE0ELNS1_3repE0EEENS1_30default_config_static_selectorELNS0_4arch9wavefront6targetE0EEEvT1_.has_indirect_call, 0
	.section	.AMDGPU.csdata,"",@progbits
; Kernel info:
; codeLenInByte = 0
; TotalNumSgprs: 0
; NumVgprs: 0
; ScratchSize: 0
; MemoryBound: 0
; FloatMode: 240
; IeeeMode: 1
; LDSByteSize: 0 bytes/workgroup (compile time only)
; SGPRBlocks: 0
; VGPRBlocks: 0
; NumSGPRsForWavesPerEU: 1
; NumVGPRsForWavesPerEU: 1
; Occupancy: 16
; WaveLimiterHint : 0
; COMPUTE_PGM_RSRC2:SCRATCH_EN: 0
; COMPUTE_PGM_RSRC2:USER_SGPR: 6
; COMPUTE_PGM_RSRC2:TRAP_HANDLER: 0
; COMPUTE_PGM_RSRC2:TGID_X_EN: 1
; COMPUTE_PGM_RSRC2:TGID_Y_EN: 0
; COMPUTE_PGM_RSRC2:TGID_Z_EN: 0
; COMPUTE_PGM_RSRC2:TIDIG_COMP_CNT: 0
	.section	.text._ZN7rocprim17ROCPRIM_400000_NS6detail17trampoline_kernelINS0_14default_configENS1_20scan_config_selectorIN3c107complexIfEEEEZZNS1_9scan_implILNS1_25lookback_scan_determinismE0ELb0ELb0ES3_PKS7_PS7_S7_ZZZN2at6native31launch_logcumsumexp_cuda_kernelERKNSE_10TensorBaseESI_lENKUlvE_clEvENKUlvE2_clEvEUlS7_S7_E_S7_EEDaPvRmT3_T4_T5_mT6_P12ihipStream_tbENKUlT_T0_E_clISt17integral_constantIbLb1EESY_IbLb0EEEEDaSU_SV_EUlSU_E0_NS1_11comp_targetILNS1_3genE5ELNS1_11target_archE942ELNS1_3gpuE9ELNS1_3repE0EEENS1_30default_config_static_selectorELNS0_4arch9wavefront6targetE0EEEvT1_,"axG",@progbits,_ZN7rocprim17ROCPRIM_400000_NS6detail17trampoline_kernelINS0_14default_configENS1_20scan_config_selectorIN3c107complexIfEEEEZZNS1_9scan_implILNS1_25lookback_scan_determinismE0ELb0ELb0ES3_PKS7_PS7_S7_ZZZN2at6native31launch_logcumsumexp_cuda_kernelERKNSE_10TensorBaseESI_lENKUlvE_clEvENKUlvE2_clEvEUlS7_S7_E_S7_EEDaPvRmT3_T4_T5_mT6_P12ihipStream_tbENKUlT_T0_E_clISt17integral_constantIbLb1EESY_IbLb0EEEEDaSU_SV_EUlSU_E0_NS1_11comp_targetILNS1_3genE5ELNS1_11target_archE942ELNS1_3gpuE9ELNS1_3repE0EEENS1_30default_config_static_selectorELNS0_4arch9wavefront6targetE0EEEvT1_,comdat
	.globl	_ZN7rocprim17ROCPRIM_400000_NS6detail17trampoline_kernelINS0_14default_configENS1_20scan_config_selectorIN3c107complexIfEEEEZZNS1_9scan_implILNS1_25lookback_scan_determinismE0ELb0ELb0ES3_PKS7_PS7_S7_ZZZN2at6native31launch_logcumsumexp_cuda_kernelERKNSE_10TensorBaseESI_lENKUlvE_clEvENKUlvE2_clEvEUlS7_S7_E_S7_EEDaPvRmT3_T4_T5_mT6_P12ihipStream_tbENKUlT_T0_E_clISt17integral_constantIbLb1EESY_IbLb0EEEEDaSU_SV_EUlSU_E0_NS1_11comp_targetILNS1_3genE5ELNS1_11target_archE942ELNS1_3gpuE9ELNS1_3repE0EEENS1_30default_config_static_selectorELNS0_4arch9wavefront6targetE0EEEvT1_ ; -- Begin function _ZN7rocprim17ROCPRIM_400000_NS6detail17trampoline_kernelINS0_14default_configENS1_20scan_config_selectorIN3c107complexIfEEEEZZNS1_9scan_implILNS1_25lookback_scan_determinismE0ELb0ELb0ES3_PKS7_PS7_S7_ZZZN2at6native31launch_logcumsumexp_cuda_kernelERKNSE_10TensorBaseESI_lENKUlvE_clEvENKUlvE2_clEvEUlS7_S7_E_S7_EEDaPvRmT3_T4_T5_mT6_P12ihipStream_tbENKUlT_T0_E_clISt17integral_constantIbLb1EESY_IbLb0EEEEDaSU_SV_EUlSU_E0_NS1_11comp_targetILNS1_3genE5ELNS1_11target_archE942ELNS1_3gpuE9ELNS1_3repE0EEENS1_30default_config_static_selectorELNS0_4arch9wavefront6targetE0EEEvT1_
	.p2align	8
	.type	_ZN7rocprim17ROCPRIM_400000_NS6detail17trampoline_kernelINS0_14default_configENS1_20scan_config_selectorIN3c107complexIfEEEEZZNS1_9scan_implILNS1_25lookback_scan_determinismE0ELb0ELb0ES3_PKS7_PS7_S7_ZZZN2at6native31launch_logcumsumexp_cuda_kernelERKNSE_10TensorBaseESI_lENKUlvE_clEvENKUlvE2_clEvEUlS7_S7_E_S7_EEDaPvRmT3_T4_T5_mT6_P12ihipStream_tbENKUlT_T0_E_clISt17integral_constantIbLb1EESY_IbLb0EEEEDaSU_SV_EUlSU_E0_NS1_11comp_targetILNS1_3genE5ELNS1_11target_archE942ELNS1_3gpuE9ELNS1_3repE0EEENS1_30default_config_static_selectorELNS0_4arch9wavefront6targetE0EEEvT1_,@function
_ZN7rocprim17ROCPRIM_400000_NS6detail17trampoline_kernelINS0_14default_configENS1_20scan_config_selectorIN3c107complexIfEEEEZZNS1_9scan_implILNS1_25lookback_scan_determinismE0ELb0ELb0ES3_PKS7_PS7_S7_ZZZN2at6native31launch_logcumsumexp_cuda_kernelERKNSE_10TensorBaseESI_lENKUlvE_clEvENKUlvE2_clEvEUlS7_S7_E_S7_EEDaPvRmT3_T4_T5_mT6_P12ihipStream_tbENKUlT_T0_E_clISt17integral_constantIbLb1EESY_IbLb0EEEEDaSU_SV_EUlSU_E0_NS1_11comp_targetILNS1_3genE5ELNS1_11target_archE942ELNS1_3gpuE9ELNS1_3repE0EEENS1_30default_config_static_selectorELNS0_4arch9wavefront6targetE0EEEvT1_: ; @_ZN7rocprim17ROCPRIM_400000_NS6detail17trampoline_kernelINS0_14default_configENS1_20scan_config_selectorIN3c107complexIfEEEEZZNS1_9scan_implILNS1_25lookback_scan_determinismE0ELb0ELb0ES3_PKS7_PS7_S7_ZZZN2at6native31launch_logcumsumexp_cuda_kernelERKNSE_10TensorBaseESI_lENKUlvE_clEvENKUlvE2_clEvEUlS7_S7_E_S7_EEDaPvRmT3_T4_T5_mT6_P12ihipStream_tbENKUlT_T0_E_clISt17integral_constantIbLb1EESY_IbLb0EEEEDaSU_SV_EUlSU_E0_NS1_11comp_targetILNS1_3genE5ELNS1_11target_archE942ELNS1_3gpuE9ELNS1_3repE0EEENS1_30default_config_static_selectorELNS0_4arch9wavefront6targetE0EEEvT1_
; %bb.0:
	.section	.rodata,"a",@progbits
	.p2align	6, 0x0
	.amdhsa_kernel _ZN7rocprim17ROCPRIM_400000_NS6detail17trampoline_kernelINS0_14default_configENS1_20scan_config_selectorIN3c107complexIfEEEEZZNS1_9scan_implILNS1_25lookback_scan_determinismE0ELb0ELb0ES3_PKS7_PS7_S7_ZZZN2at6native31launch_logcumsumexp_cuda_kernelERKNSE_10TensorBaseESI_lENKUlvE_clEvENKUlvE2_clEvEUlS7_S7_E_S7_EEDaPvRmT3_T4_T5_mT6_P12ihipStream_tbENKUlT_T0_E_clISt17integral_constantIbLb1EESY_IbLb0EEEEDaSU_SV_EUlSU_E0_NS1_11comp_targetILNS1_3genE5ELNS1_11target_archE942ELNS1_3gpuE9ELNS1_3repE0EEENS1_30default_config_static_selectorELNS0_4arch9wavefront6targetE0EEEvT1_
		.amdhsa_group_segment_fixed_size 0
		.amdhsa_private_segment_fixed_size 0
		.amdhsa_kernarg_size 40
		.amdhsa_user_sgpr_count 6
		.amdhsa_user_sgpr_private_segment_buffer 1
		.amdhsa_user_sgpr_dispatch_ptr 0
		.amdhsa_user_sgpr_queue_ptr 0
		.amdhsa_user_sgpr_kernarg_segment_ptr 1
		.amdhsa_user_sgpr_dispatch_id 0
		.amdhsa_user_sgpr_flat_scratch_init 0
		.amdhsa_user_sgpr_private_segment_size 0
		.amdhsa_wavefront_size32 1
		.amdhsa_uses_dynamic_stack 0
		.amdhsa_system_sgpr_private_segment_wavefront_offset 0
		.amdhsa_system_sgpr_workgroup_id_x 1
		.amdhsa_system_sgpr_workgroup_id_y 0
		.amdhsa_system_sgpr_workgroup_id_z 0
		.amdhsa_system_sgpr_workgroup_info 0
		.amdhsa_system_vgpr_workitem_id 0
		.amdhsa_next_free_vgpr 1
		.amdhsa_next_free_sgpr 1
		.amdhsa_reserve_vcc 0
		.amdhsa_reserve_flat_scratch 0
		.amdhsa_float_round_mode_32 0
		.amdhsa_float_round_mode_16_64 0
		.amdhsa_float_denorm_mode_32 3
		.amdhsa_float_denorm_mode_16_64 3
		.amdhsa_dx10_clamp 1
		.amdhsa_ieee_mode 1
		.amdhsa_fp16_overflow 0
		.amdhsa_workgroup_processor_mode 1
		.amdhsa_memory_ordered 1
		.amdhsa_forward_progress 1
		.amdhsa_shared_vgpr_count 0
		.amdhsa_exception_fp_ieee_invalid_op 0
		.amdhsa_exception_fp_denorm_src 0
		.amdhsa_exception_fp_ieee_div_zero 0
		.amdhsa_exception_fp_ieee_overflow 0
		.amdhsa_exception_fp_ieee_underflow 0
		.amdhsa_exception_fp_ieee_inexact 0
		.amdhsa_exception_int_div_zero 0
	.end_amdhsa_kernel
	.section	.text._ZN7rocprim17ROCPRIM_400000_NS6detail17trampoline_kernelINS0_14default_configENS1_20scan_config_selectorIN3c107complexIfEEEEZZNS1_9scan_implILNS1_25lookback_scan_determinismE0ELb0ELb0ES3_PKS7_PS7_S7_ZZZN2at6native31launch_logcumsumexp_cuda_kernelERKNSE_10TensorBaseESI_lENKUlvE_clEvENKUlvE2_clEvEUlS7_S7_E_S7_EEDaPvRmT3_T4_T5_mT6_P12ihipStream_tbENKUlT_T0_E_clISt17integral_constantIbLb1EESY_IbLb0EEEEDaSU_SV_EUlSU_E0_NS1_11comp_targetILNS1_3genE5ELNS1_11target_archE942ELNS1_3gpuE9ELNS1_3repE0EEENS1_30default_config_static_selectorELNS0_4arch9wavefront6targetE0EEEvT1_,"axG",@progbits,_ZN7rocprim17ROCPRIM_400000_NS6detail17trampoline_kernelINS0_14default_configENS1_20scan_config_selectorIN3c107complexIfEEEEZZNS1_9scan_implILNS1_25lookback_scan_determinismE0ELb0ELb0ES3_PKS7_PS7_S7_ZZZN2at6native31launch_logcumsumexp_cuda_kernelERKNSE_10TensorBaseESI_lENKUlvE_clEvENKUlvE2_clEvEUlS7_S7_E_S7_EEDaPvRmT3_T4_T5_mT6_P12ihipStream_tbENKUlT_T0_E_clISt17integral_constantIbLb1EESY_IbLb0EEEEDaSU_SV_EUlSU_E0_NS1_11comp_targetILNS1_3genE5ELNS1_11target_archE942ELNS1_3gpuE9ELNS1_3repE0EEENS1_30default_config_static_selectorELNS0_4arch9wavefront6targetE0EEEvT1_,comdat
.Lfunc_end320:
	.size	_ZN7rocprim17ROCPRIM_400000_NS6detail17trampoline_kernelINS0_14default_configENS1_20scan_config_selectorIN3c107complexIfEEEEZZNS1_9scan_implILNS1_25lookback_scan_determinismE0ELb0ELb0ES3_PKS7_PS7_S7_ZZZN2at6native31launch_logcumsumexp_cuda_kernelERKNSE_10TensorBaseESI_lENKUlvE_clEvENKUlvE2_clEvEUlS7_S7_E_S7_EEDaPvRmT3_T4_T5_mT6_P12ihipStream_tbENKUlT_T0_E_clISt17integral_constantIbLb1EESY_IbLb0EEEEDaSU_SV_EUlSU_E0_NS1_11comp_targetILNS1_3genE5ELNS1_11target_archE942ELNS1_3gpuE9ELNS1_3repE0EEENS1_30default_config_static_selectorELNS0_4arch9wavefront6targetE0EEEvT1_, .Lfunc_end320-_ZN7rocprim17ROCPRIM_400000_NS6detail17trampoline_kernelINS0_14default_configENS1_20scan_config_selectorIN3c107complexIfEEEEZZNS1_9scan_implILNS1_25lookback_scan_determinismE0ELb0ELb0ES3_PKS7_PS7_S7_ZZZN2at6native31launch_logcumsumexp_cuda_kernelERKNSE_10TensorBaseESI_lENKUlvE_clEvENKUlvE2_clEvEUlS7_S7_E_S7_EEDaPvRmT3_T4_T5_mT6_P12ihipStream_tbENKUlT_T0_E_clISt17integral_constantIbLb1EESY_IbLb0EEEEDaSU_SV_EUlSU_E0_NS1_11comp_targetILNS1_3genE5ELNS1_11target_archE942ELNS1_3gpuE9ELNS1_3repE0EEENS1_30default_config_static_selectorELNS0_4arch9wavefront6targetE0EEEvT1_
                                        ; -- End function
	.set _ZN7rocprim17ROCPRIM_400000_NS6detail17trampoline_kernelINS0_14default_configENS1_20scan_config_selectorIN3c107complexIfEEEEZZNS1_9scan_implILNS1_25lookback_scan_determinismE0ELb0ELb0ES3_PKS7_PS7_S7_ZZZN2at6native31launch_logcumsumexp_cuda_kernelERKNSE_10TensorBaseESI_lENKUlvE_clEvENKUlvE2_clEvEUlS7_S7_E_S7_EEDaPvRmT3_T4_T5_mT6_P12ihipStream_tbENKUlT_T0_E_clISt17integral_constantIbLb1EESY_IbLb0EEEEDaSU_SV_EUlSU_E0_NS1_11comp_targetILNS1_3genE5ELNS1_11target_archE942ELNS1_3gpuE9ELNS1_3repE0EEENS1_30default_config_static_selectorELNS0_4arch9wavefront6targetE0EEEvT1_.num_vgpr, 0
	.set _ZN7rocprim17ROCPRIM_400000_NS6detail17trampoline_kernelINS0_14default_configENS1_20scan_config_selectorIN3c107complexIfEEEEZZNS1_9scan_implILNS1_25lookback_scan_determinismE0ELb0ELb0ES3_PKS7_PS7_S7_ZZZN2at6native31launch_logcumsumexp_cuda_kernelERKNSE_10TensorBaseESI_lENKUlvE_clEvENKUlvE2_clEvEUlS7_S7_E_S7_EEDaPvRmT3_T4_T5_mT6_P12ihipStream_tbENKUlT_T0_E_clISt17integral_constantIbLb1EESY_IbLb0EEEEDaSU_SV_EUlSU_E0_NS1_11comp_targetILNS1_3genE5ELNS1_11target_archE942ELNS1_3gpuE9ELNS1_3repE0EEENS1_30default_config_static_selectorELNS0_4arch9wavefront6targetE0EEEvT1_.num_agpr, 0
	.set _ZN7rocprim17ROCPRIM_400000_NS6detail17trampoline_kernelINS0_14default_configENS1_20scan_config_selectorIN3c107complexIfEEEEZZNS1_9scan_implILNS1_25lookback_scan_determinismE0ELb0ELb0ES3_PKS7_PS7_S7_ZZZN2at6native31launch_logcumsumexp_cuda_kernelERKNSE_10TensorBaseESI_lENKUlvE_clEvENKUlvE2_clEvEUlS7_S7_E_S7_EEDaPvRmT3_T4_T5_mT6_P12ihipStream_tbENKUlT_T0_E_clISt17integral_constantIbLb1EESY_IbLb0EEEEDaSU_SV_EUlSU_E0_NS1_11comp_targetILNS1_3genE5ELNS1_11target_archE942ELNS1_3gpuE9ELNS1_3repE0EEENS1_30default_config_static_selectorELNS0_4arch9wavefront6targetE0EEEvT1_.numbered_sgpr, 0
	.set _ZN7rocprim17ROCPRIM_400000_NS6detail17trampoline_kernelINS0_14default_configENS1_20scan_config_selectorIN3c107complexIfEEEEZZNS1_9scan_implILNS1_25lookback_scan_determinismE0ELb0ELb0ES3_PKS7_PS7_S7_ZZZN2at6native31launch_logcumsumexp_cuda_kernelERKNSE_10TensorBaseESI_lENKUlvE_clEvENKUlvE2_clEvEUlS7_S7_E_S7_EEDaPvRmT3_T4_T5_mT6_P12ihipStream_tbENKUlT_T0_E_clISt17integral_constantIbLb1EESY_IbLb0EEEEDaSU_SV_EUlSU_E0_NS1_11comp_targetILNS1_3genE5ELNS1_11target_archE942ELNS1_3gpuE9ELNS1_3repE0EEENS1_30default_config_static_selectorELNS0_4arch9wavefront6targetE0EEEvT1_.num_named_barrier, 0
	.set _ZN7rocprim17ROCPRIM_400000_NS6detail17trampoline_kernelINS0_14default_configENS1_20scan_config_selectorIN3c107complexIfEEEEZZNS1_9scan_implILNS1_25lookback_scan_determinismE0ELb0ELb0ES3_PKS7_PS7_S7_ZZZN2at6native31launch_logcumsumexp_cuda_kernelERKNSE_10TensorBaseESI_lENKUlvE_clEvENKUlvE2_clEvEUlS7_S7_E_S7_EEDaPvRmT3_T4_T5_mT6_P12ihipStream_tbENKUlT_T0_E_clISt17integral_constantIbLb1EESY_IbLb0EEEEDaSU_SV_EUlSU_E0_NS1_11comp_targetILNS1_3genE5ELNS1_11target_archE942ELNS1_3gpuE9ELNS1_3repE0EEENS1_30default_config_static_selectorELNS0_4arch9wavefront6targetE0EEEvT1_.private_seg_size, 0
	.set _ZN7rocprim17ROCPRIM_400000_NS6detail17trampoline_kernelINS0_14default_configENS1_20scan_config_selectorIN3c107complexIfEEEEZZNS1_9scan_implILNS1_25lookback_scan_determinismE0ELb0ELb0ES3_PKS7_PS7_S7_ZZZN2at6native31launch_logcumsumexp_cuda_kernelERKNSE_10TensorBaseESI_lENKUlvE_clEvENKUlvE2_clEvEUlS7_S7_E_S7_EEDaPvRmT3_T4_T5_mT6_P12ihipStream_tbENKUlT_T0_E_clISt17integral_constantIbLb1EESY_IbLb0EEEEDaSU_SV_EUlSU_E0_NS1_11comp_targetILNS1_3genE5ELNS1_11target_archE942ELNS1_3gpuE9ELNS1_3repE0EEENS1_30default_config_static_selectorELNS0_4arch9wavefront6targetE0EEEvT1_.uses_vcc, 0
	.set _ZN7rocprim17ROCPRIM_400000_NS6detail17trampoline_kernelINS0_14default_configENS1_20scan_config_selectorIN3c107complexIfEEEEZZNS1_9scan_implILNS1_25lookback_scan_determinismE0ELb0ELb0ES3_PKS7_PS7_S7_ZZZN2at6native31launch_logcumsumexp_cuda_kernelERKNSE_10TensorBaseESI_lENKUlvE_clEvENKUlvE2_clEvEUlS7_S7_E_S7_EEDaPvRmT3_T4_T5_mT6_P12ihipStream_tbENKUlT_T0_E_clISt17integral_constantIbLb1EESY_IbLb0EEEEDaSU_SV_EUlSU_E0_NS1_11comp_targetILNS1_3genE5ELNS1_11target_archE942ELNS1_3gpuE9ELNS1_3repE0EEENS1_30default_config_static_selectorELNS0_4arch9wavefront6targetE0EEEvT1_.uses_flat_scratch, 0
	.set _ZN7rocprim17ROCPRIM_400000_NS6detail17trampoline_kernelINS0_14default_configENS1_20scan_config_selectorIN3c107complexIfEEEEZZNS1_9scan_implILNS1_25lookback_scan_determinismE0ELb0ELb0ES3_PKS7_PS7_S7_ZZZN2at6native31launch_logcumsumexp_cuda_kernelERKNSE_10TensorBaseESI_lENKUlvE_clEvENKUlvE2_clEvEUlS7_S7_E_S7_EEDaPvRmT3_T4_T5_mT6_P12ihipStream_tbENKUlT_T0_E_clISt17integral_constantIbLb1EESY_IbLb0EEEEDaSU_SV_EUlSU_E0_NS1_11comp_targetILNS1_3genE5ELNS1_11target_archE942ELNS1_3gpuE9ELNS1_3repE0EEENS1_30default_config_static_selectorELNS0_4arch9wavefront6targetE0EEEvT1_.has_dyn_sized_stack, 0
	.set _ZN7rocprim17ROCPRIM_400000_NS6detail17trampoline_kernelINS0_14default_configENS1_20scan_config_selectorIN3c107complexIfEEEEZZNS1_9scan_implILNS1_25lookback_scan_determinismE0ELb0ELb0ES3_PKS7_PS7_S7_ZZZN2at6native31launch_logcumsumexp_cuda_kernelERKNSE_10TensorBaseESI_lENKUlvE_clEvENKUlvE2_clEvEUlS7_S7_E_S7_EEDaPvRmT3_T4_T5_mT6_P12ihipStream_tbENKUlT_T0_E_clISt17integral_constantIbLb1EESY_IbLb0EEEEDaSU_SV_EUlSU_E0_NS1_11comp_targetILNS1_3genE5ELNS1_11target_archE942ELNS1_3gpuE9ELNS1_3repE0EEENS1_30default_config_static_selectorELNS0_4arch9wavefront6targetE0EEEvT1_.has_recursion, 0
	.set _ZN7rocprim17ROCPRIM_400000_NS6detail17trampoline_kernelINS0_14default_configENS1_20scan_config_selectorIN3c107complexIfEEEEZZNS1_9scan_implILNS1_25lookback_scan_determinismE0ELb0ELb0ES3_PKS7_PS7_S7_ZZZN2at6native31launch_logcumsumexp_cuda_kernelERKNSE_10TensorBaseESI_lENKUlvE_clEvENKUlvE2_clEvEUlS7_S7_E_S7_EEDaPvRmT3_T4_T5_mT6_P12ihipStream_tbENKUlT_T0_E_clISt17integral_constantIbLb1EESY_IbLb0EEEEDaSU_SV_EUlSU_E0_NS1_11comp_targetILNS1_3genE5ELNS1_11target_archE942ELNS1_3gpuE9ELNS1_3repE0EEENS1_30default_config_static_selectorELNS0_4arch9wavefront6targetE0EEEvT1_.has_indirect_call, 0
	.section	.AMDGPU.csdata,"",@progbits
; Kernel info:
; codeLenInByte = 0
; TotalNumSgprs: 0
; NumVgprs: 0
; ScratchSize: 0
; MemoryBound: 0
; FloatMode: 240
; IeeeMode: 1
; LDSByteSize: 0 bytes/workgroup (compile time only)
; SGPRBlocks: 0
; VGPRBlocks: 0
; NumSGPRsForWavesPerEU: 1
; NumVGPRsForWavesPerEU: 1
; Occupancy: 16
; WaveLimiterHint : 0
; COMPUTE_PGM_RSRC2:SCRATCH_EN: 0
; COMPUTE_PGM_RSRC2:USER_SGPR: 6
; COMPUTE_PGM_RSRC2:TRAP_HANDLER: 0
; COMPUTE_PGM_RSRC2:TGID_X_EN: 1
; COMPUTE_PGM_RSRC2:TGID_Y_EN: 0
; COMPUTE_PGM_RSRC2:TGID_Z_EN: 0
; COMPUTE_PGM_RSRC2:TIDIG_COMP_CNT: 0
	.section	.text._ZN7rocprim17ROCPRIM_400000_NS6detail17trampoline_kernelINS0_14default_configENS1_20scan_config_selectorIN3c107complexIfEEEEZZNS1_9scan_implILNS1_25lookback_scan_determinismE0ELb0ELb0ES3_PKS7_PS7_S7_ZZZN2at6native31launch_logcumsumexp_cuda_kernelERKNSE_10TensorBaseESI_lENKUlvE_clEvENKUlvE2_clEvEUlS7_S7_E_S7_EEDaPvRmT3_T4_T5_mT6_P12ihipStream_tbENKUlT_T0_E_clISt17integral_constantIbLb1EESY_IbLb0EEEEDaSU_SV_EUlSU_E0_NS1_11comp_targetILNS1_3genE4ELNS1_11target_archE910ELNS1_3gpuE8ELNS1_3repE0EEENS1_30default_config_static_selectorELNS0_4arch9wavefront6targetE0EEEvT1_,"axG",@progbits,_ZN7rocprim17ROCPRIM_400000_NS6detail17trampoline_kernelINS0_14default_configENS1_20scan_config_selectorIN3c107complexIfEEEEZZNS1_9scan_implILNS1_25lookback_scan_determinismE0ELb0ELb0ES3_PKS7_PS7_S7_ZZZN2at6native31launch_logcumsumexp_cuda_kernelERKNSE_10TensorBaseESI_lENKUlvE_clEvENKUlvE2_clEvEUlS7_S7_E_S7_EEDaPvRmT3_T4_T5_mT6_P12ihipStream_tbENKUlT_T0_E_clISt17integral_constantIbLb1EESY_IbLb0EEEEDaSU_SV_EUlSU_E0_NS1_11comp_targetILNS1_3genE4ELNS1_11target_archE910ELNS1_3gpuE8ELNS1_3repE0EEENS1_30default_config_static_selectorELNS0_4arch9wavefront6targetE0EEEvT1_,comdat
	.globl	_ZN7rocprim17ROCPRIM_400000_NS6detail17trampoline_kernelINS0_14default_configENS1_20scan_config_selectorIN3c107complexIfEEEEZZNS1_9scan_implILNS1_25lookback_scan_determinismE0ELb0ELb0ES3_PKS7_PS7_S7_ZZZN2at6native31launch_logcumsumexp_cuda_kernelERKNSE_10TensorBaseESI_lENKUlvE_clEvENKUlvE2_clEvEUlS7_S7_E_S7_EEDaPvRmT3_T4_T5_mT6_P12ihipStream_tbENKUlT_T0_E_clISt17integral_constantIbLb1EESY_IbLb0EEEEDaSU_SV_EUlSU_E0_NS1_11comp_targetILNS1_3genE4ELNS1_11target_archE910ELNS1_3gpuE8ELNS1_3repE0EEENS1_30default_config_static_selectorELNS0_4arch9wavefront6targetE0EEEvT1_ ; -- Begin function _ZN7rocprim17ROCPRIM_400000_NS6detail17trampoline_kernelINS0_14default_configENS1_20scan_config_selectorIN3c107complexIfEEEEZZNS1_9scan_implILNS1_25lookback_scan_determinismE0ELb0ELb0ES3_PKS7_PS7_S7_ZZZN2at6native31launch_logcumsumexp_cuda_kernelERKNSE_10TensorBaseESI_lENKUlvE_clEvENKUlvE2_clEvEUlS7_S7_E_S7_EEDaPvRmT3_T4_T5_mT6_P12ihipStream_tbENKUlT_T0_E_clISt17integral_constantIbLb1EESY_IbLb0EEEEDaSU_SV_EUlSU_E0_NS1_11comp_targetILNS1_3genE4ELNS1_11target_archE910ELNS1_3gpuE8ELNS1_3repE0EEENS1_30default_config_static_selectorELNS0_4arch9wavefront6targetE0EEEvT1_
	.p2align	8
	.type	_ZN7rocprim17ROCPRIM_400000_NS6detail17trampoline_kernelINS0_14default_configENS1_20scan_config_selectorIN3c107complexIfEEEEZZNS1_9scan_implILNS1_25lookback_scan_determinismE0ELb0ELb0ES3_PKS7_PS7_S7_ZZZN2at6native31launch_logcumsumexp_cuda_kernelERKNSE_10TensorBaseESI_lENKUlvE_clEvENKUlvE2_clEvEUlS7_S7_E_S7_EEDaPvRmT3_T4_T5_mT6_P12ihipStream_tbENKUlT_T0_E_clISt17integral_constantIbLb1EESY_IbLb0EEEEDaSU_SV_EUlSU_E0_NS1_11comp_targetILNS1_3genE4ELNS1_11target_archE910ELNS1_3gpuE8ELNS1_3repE0EEENS1_30default_config_static_selectorELNS0_4arch9wavefront6targetE0EEEvT1_,@function
_ZN7rocprim17ROCPRIM_400000_NS6detail17trampoline_kernelINS0_14default_configENS1_20scan_config_selectorIN3c107complexIfEEEEZZNS1_9scan_implILNS1_25lookback_scan_determinismE0ELb0ELb0ES3_PKS7_PS7_S7_ZZZN2at6native31launch_logcumsumexp_cuda_kernelERKNSE_10TensorBaseESI_lENKUlvE_clEvENKUlvE2_clEvEUlS7_S7_E_S7_EEDaPvRmT3_T4_T5_mT6_P12ihipStream_tbENKUlT_T0_E_clISt17integral_constantIbLb1EESY_IbLb0EEEEDaSU_SV_EUlSU_E0_NS1_11comp_targetILNS1_3genE4ELNS1_11target_archE910ELNS1_3gpuE8ELNS1_3repE0EEENS1_30default_config_static_selectorELNS0_4arch9wavefront6targetE0EEEvT1_: ; @_ZN7rocprim17ROCPRIM_400000_NS6detail17trampoline_kernelINS0_14default_configENS1_20scan_config_selectorIN3c107complexIfEEEEZZNS1_9scan_implILNS1_25lookback_scan_determinismE0ELb0ELb0ES3_PKS7_PS7_S7_ZZZN2at6native31launch_logcumsumexp_cuda_kernelERKNSE_10TensorBaseESI_lENKUlvE_clEvENKUlvE2_clEvEUlS7_S7_E_S7_EEDaPvRmT3_T4_T5_mT6_P12ihipStream_tbENKUlT_T0_E_clISt17integral_constantIbLb1EESY_IbLb0EEEEDaSU_SV_EUlSU_E0_NS1_11comp_targetILNS1_3genE4ELNS1_11target_archE910ELNS1_3gpuE8ELNS1_3repE0EEENS1_30default_config_static_selectorELNS0_4arch9wavefront6targetE0EEEvT1_
; %bb.0:
	.section	.rodata,"a",@progbits
	.p2align	6, 0x0
	.amdhsa_kernel _ZN7rocprim17ROCPRIM_400000_NS6detail17trampoline_kernelINS0_14default_configENS1_20scan_config_selectorIN3c107complexIfEEEEZZNS1_9scan_implILNS1_25lookback_scan_determinismE0ELb0ELb0ES3_PKS7_PS7_S7_ZZZN2at6native31launch_logcumsumexp_cuda_kernelERKNSE_10TensorBaseESI_lENKUlvE_clEvENKUlvE2_clEvEUlS7_S7_E_S7_EEDaPvRmT3_T4_T5_mT6_P12ihipStream_tbENKUlT_T0_E_clISt17integral_constantIbLb1EESY_IbLb0EEEEDaSU_SV_EUlSU_E0_NS1_11comp_targetILNS1_3genE4ELNS1_11target_archE910ELNS1_3gpuE8ELNS1_3repE0EEENS1_30default_config_static_selectorELNS0_4arch9wavefront6targetE0EEEvT1_
		.amdhsa_group_segment_fixed_size 0
		.amdhsa_private_segment_fixed_size 0
		.amdhsa_kernarg_size 40
		.amdhsa_user_sgpr_count 6
		.amdhsa_user_sgpr_private_segment_buffer 1
		.amdhsa_user_sgpr_dispatch_ptr 0
		.amdhsa_user_sgpr_queue_ptr 0
		.amdhsa_user_sgpr_kernarg_segment_ptr 1
		.amdhsa_user_sgpr_dispatch_id 0
		.amdhsa_user_sgpr_flat_scratch_init 0
		.amdhsa_user_sgpr_private_segment_size 0
		.amdhsa_wavefront_size32 1
		.amdhsa_uses_dynamic_stack 0
		.amdhsa_system_sgpr_private_segment_wavefront_offset 0
		.amdhsa_system_sgpr_workgroup_id_x 1
		.amdhsa_system_sgpr_workgroup_id_y 0
		.amdhsa_system_sgpr_workgroup_id_z 0
		.amdhsa_system_sgpr_workgroup_info 0
		.amdhsa_system_vgpr_workitem_id 0
		.amdhsa_next_free_vgpr 1
		.amdhsa_next_free_sgpr 1
		.amdhsa_reserve_vcc 0
		.amdhsa_reserve_flat_scratch 0
		.amdhsa_float_round_mode_32 0
		.amdhsa_float_round_mode_16_64 0
		.amdhsa_float_denorm_mode_32 3
		.amdhsa_float_denorm_mode_16_64 3
		.amdhsa_dx10_clamp 1
		.amdhsa_ieee_mode 1
		.amdhsa_fp16_overflow 0
		.amdhsa_workgroup_processor_mode 1
		.amdhsa_memory_ordered 1
		.amdhsa_forward_progress 1
		.amdhsa_shared_vgpr_count 0
		.amdhsa_exception_fp_ieee_invalid_op 0
		.amdhsa_exception_fp_denorm_src 0
		.amdhsa_exception_fp_ieee_div_zero 0
		.amdhsa_exception_fp_ieee_overflow 0
		.amdhsa_exception_fp_ieee_underflow 0
		.amdhsa_exception_fp_ieee_inexact 0
		.amdhsa_exception_int_div_zero 0
	.end_amdhsa_kernel
	.section	.text._ZN7rocprim17ROCPRIM_400000_NS6detail17trampoline_kernelINS0_14default_configENS1_20scan_config_selectorIN3c107complexIfEEEEZZNS1_9scan_implILNS1_25lookback_scan_determinismE0ELb0ELb0ES3_PKS7_PS7_S7_ZZZN2at6native31launch_logcumsumexp_cuda_kernelERKNSE_10TensorBaseESI_lENKUlvE_clEvENKUlvE2_clEvEUlS7_S7_E_S7_EEDaPvRmT3_T4_T5_mT6_P12ihipStream_tbENKUlT_T0_E_clISt17integral_constantIbLb1EESY_IbLb0EEEEDaSU_SV_EUlSU_E0_NS1_11comp_targetILNS1_3genE4ELNS1_11target_archE910ELNS1_3gpuE8ELNS1_3repE0EEENS1_30default_config_static_selectorELNS0_4arch9wavefront6targetE0EEEvT1_,"axG",@progbits,_ZN7rocprim17ROCPRIM_400000_NS6detail17trampoline_kernelINS0_14default_configENS1_20scan_config_selectorIN3c107complexIfEEEEZZNS1_9scan_implILNS1_25lookback_scan_determinismE0ELb0ELb0ES3_PKS7_PS7_S7_ZZZN2at6native31launch_logcumsumexp_cuda_kernelERKNSE_10TensorBaseESI_lENKUlvE_clEvENKUlvE2_clEvEUlS7_S7_E_S7_EEDaPvRmT3_T4_T5_mT6_P12ihipStream_tbENKUlT_T0_E_clISt17integral_constantIbLb1EESY_IbLb0EEEEDaSU_SV_EUlSU_E0_NS1_11comp_targetILNS1_3genE4ELNS1_11target_archE910ELNS1_3gpuE8ELNS1_3repE0EEENS1_30default_config_static_selectorELNS0_4arch9wavefront6targetE0EEEvT1_,comdat
.Lfunc_end321:
	.size	_ZN7rocprim17ROCPRIM_400000_NS6detail17trampoline_kernelINS0_14default_configENS1_20scan_config_selectorIN3c107complexIfEEEEZZNS1_9scan_implILNS1_25lookback_scan_determinismE0ELb0ELb0ES3_PKS7_PS7_S7_ZZZN2at6native31launch_logcumsumexp_cuda_kernelERKNSE_10TensorBaseESI_lENKUlvE_clEvENKUlvE2_clEvEUlS7_S7_E_S7_EEDaPvRmT3_T4_T5_mT6_P12ihipStream_tbENKUlT_T0_E_clISt17integral_constantIbLb1EESY_IbLb0EEEEDaSU_SV_EUlSU_E0_NS1_11comp_targetILNS1_3genE4ELNS1_11target_archE910ELNS1_3gpuE8ELNS1_3repE0EEENS1_30default_config_static_selectorELNS0_4arch9wavefront6targetE0EEEvT1_, .Lfunc_end321-_ZN7rocprim17ROCPRIM_400000_NS6detail17trampoline_kernelINS0_14default_configENS1_20scan_config_selectorIN3c107complexIfEEEEZZNS1_9scan_implILNS1_25lookback_scan_determinismE0ELb0ELb0ES3_PKS7_PS7_S7_ZZZN2at6native31launch_logcumsumexp_cuda_kernelERKNSE_10TensorBaseESI_lENKUlvE_clEvENKUlvE2_clEvEUlS7_S7_E_S7_EEDaPvRmT3_T4_T5_mT6_P12ihipStream_tbENKUlT_T0_E_clISt17integral_constantIbLb1EESY_IbLb0EEEEDaSU_SV_EUlSU_E0_NS1_11comp_targetILNS1_3genE4ELNS1_11target_archE910ELNS1_3gpuE8ELNS1_3repE0EEENS1_30default_config_static_selectorELNS0_4arch9wavefront6targetE0EEEvT1_
                                        ; -- End function
	.set _ZN7rocprim17ROCPRIM_400000_NS6detail17trampoline_kernelINS0_14default_configENS1_20scan_config_selectorIN3c107complexIfEEEEZZNS1_9scan_implILNS1_25lookback_scan_determinismE0ELb0ELb0ES3_PKS7_PS7_S7_ZZZN2at6native31launch_logcumsumexp_cuda_kernelERKNSE_10TensorBaseESI_lENKUlvE_clEvENKUlvE2_clEvEUlS7_S7_E_S7_EEDaPvRmT3_T4_T5_mT6_P12ihipStream_tbENKUlT_T0_E_clISt17integral_constantIbLb1EESY_IbLb0EEEEDaSU_SV_EUlSU_E0_NS1_11comp_targetILNS1_3genE4ELNS1_11target_archE910ELNS1_3gpuE8ELNS1_3repE0EEENS1_30default_config_static_selectorELNS0_4arch9wavefront6targetE0EEEvT1_.num_vgpr, 0
	.set _ZN7rocprim17ROCPRIM_400000_NS6detail17trampoline_kernelINS0_14default_configENS1_20scan_config_selectorIN3c107complexIfEEEEZZNS1_9scan_implILNS1_25lookback_scan_determinismE0ELb0ELb0ES3_PKS7_PS7_S7_ZZZN2at6native31launch_logcumsumexp_cuda_kernelERKNSE_10TensorBaseESI_lENKUlvE_clEvENKUlvE2_clEvEUlS7_S7_E_S7_EEDaPvRmT3_T4_T5_mT6_P12ihipStream_tbENKUlT_T0_E_clISt17integral_constantIbLb1EESY_IbLb0EEEEDaSU_SV_EUlSU_E0_NS1_11comp_targetILNS1_3genE4ELNS1_11target_archE910ELNS1_3gpuE8ELNS1_3repE0EEENS1_30default_config_static_selectorELNS0_4arch9wavefront6targetE0EEEvT1_.num_agpr, 0
	.set _ZN7rocprim17ROCPRIM_400000_NS6detail17trampoline_kernelINS0_14default_configENS1_20scan_config_selectorIN3c107complexIfEEEEZZNS1_9scan_implILNS1_25lookback_scan_determinismE0ELb0ELb0ES3_PKS7_PS7_S7_ZZZN2at6native31launch_logcumsumexp_cuda_kernelERKNSE_10TensorBaseESI_lENKUlvE_clEvENKUlvE2_clEvEUlS7_S7_E_S7_EEDaPvRmT3_T4_T5_mT6_P12ihipStream_tbENKUlT_T0_E_clISt17integral_constantIbLb1EESY_IbLb0EEEEDaSU_SV_EUlSU_E0_NS1_11comp_targetILNS1_3genE4ELNS1_11target_archE910ELNS1_3gpuE8ELNS1_3repE0EEENS1_30default_config_static_selectorELNS0_4arch9wavefront6targetE0EEEvT1_.numbered_sgpr, 0
	.set _ZN7rocprim17ROCPRIM_400000_NS6detail17trampoline_kernelINS0_14default_configENS1_20scan_config_selectorIN3c107complexIfEEEEZZNS1_9scan_implILNS1_25lookback_scan_determinismE0ELb0ELb0ES3_PKS7_PS7_S7_ZZZN2at6native31launch_logcumsumexp_cuda_kernelERKNSE_10TensorBaseESI_lENKUlvE_clEvENKUlvE2_clEvEUlS7_S7_E_S7_EEDaPvRmT3_T4_T5_mT6_P12ihipStream_tbENKUlT_T0_E_clISt17integral_constantIbLb1EESY_IbLb0EEEEDaSU_SV_EUlSU_E0_NS1_11comp_targetILNS1_3genE4ELNS1_11target_archE910ELNS1_3gpuE8ELNS1_3repE0EEENS1_30default_config_static_selectorELNS0_4arch9wavefront6targetE0EEEvT1_.num_named_barrier, 0
	.set _ZN7rocprim17ROCPRIM_400000_NS6detail17trampoline_kernelINS0_14default_configENS1_20scan_config_selectorIN3c107complexIfEEEEZZNS1_9scan_implILNS1_25lookback_scan_determinismE0ELb0ELb0ES3_PKS7_PS7_S7_ZZZN2at6native31launch_logcumsumexp_cuda_kernelERKNSE_10TensorBaseESI_lENKUlvE_clEvENKUlvE2_clEvEUlS7_S7_E_S7_EEDaPvRmT3_T4_T5_mT6_P12ihipStream_tbENKUlT_T0_E_clISt17integral_constantIbLb1EESY_IbLb0EEEEDaSU_SV_EUlSU_E0_NS1_11comp_targetILNS1_3genE4ELNS1_11target_archE910ELNS1_3gpuE8ELNS1_3repE0EEENS1_30default_config_static_selectorELNS0_4arch9wavefront6targetE0EEEvT1_.private_seg_size, 0
	.set _ZN7rocprim17ROCPRIM_400000_NS6detail17trampoline_kernelINS0_14default_configENS1_20scan_config_selectorIN3c107complexIfEEEEZZNS1_9scan_implILNS1_25lookback_scan_determinismE0ELb0ELb0ES3_PKS7_PS7_S7_ZZZN2at6native31launch_logcumsumexp_cuda_kernelERKNSE_10TensorBaseESI_lENKUlvE_clEvENKUlvE2_clEvEUlS7_S7_E_S7_EEDaPvRmT3_T4_T5_mT6_P12ihipStream_tbENKUlT_T0_E_clISt17integral_constantIbLb1EESY_IbLb0EEEEDaSU_SV_EUlSU_E0_NS1_11comp_targetILNS1_3genE4ELNS1_11target_archE910ELNS1_3gpuE8ELNS1_3repE0EEENS1_30default_config_static_selectorELNS0_4arch9wavefront6targetE0EEEvT1_.uses_vcc, 0
	.set _ZN7rocprim17ROCPRIM_400000_NS6detail17trampoline_kernelINS0_14default_configENS1_20scan_config_selectorIN3c107complexIfEEEEZZNS1_9scan_implILNS1_25lookback_scan_determinismE0ELb0ELb0ES3_PKS7_PS7_S7_ZZZN2at6native31launch_logcumsumexp_cuda_kernelERKNSE_10TensorBaseESI_lENKUlvE_clEvENKUlvE2_clEvEUlS7_S7_E_S7_EEDaPvRmT3_T4_T5_mT6_P12ihipStream_tbENKUlT_T0_E_clISt17integral_constantIbLb1EESY_IbLb0EEEEDaSU_SV_EUlSU_E0_NS1_11comp_targetILNS1_3genE4ELNS1_11target_archE910ELNS1_3gpuE8ELNS1_3repE0EEENS1_30default_config_static_selectorELNS0_4arch9wavefront6targetE0EEEvT1_.uses_flat_scratch, 0
	.set _ZN7rocprim17ROCPRIM_400000_NS6detail17trampoline_kernelINS0_14default_configENS1_20scan_config_selectorIN3c107complexIfEEEEZZNS1_9scan_implILNS1_25lookback_scan_determinismE0ELb0ELb0ES3_PKS7_PS7_S7_ZZZN2at6native31launch_logcumsumexp_cuda_kernelERKNSE_10TensorBaseESI_lENKUlvE_clEvENKUlvE2_clEvEUlS7_S7_E_S7_EEDaPvRmT3_T4_T5_mT6_P12ihipStream_tbENKUlT_T0_E_clISt17integral_constantIbLb1EESY_IbLb0EEEEDaSU_SV_EUlSU_E0_NS1_11comp_targetILNS1_3genE4ELNS1_11target_archE910ELNS1_3gpuE8ELNS1_3repE0EEENS1_30default_config_static_selectorELNS0_4arch9wavefront6targetE0EEEvT1_.has_dyn_sized_stack, 0
	.set _ZN7rocprim17ROCPRIM_400000_NS6detail17trampoline_kernelINS0_14default_configENS1_20scan_config_selectorIN3c107complexIfEEEEZZNS1_9scan_implILNS1_25lookback_scan_determinismE0ELb0ELb0ES3_PKS7_PS7_S7_ZZZN2at6native31launch_logcumsumexp_cuda_kernelERKNSE_10TensorBaseESI_lENKUlvE_clEvENKUlvE2_clEvEUlS7_S7_E_S7_EEDaPvRmT3_T4_T5_mT6_P12ihipStream_tbENKUlT_T0_E_clISt17integral_constantIbLb1EESY_IbLb0EEEEDaSU_SV_EUlSU_E0_NS1_11comp_targetILNS1_3genE4ELNS1_11target_archE910ELNS1_3gpuE8ELNS1_3repE0EEENS1_30default_config_static_selectorELNS0_4arch9wavefront6targetE0EEEvT1_.has_recursion, 0
	.set _ZN7rocprim17ROCPRIM_400000_NS6detail17trampoline_kernelINS0_14default_configENS1_20scan_config_selectorIN3c107complexIfEEEEZZNS1_9scan_implILNS1_25lookback_scan_determinismE0ELb0ELb0ES3_PKS7_PS7_S7_ZZZN2at6native31launch_logcumsumexp_cuda_kernelERKNSE_10TensorBaseESI_lENKUlvE_clEvENKUlvE2_clEvEUlS7_S7_E_S7_EEDaPvRmT3_T4_T5_mT6_P12ihipStream_tbENKUlT_T0_E_clISt17integral_constantIbLb1EESY_IbLb0EEEEDaSU_SV_EUlSU_E0_NS1_11comp_targetILNS1_3genE4ELNS1_11target_archE910ELNS1_3gpuE8ELNS1_3repE0EEENS1_30default_config_static_selectorELNS0_4arch9wavefront6targetE0EEEvT1_.has_indirect_call, 0
	.section	.AMDGPU.csdata,"",@progbits
; Kernel info:
; codeLenInByte = 0
; TotalNumSgprs: 0
; NumVgprs: 0
; ScratchSize: 0
; MemoryBound: 0
; FloatMode: 240
; IeeeMode: 1
; LDSByteSize: 0 bytes/workgroup (compile time only)
; SGPRBlocks: 0
; VGPRBlocks: 0
; NumSGPRsForWavesPerEU: 1
; NumVGPRsForWavesPerEU: 1
; Occupancy: 16
; WaveLimiterHint : 0
; COMPUTE_PGM_RSRC2:SCRATCH_EN: 0
; COMPUTE_PGM_RSRC2:USER_SGPR: 6
; COMPUTE_PGM_RSRC2:TRAP_HANDLER: 0
; COMPUTE_PGM_RSRC2:TGID_X_EN: 1
; COMPUTE_PGM_RSRC2:TGID_Y_EN: 0
; COMPUTE_PGM_RSRC2:TGID_Z_EN: 0
; COMPUTE_PGM_RSRC2:TIDIG_COMP_CNT: 0
	.section	.text._ZN7rocprim17ROCPRIM_400000_NS6detail17trampoline_kernelINS0_14default_configENS1_20scan_config_selectorIN3c107complexIfEEEEZZNS1_9scan_implILNS1_25lookback_scan_determinismE0ELb0ELb0ES3_PKS7_PS7_S7_ZZZN2at6native31launch_logcumsumexp_cuda_kernelERKNSE_10TensorBaseESI_lENKUlvE_clEvENKUlvE2_clEvEUlS7_S7_E_S7_EEDaPvRmT3_T4_T5_mT6_P12ihipStream_tbENKUlT_T0_E_clISt17integral_constantIbLb1EESY_IbLb0EEEEDaSU_SV_EUlSU_E0_NS1_11comp_targetILNS1_3genE3ELNS1_11target_archE908ELNS1_3gpuE7ELNS1_3repE0EEENS1_30default_config_static_selectorELNS0_4arch9wavefront6targetE0EEEvT1_,"axG",@progbits,_ZN7rocprim17ROCPRIM_400000_NS6detail17trampoline_kernelINS0_14default_configENS1_20scan_config_selectorIN3c107complexIfEEEEZZNS1_9scan_implILNS1_25lookback_scan_determinismE0ELb0ELb0ES3_PKS7_PS7_S7_ZZZN2at6native31launch_logcumsumexp_cuda_kernelERKNSE_10TensorBaseESI_lENKUlvE_clEvENKUlvE2_clEvEUlS7_S7_E_S7_EEDaPvRmT3_T4_T5_mT6_P12ihipStream_tbENKUlT_T0_E_clISt17integral_constantIbLb1EESY_IbLb0EEEEDaSU_SV_EUlSU_E0_NS1_11comp_targetILNS1_3genE3ELNS1_11target_archE908ELNS1_3gpuE7ELNS1_3repE0EEENS1_30default_config_static_selectorELNS0_4arch9wavefront6targetE0EEEvT1_,comdat
	.globl	_ZN7rocprim17ROCPRIM_400000_NS6detail17trampoline_kernelINS0_14default_configENS1_20scan_config_selectorIN3c107complexIfEEEEZZNS1_9scan_implILNS1_25lookback_scan_determinismE0ELb0ELb0ES3_PKS7_PS7_S7_ZZZN2at6native31launch_logcumsumexp_cuda_kernelERKNSE_10TensorBaseESI_lENKUlvE_clEvENKUlvE2_clEvEUlS7_S7_E_S7_EEDaPvRmT3_T4_T5_mT6_P12ihipStream_tbENKUlT_T0_E_clISt17integral_constantIbLb1EESY_IbLb0EEEEDaSU_SV_EUlSU_E0_NS1_11comp_targetILNS1_3genE3ELNS1_11target_archE908ELNS1_3gpuE7ELNS1_3repE0EEENS1_30default_config_static_selectorELNS0_4arch9wavefront6targetE0EEEvT1_ ; -- Begin function _ZN7rocprim17ROCPRIM_400000_NS6detail17trampoline_kernelINS0_14default_configENS1_20scan_config_selectorIN3c107complexIfEEEEZZNS1_9scan_implILNS1_25lookback_scan_determinismE0ELb0ELb0ES3_PKS7_PS7_S7_ZZZN2at6native31launch_logcumsumexp_cuda_kernelERKNSE_10TensorBaseESI_lENKUlvE_clEvENKUlvE2_clEvEUlS7_S7_E_S7_EEDaPvRmT3_T4_T5_mT6_P12ihipStream_tbENKUlT_T0_E_clISt17integral_constantIbLb1EESY_IbLb0EEEEDaSU_SV_EUlSU_E0_NS1_11comp_targetILNS1_3genE3ELNS1_11target_archE908ELNS1_3gpuE7ELNS1_3repE0EEENS1_30default_config_static_selectorELNS0_4arch9wavefront6targetE0EEEvT1_
	.p2align	8
	.type	_ZN7rocprim17ROCPRIM_400000_NS6detail17trampoline_kernelINS0_14default_configENS1_20scan_config_selectorIN3c107complexIfEEEEZZNS1_9scan_implILNS1_25lookback_scan_determinismE0ELb0ELb0ES3_PKS7_PS7_S7_ZZZN2at6native31launch_logcumsumexp_cuda_kernelERKNSE_10TensorBaseESI_lENKUlvE_clEvENKUlvE2_clEvEUlS7_S7_E_S7_EEDaPvRmT3_T4_T5_mT6_P12ihipStream_tbENKUlT_T0_E_clISt17integral_constantIbLb1EESY_IbLb0EEEEDaSU_SV_EUlSU_E0_NS1_11comp_targetILNS1_3genE3ELNS1_11target_archE908ELNS1_3gpuE7ELNS1_3repE0EEENS1_30default_config_static_selectorELNS0_4arch9wavefront6targetE0EEEvT1_,@function
_ZN7rocprim17ROCPRIM_400000_NS6detail17trampoline_kernelINS0_14default_configENS1_20scan_config_selectorIN3c107complexIfEEEEZZNS1_9scan_implILNS1_25lookback_scan_determinismE0ELb0ELb0ES3_PKS7_PS7_S7_ZZZN2at6native31launch_logcumsumexp_cuda_kernelERKNSE_10TensorBaseESI_lENKUlvE_clEvENKUlvE2_clEvEUlS7_S7_E_S7_EEDaPvRmT3_T4_T5_mT6_P12ihipStream_tbENKUlT_T0_E_clISt17integral_constantIbLb1EESY_IbLb0EEEEDaSU_SV_EUlSU_E0_NS1_11comp_targetILNS1_3genE3ELNS1_11target_archE908ELNS1_3gpuE7ELNS1_3repE0EEENS1_30default_config_static_selectorELNS0_4arch9wavefront6targetE0EEEvT1_: ; @_ZN7rocprim17ROCPRIM_400000_NS6detail17trampoline_kernelINS0_14default_configENS1_20scan_config_selectorIN3c107complexIfEEEEZZNS1_9scan_implILNS1_25lookback_scan_determinismE0ELb0ELb0ES3_PKS7_PS7_S7_ZZZN2at6native31launch_logcumsumexp_cuda_kernelERKNSE_10TensorBaseESI_lENKUlvE_clEvENKUlvE2_clEvEUlS7_S7_E_S7_EEDaPvRmT3_T4_T5_mT6_P12ihipStream_tbENKUlT_T0_E_clISt17integral_constantIbLb1EESY_IbLb0EEEEDaSU_SV_EUlSU_E0_NS1_11comp_targetILNS1_3genE3ELNS1_11target_archE908ELNS1_3gpuE7ELNS1_3repE0EEENS1_30default_config_static_selectorELNS0_4arch9wavefront6targetE0EEEvT1_
; %bb.0:
	.section	.rodata,"a",@progbits
	.p2align	6, 0x0
	.amdhsa_kernel _ZN7rocprim17ROCPRIM_400000_NS6detail17trampoline_kernelINS0_14default_configENS1_20scan_config_selectorIN3c107complexIfEEEEZZNS1_9scan_implILNS1_25lookback_scan_determinismE0ELb0ELb0ES3_PKS7_PS7_S7_ZZZN2at6native31launch_logcumsumexp_cuda_kernelERKNSE_10TensorBaseESI_lENKUlvE_clEvENKUlvE2_clEvEUlS7_S7_E_S7_EEDaPvRmT3_T4_T5_mT6_P12ihipStream_tbENKUlT_T0_E_clISt17integral_constantIbLb1EESY_IbLb0EEEEDaSU_SV_EUlSU_E0_NS1_11comp_targetILNS1_3genE3ELNS1_11target_archE908ELNS1_3gpuE7ELNS1_3repE0EEENS1_30default_config_static_selectorELNS0_4arch9wavefront6targetE0EEEvT1_
		.amdhsa_group_segment_fixed_size 0
		.amdhsa_private_segment_fixed_size 0
		.amdhsa_kernarg_size 40
		.amdhsa_user_sgpr_count 6
		.amdhsa_user_sgpr_private_segment_buffer 1
		.amdhsa_user_sgpr_dispatch_ptr 0
		.amdhsa_user_sgpr_queue_ptr 0
		.amdhsa_user_sgpr_kernarg_segment_ptr 1
		.amdhsa_user_sgpr_dispatch_id 0
		.amdhsa_user_sgpr_flat_scratch_init 0
		.amdhsa_user_sgpr_private_segment_size 0
		.amdhsa_wavefront_size32 1
		.amdhsa_uses_dynamic_stack 0
		.amdhsa_system_sgpr_private_segment_wavefront_offset 0
		.amdhsa_system_sgpr_workgroup_id_x 1
		.amdhsa_system_sgpr_workgroup_id_y 0
		.amdhsa_system_sgpr_workgroup_id_z 0
		.amdhsa_system_sgpr_workgroup_info 0
		.amdhsa_system_vgpr_workitem_id 0
		.amdhsa_next_free_vgpr 1
		.amdhsa_next_free_sgpr 1
		.amdhsa_reserve_vcc 0
		.amdhsa_reserve_flat_scratch 0
		.amdhsa_float_round_mode_32 0
		.amdhsa_float_round_mode_16_64 0
		.amdhsa_float_denorm_mode_32 3
		.amdhsa_float_denorm_mode_16_64 3
		.amdhsa_dx10_clamp 1
		.amdhsa_ieee_mode 1
		.amdhsa_fp16_overflow 0
		.amdhsa_workgroup_processor_mode 1
		.amdhsa_memory_ordered 1
		.amdhsa_forward_progress 1
		.amdhsa_shared_vgpr_count 0
		.amdhsa_exception_fp_ieee_invalid_op 0
		.amdhsa_exception_fp_denorm_src 0
		.amdhsa_exception_fp_ieee_div_zero 0
		.amdhsa_exception_fp_ieee_overflow 0
		.amdhsa_exception_fp_ieee_underflow 0
		.amdhsa_exception_fp_ieee_inexact 0
		.amdhsa_exception_int_div_zero 0
	.end_amdhsa_kernel
	.section	.text._ZN7rocprim17ROCPRIM_400000_NS6detail17trampoline_kernelINS0_14default_configENS1_20scan_config_selectorIN3c107complexIfEEEEZZNS1_9scan_implILNS1_25lookback_scan_determinismE0ELb0ELb0ES3_PKS7_PS7_S7_ZZZN2at6native31launch_logcumsumexp_cuda_kernelERKNSE_10TensorBaseESI_lENKUlvE_clEvENKUlvE2_clEvEUlS7_S7_E_S7_EEDaPvRmT3_T4_T5_mT6_P12ihipStream_tbENKUlT_T0_E_clISt17integral_constantIbLb1EESY_IbLb0EEEEDaSU_SV_EUlSU_E0_NS1_11comp_targetILNS1_3genE3ELNS1_11target_archE908ELNS1_3gpuE7ELNS1_3repE0EEENS1_30default_config_static_selectorELNS0_4arch9wavefront6targetE0EEEvT1_,"axG",@progbits,_ZN7rocprim17ROCPRIM_400000_NS6detail17trampoline_kernelINS0_14default_configENS1_20scan_config_selectorIN3c107complexIfEEEEZZNS1_9scan_implILNS1_25lookback_scan_determinismE0ELb0ELb0ES3_PKS7_PS7_S7_ZZZN2at6native31launch_logcumsumexp_cuda_kernelERKNSE_10TensorBaseESI_lENKUlvE_clEvENKUlvE2_clEvEUlS7_S7_E_S7_EEDaPvRmT3_T4_T5_mT6_P12ihipStream_tbENKUlT_T0_E_clISt17integral_constantIbLb1EESY_IbLb0EEEEDaSU_SV_EUlSU_E0_NS1_11comp_targetILNS1_3genE3ELNS1_11target_archE908ELNS1_3gpuE7ELNS1_3repE0EEENS1_30default_config_static_selectorELNS0_4arch9wavefront6targetE0EEEvT1_,comdat
.Lfunc_end322:
	.size	_ZN7rocprim17ROCPRIM_400000_NS6detail17trampoline_kernelINS0_14default_configENS1_20scan_config_selectorIN3c107complexIfEEEEZZNS1_9scan_implILNS1_25lookback_scan_determinismE0ELb0ELb0ES3_PKS7_PS7_S7_ZZZN2at6native31launch_logcumsumexp_cuda_kernelERKNSE_10TensorBaseESI_lENKUlvE_clEvENKUlvE2_clEvEUlS7_S7_E_S7_EEDaPvRmT3_T4_T5_mT6_P12ihipStream_tbENKUlT_T0_E_clISt17integral_constantIbLb1EESY_IbLb0EEEEDaSU_SV_EUlSU_E0_NS1_11comp_targetILNS1_3genE3ELNS1_11target_archE908ELNS1_3gpuE7ELNS1_3repE0EEENS1_30default_config_static_selectorELNS0_4arch9wavefront6targetE0EEEvT1_, .Lfunc_end322-_ZN7rocprim17ROCPRIM_400000_NS6detail17trampoline_kernelINS0_14default_configENS1_20scan_config_selectorIN3c107complexIfEEEEZZNS1_9scan_implILNS1_25lookback_scan_determinismE0ELb0ELb0ES3_PKS7_PS7_S7_ZZZN2at6native31launch_logcumsumexp_cuda_kernelERKNSE_10TensorBaseESI_lENKUlvE_clEvENKUlvE2_clEvEUlS7_S7_E_S7_EEDaPvRmT3_T4_T5_mT6_P12ihipStream_tbENKUlT_T0_E_clISt17integral_constantIbLb1EESY_IbLb0EEEEDaSU_SV_EUlSU_E0_NS1_11comp_targetILNS1_3genE3ELNS1_11target_archE908ELNS1_3gpuE7ELNS1_3repE0EEENS1_30default_config_static_selectorELNS0_4arch9wavefront6targetE0EEEvT1_
                                        ; -- End function
	.set _ZN7rocprim17ROCPRIM_400000_NS6detail17trampoline_kernelINS0_14default_configENS1_20scan_config_selectorIN3c107complexIfEEEEZZNS1_9scan_implILNS1_25lookback_scan_determinismE0ELb0ELb0ES3_PKS7_PS7_S7_ZZZN2at6native31launch_logcumsumexp_cuda_kernelERKNSE_10TensorBaseESI_lENKUlvE_clEvENKUlvE2_clEvEUlS7_S7_E_S7_EEDaPvRmT3_T4_T5_mT6_P12ihipStream_tbENKUlT_T0_E_clISt17integral_constantIbLb1EESY_IbLb0EEEEDaSU_SV_EUlSU_E0_NS1_11comp_targetILNS1_3genE3ELNS1_11target_archE908ELNS1_3gpuE7ELNS1_3repE0EEENS1_30default_config_static_selectorELNS0_4arch9wavefront6targetE0EEEvT1_.num_vgpr, 0
	.set _ZN7rocprim17ROCPRIM_400000_NS6detail17trampoline_kernelINS0_14default_configENS1_20scan_config_selectorIN3c107complexIfEEEEZZNS1_9scan_implILNS1_25lookback_scan_determinismE0ELb0ELb0ES3_PKS7_PS7_S7_ZZZN2at6native31launch_logcumsumexp_cuda_kernelERKNSE_10TensorBaseESI_lENKUlvE_clEvENKUlvE2_clEvEUlS7_S7_E_S7_EEDaPvRmT3_T4_T5_mT6_P12ihipStream_tbENKUlT_T0_E_clISt17integral_constantIbLb1EESY_IbLb0EEEEDaSU_SV_EUlSU_E0_NS1_11comp_targetILNS1_3genE3ELNS1_11target_archE908ELNS1_3gpuE7ELNS1_3repE0EEENS1_30default_config_static_selectorELNS0_4arch9wavefront6targetE0EEEvT1_.num_agpr, 0
	.set _ZN7rocprim17ROCPRIM_400000_NS6detail17trampoline_kernelINS0_14default_configENS1_20scan_config_selectorIN3c107complexIfEEEEZZNS1_9scan_implILNS1_25lookback_scan_determinismE0ELb0ELb0ES3_PKS7_PS7_S7_ZZZN2at6native31launch_logcumsumexp_cuda_kernelERKNSE_10TensorBaseESI_lENKUlvE_clEvENKUlvE2_clEvEUlS7_S7_E_S7_EEDaPvRmT3_T4_T5_mT6_P12ihipStream_tbENKUlT_T0_E_clISt17integral_constantIbLb1EESY_IbLb0EEEEDaSU_SV_EUlSU_E0_NS1_11comp_targetILNS1_3genE3ELNS1_11target_archE908ELNS1_3gpuE7ELNS1_3repE0EEENS1_30default_config_static_selectorELNS0_4arch9wavefront6targetE0EEEvT1_.numbered_sgpr, 0
	.set _ZN7rocprim17ROCPRIM_400000_NS6detail17trampoline_kernelINS0_14default_configENS1_20scan_config_selectorIN3c107complexIfEEEEZZNS1_9scan_implILNS1_25lookback_scan_determinismE0ELb0ELb0ES3_PKS7_PS7_S7_ZZZN2at6native31launch_logcumsumexp_cuda_kernelERKNSE_10TensorBaseESI_lENKUlvE_clEvENKUlvE2_clEvEUlS7_S7_E_S7_EEDaPvRmT3_T4_T5_mT6_P12ihipStream_tbENKUlT_T0_E_clISt17integral_constantIbLb1EESY_IbLb0EEEEDaSU_SV_EUlSU_E0_NS1_11comp_targetILNS1_3genE3ELNS1_11target_archE908ELNS1_3gpuE7ELNS1_3repE0EEENS1_30default_config_static_selectorELNS0_4arch9wavefront6targetE0EEEvT1_.num_named_barrier, 0
	.set _ZN7rocprim17ROCPRIM_400000_NS6detail17trampoline_kernelINS0_14default_configENS1_20scan_config_selectorIN3c107complexIfEEEEZZNS1_9scan_implILNS1_25lookback_scan_determinismE0ELb0ELb0ES3_PKS7_PS7_S7_ZZZN2at6native31launch_logcumsumexp_cuda_kernelERKNSE_10TensorBaseESI_lENKUlvE_clEvENKUlvE2_clEvEUlS7_S7_E_S7_EEDaPvRmT3_T4_T5_mT6_P12ihipStream_tbENKUlT_T0_E_clISt17integral_constantIbLb1EESY_IbLb0EEEEDaSU_SV_EUlSU_E0_NS1_11comp_targetILNS1_3genE3ELNS1_11target_archE908ELNS1_3gpuE7ELNS1_3repE0EEENS1_30default_config_static_selectorELNS0_4arch9wavefront6targetE0EEEvT1_.private_seg_size, 0
	.set _ZN7rocprim17ROCPRIM_400000_NS6detail17trampoline_kernelINS0_14default_configENS1_20scan_config_selectorIN3c107complexIfEEEEZZNS1_9scan_implILNS1_25lookback_scan_determinismE0ELb0ELb0ES3_PKS7_PS7_S7_ZZZN2at6native31launch_logcumsumexp_cuda_kernelERKNSE_10TensorBaseESI_lENKUlvE_clEvENKUlvE2_clEvEUlS7_S7_E_S7_EEDaPvRmT3_T4_T5_mT6_P12ihipStream_tbENKUlT_T0_E_clISt17integral_constantIbLb1EESY_IbLb0EEEEDaSU_SV_EUlSU_E0_NS1_11comp_targetILNS1_3genE3ELNS1_11target_archE908ELNS1_3gpuE7ELNS1_3repE0EEENS1_30default_config_static_selectorELNS0_4arch9wavefront6targetE0EEEvT1_.uses_vcc, 0
	.set _ZN7rocprim17ROCPRIM_400000_NS6detail17trampoline_kernelINS0_14default_configENS1_20scan_config_selectorIN3c107complexIfEEEEZZNS1_9scan_implILNS1_25lookback_scan_determinismE0ELb0ELb0ES3_PKS7_PS7_S7_ZZZN2at6native31launch_logcumsumexp_cuda_kernelERKNSE_10TensorBaseESI_lENKUlvE_clEvENKUlvE2_clEvEUlS7_S7_E_S7_EEDaPvRmT3_T4_T5_mT6_P12ihipStream_tbENKUlT_T0_E_clISt17integral_constantIbLb1EESY_IbLb0EEEEDaSU_SV_EUlSU_E0_NS1_11comp_targetILNS1_3genE3ELNS1_11target_archE908ELNS1_3gpuE7ELNS1_3repE0EEENS1_30default_config_static_selectorELNS0_4arch9wavefront6targetE0EEEvT1_.uses_flat_scratch, 0
	.set _ZN7rocprim17ROCPRIM_400000_NS6detail17trampoline_kernelINS0_14default_configENS1_20scan_config_selectorIN3c107complexIfEEEEZZNS1_9scan_implILNS1_25lookback_scan_determinismE0ELb0ELb0ES3_PKS7_PS7_S7_ZZZN2at6native31launch_logcumsumexp_cuda_kernelERKNSE_10TensorBaseESI_lENKUlvE_clEvENKUlvE2_clEvEUlS7_S7_E_S7_EEDaPvRmT3_T4_T5_mT6_P12ihipStream_tbENKUlT_T0_E_clISt17integral_constantIbLb1EESY_IbLb0EEEEDaSU_SV_EUlSU_E0_NS1_11comp_targetILNS1_3genE3ELNS1_11target_archE908ELNS1_3gpuE7ELNS1_3repE0EEENS1_30default_config_static_selectorELNS0_4arch9wavefront6targetE0EEEvT1_.has_dyn_sized_stack, 0
	.set _ZN7rocprim17ROCPRIM_400000_NS6detail17trampoline_kernelINS0_14default_configENS1_20scan_config_selectorIN3c107complexIfEEEEZZNS1_9scan_implILNS1_25lookback_scan_determinismE0ELb0ELb0ES3_PKS7_PS7_S7_ZZZN2at6native31launch_logcumsumexp_cuda_kernelERKNSE_10TensorBaseESI_lENKUlvE_clEvENKUlvE2_clEvEUlS7_S7_E_S7_EEDaPvRmT3_T4_T5_mT6_P12ihipStream_tbENKUlT_T0_E_clISt17integral_constantIbLb1EESY_IbLb0EEEEDaSU_SV_EUlSU_E0_NS1_11comp_targetILNS1_3genE3ELNS1_11target_archE908ELNS1_3gpuE7ELNS1_3repE0EEENS1_30default_config_static_selectorELNS0_4arch9wavefront6targetE0EEEvT1_.has_recursion, 0
	.set _ZN7rocprim17ROCPRIM_400000_NS6detail17trampoline_kernelINS0_14default_configENS1_20scan_config_selectorIN3c107complexIfEEEEZZNS1_9scan_implILNS1_25lookback_scan_determinismE0ELb0ELb0ES3_PKS7_PS7_S7_ZZZN2at6native31launch_logcumsumexp_cuda_kernelERKNSE_10TensorBaseESI_lENKUlvE_clEvENKUlvE2_clEvEUlS7_S7_E_S7_EEDaPvRmT3_T4_T5_mT6_P12ihipStream_tbENKUlT_T0_E_clISt17integral_constantIbLb1EESY_IbLb0EEEEDaSU_SV_EUlSU_E0_NS1_11comp_targetILNS1_3genE3ELNS1_11target_archE908ELNS1_3gpuE7ELNS1_3repE0EEENS1_30default_config_static_selectorELNS0_4arch9wavefront6targetE0EEEvT1_.has_indirect_call, 0
	.section	.AMDGPU.csdata,"",@progbits
; Kernel info:
; codeLenInByte = 0
; TotalNumSgprs: 0
; NumVgprs: 0
; ScratchSize: 0
; MemoryBound: 0
; FloatMode: 240
; IeeeMode: 1
; LDSByteSize: 0 bytes/workgroup (compile time only)
; SGPRBlocks: 0
; VGPRBlocks: 0
; NumSGPRsForWavesPerEU: 1
; NumVGPRsForWavesPerEU: 1
; Occupancy: 16
; WaveLimiterHint : 0
; COMPUTE_PGM_RSRC2:SCRATCH_EN: 0
; COMPUTE_PGM_RSRC2:USER_SGPR: 6
; COMPUTE_PGM_RSRC2:TRAP_HANDLER: 0
; COMPUTE_PGM_RSRC2:TGID_X_EN: 1
; COMPUTE_PGM_RSRC2:TGID_Y_EN: 0
; COMPUTE_PGM_RSRC2:TGID_Z_EN: 0
; COMPUTE_PGM_RSRC2:TIDIG_COMP_CNT: 0
	.section	.text._ZN7rocprim17ROCPRIM_400000_NS6detail17trampoline_kernelINS0_14default_configENS1_20scan_config_selectorIN3c107complexIfEEEEZZNS1_9scan_implILNS1_25lookback_scan_determinismE0ELb0ELb0ES3_PKS7_PS7_S7_ZZZN2at6native31launch_logcumsumexp_cuda_kernelERKNSE_10TensorBaseESI_lENKUlvE_clEvENKUlvE2_clEvEUlS7_S7_E_S7_EEDaPvRmT3_T4_T5_mT6_P12ihipStream_tbENKUlT_T0_E_clISt17integral_constantIbLb1EESY_IbLb0EEEEDaSU_SV_EUlSU_E0_NS1_11comp_targetILNS1_3genE2ELNS1_11target_archE906ELNS1_3gpuE6ELNS1_3repE0EEENS1_30default_config_static_selectorELNS0_4arch9wavefront6targetE0EEEvT1_,"axG",@progbits,_ZN7rocprim17ROCPRIM_400000_NS6detail17trampoline_kernelINS0_14default_configENS1_20scan_config_selectorIN3c107complexIfEEEEZZNS1_9scan_implILNS1_25lookback_scan_determinismE0ELb0ELb0ES3_PKS7_PS7_S7_ZZZN2at6native31launch_logcumsumexp_cuda_kernelERKNSE_10TensorBaseESI_lENKUlvE_clEvENKUlvE2_clEvEUlS7_S7_E_S7_EEDaPvRmT3_T4_T5_mT6_P12ihipStream_tbENKUlT_T0_E_clISt17integral_constantIbLb1EESY_IbLb0EEEEDaSU_SV_EUlSU_E0_NS1_11comp_targetILNS1_3genE2ELNS1_11target_archE906ELNS1_3gpuE6ELNS1_3repE0EEENS1_30default_config_static_selectorELNS0_4arch9wavefront6targetE0EEEvT1_,comdat
	.globl	_ZN7rocprim17ROCPRIM_400000_NS6detail17trampoline_kernelINS0_14default_configENS1_20scan_config_selectorIN3c107complexIfEEEEZZNS1_9scan_implILNS1_25lookback_scan_determinismE0ELb0ELb0ES3_PKS7_PS7_S7_ZZZN2at6native31launch_logcumsumexp_cuda_kernelERKNSE_10TensorBaseESI_lENKUlvE_clEvENKUlvE2_clEvEUlS7_S7_E_S7_EEDaPvRmT3_T4_T5_mT6_P12ihipStream_tbENKUlT_T0_E_clISt17integral_constantIbLb1EESY_IbLb0EEEEDaSU_SV_EUlSU_E0_NS1_11comp_targetILNS1_3genE2ELNS1_11target_archE906ELNS1_3gpuE6ELNS1_3repE0EEENS1_30default_config_static_selectorELNS0_4arch9wavefront6targetE0EEEvT1_ ; -- Begin function _ZN7rocprim17ROCPRIM_400000_NS6detail17trampoline_kernelINS0_14default_configENS1_20scan_config_selectorIN3c107complexIfEEEEZZNS1_9scan_implILNS1_25lookback_scan_determinismE0ELb0ELb0ES3_PKS7_PS7_S7_ZZZN2at6native31launch_logcumsumexp_cuda_kernelERKNSE_10TensorBaseESI_lENKUlvE_clEvENKUlvE2_clEvEUlS7_S7_E_S7_EEDaPvRmT3_T4_T5_mT6_P12ihipStream_tbENKUlT_T0_E_clISt17integral_constantIbLb1EESY_IbLb0EEEEDaSU_SV_EUlSU_E0_NS1_11comp_targetILNS1_3genE2ELNS1_11target_archE906ELNS1_3gpuE6ELNS1_3repE0EEENS1_30default_config_static_selectorELNS0_4arch9wavefront6targetE0EEEvT1_
	.p2align	8
	.type	_ZN7rocprim17ROCPRIM_400000_NS6detail17trampoline_kernelINS0_14default_configENS1_20scan_config_selectorIN3c107complexIfEEEEZZNS1_9scan_implILNS1_25lookback_scan_determinismE0ELb0ELb0ES3_PKS7_PS7_S7_ZZZN2at6native31launch_logcumsumexp_cuda_kernelERKNSE_10TensorBaseESI_lENKUlvE_clEvENKUlvE2_clEvEUlS7_S7_E_S7_EEDaPvRmT3_T4_T5_mT6_P12ihipStream_tbENKUlT_T0_E_clISt17integral_constantIbLb1EESY_IbLb0EEEEDaSU_SV_EUlSU_E0_NS1_11comp_targetILNS1_3genE2ELNS1_11target_archE906ELNS1_3gpuE6ELNS1_3repE0EEENS1_30default_config_static_selectorELNS0_4arch9wavefront6targetE0EEEvT1_,@function
_ZN7rocprim17ROCPRIM_400000_NS6detail17trampoline_kernelINS0_14default_configENS1_20scan_config_selectorIN3c107complexIfEEEEZZNS1_9scan_implILNS1_25lookback_scan_determinismE0ELb0ELb0ES3_PKS7_PS7_S7_ZZZN2at6native31launch_logcumsumexp_cuda_kernelERKNSE_10TensorBaseESI_lENKUlvE_clEvENKUlvE2_clEvEUlS7_S7_E_S7_EEDaPvRmT3_T4_T5_mT6_P12ihipStream_tbENKUlT_T0_E_clISt17integral_constantIbLb1EESY_IbLb0EEEEDaSU_SV_EUlSU_E0_NS1_11comp_targetILNS1_3genE2ELNS1_11target_archE906ELNS1_3gpuE6ELNS1_3repE0EEENS1_30default_config_static_selectorELNS0_4arch9wavefront6targetE0EEEvT1_: ; @_ZN7rocprim17ROCPRIM_400000_NS6detail17trampoline_kernelINS0_14default_configENS1_20scan_config_selectorIN3c107complexIfEEEEZZNS1_9scan_implILNS1_25lookback_scan_determinismE0ELb0ELb0ES3_PKS7_PS7_S7_ZZZN2at6native31launch_logcumsumexp_cuda_kernelERKNSE_10TensorBaseESI_lENKUlvE_clEvENKUlvE2_clEvEUlS7_S7_E_S7_EEDaPvRmT3_T4_T5_mT6_P12ihipStream_tbENKUlT_T0_E_clISt17integral_constantIbLb1EESY_IbLb0EEEEDaSU_SV_EUlSU_E0_NS1_11comp_targetILNS1_3genE2ELNS1_11target_archE906ELNS1_3gpuE6ELNS1_3repE0EEENS1_30default_config_static_selectorELNS0_4arch9wavefront6targetE0EEEvT1_
; %bb.0:
	.section	.rodata,"a",@progbits
	.p2align	6, 0x0
	.amdhsa_kernel _ZN7rocprim17ROCPRIM_400000_NS6detail17trampoline_kernelINS0_14default_configENS1_20scan_config_selectorIN3c107complexIfEEEEZZNS1_9scan_implILNS1_25lookback_scan_determinismE0ELb0ELb0ES3_PKS7_PS7_S7_ZZZN2at6native31launch_logcumsumexp_cuda_kernelERKNSE_10TensorBaseESI_lENKUlvE_clEvENKUlvE2_clEvEUlS7_S7_E_S7_EEDaPvRmT3_T4_T5_mT6_P12ihipStream_tbENKUlT_T0_E_clISt17integral_constantIbLb1EESY_IbLb0EEEEDaSU_SV_EUlSU_E0_NS1_11comp_targetILNS1_3genE2ELNS1_11target_archE906ELNS1_3gpuE6ELNS1_3repE0EEENS1_30default_config_static_selectorELNS0_4arch9wavefront6targetE0EEEvT1_
		.amdhsa_group_segment_fixed_size 0
		.amdhsa_private_segment_fixed_size 0
		.amdhsa_kernarg_size 40
		.amdhsa_user_sgpr_count 6
		.amdhsa_user_sgpr_private_segment_buffer 1
		.amdhsa_user_sgpr_dispatch_ptr 0
		.amdhsa_user_sgpr_queue_ptr 0
		.amdhsa_user_sgpr_kernarg_segment_ptr 1
		.amdhsa_user_sgpr_dispatch_id 0
		.amdhsa_user_sgpr_flat_scratch_init 0
		.amdhsa_user_sgpr_private_segment_size 0
		.amdhsa_wavefront_size32 1
		.amdhsa_uses_dynamic_stack 0
		.amdhsa_system_sgpr_private_segment_wavefront_offset 0
		.amdhsa_system_sgpr_workgroup_id_x 1
		.amdhsa_system_sgpr_workgroup_id_y 0
		.amdhsa_system_sgpr_workgroup_id_z 0
		.amdhsa_system_sgpr_workgroup_info 0
		.amdhsa_system_vgpr_workitem_id 0
		.amdhsa_next_free_vgpr 1
		.amdhsa_next_free_sgpr 1
		.amdhsa_reserve_vcc 0
		.amdhsa_reserve_flat_scratch 0
		.amdhsa_float_round_mode_32 0
		.amdhsa_float_round_mode_16_64 0
		.amdhsa_float_denorm_mode_32 3
		.amdhsa_float_denorm_mode_16_64 3
		.amdhsa_dx10_clamp 1
		.amdhsa_ieee_mode 1
		.amdhsa_fp16_overflow 0
		.amdhsa_workgroup_processor_mode 1
		.amdhsa_memory_ordered 1
		.amdhsa_forward_progress 1
		.amdhsa_shared_vgpr_count 0
		.amdhsa_exception_fp_ieee_invalid_op 0
		.amdhsa_exception_fp_denorm_src 0
		.amdhsa_exception_fp_ieee_div_zero 0
		.amdhsa_exception_fp_ieee_overflow 0
		.amdhsa_exception_fp_ieee_underflow 0
		.amdhsa_exception_fp_ieee_inexact 0
		.amdhsa_exception_int_div_zero 0
	.end_amdhsa_kernel
	.section	.text._ZN7rocprim17ROCPRIM_400000_NS6detail17trampoline_kernelINS0_14default_configENS1_20scan_config_selectorIN3c107complexIfEEEEZZNS1_9scan_implILNS1_25lookback_scan_determinismE0ELb0ELb0ES3_PKS7_PS7_S7_ZZZN2at6native31launch_logcumsumexp_cuda_kernelERKNSE_10TensorBaseESI_lENKUlvE_clEvENKUlvE2_clEvEUlS7_S7_E_S7_EEDaPvRmT3_T4_T5_mT6_P12ihipStream_tbENKUlT_T0_E_clISt17integral_constantIbLb1EESY_IbLb0EEEEDaSU_SV_EUlSU_E0_NS1_11comp_targetILNS1_3genE2ELNS1_11target_archE906ELNS1_3gpuE6ELNS1_3repE0EEENS1_30default_config_static_selectorELNS0_4arch9wavefront6targetE0EEEvT1_,"axG",@progbits,_ZN7rocprim17ROCPRIM_400000_NS6detail17trampoline_kernelINS0_14default_configENS1_20scan_config_selectorIN3c107complexIfEEEEZZNS1_9scan_implILNS1_25lookback_scan_determinismE0ELb0ELb0ES3_PKS7_PS7_S7_ZZZN2at6native31launch_logcumsumexp_cuda_kernelERKNSE_10TensorBaseESI_lENKUlvE_clEvENKUlvE2_clEvEUlS7_S7_E_S7_EEDaPvRmT3_T4_T5_mT6_P12ihipStream_tbENKUlT_T0_E_clISt17integral_constantIbLb1EESY_IbLb0EEEEDaSU_SV_EUlSU_E0_NS1_11comp_targetILNS1_3genE2ELNS1_11target_archE906ELNS1_3gpuE6ELNS1_3repE0EEENS1_30default_config_static_selectorELNS0_4arch9wavefront6targetE0EEEvT1_,comdat
.Lfunc_end323:
	.size	_ZN7rocprim17ROCPRIM_400000_NS6detail17trampoline_kernelINS0_14default_configENS1_20scan_config_selectorIN3c107complexIfEEEEZZNS1_9scan_implILNS1_25lookback_scan_determinismE0ELb0ELb0ES3_PKS7_PS7_S7_ZZZN2at6native31launch_logcumsumexp_cuda_kernelERKNSE_10TensorBaseESI_lENKUlvE_clEvENKUlvE2_clEvEUlS7_S7_E_S7_EEDaPvRmT3_T4_T5_mT6_P12ihipStream_tbENKUlT_T0_E_clISt17integral_constantIbLb1EESY_IbLb0EEEEDaSU_SV_EUlSU_E0_NS1_11comp_targetILNS1_3genE2ELNS1_11target_archE906ELNS1_3gpuE6ELNS1_3repE0EEENS1_30default_config_static_selectorELNS0_4arch9wavefront6targetE0EEEvT1_, .Lfunc_end323-_ZN7rocprim17ROCPRIM_400000_NS6detail17trampoline_kernelINS0_14default_configENS1_20scan_config_selectorIN3c107complexIfEEEEZZNS1_9scan_implILNS1_25lookback_scan_determinismE0ELb0ELb0ES3_PKS7_PS7_S7_ZZZN2at6native31launch_logcumsumexp_cuda_kernelERKNSE_10TensorBaseESI_lENKUlvE_clEvENKUlvE2_clEvEUlS7_S7_E_S7_EEDaPvRmT3_T4_T5_mT6_P12ihipStream_tbENKUlT_T0_E_clISt17integral_constantIbLb1EESY_IbLb0EEEEDaSU_SV_EUlSU_E0_NS1_11comp_targetILNS1_3genE2ELNS1_11target_archE906ELNS1_3gpuE6ELNS1_3repE0EEENS1_30default_config_static_selectorELNS0_4arch9wavefront6targetE0EEEvT1_
                                        ; -- End function
	.set _ZN7rocprim17ROCPRIM_400000_NS6detail17trampoline_kernelINS0_14default_configENS1_20scan_config_selectorIN3c107complexIfEEEEZZNS1_9scan_implILNS1_25lookback_scan_determinismE0ELb0ELb0ES3_PKS7_PS7_S7_ZZZN2at6native31launch_logcumsumexp_cuda_kernelERKNSE_10TensorBaseESI_lENKUlvE_clEvENKUlvE2_clEvEUlS7_S7_E_S7_EEDaPvRmT3_T4_T5_mT6_P12ihipStream_tbENKUlT_T0_E_clISt17integral_constantIbLb1EESY_IbLb0EEEEDaSU_SV_EUlSU_E0_NS1_11comp_targetILNS1_3genE2ELNS1_11target_archE906ELNS1_3gpuE6ELNS1_3repE0EEENS1_30default_config_static_selectorELNS0_4arch9wavefront6targetE0EEEvT1_.num_vgpr, 0
	.set _ZN7rocprim17ROCPRIM_400000_NS6detail17trampoline_kernelINS0_14default_configENS1_20scan_config_selectorIN3c107complexIfEEEEZZNS1_9scan_implILNS1_25lookback_scan_determinismE0ELb0ELb0ES3_PKS7_PS7_S7_ZZZN2at6native31launch_logcumsumexp_cuda_kernelERKNSE_10TensorBaseESI_lENKUlvE_clEvENKUlvE2_clEvEUlS7_S7_E_S7_EEDaPvRmT3_T4_T5_mT6_P12ihipStream_tbENKUlT_T0_E_clISt17integral_constantIbLb1EESY_IbLb0EEEEDaSU_SV_EUlSU_E0_NS1_11comp_targetILNS1_3genE2ELNS1_11target_archE906ELNS1_3gpuE6ELNS1_3repE0EEENS1_30default_config_static_selectorELNS0_4arch9wavefront6targetE0EEEvT1_.num_agpr, 0
	.set _ZN7rocprim17ROCPRIM_400000_NS6detail17trampoline_kernelINS0_14default_configENS1_20scan_config_selectorIN3c107complexIfEEEEZZNS1_9scan_implILNS1_25lookback_scan_determinismE0ELb0ELb0ES3_PKS7_PS7_S7_ZZZN2at6native31launch_logcumsumexp_cuda_kernelERKNSE_10TensorBaseESI_lENKUlvE_clEvENKUlvE2_clEvEUlS7_S7_E_S7_EEDaPvRmT3_T4_T5_mT6_P12ihipStream_tbENKUlT_T0_E_clISt17integral_constantIbLb1EESY_IbLb0EEEEDaSU_SV_EUlSU_E0_NS1_11comp_targetILNS1_3genE2ELNS1_11target_archE906ELNS1_3gpuE6ELNS1_3repE0EEENS1_30default_config_static_selectorELNS0_4arch9wavefront6targetE0EEEvT1_.numbered_sgpr, 0
	.set _ZN7rocprim17ROCPRIM_400000_NS6detail17trampoline_kernelINS0_14default_configENS1_20scan_config_selectorIN3c107complexIfEEEEZZNS1_9scan_implILNS1_25lookback_scan_determinismE0ELb0ELb0ES3_PKS7_PS7_S7_ZZZN2at6native31launch_logcumsumexp_cuda_kernelERKNSE_10TensorBaseESI_lENKUlvE_clEvENKUlvE2_clEvEUlS7_S7_E_S7_EEDaPvRmT3_T4_T5_mT6_P12ihipStream_tbENKUlT_T0_E_clISt17integral_constantIbLb1EESY_IbLb0EEEEDaSU_SV_EUlSU_E0_NS1_11comp_targetILNS1_3genE2ELNS1_11target_archE906ELNS1_3gpuE6ELNS1_3repE0EEENS1_30default_config_static_selectorELNS0_4arch9wavefront6targetE0EEEvT1_.num_named_barrier, 0
	.set _ZN7rocprim17ROCPRIM_400000_NS6detail17trampoline_kernelINS0_14default_configENS1_20scan_config_selectorIN3c107complexIfEEEEZZNS1_9scan_implILNS1_25lookback_scan_determinismE0ELb0ELb0ES3_PKS7_PS7_S7_ZZZN2at6native31launch_logcumsumexp_cuda_kernelERKNSE_10TensorBaseESI_lENKUlvE_clEvENKUlvE2_clEvEUlS7_S7_E_S7_EEDaPvRmT3_T4_T5_mT6_P12ihipStream_tbENKUlT_T0_E_clISt17integral_constantIbLb1EESY_IbLb0EEEEDaSU_SV_EUlSU_E0_NS1_11comp_targetILNS1_3genE2ELNS1_11target_archE906ELNS1_3gpuE6ELNS1_3repE0EEENS1_30default_config_static_selectorELNS0_4arch9wavefront6targetE0EEEvT1_.private_seg_size, 0
	.set _ZN7rocprim17ROCPRIM_400000_NS6detail17trampoline_kernelINS0_14default_configENS1_20scan_config_selectorIN3c107complexIfEEEEZZNS1_9scan_implILNS1_25lookback_scan_determinismE0ELb0ELb0ES3_PKS7_PS7_S7_ZZZN2at6native31launch_logcumsumexp_cuda_kernelERKNSE_10TensorBaseESI_lENKUlvE_clEvENKUlvE2_clEvEUlS7_S7_E_S7_EEDaPvRmT3_T4_T5_mT6_P12ihipStream_tbENKUlT_T0_E_clISt17integral_constantIbLb1EESY_IbLb0EEEEDaSU_SV_EUlSU_E0_NS1_11comp_targetILNS1_3genE2ELNS1_11target_archE906ELNS1_3gpuE6ELNS1_3repE0EEENS1_30default_config_static_selectorELNS0_4arch9wavefront6targetE0EEEvT1_.uses_vcc, 0
	.set _ZN7rocprim17ROCPRIM_400000_NS6detail17trampoline_kernelINS0_14default_configENS1_20scan_config_selectorIN3c107complexIfEEEEZZNS1_9scan_implILNS1_25lookback_scan_determinismE0ELb0ELb0ES3_PKS7_PS7_S7_ZZZN2at6native31launch_logcumsumexp_cuda_kernelERKNSE_10TensorBaseESI_lENKUlvE_clEvENKUlvE2_clEvEUlS7_S7_E_S7_EEDaPvRmT3_T4_T5_mT6_P12ihipStream_tbENKUlT_T0_E_clISt17integral_constantIbLb1EESY_IbLb0EEEEDaSU_SV_EUlSU_E0_NS1_11comp_targetILNS1_3genE2ELNS1_11target_archE906ELNS1_3gpuE6ELNS1_3repE0EEENS1_30default_config_static_selectorELNS0_4arch9wavefront6targetE0EEEvT1_.uses_flat_scratch, 0
	.set _ZN7rocprim17ROCPRIM_400000_NS6detail17trampoline_kernelINS0_14default_configENS1_20scan_config_selectorIN3c107complexIfEEEEZZNS1_9scan_implILNS1_25lookback_scan_determinismE0ELb0ELb0ES3_PKS7_PS7_S7_ZZZN2at6native31launch_logcumsumexp_cuda_kernelERKNSE_10TensorBaseESI_lENKUlvE_clEvENKUlvE2_clEvEUlS7_S7_E_S7_EEDaPvRmT3_T4_T5_mT6_P12ihipStream_tbENKUlT_T0_E_clISt17integral_constantIbLb1EESY_IbLb0EEEEDaSU_SV_EUlSU_E0_NS1_11comp_targetILNS1_3genE2ELNS1_11target_archE906ELNS1_3gpuE6ELNS1_3repE0EEENS1_30default_config_static_selectorELNS0_4arch9wavefront6targetE0EEEvT1_.has_dyn_sized_stack, 0
	.set _ZN7rocprim17ROCPRIM_400000_NS6detail17trampoline_kernelINS0_14default_configENS1_20scan_config_selectorIN3c107complexIfEEEEZZNS1_9scan_implILNS1_25lookback_scan_determinismE0ELb0ELb0ES3_PKS7_PS7_S7_ZZZN2at6native31launch_logcumsumexp_cuda_kernelERKNSE_10TensorBaseESI_lENKUlvE_clEvENKUlvE2_clEvEUlS7_S7_E_S7_EEDaPvRmT3_T4_T5_mT6_P12ihipStream_tbENKUlT_T0_E_clISt17integral_constantIbLb1EESY_IbLb0EEEEDaSU_SV_EUlSU_E0_NS1_11comp_targetILNS1_3genE2ELNS1_11target_archE906ELNS1_3gpuE6ELNS1_3repE0EEENS1_30default_config_static_selectorELNS0_4arch9wavefront6targetE0EEEvT1_.has_recursion, 0
	.set _ZN7rocprim17ROCPRIM_400000_NS6detail17trampoline_kernelINS0_14default_configENS1_20scan_config_selectorIN3c107complexIfEEEEZZNS1_9scan_implILNS1_25lookback_scan_determinismE0ELb0ELb0ES3_PKS7_PS7_S7_ZZZN2at6native31launch_logcumsumexp_cuda_kernelERKNSE_10TensorBaseESI_lENKUlvE_clEvENKUlvE2_clEvEUlS7_S7_E_S7_EEDaPvRmT3_T4_T5_mT6_P12ihipStream_tbENKUlT_T0_E_clISt17integral_constantIbLb1EESY_IbLb0EEEEDaSU_SV_EUlSU_E0_NS1_11comp_targetILNS1_3genE2ELNS1_11target_archE906ELNS1_3gpuE6ELNS1_3repE0EEENS1_30default_config_static_selectorELNS0_4arch9wavefront6targetE0EEEvT1_.has_indirect_call, 0
	.section	.AMDGPU.csdata,"",@progbits
; Kernel info:
; codeLenInByte = 0
; TotalNumSgprs: 0
; NumVgprs: 0
; ScratchSize: 0
; MemoryBound: 0
; FloatMode: 240
; IeeeMode: 1
; LDSByteSize: 0 bytes/workgroup (compile time only)
; SGPRBlocks: 0
; VGPRBlocks: 0
; NumSGPRsForWavesPerEU: 1
; NumVGPRsForWavesPerEU: 1
; Occupancy: 16
; WaveLimiterHint : 0
; COMPUTE_PGM_RSRC2:SCRATCH_EN: 0
; COMPUTE_PGM_RSRC2:USER_SGPR: 6
; COMPUTE_PGM_RSRC2:TRAP_HANDLER: 0
; COMPUTE_PGM_RSRC2:TGID_X_EN: 1
; COMPUTE_PGM_RSRC2:TGID_Y_EN: 0
; COMPUTE_PGM_RSRC2:TGID_Z_EN: 0
; COMPUTE_PGM_RSRC2:TIDIG_COMP_CNT: 0
	.section	.text._ZN7rocprim17ROCPRIM_400000_NS6detail17trampoline_kernelINS0_14default_configENS1_20scan_config_selectorIN3c107complexIfEEEEZZNS1_9scan_implILNS1_25lookback_scan_determinismE0ELb0ELb0ES3_PKS7_PS7_S7_ZZZN2at6native31launch_logcumsumexp_cuda_kernelERKNSE_10TensorBaseESI_lENKUlvE_clEvENKUlvE2_clEvEUlS7_S7_E_S7_EEDaPvRmT3_T4_T5_mT6_P12ihipStream_tbENKUlT_T0_E_clISt17integral_constantIbLb1EESY_IbLb0EEEEDaSU_SV_EUlSU_E0_NS1_11comp_targetILNS1_3genE10ELNS1_11target_archE1201ELNS1_3gpuE5ELNS1_3repE0EEENS1_30default_config_static_selectorELNS0_4arch9wavefront6targetE0EEEvT1_,"axG",@progbits,_ZN7rocprim17ROCPRIM_400000_NS6detail17trampoline_kernelINS0_14default_configENS1_20scan_config_selectorIN3c107complexIfEEEEZZNS1_9scan_implILNS1_25lookback_scan_determinismE0ELb0ELb0ES3_PKS7_PS7_S7_ZZZN2at6native31launch_logcumsumexp_cuda_kernelERKNSE_10TensorBaseESI_lENKUlvE_clEvENKUlvE2_clEvEUlS7_S7_E_S7_EEDaPvRmT3_T4_T5_mT6_P12ihipStream_tbENKUlT_T0_E_clISt17integral_constantIbLb1EESY_IbLb0EEEEDaSU_SV_EUlSU_E0_NS1_11comp_targetILNS1_3genE10ELNS1_11target_archE1201ELNS1_3gpuE5ELNS1_3repE0EEENS1_30default_config_static_selectorELNS0_4arch9wavefront6targetE0EEEvT1_,comdat
	.globl	_ZN7rocprim17ROCPRIM_400000_NS6detail17trampoline_kernelINS0_14default_configENS1_20scan_config_selectorIN3c107complexIfEEEEZZNS1_9scan_implILNS1_25lookback_scan_determinismE0ELb0ELb0ES3_PKS7_PS7_S7_ZZZN2at6native31launch_logcumsumexp_cuda_kernelERKNSE_10TensorBaseESI_lENKUlvE_clEvENKUlvE2_clEvEUlS7_S7_E_S7_EEDaPvRmT3_T4_T5_mT6_P12ihipStream_tbENKUlT_T0_E_clISt17integral_constantIbLb1EESY_IbLb0EEEEDaSU_SV_EUlSU_E0_NS1_11comp_targetILNS1_3genE10ELNS1_11target_archE1201ELNS1_3gpuE5ELNS1_3repE0EEENS1_30default_config_static_selectorELNS0_4arch9wavefront6targetE0EEEvT1_ ; -- Begin function _ZN7rocprim17ROCPRIM_400000_NS6detail17trampoline_kernelINS0_14default_configENS1_20scan_config_selectorIN3c107complexIfEEEEZZNS1_9scan_implILNS1_25lookback_scan_determinismE0ELb0ELb0ES3_PKS7_PS7_S7_ZZZN2at6native31launch_logcumsumexp_cuda_kernelERKNSE_10TensorBaseESI_lENKUlvE_clEvENKUlvE2_clEvEUlS7_S7_E_S7_EEDaPvRmT3_T4_T5_mT6_P12ihipStream_tbENKUlT_T0_E_clISt17integral_constantIbLb1EESY_IbLb0EEEEDaSU_SV_EUlSU_E0_NS1_11comp_targetILNS1_3genE10ELNS1_11target_archE1201ELNS1_3gpuE5ELNS1_3repE0EEENS1_30default_config_static_selectorELNS0_4arch9wavefront6targetE0EEEvT1_
	.p2align	8
	.type	_ZN7rocprim17ROCPRIM_400000_NS6detail17trampoline_kernelINS0_14default_configENS1_20scan_config_selectorIN3c107complexIfEEEEZZNS1_9scan_implILNS1_25lookback_scan_determinismE0ELb0ELb0ES3_PKS7_PS7_S7_ZZZN2at6native31launch_logcumsumexp_cuda_kernelERKNSE_10TensorBaseESI_lENKUlvE_clEvENKUlvE2_clEvEUlS7_S7_E_S7_EEDaPvRmT3_T4_T5_mT6_P12ihipStream_tbENKUlT_T0_E_clISt17integral_constantIbLb1EESY_IbLb0EEEEDaSU_SV_EUlSU_E0_NS1_11comp_targetILNS1_3genE10ELNS1_11target_archE1201ELNS1_3gpuE5ELNS1_3repE0EEENS1_30default_config_static_selectorELNS0_4arch9wavefront6targetE0EEEvT1_,@function
_ZN7rocprim17ROCPRIM_400000_NS6detail17trampoline_kernelINS0_14default_configENS1_20scan_config_selectorIN3c107complexIfEEEEZZNS1_9scan_implILNS1_25lookback_scan_determinismE0ELb0ELb0ES3_PKS7_PS7_S7_ZZZN2at6native31launch_logcumsumexp_cuda_kernelERKNSE_10TensorBaseESI_lENKUlvE_clEvENKUlvE2_clEvEUlS7_S7_E_S7_EEDaPvRmT3_T4_T5_mT6_P12ihipStream_tbENKUlT_T0_E_clISt17integral_constantIbLb1EESY_IbLb0EEEEDaSU_SV_EUlSU_E0_NS1_11comp_targetILNS1_3genE10ELNS1_11target_archE1201ELNS1_3gpuE5ELNS1_3repE0EEENS1_30default_config_static_selectorELNS0_4arch9wavefront6targetE0EEEvT1_: ; @_ZN7rocprim17ROCPRIM_400000_NS6detail17trampoline_kernelINS0_14default_configENS1_20scan_config_selectorIN3c107complexIfEEEEZZNS1_9scan_implILNS1_25lookback_scan_determinismE0ELb0ELb0ES3_PKS7_PS7_S7_ZZZN2at6native31launch_logcumsumexp_cuda_kernelERKNSE_10TensorBaseESI_lENKUlvE_clEvENKUlvE2_clEvEUlS7_S7_E_S7_EEDaPvRmT3_T4_T5_mT6_P12ihipStream_tbENKUlT_T0_E_clISt17integral_constantIbLb1EESY_IbLb0EEEEDaSU_SV_EUlSU_E0_NS1_11comp_targetILNS1_3genE10ELNS1_11target_archE1201ELNS1_3gpuE5ELNS1_3repE0EEENS1_30default_config_static_selectorELNS0_4arch9wavefront6targetE0EEEvT1_
; %bb.0:
	.section	.rodata,"a",@progbits
	.p2align	6, 0x0
	.amdhsa_kernel _ZN7rocprim17ROCPRIM_400000_NS6detail17trampoline_kernelINS0_14default_configENS1_20scan_config_selectorIN3c107complexIfEEEEZZNS1_9scan_implILNS1_25lookback_scan_determinismE0ELb0ELb0ES3_PKS7_PS7_S7_ZZZN2at6native31launch_logcumsumexp_cuda_kernelERKNSE_10TensorBaseESI_lENKUlvE_clEvENKUlvE2_clEvEUlS7_S7_E_S7_EEDaPvRmT3_T4_T5_mT6_P12ihipStream_tbENKUlT_T0_E_clISt17integral_constantIbLb1EESY_IbLb0EEEEDaSU_SV_EUlSU_E0_NS1_11comp_targetILNS1_3genE10ELNS1_11target_archE1201ELNS1_3gpuE5ELNS1_3repE0EEENS1_30default_config_static_selectorELNS0_4arch9wavefront6targetE0EEEvT1_
		.amdhsa_group_segment_fixed_size 0
		.amdhsa_private_segment_fixed_size 0
		.amdhsa_kernarg_size 40
		.amdhsa_user_sgpr_count 6
		.amdhsa_user_sgpr_private_segment_buffer 1
		.amdhsa_user_sgpr_dispatch_ptr 0
		.amdhsa_user_sgpr_queue_ptr 0
		.amdhsa_user_sgpr_kernarg_segment_ptr 1
		.amdhsa_user_sgpr_dispatch_id 0
		.amdhsa_user_sgpr_flat_scratch_init 0
		.amdhsa_user_sgpr_private_segment_size 0
		.amdhsa_wavefront_size32 1
		.amdhsa_uses_dynamic_stack 0
		.amdhsa_system_sgpr_private_segment_wavefront_offset 0
		.amdhsa_system_sgpr_workgroup_id_x 1
		.amdhsa_system_sgpr_workgroup_id_y 0
		.amdhsa_system_sgpr_workgroup_id_z 0
		.amdhsa_system_sgpr_workgroup_info 0
		.amdhsa_system_vgpr_workitem_id 0
		.amdhsa_next_free_vgpr 1
		.amdhsa_next_free_sgpr 1
		.amdhsa_reserve_vcc 0
		.amdhsa_reserve_flat_scratch 0
		.amdhsa_float_round_mode_32 0
		.amdhsa_float_round_mode_16_64 0
		.amdhsa_float_denorm_mode_32 3
		.amdhsa_float_denorm_mode_16_64 3
		.amdhsa_dx10_clamp 1
		.amdhsa_ieee_mode 1
		.amdhsa_fp16_overflow 0
		.amdhsa_workgroup_processor_mode 1
		.amdhsa_memory_ordered 1
		.amdhsa_forward_progress 1
		.amdhsa_shared_vgpr_count 0
		.amdhsa_exception_fp_ieee_invalid_op 0
		.amdhsa_exception_fp_denorm_src 0
		.amdhsa_exception_fp_ieee_div_zero 0
		.amdhsa_exception_fp_ieee_overflow 0
		.amdhsa_exception_fp_ieee_underflow 0
		.amdhsa_exception_fp_ieee_inexact 0
		.amdhsa_exception_int_div_zero 0
	.end_amdhsa_kernel
	.section	.text._ZN7rocprim17ROCPRIM_400000_NS6detail17trampoline_kernelINS0_14default_configENS1_20scan_config_selectorIN3c107complexIfEEEEZZNS1_9scan_implILNS1_25lookback_scan_determinismE0ELb0ELb0ES3_PKS7_PS7_S7_ZZZN2at6native31launch_logcumsumexp_cuda_kernelERKNSE_10TensorBaseESI_lENKUlvE_clEvENKUlvE2_clEvEUlS7_S7_E_S7_EEDaPvRmT3_T4_T5_mT6_P12ihipStream_tbENKUlT_T0_E_clISt17integral_constantIbLb1EESY_IbLb0EEEEDaSU_SV_EUlSU_E0_NS1_11comp_targetILNS1_3genE10ELNS1_11target_archE1201ELNS1_3gpuE5ELNS1_3repE0EEENS1_30default_config_static_selectorELNS0_4arch9wavefront6targetE0EEEvT1_,"axG",@progbits,_ZN7rocprim17ROCPRIM_400000_NS6detail17trampoline_kernelINS0_14default_configENS1_20scan_config_selectorIN3c107complexIfEEEEZZNS1_9scan_implILNS1_25lookback_scan_determinismE0ELb0ELb0ES3_PKS7_PS7_S7_ZZZN2at6native31launch_logcumsumexp_cuda_kernelERKNSE_10TensorBaseESI_lENKUlvE_clEvENKUlvE2_clEvEUlS7_S7_E_S7_EEDaPvRmT3_T4_T5_mT6_P12ihipStream_tbENKUlT_T0_E_clISt17integral_constantIbLb1EESY_IbLb0EEEEDaSU_SV_EUlSU_E0_NS1_11comp_targetILNS1_3genE10ELNS1_11target_archE1201ELNS1_3gpuE5ELNS1_3repE0EEENS1_30default_config_static_selectorELNS0_4arch9wavefront6targetE0EEEvT1_,comdat
.Lfunc_end324:
	.size	_ZN7rocprim17ROCPRIM_400000_NS6detail17trampoline_kernelINS0_14default_configENS1_20scan_config_selectorIN3c107complexIfEEEEZZNS1_9scan_implILNS1_25lookback_scan_determinismE0ELb0ELb0ES3_PKS7_PS7_S7_ZZZN2at6native31launch_logcumsumexp_cuda_kernelERKNSE_10TensorBaseESI_lENKUlvE_clEvENKUlvE2_clEvEUlS7_S7_E_S7_EEDaPvRmT3_T4_T5_mT6_P12ihipStream_tbENKUlT_T0_E_clISt17integral_constantIbLb1EESY_IbLb0EEEEDaSU_SV_EUlSU_E0_NS1_11comp_targetILNS1_3genE10ELNS1_11target_archE1201ELNS1_3gpuE5ELNS1_3repE0EEENS1_30default_config_static_selectorELNS0_4arch9wavefront6targetE0EEEvT1_, .Lfunc_end324-_ZN7rocprim17ROCPRIM_400000_NS6detail17trampoline_kernelINS0_14default_configENS1_20scan_config_selectorIN3c107complexIfEEEEZZNS1_9scan_implILNS1_25lookback_scan_determinismE0ELb0ELb0ES3_PKS7_PS7_S7_ZZZN2at6native31launch_logcumsumexp_cuda_kernelERKNSE_10TensorBaseESI_lENKUlvE_clEvENKUlvE2_clEvEUlS7_S7_E_S7_EEDaPvRmT3_T4_T5_mT6_P12ihipStream_tbENKUlT_T0_E_clISt17integral_constantIbLb1EESY_IbLb0EEEEDaSU_SV_EUlSU_E0_NS1_11comp_targetILNS1_3genE10ELNS1_11target_archE1201ELNS1_3gpuE5ELNS1_3repE0EEENS1_30default_config_static_selectorELNS0_4arch9wavefront6targetE0EEEvT1_
                                        ; -- End function
	.set _ZN7rocprim17ROCPRIM_400000_NS6detail17trampoline_kernelINS0_14default_configENS1_20scan_config_selectorIN3c107complexIfEEEEZZNS1_9scan_implILNS1_25lookback_scan_determinismE0ELb0ELb0ES3_PKS7_PS7_S7_ZZZN2at6native31launch_logcumsumexp_cuda_kernelERKNSE_10TensorBaseESI_lENKUlvE_clEvENKUlvE2_clEvEUlS7_S7_E_S7_EEDaPvRmT3_T4_T5_mT6_P12ihipStream_tbENKUlT_T0_E_clISt17integral_constantIbLb1EESY_IbLb0EEEEDaSU_SV_EUlSU_E0_NS1_11comp_targetILNS1_3genE10ELNS1_11target_archE1201ELNS1_3gpuE5ELNS1_3repE0EEENS1_30default_config_static_selectorELNS0_4arch9wavefront6targetE0EEEvT1_.num_vgpr, 0
	.set _ZN7rocprim17ROCPRIM_400000_NS6detail17trampoline_kernelINS0_14default_configENS1_20scan_config_selectorIN3c107complexIfEEEEZZNS1_9scan_implILNS1_25lookback_scan_determinismE0ELb0ELb0ES3_PKS7_PS7_S7_ZZZN2at6native31launch_logcumsumexp_cuda_kernelERKNSE_10TensorBaseESI_lENKUlvE_clEvENKUlvE2_clEvEUlS7_S7_E_S7_EEDaPvRmT3_T4_T5_mT6_P12ihipStream_tbENKUlT_T0_E_clISt17integral_constantIbLb1EESY_IbLb0EEEEDaSU_SV_EUlSU_E0_NS1_11comp_targetILNS1_3genE10ELNS1_11target_archE1201ELNS1_3gpuE5ELNS1_3repE0EEENS1_30default_config_static_selectorELNS0_4arch9wavefront6targetE0EEEvT1_.num_agpr, 0
	.set _ZN7rocprim17ROCPRIM_400000_NS6detail17trampoline_kernelINS0_14default_configENS1_20scan_config_selectorIN3c107complexIfEEEEZZNS1_9scan_implILNS1_25lookback_scan_determinismE0ELb0ELb0ES3_PKS7_PS7_S7_ZZZN2at6native31launch_logcumsumexp_cuda_kernelERKNSE_10TensorBaseESI_lENKUlvE_clEvENKUlvE2_clEvEUlS7_S7_E_S7_EEDaPvRmT3_T4_T5_mT6_P12ihipStream_tbENKUlT_T0_E_clISt17integral_constantIbLb1EESY_IbLb0EEEEDaSU_SV_EUlSU_E0_NS1_11comp_targetILNS1_3genE10ELNS1_11target_archE1201ELNS1_3gpuE5ELNS1_3repE0EEENS1_30default_config_static_selectorELNS0_4arch9wavefront6targetE0EEEvT1_.numbered_sgpr, 0
	.set _ZN7rocprim17ROCPRIM_400000_NS6detail17trampoline_kernelINS0_14default_configENS1_20scan_config_selectorIN3c107complexIfEEEEZZNS1_9scan_implILNS1_25lookback_scan_determinismE0ELb0ELb0ES3_PKS7_PS7_S7_ZZZN2at6native31launch_logcumsumexp_cuda_kernelERKNSE_10TensorBaseESI_lENKUlvE_clEvENKUlvE2_clEvEUlS7_S7_E_S7_EEDaPvRmT3_T4_T5_mT6_P12ihipStream_tbENKUlT_T0_E_clISt17integral_constantIbLb1EESY_IbLb0EEEEDaSU_SV_EUlSU_E0_NS1_11comp_targetILNS1_3genE10ELNS1_11target_archE1201ELNS1_3gpuE5ELNS1_3repE0EEENS1_30default_config_static_selectorELNS0_4arch9wavefront6targetE0EEEvT1_.num_named_barrier, 0
	.set _ZN7rocprim17ROCPRIM_400000_NS6detail17trampoline_kernelINS0_14default_configENS1_20scan_config_selectorIN3c107complexIfEEEEZZNS1_9scan_implILNS1_25lookback_scan_determinismE0ELb0ELb0ES3_PKS7_PS7_S7_ZZZN2at6native31launch_logcumsumexp_cuda_kernelERKNSE_10TensorBaseESI_lENKUlvE_clEvENKUlvE2_clEvEUlS7_S7_E_S7_EEDaPvRmT3_T4_T5_mT6_P12ihipStream_tbENKUlT_T0_E_clISt17integral_constantIbLb1EESY_IbLb0EEEEDaSU_SV_EUlSU_E0_NS1_11comp_targetILNS1_3genE10ELNS1_11target_archE1201ELNS1_3gpuE5ELNS1_3repE0EEENS1_30default_config_static_selectorELNS0_4arch9wavefront6targetE0EEEvT1_.private_seg_size, 0
	.set _ZN7rocprim17ROCPRIM_400000_NS6detail17trampoline_kernelINS0_14default_configENS1_20scan_config_selectorIN3c107complexIfEEEEZZNS1_9scan_implILNS1_25lookback_scan_determinismE0ELb0ELb0ES3_PKS7_PS7_S7_ZZZN2at6native31launch_logcumsumexp_cuda_kernelERKNSE_10TensorBaseESI_lENKUlvE_clEvENKUlvE2_clEvEUlS7_S7_E_S7_EEDaPvRmT3_T4_T5_mT6_P12ihipStream_tbENKUlT_T0_E_clISt17integral_constantIbLb1EESY_IbLb0EEEEDaSU_SV_EUlSU_E0_NS1_11comp_targetILNS1_3genE10ELNS1_11target_archE1201ELNS1_3gpuE5ELNS1_3repE0EEENS1_30default_config_static_selectorELNS0_4arch9wavefront6targetE0EEEvT1_.uses_vcc, 0
	.set _ZN7rocprim17ROCPRIM_400000_NS6detail17trampoline_kernelINS0_14default_configENS1_20scan_config_selectorIN3c107complexIfEEEEZZNS1_9scan_implILNS1_25lookback_scan_determinismE0ELb0ELb0ES3_PKS7_PS7_S7_ZZZN2at6native31launch_logcumsumexp_cuda_kernelERKNSE_10TensorBaseESI_lENKUlvE_clEvENKUlvE2_clEvEUlS7_S7_E_S7_EEDaPvRmT3_T4_T5_mT6_P12ihipStream_tbENKUlT_T0_E_clISt17integral_constantIbLb1EESY_IbLb0EEEEDaSU_SV_EUlSU_E0_NS1_11comp_targetILNS1_3genE10ELNS1_11target_archE1201ELNS1_3gpuE5ELNS1_3repE0EEENS1_30default_config_static_selectorELNS0_4arch9wavefront6targetE0EEEvT1_.uses_flat_scratch, 0
	.set _ZN7rocprim17ROCPRIM_400000_NS6detail17trampoline_kernelINS0_14default_configENS1_20scan_config_selectorIN3c107complexIfEEEEZZNS1_9scan_implILNS1_25lookback_scan_determinismE0ELb0ELb0ES3_PKS7_PS7_S7_ZZZN2at6native31launch_logcumsumexp_cuda_kernelERKNSE_10TensorBaseESI_lENKUlvE_clEvENKUlvE2_clEvEUlS7_S7_E_S7_EEDaPvRmT3_T4_T5_mT6_P12ihipStream_tbENKUlT_T0_E_clISt17integral_constantIbLb1EESY_IbLb0EEEEDaSU_SV_EUlSU_E0_NS1_11comp_targetILNS1_3genE10ELNS1_11target_archE1201ELNS1_3gpuE5ELNS1_3repE0EEENS1_30default_config_static_selectorELNS0_4arch9wavefront6targetE0EEEvT1_.has_dyn_sized_stack, 0
	.set _ZN7rocprim17ROCPRIM_400000_NS6detail17trampoline_kernelINS0_14default_configENS1_20scan_config_selectorIN3c107complexIfEEEEZZNS1_9scan_implILNS1_25lookback_scan_determinismE0ELb0ELb0ES3_PKS7_PS7_S7_ZZZN2at6native31launch_logcumsumexp_cuda_kernelERKNSE_10TensorBaseESI_lENKUlvE_clEvENKUlvE2_clEvEUlS7_S7_E_S7_EEDaPvRmT3_T4_T5_mT6_P12ihipStream_tbENKUlT_T0_E_clISt17integral_constantIbLb1EESY_IbLb0EEEEDaSU_SV_EUlSU_E0_NS1_11comp_targetILNS1_3genE10ELNS1_11target_archE1201ELNS1_3gpuE5ELNS1_3repE0EEENS1_30default_config_static_selectorELNS0_4arch9wavefront6targetE0EEEvT1_.has_recursion, 0
	.set _ZN7rocprim17ROCPRIM_400000_NS6detail17trampoline_kernelINS0_14default_configENS1_20scan_config_selectorIN3c107complexIfEEEEZZNS1_9scan_implILNS1_25lookback_scan_determinismE0ELb0ELb0ES3_PKS7_PS7_S7_ZZZN2at6native31launch_logcumsumexp_cuda_kernelERKNSE_10TensorBaseESI_lENKUlvE_clEvENKUlvE2_clEvEUlS7_S7_E_S7_EEDaPvRmT3_T4_T5_mT6_P12ihipStream_tbENKUlT_T0_E_clISt17integral_constantIbLb1EESY_IbLb0EEEEDaSU_SV_EUlSU_E0_NS1_11comp_targetILNS1_3genE10ELNS1_11target_archE1201ELNS1_3gpuE5ELNS1_3repE0EEENS1_30default_config_static_selectorELNS0_4arch9wavefront6targetE0EEEvT1_.has_indirect_call, 0
	.section	.AMDGPU.csdata,"",@progbits
; Kernel info:
; codeLenInByte = 0
; TotalNumSgprs: 0
; NumVgprs: 0
; ScratchSize: 0
; MemoryBound: 0
; FloatMode: 240
; IeeeMode: 1
; LDSByteSize: 0 bytes/workgroup (compile time only)
; SGPRBlocks: 0
; VGPRBlocks: 0
; NumSGPRsForWavesPerEU: 1
; NumVGPRsForWavesPerEU: 1
; Occupancy: 16
; WaveLimiterHint : 0
; COMPUTE_PGM_RSRC2:SCRATCH_EN: 0
; COMPUTE_PGM_RSRC2:USER_SGPR: 6
; COMPUTE_PGM_RSRC2:TRAP_HANDLER: 0
; COMPUTE_PGM_RSRC2:TGID_X_EN: 1
; COMPUTE_PGM_RSRC2:TGID_Y_EN: 0
; COMPUTE_PGM_RSRC2:TGID_Z_EN: 0
; COMPUTE_PGM_RSRC2:TIDIG_COMP_CNT: 0
	.section	.text._ZN7rocprim17ROCPRIM_400000_NS6detail17trampoline_kernelINS0_14default_configENS1_20scan_config_selectorIN3c107complexIfEEEEZZNS1_9scan_implILNS1_25lookback_scan_determinismE0ELb0ELb0ES3_PKS7_PS7_S7_ZZZN2at6native31launch_logcumsumexp_cuda_kernelERKNSE_10TensorBaseESI_lENKUlvE_clEvENKUlvE2_clEvEUlS7_S7_E_S7_EEDaPvRmT3_T4_T5_mT6_P12ihipStream_tbENKUlT_T0_E_clISt17integral_constantIbLb1EESY_IbLb0EEEEDaSU_SV_EUlSU_E0_NS1_11comp_targetILNS1_3genE10ELNS1_11target_archE1200ELNS1_3gpuE4ELNS1_3repE0EEENS1_30default_config_static_selectorELNS0_4arch9wavefront6targetE0EEEvT1_,"axG",@progbits,_ZN7rocprim17ROCPRIM_400000_NS6detail17trampoline_kernelINS0_14default_configENS1_20scan_config_selectorIN3c107complexIfEEEEZZNS1_9scan_implILNS1_25lookback_scan_determinismE0ELb0ELb0ES3_PKS7_PS7_S7_ZZZN2at6native31launch_logcumsumexp_cuda_kernelERKNSE_10TensorBaseESI_lENKUlvE_clEvENKUlvE2_clEvEUlS7_S7_E_S7_EEDaPvRmT3_T4_T5_mT6_P12ihipStream_tbENKUlT_T0_E_clISt17integral_constantIbLb1EESY_IbLb0EEEEDaSU_SV_EUlSU_E0_NS1_11comp_targetILNS1_3genE10ELNS1_11target_archE1200ELNS1_3gpuE4ELNS1_3repE0EEENS1_30default_config_static_selectorELNS0_4arch9wavefront6targetE0EEEvT1_,comdat
	.globl	_ZN7rocprim17ROCPRIM_400000_NS6detail17trampoline_kernelINS0_14default_configENS1_20scan_config_selectorIN3c107complexIfEEEEZZNS1_9scan_implILNS1_25lookback_scan_determinismE0ELb0ELb0ES3_PKS7_PS7_S7_ZZZN2at6native31launch_logcumsumexp_cuda_kernelERKNSE_10TensorBaseESI_lENKUlvE_clEvENKUlvE2_clEvEUlS7_S7_E_S7_EEDaPvRmT3_T4_T5_mT6_P12ihipStream_tbENKUlT_T0_E_clISt17integral_constantIbLb1EESY_IbLb0EEEEDaSU_SV_EUlSU_E0_NS1_11comp_targetILNS1_3genE10ELNS1_11target_archE1200ELNS1_3gpuE4ELNS1_3repE0EEENS1_30default_config_static_selectorELNS0_4arch9wavefront6targetE0EEEvT1_ ; -- Begin function _ZN7rocprim17ROCPRIM_400000_NS6detail17trampoline_kernelINS0_14default_configENS1_20scan_config_selectorIN3c107complexIfEEEEZZNS1_9scan_implILNS1_25lookback_scan_determinismE0ELb0ELb0ES3_PKS7_PS7_S7_ZZZN2at6native31launch_logcumsumexp_cuda_kernelERKNSE_10TensorBaseESI_lENKUlvE_clEvENKUlvE2_clEvEUlS7_S7_E_S7_EEDaPvRmT3_T4_T5_mT6_P12ihipStream_tbENKUlT_T0_E_clISt17integral_constantIbLb1EESY_IbLb0EEEEDaSU_SV_EUlSU_E0_NS1_11comp_targetILNS1_3genE10ELNS1_11target_archE1200ELNS1_3gpuE4ELNS1_3repE0EEENS1_30default_config_static_selectorELNS0_4arch9wavefront6targetE0EEEvT1_
	.p2align	8
	.type	_ZN7rocprim17ROCPRIM_400000_NS6detail17trampoline_kernelINS0_14default_configENS1_20scan_config_selectorIN3c107complexIfEEEEZZNS1_9scan_implILNS1_25lookback_scan_determinismE0ELb0ELb0ES3_PKS7_PS7_S7_ZZZN2at6native31launch_logcumsumexp_cuda_kernelERKNSE_10TensorBaseESI_lENKUlvE_clEvENKUlvE2_clEvEUlS7_S7_E_S7_EEDaPvRmT3_T4_T5_mT6_P12ihipStream_tbENKUlT_T0_E_clISt17integral_constantIbLb1EESY_IbLb0EEEEDaSU_SV_EUlSU_E0_NS1_11comp_targetILNS1_3genE10ELNS1_11target_archE1200ELNS1_3gpuE4ELNS1_3repE0EEENS1_30default_config_static_selectorELNS0_4arch9wavefront6targetE0EEEvT1_,@function
_ZN7rocprim17ROCPRIM_400000_NS6detail17trampoline_kernelINS0_14default_configENS1_20scan_config_selectorIN3c107complexIfEEEEZZNS1_9scan_implILNS1_25lookback_scan_determinismE0ELb0ELb0ES3_PKS7_PS7_S7_ZZZN2at6native31launch_logcumsumexp_cuda_kernelERKNSE_10TensorBaseESI_lENKUlvE_clEvENKUlvE2_clEvEUlS7_S7_E_S7_EEDaPvRmT3_T4_T5_mT6_P12ihipStream_tbENKUlT_T0_E_clISt17integral_constantIbLb1EESY_IbLb0EEEEDaSU_SV_EUlSU_E0_NS1_11comp_targetILNS1_3genE10ELNS1_11target_archE1200ELNS1_3gpuE4ELNS1_3repE0EEENS1_30default_config_static_selectorELNS0_4arch9wavefront6targetE0EEEvT1_: ; @_ZN7rocprim17ROCPRIM_400000_NS6detail17trampoline_kernelINS0_14default_configENS1_20scan_config_selectorIN3c107complexIfEEEEZZNS1_9scan_implILNS1_25lookback_scan_determinismE0ELb0ELb0ES3_PKS7_PS7_S7_ZZZN2at6native31launch_logcumsumexp_cuda_kernelERKNSE_10TensorBaseESI_lENKUlvE_clEvENKUlvE2_clEvEUlS7_S7_E_S7_EEDaPvRmT3_T4_T5_mT6_P12ihipStream_tbENKUlT_T0_E_clISt17integral_constantIbLb1EESY_IbLb0EEEEDaSU_SV_EUlSU_E0_NS1_11comp_targetILNS1_3genE10ELNS1_11target_archE1200ELNS1_3gpuE4ELNS1_3repE0EEENS1_30default_config_static_selectorELNS0_4arch9wavefront6targetE0EEEvT1_
; %bb.0:
	.section	.rodata,"a",@progbits
	.p2align	6, 0x0
	.amdhsa_kernel _ZN7rocprim17ROCPRIM_400000_NS6detail17trampoline_kernelINS0_14default_configENS1_20scan_config_selectorIN3c107complexIfEEEEZZNS1_9scan_implILNS1_25lookback_scan_determinismE0ELb0ELb0ES3_PKS7_PS7_S7_ZZZN2at6native31launch_logcumsumexp_cuda_kernelERKNSE_10TensorBaseESI_lENKUlvE_clEvENKUlvE2_clEvEUlS7_S7_E_S7_EEDaPvRmT3_T4_T5_mT6_P12ihipStream_tbENKUlT_T0_E_clISt17integral_constantIbLb1EESY_IbLb0EEEEDaSU_SV_EUlSU_E0_NS1_11comp_targetILNS1_3genE10ELNS1_11target_archE1200ELNS1_3gpuE4ELNS1_3repE0EEENS1_30default_config_static_selectorELNS0_4arch9wavefront6targetE0EEEvT1_
		.amdhsa_group_segment_fixed_size 0
		.amdhsa_private_segment_fixed_size 0
		.amdhsa_kernarg_size 40
		.amdhsa_user_sgpr_count 6
		.amdhsa_user_sgpr_private_segment_buffer 1
		.amdhsa_user_sgpr_dispatch_ptr 0
		.amdhsa_user_sgpr_queue_ptr 0
		.amdhsa_user_sgpr_kernarg_segment_ptr 1
		.amdhsa_user_sgpr_dispatch_id 0
		.amdhsa_user_sgpr_flat_scratch_init 0
		.amdhsa_user_sgpr_private_segment_size 0
		.amdhsa_wavefront_size32 1
		.amdhsa_uses_dynamic_stack 0
		.amdhsa_system_sgpr_private_segment_wavefront_offset 0
		.amdhsa_system_sgpr_workgroup_id_x 1
		.amdhsa_system_sgpr_workgroup_id_y 0
		.amdhsa_system_sgpr_workgroup_id_z 0
		.amdhsa_system_sgpr_workgroup_info 0
		.amdhsa_system_vgpr_workitem_id 0
		.amdhsa_next_free_vgpr 1
		.amdhsa_next_free_sgpr 1
		.amdhsa_reserve_vcc 0
		.amdhsa_reserve_flat_scratch 0
		.amdhsa_float_round_mode_32 0
		.amdhsa_float_round_mode_16_64 0
		.amdhsa_float_denorm_mode_32 3
		.amdhsa_float_denorm_mode_16_64 3
		.amdhsa_dx10_clamp 1
		.amdhsa_ieee_mode 1
		.amdhsa_fp16_overflow 0
		.amdhsa_workgroup_processor_mode 1
		.amdhsa_memory_ordered 1
		.amdhsa_forward_progress 1
		.amdhsa_shared_vgpr_count 0
		.amdhsa_exception_fp_ieee_invalid_op 0
		.amdhsa_exception_fp_denorm_src 0
		.amdhsa_exception_fp_ieee_div_zero 0
		.amdhsa_exception_fp_ieee_overflow 0
		.amdhsa_exception_fp_ieee_underflow 0
		.amdhsa_exception_fp_ieee_inexact 0
		.amdhsa_exception_int_div_zero 0
	.end_amdhsa_kernel
	.section	.text._ZN7rocprim17ROCPRIM_400000_NS6detail17trampoline_kernelINS0_14default_configENS1_20scan_config_selectorIN3c107complexIfEEEEZZNS1_9scan_implILNS1_25lookback_scan_determinismE0ELb0ELb0ES3_PKS7_PS7_S7_ZZZN2at6native31launch_logcumsumexp_cuda_kernelERKNSE_10TensorBaseESI_lENKUlvE_clEvENKUlvE2_clEvEUlS7_S7_E_S7_EEDaPvRmT3_T4_T5_mT6_P12ihipStream_tbENKUlT_T0_E_clISt17integral_constantIbLb1EESY_IbLb0EEEEDaSU_SV_EUlSU_E0_NS1_11comp_targetILNS1_3genE10ELNS1_11target_archE1200ELNS1_3gpuE4ELNS1_3repE0EEENS1_30default_config_static_selectorELNS0_4arch9wavefront6targetE0EEEvT1_,"axG",@progbits,_ZN7rocprim17ROCPRIM_400000_NS6detail17trampoline_kernelINS0_14default_configENS1_20scan_config_selectorIN3c107complexIfEEEEZZNS1_9scan_implILNS1_25lookback_scan_determinismE0ELb0ELb0ES3_PKS7_PS7_S7_ZZZN2at6native31launch_logcumsumexp_cuda_kernelERKNSE_10TensorBaseESI_lENKUlvE_clEvENKUlvE2_clEvEUlS7_S7_E_S7_EEDaPvRmT3_T4_T5_mT6_P12ihipStream_tbENKUlT_T0_E_clISt17integral_constantIbLb1EESY_IbLb0EEEEDaSU_SV_EUlSU_E0_NS1_11comp_targetILNS1_3genE10ELNS1_11target_archE1200ELNS1_3gpuE4ELNS1_3repE0EEENS1_30default_config_static_selectorELNS0_4arch9wavefront6targetE0EEEvT1_,comdat
.Lfunc_end325:
	.size	_ZN7rocprim17ROCPRIM_400000_NS6detail17trampoline_kernelINS0_14default_configENS1_20scan_config_selectorIN3c107complexIfEEEEZZNS1_9scan_implILNS1_25lookback_scan_determinismE0ELb0ELb0ES3_PKS7_PS7_S7_ZZZN2at6native31launch_logcumsumexp_cuda_kernelERKNSE_10TensorBaseESI_lENKUlvE_clEvENKUlvE2_clEvEUlS7_S7_E_S7_EEDaPvRmT3_T4_T5_mT6_P12ihipStream_tbENKUlT_T0_E_clISt17integral_constantIbLb1EESY_IbLb0EEEEDaSU_SV_EUlSU_E0_NS1_11comp_targetILNS1_3genE10ELNS1_11target_archE1200ELNS1_3gpuE4ELNS1_3repE0EEENS1_30default_config_static_selectorELNS0_4arch9wavefront6targetE0EEEvT1_, .Lfunc_end325-_ZN7rocprim17ROCPRIM_400000_NS6detail17trampoline_kernelINS0_14default_configENS1_20scan_config_selectorIN3c107complexIfEEEEZZNS1_9scan_implILNS1_25lookback_scan_determinismE0ELb0ELb0ES3_PKS7_PS7_S7_ZZZN2at6native31launch_logcumsumexp_cuda_kernelERKNSE_10TensorBaseESI_lENKUlvE_clEvENKUlvE2_clEvEUlS7_S7_E_S7_EEDaPvRmT3_T4_T5_mT6_P12ihipStream_tbENKUlT_T0_E_clISt17integral_constantIbLb1EESY_IbLb0EEEEDaSU_SV_EUlSU_E0_NS1_11comp_targetILNS1_3genE10ELNS1_11target_archE1200ELNS1_3gpuE4ELNS1_3repE0EEENS1_30default_config_static_selectorELNS0_4arch9wavefront6targetE0EEEvT1_
                                        ; -- End function
	.set _ZN7rocprim17ROCPRIM_400000_NS6detail17trampoline_kernelINS0_14default_configENS1_20scan_config_selectorIN3c107complexIfEEEEZZNS1_9scan_implILNS1_25lookback_scan_determinismE0ELb0ELb0ES3_PKS7_PS7_S7_ZZZN2at6native31launch_logcumsumexp_cuda_kernelERKNSE_10TensorBaseESI_lENKUlvE_clEvENKUlvE2_clEvEUlS7_S7_E_S7_EEDaPvRmT3_T4_T5_mT6_P12ihipStream_tbENKUlT_T0_E_clISt17integral_constantIbLb1EESY_IbLb0EEEEDaSU_SV_EUlSU_E0_NS1_11comp_targetILNS1_3genE10ELNS1_11target_archE1200ELNS1_3gpuE4ELNS1_3repE0EEENS1_30default_config_static_selectorELNS0_4arch9wavefront6targetE0EEEvT1_.num_vgpr, 0
	.set _ZN7rocprim17ROCPRIM_400000_NS6detail17trampoline_kernelINS0_14default_configENS1_20scan_config_selectorIN3c107complexIfEEEEZZNS1_9scan_implILNS1_25lookback_scan_determinismE0ELb0ELb0ES3_PKS7_PS7_S7_ZZZN2at6native31launch_logcumsumexp_cuda_kernelERKNSE_10TensorBaseESI_lENKUlvE_clEvENKUlvE2_clEvEUlS7_S7_E_S7_EEDaPvRmT3_T4_T5_mT6_P12ihipStream_tbENKUlT_T0_E_clISt17integral_constantIbLb1EESY_IbLb0EEEEDaSU_SV_EUlSU_E0_NS1_11comp_targetILNS1_3genE10ELNS1_11target_archE1200ELNS1_3gpuE4ELNS1_3repE0EEENS1_30default_config_static_selectorELNS0_4arch9wavefront6targetE0EEEvT1_.num_agpr, 0
	.set _ZN7rocprim17ROCPRIM_400000_NS6detail17trampoline_kernelINS0_14default_configENS1_20scan_config_selectorIN3c107complexIfEEEEZZNS1_9scan_implILNS1_25lookback_scan_determinismE0ELb0ELb0ES3_PKS7_PS7_S7_ZZZN2at6native31launch_logcumsumexp_cuda_kernelERKNSE_10TensorBaseESI_lENKUlvE_clEvENKUlvE2_clEvEUlS7_S7_E_S7_EEDaPvRmT3_T4_T5_mT6_P12ihipStream_tbENKUlT_T0_E_clISt17integral_constantIbLb1EESY_IbLb0EEEEDaSU_SV_EUlSU_E0_NS1_11comp_targetILNS1_3genE10ELNS1_11target_archE1200ELNS1_3gpuE4ELNS1_3repE0EEENS1_30default_config_static_selectorELNS0_4arch9wavefront6targetE0EEEvT1_.numbered_sgpr, 0
	.set _ZN7rocprim17ROCPRIM_400000_NS6detail17trampoline_kernelINS0_14default_configENS1_20scan_config_selectorIN3c107complexIfEEEEZZNS1_9scan_implILNS1_25lookback_scan_determinismE0ELb0ELb0ES3_PKS7_PS7_S7_ZZZN2at6native31launch_logcumsumexp_cuda_kernelERKNSE_10TensorBaseESI_lENKUlvE_clEvENKUlvE2_clEvEUlS7_S7_E_S7_EEDaPvRmT3_T4_T5_mT6_P12ihipStream_tbENKUlT_T0_E_clISt17integral_constantIbLb1EESY_IbLb0EEEEDaSU_SV_EUlSU_E0_NS1_11comp_targetILNS1_3genE10ELNS1_11target_archE1200ELNS1_3gpuE4ELNS1_3repE0EEENS1_30default_config_static_selectorELNS0_4arch9wavefront6targetE0EEEvT1_.num_named_barrier, 0
	.set _ZN7rocprim17ROCPRIM_400000_NS6detail17trampoline_kernelINS0_14default_configENS1_20scan_config_selectorIN3c107complexIfEEEEZZNS1_9scan_implILNS1_25lookback_scan_determinismE0ELb0ELb0ES3_PKS7_PS7_S7_ZZZN2at6native31launch_logcumsumexp_cuda_kernelERKNSE_10TensorBaseESI_lENKUlvE_clEvENKUlvE2_clEvEUlS7_S7_E_S7_EEDaPvRmT3_T4_T5_mT6_P12ihipStream_tbENKUlT_T0_E_clISt17integral_constantIbLb1EESY_IbLb0EEEEDaSU_SV_EUlSU_E0_NS1_11comp_targetILNS1_3genE10ELNS1_11target_archE1200ELNS1_3gpuE4ELNS1_3repE0EEENS1_30default_config_static_selectorELNS0_4arch9wavefront6targetE0EEEvT1_.private_seg_size, 0
	.set _ZN7rocprim17ROCPRIM_400000_NS6detail17trampoline_kernelINS0_14default_configENS1_20scan_config_selectorIN3c107complexIfEEEEZZNS1_9scan_implILNS1_25lookback_scan_determinismE0ELb0ELb0ES3_PKS7_PS7_S7_ZZZN2at6native31launch_logcumsumexp_cuda_kernelERKNSE_10TensorBaseESI_lENKUlvE_clEvENKUlvE2_clEvEUlS7_S7_E_S7_EEDaPvRmT3_T4_T5_mT6_P12ihipStream_tbENKUlT_T0_E_clISt17integral_constantIbLb1EESY_IbLb0EEEEDaSU_SV_EUlSU_E0_NS1_11comp_targetILNS1_3genE10ELNS1_11target_archE1200ELNS1_3gpuE4ELNS1_3repE0EEENS1_30default_config_static_selectorELNS0_4arch9wavefront6targetE0EEEvT1_.uses_vcc, 0
	.set _ZN7rocprim17ROCPRIM_400000_NS6detail17trampoline_kernelINS0_14default_configENS1_20scan_config_selectorIN3c107complexIfEEEEZZNS1_9scan_implILNS1_25lookback_scan_determinismE0ELb0ELb0ES3_PKS7_PS7_S7_ZZZN2at6native31launch_logcumsumexp_cuda_kernelERKNSE_10TensorBaseESI_lENKUlvE_clEvENKUlvE2_clEvEUlS7_S7_E_S7_EEDaPvRmT3_T4_T5_mT6_P12ihipStream_tbENKUlT_T0_E_clISt17integral_constantIbLb1EESY_IbLb0EEEEDaSU_SV_EUlSU_E0_NS1_11comp_targetILNS1_3genE10ELNS1_11target_archE1200ELNS1_3gpuE4ELNS1_3repE0EEENS1_30default_config_static_selectorELNS0_4arch9wavefront6targetE0EEEvT1_.uses_flat_scratch, 0
	.set _ZN7rocprim17ROCPRIM_400000_NS6detail17trampoline_kernelINS0_14default_configENS1_20scan_config_selectorIN3c107complexIfEEEEZZNS1_9scan_implILNS1_25lookback_scan_determinismE0ELb0ELb0ES3_PKS7_PS7_S7_ZZZN2at6native31launch_logcumsumexp_cuda_kernelERKNSE_10TensorBaseESI_lENKUlvE_clEvENKUlvE2_clEvEUlS7_S7_E_S7_EEDaPvRmT3_T4_T5_mT6_P12ihipStream_tbENKUlT_T0_E_clISt17integral_constantIbLb1EESY_IbLb0EEEEDaSU_SV_EUlSU_E0_NS1_11comp_targetILNS1_3genE10ELNS1_11target_archE1200ELNS1_3gpuE4ELNS1_3repE0EEENS1_30default_config_static_selectorELNS0_4arch9wavefront6targetE0EEEvT1_.has_dyn_sized_stack, 0
	.set _ZN7rocprim17ROCPRIM_400000_NS6detail17trampoline_kernelINS0_14default_configENS1_20scan_config_selectorIN3c107complexIfEEEEZZNS1_9scan_implILNS1_25lookback_scan_determinismE0ELb0ELb0ES3_PKS7_PS7_S7_ZZZN2at6native31launch_logcumsumexp_cuda_kernelERKNSE_10TensorBaseESI_lENKUlvE_clEvENKUlvE2_clEvEUlS7_S7_E_S7_EEDaPvRmT3_T4_T5_mT6_P12ihipStream_tbENKUlT_T0_E_clISt17integral_constantIbLb1EESY_IbLb0EEEEDaSU_SV_EUlSU_E0_NS1_11comp_targetILNS1_3genE10ELNS1_11target_archE1200ELNS1_3gpuE4ELNS1_3repE0EEENS1_30default_config_static_selectorELNS0_4arch9wavefront6targetE0EEEvT1_.has_recursion, 0
	.set _ZN7rocprim17ROCPRIM_400000_NS6detail17trampoline_kernelINS0_14default_configENS1_20scan_config_selectorIN3c107complexIfEEEEZZNS1_9scan_implILNS1_25lookback_scan_determinismE0ELb0ELb0ES3_PKS7_PS7_S7_ZZZN2at6native31launch_logcumsumexp_cuda_kernelERKNSE_10TensorBaseESI_lENKUlvE_clEvENKUlvE2_clEvEUlS7_S7_E_S7_EEDaPvRmT3_T4_T5_mT6_P12ihipStream_tbENKUlT_T0_E_clISt17integral_constantIbLb1EESY_IbLb0EEEEDaSU_SV_EUlSU_E0_NS1_11comp_targetILNS1_3genE10ELNS1_11target_archE1200ELNS1_3gpuE4ELNS1_3repE0EEENS1_30default_config_static_selectorELNS0_4arch9wavefront6targetE0EEEvT1_.has_indirect_call, 0
	.section	.AMDGPU.csdata,"",@progbits
; Kernel info:
; codeLenInByte = 0
; TotalNumSgprs: 0
; NumVgprs: 0
; ScratchSize: 0
; MemoryBound: 0
; FloatMode: 240
; IeeeMode: 1
; LDSByteSize: 0 bytes/workgroup (compile time only)
; SGPRBlocks: 0
; VGPRBlocks: 0
; NumSGPRsForWavesPerEU: 1
; NumVGPRsForWavesPerEU: 1
; Occupancy: 16
; WaveLimiterHint : 0
; COMPUTE_PGM_RSRC2:SCRATCH_EN: 0
; COMPUTE_PGM_RSRC2:USER_SGPR: 6
; COMPUTE_PGM_RSRC2:TRAP_HANDLER: 0
; COMPUTE_PGM_RSRC2:TGID_X_EN: 1
; COMPUTE_PGM_RSRC2:TGID_Y_EN: 0
; COMPUTE_PGM_RSRC2:TGID_Z_EN: 0
; COMPUTE_PGM_RSRC2:TIDIG_COMP_CNT: 0
	.section	.text._ZN7rocprim17ROCPRIM_400000_NS6detail17trampoline_kernelINS0_14default_configENS1_20scan_config_selectorIN3c107complexIfEEEEZZNS1_9scan_implILNS1_25lookback_scan_determinismE0ELb0ELb0ES3_PKS7_PS7_S7_ZZZN2at6native31launch_logcumsumexp_cuda_kernelERKNSE_10TensorBaseESI_lENKUlvE_clEvENKUlvE2_clEvEUlS7_S7_E_S7_EEDaPvRmT3_T4_T5_mT6_P12ihipStream_tbENKUlT_T0_E_clISt17integral_constantIbLb1EESY_IbLb0EEEEDaSU_SV_EUlSU_E0_NS1_11comp_targetILNS1_3genE9ELNS1_11target_archE1100ELNS1_3gpuE3ELNS1_3repE0EEENS1_30default_config_static_selectorELNS0_4arch9wavefront6targetE0EEEvT1_,"axG",@progbits,_ZN7rocprim17ROCPRIM_400000_NS6detail17trampoline_kernelINS0_14default_configENS1_20scan_config_selectorIN3c107complexIfEEEEZZNS1_9scan_implILNS1_25lookback_scan_determinismE0ELb0ELb0ES3_PKS7_PS7_S7_ZZZN2at6native31launch_logcumsumexp_cuda_kernelERKNSE_10TensorBaseESI_lENKUlvE_clEvENKUlvE2_clEvEUlS7_S7_E_S7_EEDaPvRmT3_T4_T5_mT6_P12ihipStream_tbENKUlT_T0_E_clISt17integral_constantIbLb1EESY_IbLb0EEEEDaSU_SV_EUlSU_E0_NS1_11comp_targetILNS1_3genE9ELNS1_11target_archE1100ELNS1_3gpuE3ELNS1_3repE0EEENS1_30default_config_static_selectorELNS0_4arch9wavefront6targetE0EEEvT1_,comdat
	.globl	_ZN7rocprim17ROCPRIM_400000_NS6detail17trampoline_kernelINS0_14default_configENS1_20scan_config_selectorIN3c107complexIfEEEEZZNS1_9scan_implILNS1_25lookback_scan_determinismE0ELb0ELb0ES3_PKS7_PS7_S7_ZZZN2at6native31launch_logcumsumexp_cuda_kernelERKNSE_10TensorBaseESI_lENKUlvE_clEvENKUlvE2_clEvEUlS7_S7_E_S7_EEDaPvRmT3_T4_T5_mT6_P12ihipStream_tbENKUlT_T0_E_clISt17integral_constantIbLb1EESY_IbLb0EEEEDaSU_SV_EUlSU_E0_NS1_11comp_targetILNS1_3genE9ELNS1_11target_archE1100ELNS1_3gpuE3ELNS1_3repE0EEENS1_30default_config_static_selectorELNS0_4arch9wavefront6targetE0EEEvT1_ ; -- Begin function _ZN7rocprim17ROCPRIM_400000_NS6detail17trampoline_kernelINS0_14default_configENS1_20scan_config_selectorIN3c107complexIfEEEEZZNS1_9scan_implILNS1_25lookback_scan_determinismE0ELb0ELb0ES3_PKS7_PS7_S7_ZZZN2at6native31launch_logcumsumexp_cuda_kernelERKNSE_10TensorBaseESI_lENKUlvE_clEvENKUlvE2_clEvEUlS7_S7_E_S7_EEDaPvRmT3_T4_T5_mT6_P12ihipStream_tbENKUlT_T0_E_clISt17integral_constantIbLb1EESY_IbLb0EEEEDaSU_SV_EUlSU_E0_NS1_11comp_targetILNS1_3genE9ELNS1_11target_archE1100ELNS1_3gpuE3ELNS1_3repE0EEENS1_30default_config_static_selectorELNS0_4arch9wavefront6targetE0EEEvT1_
	.p2align	8
	.type	_ZN7rocprim17ROCPRIM_400000_NS6detail17trampoline_kernelINS0_14default_configENS1_20scan_config_selectorIN3c107complexIfEEEEZZNS1_9scan_implILNS1_25lookback_scan_determinismE0ELb0ELb0ES3_PKS7_PS7_S7_ZZZN2at6native31launch_logcumsumexp_cuda_kernelERKNSE_10TensorBaseESI_lENKUlvE_clEvENKUlvE2_clEvEUlS7_S7_E_S7_EEDaPvRmT3_T4_T5_mT6_P12ihipStream_tbENKUlT_T0_E_clISt17integral_constantIbLb1EESY_IbLb0EEEEDaSU_SV_EUlSU_E0_NS1_11comp_targetILNS1_3genE9ELNS1_11target_archE1100ELNS1_3gpuE3ELNS1_3repE0EEENS1_30default_config_static_selectorELNS0_4arch9wavefront6targetE0EEEvT1_,@function
_ZN7rocprim17ROCPRIM_400000_NS6detail17trampoline_kernelINS0_14default_configENS1_20scan_config_selectorIN3c107complexIfEEEEZZNS1_9scan_implILNS1_25lookback_scan_determinismE0ELb0ELb0ES3_PKS7_PS7_S7_ZZZN2at6native31launch_logcumsumexp_cuda_kernelERKNSE_10TensorBaseESI_lENKUlvE_clEvENKUlvE2_clEvEUlS7_S7_E_S7_EEDaPvRmT3_T4_T5_mT6_P12ihipStream_tbENKUlT_T0_E_clISt17integral_constantIbLb1EESY_IbLb0EEEEDaSU_SV_EUlSU_E0_NS1_11comp_targetILNS1_3genE9ELNS1_11target_archE1100ELNS1_3gpuE3ELNS1_3repE0EEENS1_30default_config_static_selectorELNS0_4arch9wavefront6targetE0EEEvT1_: ; @_ZN7rocprim17ROCPRIM_400000_NS6detail17trampoline_kernelINS0_14default_configENS1_20scan_config_selectorIN3c107complexIfEEEEZZNS1_9scan_implILNS1_25lookback_scan_determinismE0ELb0ELb0ES3_PKS7_PS7_S7_ZZZN2at6native31launch_logcumsumexp_cuda_kernelERKNSE_10TensorBaseESI_lENKUlvE_clEvENKUlvE2_clEvEUlS7_S7_E_S7_EEDaPvRmT3_T4_T5_mT6_P12ihipStream_tbENKUlT_T0_E_clISt17integral_constantIbLb1EESY_IbLb0EEEEDaSU_SV_EUlSU_E0_NS1_11comp_targetILNS1_3genE9ELNS1_11target_archE1100ELNS1_3gpuE3ELNS1_3repE0EEENS1_30default_config_static_selectorELNS0_4arch9wavefront6targetE0EEEvT1_
; %bb.0:
	.section	.rodata,"a",@progbits
	.p2align	6, 0x0
	.amdhsa_kernel _ZN7rocprim17ROCPRIM_400000_NS6detail17trampoline_kernelINS0_14default_configENS1_20scan_config_selectorIN3c107complexIfEEEEZZNS1_9scan_implILNS1_25lookback_scan_determinismE0ELb0ELb0ES3_PKS7_PS7_S7_ZZZN2at6native31launch_logcumsumexp_cuda_kernelERKNSE_10TensorBaseESI_lENKUlvE_clEvENKUlvE2_clEvEUlS7_S7_E_S7_EEDaPvRmT3_T4_T5_mT6_P12ihipStream_tbENKUlT_T0_E_clISt17integral_constantIbLb1EESY_IbLb0EEEEDaSU_SV_EUlSU_E0_NS1_11comp_targetILNS1_3genE9ELNS1_11target_archE1100ELNS1_3gpuE3ELNS1_3repE0EEENS1_30default_config_static_selectorELNS0_4arch9wavefront6targetE0EEEvT1_
		.amdhsa_group_segment_fixed_size 0
		.amdhsa_private_segment_fixed_size 0
		.amdhsa_kernarg_size 40
		.amdhsa_user_sgpr_count 6
		.amdhsa_user_sgpr_private_segment_buffer 1
		.amdhsa_user_sgpr_dispatch_ptr 0
		.amdhsa_user_sgpr_queue_ptr 0
		.amdhsa_user_sgpr_kernarg_segment_ptr 1
		.amdhsa_user_sgpr_dispatch_id 0
		.amdhsa_user_sgpr_flat_scratch_init 0
		.amdhsa_user_sgpr_private_segment_size 0
		.amdhsa_wavefront_size32 1
		.amdhsa_uses_dynamic_stack 0
		.amdhsa_system_sgpr_private_segment_wavefront_offset 0
		.amdhsa_system_sgpr_workgroup_id_x 1
		.amdhsa_system_sgpr_workgroup_id_y 0
		.amdhsa_system_sgpr_workgroup_id_z 0
		.amdhsa_system_sgpr_workgroup_info 0
		.amdhsa_system_vgpr_workitem_id 0
		.amdhsa_next_free_vgpr 1
		.amdhsa_next_free_sgpr 1
		.amdhsa_reserve_vcc 0
		.amdhsa_reserve_flat_scratch 0
		.amdhsa_float_round_mode_32 0
		.amdhsa_float_round_mode_16_64 0
		.amdhsa_float_denorm_mode_32 3
		.amdhsa_float_denorm_mode_16_64 3
		.amdhsa_dx10_clamp 1
		.amdhsa_ieee_mode 1
		.amdhsa_fp16_overflow 0
		.amdhsa_workgroup_processor_mode 1
		.amdhsa_memory_ordered 1
		.amdhsa_forward_progress 1
		.amdhsa_shared_vgpr_count 0
		.amdhsa_exception_fp_ieee_invalid_op 0
		.amdhsa_exception_fp_denorm_src 0
		.amdhsa_exception_fp_ieee_div_zero 0
		.amdhsa_exception_fp_ieee_overflow 0
		.amdhsa_exception_fp_ieee_underflow 0
		.amdhsa_exception_fp_ieee_inexact 0
		.amdhsa_exception_int_div_zero 0
	.end_amdhsa_kernel
	.section	.text._ZN7rocprim17ROCPRIM_400000_NS6detail17trampoline_kernelINS0_14default_configENS1_20scan_config_selectorIN3c107complexIfEEEEZZNS1_9scan_implILNS1_25lookback_scan_determinismE0ELb0ELb0ES3_PKS7_PS7_S7_ZZZN2at6native31launch_logcumsumexp_cuda_kernelERKNSE_10TensorBaseESI_lENKUlvE_clEvENKUlvE2_clEvEUlS7_S7_E_S7_EEDaPvRmT3_T4_T5_mT6_P12ihipStream_tbENKUlT_T0_E_clISt17integral_constantIbLb1EESY_IbLb0EEEEDaSU_SV_EUlSU_E0_NS1_11comp_targetILNS1_3genE9ELNS1_11target_archE1100ELNS1_3gpuE3ELNS1_3repE0EEENS1_30default_config_static_selectorELNS0_4arch9wavefront6targetE0EEEvT1_,"axG",@progbits,_ZN7rocprim17ROCPRIM_400000_NS6detail17trampoline_kernelINS0_14default_configENS1_20scan_config_selectorIN3c107complexIfEEEEZZNS1_9scan_implILNS1_25lookback_scan_determinismE0ELb0ELb0ES3_PKS7_PS7_S7_ZZZN2at6native31launch_logcumsumexp_cuda_kernelERKNSE_10TensorBaseESI_lENKUlvE_clEvENKUlvE2_clEvEUlS7_S7_E_S7_EEDaPvRmT3_T4_T5_mT6_P12ihipStream_tbENKUlT_T0_E_clISt17integral_constantIbLb1EESY_IbLb0EEEEDaSU_SV_EUlSU_E0_NS1_11comp_targetILNS1_3genE9ELNS1_11target_archE1100ELNS1_3gpuE3ELNS1_3repE0EEENS1_30default_config_static_selectorELNS0_4arch9wavefront6targetE0EEEvT1_,comdat
.Lfunc_end326:
	.size	_ZN7rocprim17ROCPRIM_400000_NS6detail17trampoline_kernelINS0_14default_configENS1_20scan_config_selectorIN3c107complexIfEEEEZZNS1_9scan_implILNS1_25lookback_scan_determinismE0ELb0ELb0ES3_PKS7_PS7_S7_ZZZN2at6native31launch_logcumsumexp_cuda_kernelERKNSE_10TensorBaseESI_lENKUlvE_clEvENKUlvE2_clEvEUlS7_S7_E_S7_EEDaPvRmT3_T4_T5_mT6_P12ihipStream_tbENKUlT_T0_E_clISt17integral_constantIbLb1EESY_IbLb0EEEEDaSU_SV_EUlSU_E0_NS1_11comp_targetILNS1_3genE9ELNS1_11target_archE1100ELNS1_3gpuE3ELNS1_3repE0EEENS1_30default_config_static_selectorELNS0_4arch9wavefront6targetE0EEEvT1_, .Lfunc_end326-_ZN7rocprim17ROCPRIM_400000_NS6detail17trampoline_kernelINS0_14default_configENS1_20scan_config_selectorIN3c107complexIfEEEEZZNS1_9scan_implILNS1_25lookback_scan_determinismE0ELb0ELb0ES3_PKS7_PS7_S7_ZZZN2at6native31launch_logcumsumexp_cuda_kernelERKNSE_10TensorBaseESI_lENKUlvE_clEvENKUlvE2_clEvEUlS7_S7_E_S7_EEDaPvRmT3_T4_T5_mT6_P12ihipStream_tbENKUlT_T0_E_clISt17integral_constantIbLb1EESY_IbLb0EEEEDaSU_SV_EUlSU_E0_NS1_11comp_targetILNS1_3genE9ELNS1_11target_archE1100ELNS1_3gpuE3ELNS1_3repE0EEENS1_30default_config_static_selectorELNS0_4arch9wavefront6targetE0EEEvT1_
                                        ; -- End function
	.set _ZN7rocprim17ROCPRIM_400000_NS6detail17trampoline_kernelINS0_14default_configENS1_20scan_config_selectorIN3c107complexIfEEEEZZNS1_9scan_implILNS1_25lookback_scan_determinismE0ELb0ELb0ES3_PKS7_PS7_S7_ZZZN2at6native31launch_logcumsumexp_cuda_kernelERKNSE_10TensorBaseESI_lENKUlvE_clEvENKUlvE2_clEvEUlS7_S7_E_S7_EEDaPvRmT3_T4_T5_mT6_P12ihipStream_tbENKUlT_T0_E_clISt17integral_constantIbLb1EESY_IbLb0EEEEDaSU_SV_EUlSU_E0_NS1_11comp_targetILNS1_3genE9ELNS1_11target_archE1100ELNS1_3gpuE3ELNS1_3repE0EEENS1_30default_config_static_selectorELNS0_4arch9wavefront6targetE0EEEvT1_.num_vgpr, 0
	.set _ZN7rocprim17ROCPRIM_400000_NS6detail17trampoline_kernelINS0_14default_configENS1_20scan_config_selectorIN3c107complexIfEEEEZZNS1_9scan_implILNS1_25lookback_scan_determinismE0ELb0ELb0ES3_PKS7_PS7_S7_ZZZN2at6native31launch_logcumsumexp_cuda_kernelERKNSE_10TensorBaseESI_lENKUlvE_clEvENKUlvE2_clEvEUlS7_S7_E_S7_EEDaPvRmT3_T4_T5_mT6_P12ihipStream_tbENKUlT_T0_E_clISt17integral_constantIbLb1EESY_IbLb0EEEEDaSU_SV_EUlSU_E0_NS1_11comp_targetILNS1_3genE9ELNS1_11target_archE1100ELNS1_3gpuE3ELNS1_3repE0EEENS1_30default_config_static_selectorELNS0_4arch9wavefront6targetE0EEEvT1_.num_agpr, 0
	.set _ZN7rocprim17ROCPRIM_400000_NS6detail17trampoline_kernelINS0_14default_configENS1_20scan_config_selectorIN3c107complexIfEEEEZZNS1_9scan_implILNS1_25lookback_scan_determinismE0ELb0ELb0ES3_PKS7_PS7_S7_ZZZN2at6native31launch_logcumsumexp_cuda_kernelERKNSE_10TensorBaseESI_lENKUlvE_clEvENKUlvE2_clEvEUlS7_S7_E_S7_EEDaPvRmT3_T4_T5_mT6_P12ihipStream_tbENKUlT_T0_E_clISt17integral_constantIbLb1EESY_IbLb0EEEEDaSU_SV_EUlSU_E0_NS1_11comp_targetILNS1_3genE9ELNS1_11target_archE1100ELNS1_3gpuE3ELNS1_3repE0EEENS1_30default_config_static_selectorELNS0_4arch9wavefront6targetE0EEEvT1_.numbered_sgpr, 0
	.set _ZN7rocprim17ROCPRIM_400000_NS6detail17trampoline_kernelINS0_14default_configENS1_20scan_config_selectorIN3c107complexIfEEEEZZNS1_9scan_implILNS1_25lookback_scan_determinismE0ELb0ELb0ES3_PKS7_PS7_S7_ZZZN2at6native31launch_logcumsumexp_cuda_kernelERKNSE_10TensorBaseESI_lENKUlvE_clEvENKUlvE2_clEvEUlS7_S7_E_S7_EEDaPvRmT3_T4_T5_mT6_P12ihipStream_tbENKUlT_T0_E_clISt17integral_constantIbLb1EESY_IbLb0EEEEDaSU_SV_EUlSU_E0_NS1_11comp_targetILNS1_3genE9ELNS1_11target_archE1100ELNS1_3gpuE3ELNS1_3repE0EEENS1_30default_config_static_selectorELNS0_4arch9wavefront6targetE0EEEvT1_.num_named_barrier, 0
	.set _ZN7rocprim17ROCPRIM_400000_NS6detail17trampoline_kernelINS0_14default_configENS1_20scan_config_selectorIN3c107complexIfEEEEZZNS1_9scan_implILNS1_25lookback_scan_determinismE0ELb0ELb0ES3_PKS7_PS7_S7_ZZZN2at6native31launch_logcumsumexp_cuda_kernelERKNSE_10TensorBaseESI_lENKUlvE_clEvENKUlvE2_clEvEUlS7_S7_E_S7_EEDaPvRmT3_T4_T5_mT6_P12ihipStream_tbENKUlT_T0_E_clISt17integral_constantIbLb1EESY_IbLb0EEEEDaSU_SV_EUlSU_E0_NS1_11comp_targetILNS1_3genE9ELNS1_11target_archE1100ELNS1_3gpuE3ELNS1_3repE0EEENS1_30default_config_static_selectorELNS0_4arch9wavefront6targetE0EEEvT1_.private_seg_size, 0
	.set _ZN7rocprim17ROCPRIM_400000_NS6detail17trampoline_kernelINS0_14default_configENS1_20scan_config_selectorIN3c107complexIfEEEEZZNS1_9scan_implILNS1_25lookback_scan_determinismE0ELb0ELb0ES3_PKS7_PS7_S7_ZZZN2at6native31launch_logcumsumexp_cuda_kernelERKNSE_10TensorBaseESI_lENKUlvE_clEvENKUlvE2_clEvEUlS7_S7_E_S7_EEDaPvRmT3_T4_T5_mT6_P12ihipStream_tbENKUlT_T0_E_clISt17integral_constantIbLb1EESY_IbLb0EEEEDaSU_SV_EUlSU_E0_NS1_11comp_targetILNS1_3genE9ELNS1_11target_archE1100ELNS1_3gpuE3ELNS1_3repE0EEENS1_30default_config_static_selectorELNS0_4arch9wavefront6targetE0EEEvT1_.uses_vcc, 0
	.set _ZN7rocprim17ROCPRIM_400000_NS6detail17trampoline_kernelINS0_14default_configENS1_20scan_config_selectorIN3c107complexIfEEEEZZNS1_9scan_implILNS1_25lookback_scan_determinismE0ELb0ELb0ES3_PKS7_PS7_S7_ZZZN2at6native31launch_logcumsumexp_cuda_kernelERKNSE_10TensorBaseESI_lENKUlvE_clEvENKUlvE2_clEvEUlS7_S7_E_S7_EEDaPvRmT3_T4_T5_mT6_P12ihipStream_tbENKUlT_T0_E_clISt17integral_constantIbLb1EESY_IbLb0EEEEDaSU_SV_EUlSU_E0_NS1_11comp_targetILNS1_3genE9ELNS1_11target_archE1100ELNS1_3gpuE3ELNS1_3repE0EEENS1_30default_config_static_selectorELNS0_4arch9wavefront6targetE0EEEvT1_.uses_flat_scratch, 0
	.set _ZN7rocprim17ROCPRIM_400000_NS6detail17trampoline_kernelINS0_14default_configENS1_20scan_config_selectorIN3c107complexIfEEEEZZNS1_9scan_implILNS1_25lookback_scan_determinismE0ELb0ELb0ES3_PKS7_PS7_S7_ZZZN2at6native31launch_logcumsumexp_cuda_kernelERKNSE_10TensorBaseESI_lENKUlvE_clEvENKUlvE2_clEvEUlS7_S7_E_S7_EEDaPvRmT3_T4_T5_mT6_P12ihipStream_tbENKUlT_T0_E_clISt17integral_constantIbLb1EESY_IbLb0EEEEDaSU_SV_EUlSU_E0_NS1_11comp_targetILNS1_3genE9ELNS1_11target_archE1100ELNS1_3gpuE3ELNS1_3repE0EEENS1_30default_config_static_selectorELNS0_4arch9wavefront6targetE0EEEvT1_.has_dyn_sized_stack, 0
	.set _ZN7rocprim17ROCPRIM_400000_NS6detail17trampoline_kernelINS0_14default_configENS1_20scan_config_selectorIN3c107complexIfEEEEZZNS1_9scan_implILNS1_25lookback_scan_determinismE0ELb0ELb0ES3_PKS7_PS7_S7_ZZZN2at6native31launch_logcumsumexp_cuda_kernelERKNSE_10TensorBaseESI_lENKUlvE_clEvENKUlvE2_clEvEUlS7_S7_E_S7_EEDaPvRmT3_T4_T5_mT6_P12ihipStream_tbENKUlT_T0_E_clISt17integral_constantIbLb1EESY_IbLb0EEEEDaSU_SV_EUlSU_E0_NS1_11comp_targetILNS1_3genE9ELNS1_11target_archE1100ELNS1_3gpuE3ELNS1_3repE0EEENS1_30default_config_static_selectorELNS0_4arch9wavefront6targetE0EEEvT1_.has_recursion, 0
	.set _ZN7rocprim17ROCPRIM_400000_NS6detail17trampoline_kernelINS0_14default_configENS1_20scan_config_selectorIN3c107complexIfEEEEZZNS1_9scan_implILNS1_25lookback_scan_determinismE0ELb0ELb0ES3_PKS7_PS7_S7_ZZZN2at6native31launch_logcumsumexp_cuda_kernelERKNSE_10TensorBaseESI_lENKUlvE_clEvENKUlvE2_clEvEUlS7_S7_E_S7_EEDaPvRmT3_T4_T5_mT6_P12ihipStream_tbENKUlT_T0_E_clISt17integral_constantIbLb1EESY_IbLb0EEEEDaSU_SV_EUlSU_E0_NS1_11comp_targetILNS1_3genE9ELNS1_11target_archE1100ELNS1_3gpuE3ELNS1_3repE0EEENS1_30default_config_static_selectorELNS0_4arch9wavefront6targetE0EEEvT1_.has_indirect_call, 0
	.section	.AMDGPU.csdata,"",@progbits
; Kernel info:
; codeLenInByte = 0
; TotalNumSgprs: 0
; NumVgprs: 0
; ScratchSize: 0
; MemoryBound: 0
; FloatMode: 240
; IeeeMode: 1
; LDSByteSize: 0 bytes/workgroup (compile time only)
; SGPRBlocks: 0
; VGPRBlocks: 0
; NumSGPRsForWavesPerEU: 1
; NumVGPRsForWavesPerEU: 1
; Occupancy: 16
; WaveLimiterHint : 0
; COMPUTE_PGM_RSRC2:SCRATCH_EN: 0
; COMPUTE_PGM_RSRC2:USER_SGPR: 6
; COMPUTE_PGM_RSRC2:TRAP_HANDLER: 0
; COMPUTE_PGM_RSRC2:TGID_X_EN: 1
; COMPUTE_PGM_RSRC2:TGID_Y_EN: 0
; COMPUTE_PGM_RSRC2:TGID_Z_EN: 0
; COMPUTE_PGM_RSRC2:TIDIG_COMP_CNT: 0
	.section	.text._ZN7rocprim17ROCPRIM_400000_NS6detail17trampoline_kernelINS0_14default_configENS1_20scan_config_selectorIN3c107complexIfEEEEZZNS1_9scan_implILNS1_25lookback_scan_determinismE0ELb0ELb0ES3_PKS7_PS7_S7_ZZZN2at6native31launch_logcumsumexp_cuda_kernelERKNSE_10TensorBaseESI_lENKUlvE_clEvENKUlvE2_clEvEUlS7_S7_E_S7_EEDaPvRmT3_T4_T5_mT6_P12ihipStream_tbENKUlT_T0_E_clISt17integral_constantIbLb1EESY_IbLb0EEEEDaSU_SV_EUlSU_E0_NS1_11comp_targetILNS1_3genE8ELNS1_11target_archE1030ELNS1_3gpuE2ELNS1_3repE0EEENS1_30default_config_static_selectorELNS0_4arch9wavefront6targetE0EEEvT1_,"axG",@progbits,_ZN7rocprim17ROCPRIM_400000_NS6detail17trampoline_kernelINS0_14default_configENS1_20scan_config_selectorIN3c107complexIfEEEEZZNS1_9scan_implILNS1_25lookback_scan_determinismE0ELb0ELb0ES3_PKS7_PS7_S7_ZZZN2at6native31launch_logcumsumexp_cuda_kernelERKNSE_10TensorBaseESI_lENKUlvE_clEvENKUlvE2_clEvEUlS7_S7_E_S7_EEDaPvRmT3_T4_T5_mT6_P12ihipStream_tbENKUlT_T0_E_clISt17integral_constantIbLb1EESY_IbLb0EEEEDaSU_SV_EUlSU_E0_NS1_11comp_targetILNS1_3genE8ELNS1_11target_archE1030ELNS1_3gpuE2ELNS1_3repE0EEENS1_30default_config_static_selectorELNS0_4arch9wavefront6targetE0EEEvT1_,comdat
	.globl	_ZN7rocprim17ROCPRIM_400000_NS6detail17trampoline_kernelINS0_14default_configENS1_20scan_config_selectorIN3c107complexIfEEEEZZNS1_9scan_implILNS1_25lookback_scan_determinismE0ELb0ELb0ES3_PKS7_PS7_S7_ZZZN2at6native31launch_logcumsumexp_cuda_kernelERKNSE_10TensorBaseESI_lENKUlvE_clEvENKUlvE2_clEvEUlS7_S7_E_S7_EEDaPvRmT3_T4_T5_mT6_P12ihipStream_tbENKUlT_T0_E_clISt17integral_constantIbLb1EESY_IbLb0EEEEDaSU_SV_EUlSU_E0_NS1_11comp_targetILNS1_3genE8ELNS1_11target_archE1030ELNS1_3gpuE2ELNS1_3repE0EEENS1_30default_config_static_selectorELNS0_4arch9wavefront6targetE0EEEvT1_ ; -- Begin function _ZN7rocprim17ROCPRIM_400000_NS6detail17trampoline_kernelINS0_14default_configENS1_20scan_config_selectorIN3c107complexIfEEEEZZNS1_9scan_implILNS1_25lookback_scan_determinismE0ELb0ELb0ES3_PKS7_PS7_S7_ZZZN2at6native31launch_logcumsumexp_cuda_kernelERKNSE_10TensorBaseESI_lENKUlvE_clEvENKUlvE2_clEvEUlS7_S7_E_S7_EEDaPvRmT3_T4_T5_mT6_P12ihipStream_tbENKUlT_T0_E_clISt17integral_constantIbLb1EESY_IbLb0EEEEDaSU_SV_EUlSU_E0_NS1_11comp_targetILNS1_3genE8ELNS1_11target_archE1030ELNS1_3gpuE2ELNS1_3repE0EEENS1_30default_config_static_selectorELNS0_4arch9wavefront6targetE0EEEvT1_
	.p2align	8
	.type	_ZN7rocprim17ROCPRIM_400000_NS6detail17trampoline_kernelINS0_14default_configENS1_20scan_config_selectorIN3c107complexIfEEEEZZNS1_9scan_implILNS1_25lookback_scan_determinismE0ELb0ELb0ES3_PKS7_PS7_S7_ZZZN2at6native31launch_logcumsumexp_cuda_kernelERKNSE_10TensorBaseESI_lENKUlvE_clEvENKUlvE2_clEvEUlS7_S7_E_S7_EEDaPvRmT3_T4_T5_mT6_P12ihipStream_tbENKUlT_T0_E_clISt17integral_constantIbLb1EESY_IbLb0EEEEDaSU_SV_EUlSU_E0_NS1_11comp_targetILNS1_3genE8ELNS1_11target_archE1030ELNS1_3gpuE2ELNS1_3repE0EEENS1_30default_config_static_selectorELNS0_4arch9wavefront6targetE0EEEvT1_,@function
_ZN7rocprim17ROCPRIM_400000_NS6detail17trampoline_kernelINS0_14default_configENS1_20scan_config_selectorIN3c107complexIfEEEEZZNS1_9scan_implILNS1_25lookback_scan_determinismE0ELb0ELb0ES3_PKS7_PS7_S7_ZZZN2at6native31launch_logcumsumexp_cuda_kernelERKNSE_10TensorBaseESI_lENKUlvE_clEvENKUlvE2_clEvEUlS7_S7_E_S7_EEDaPvRmT3_T4_T5_mT6_P12ihipStream_tbENKUlT_T0_E_clISt17integral_constantIbLb1EESY_IbLb0EEEEDaSU_SV_EUlSU_E0_NS1_11comp_targetILNS1_3genE8ELNS1_11target_archE1030ELNS1_3gpuE2ELNS1_3repE0EEENS1_30default_config_static_selectorELNS0_4arch9wavefront6targetE0EEEvT1_: ; @_ZN7rocprim17ROCPRIM_400000_NS6detail17trampoline_kernelINS0_14default_configENS1_20scan_config_selectorIN3c107complexIfEEEEZZNS1_9scan_implILNS1_25lookback_scan_determinismE0ELb0ELb0ES3_PKS7_PS7_S7_ZZZN2at6native31launch_logcumsumexp_cuda_kernelERKNSE_10TensorBaseESI_lENKUlvE_clEvENKUlvE2_clEvEUlS7_S7_E_S7_EEDaPvRmT3_T4_T5_mT6_P12ihipStream_tbENKUlT_T0_E_clISt17integral_constantIbLb1EESY_IbLb0EEEEDaSU_SV_EUlSU_E0_NS1_11comp_targetILNS1_3genE8ELNS1_11target_archE1030ELNS1_3gpuE2ELNS1_3repE0EEENS1_30default_config_static_selectorELNS0_4arch9wavefront6targetE0EEEvT1_
; %bb.0:
	s_load_dwordx4 s[8:11], s[4:5], 0x0
	s_add_u32 s0, s0, s7
	v_mov_b32_e32 v36, v0
	s_addc_u32 s1, s1, 0
	s_mov_b32 s32, 0
	v_lshlrev_b32_e32 v43, 3, v36
	s_waitcnt lgkmcnt(0)
	s_load_dwordx2 s[6:7], s[8:9], 0x0
	v_cmp_gt_u32_e64 s11, s10, v36
	s_waitcnt lgkmcnt(0)
	v_mov_b32_e32 v1, s7
	v_mov_b32_e32 v0, s6
	s_and_saveexec_b32 s12, s11
	s_cbranch_execz .LBB327_2
; %bb.1:
	global_load_dwordx2 v[0:1], v43, s[8:9]
.LBB327_2:
	s_or_b32 exec_lo, exec_lo, s12
	v_or_b32_e32 v8, 0x100, v36
	v_mov_b32_e32 v3, s7
	v_mov_b32_e32 v2, s6
	v_cmp_gt_u32_e64 s12, s10, v8
	s_and_saveexec_b32 s13, s12
	s_cbranch_execz .LBB327_4
; %bb.3:
	v_lshlrev_b32_e32 v2, 3, v8
	global_load_dwordx2 v[2:3], v2, s[8:9]
.LBB327_4:
	s_or_b32 exec_lo, exec_lo, s13
	v_or_b32_e32 v9, 0x200, v36
	v_mov_b32_e32 v5, s7
	v_mov_b32_e32 v4, s6
	v_cmp_gt_u32_e64 s13, s10, v9
	s_and_saveexec_b32 s14, s13
	s_cbranch_execz .LBB327_6
; %bb.5:
	v_lshlrev_b32_e32 v4, 3, v9
	global_load_dwordx2 v[4:5], v4, s[8:9]
.LBB327_6:
	;; [unrolled: 11-line block ×3, first 2 shown]
	s_or_b32 exec_lo, exec_lo, s6
	v_lshrrev_b32_e32 v8, 2, v8
	v_lshrrev_b32_e32 v11, 2, v36
	;; [unrolled: 1-line block ×4, first 2 shown]
	v_and_b32_e32 v12, 0xf8, v36
	v_and_b32_e32 v8, 0x78, v8
	v_and_b32_e32 v11, 56, v11
	v_and_b32_e32 v10, 0xf8, v10
	v_and_b32_e32 v9, 0xf8, v9
	s_load_dwordx2 s[16:17], s[4:5], 0x20
	v_add_nc_u32_e32 v45, v8, v43
	v_lshlrev_b32_e32 v8, 5, v36
	v_add_nc_u32_e32 v44, v11, v43
	v_add_nc_u32_e32 v47, v10, v43
	;; [unrolled: 1-line block ×3, first 2 shown]
	s_waitcnt vmcnt(0)
	ds_write_b64 v44, v[0:1]
	ds_write_b64 v45, v[2:3] offset:2048
	ds_write_b64 v46, v[4:5] offset:4096
	v_add_nc_u32_e32 v48, v12, v8
	ds_write_b64 v47, v[6:7] offset:6144
	s_waitcnt lgkmcnt(0)
	s_barrier
	buffer_gl0_inv
	ds_read2_b64 v[22:25], v48 offset1:1
	ds_read2_b64 v[26:29], v48 offset0:2 offset1:3
	s_getpc_b64 s[18:19]
	s_add_u32 s18, s18, _ZZZZN2at6native31launch_logcumsumexp_cuda_kernelERKNS_10TensorBaseES3_lENKUlvE_clEvENKUlvE2_clEvENKUlN3c107complexIfEES8_E_clES8_S8_@rel32@lo+4
	s_addc_u32 s19, s19, _ZZZZN2at6native31launch_logcumsumexp_cuda_kernelERKNS_10TensorBaseES3_lENKUlvE_clEvENKUlvE2_clEvENKUlN3c107complexIfEES8_E_clES8_S8_@rel32@hi+12
	s_waitcnt lgkmcnt(0)
	s_barrier
	buffer_gl0_inv
	v_mov_b32_e32 v0, v22
	v_mov_b32_e32 v1, v23
	v_mov_b32_e32 v2, v24
	v_mov_b32_e32 v3, v25
	s_swappc_b64 s[30:31], s[18:19]
	v_mov_b32_e32 v2, v26
	v_mov_b32_e32 v3, v27
	v_mov_b32_e32 v37, v0
	v_mov_b32_e32 v38, v1
	s_swappc_b64 s[30:31], s[18:19]
	;; [unrolled: 5-line block ×3, first 2 shown]
	v_mov_b32_e32 v32, v0
	v_mov_b32_e32 v33, v1
	s_mov_b32 s15, exec_lo
	ds_write_b64 v44, v[32:33]
	s_waitcnt lgkmcnt(0)
	s_waitcnt_vscnt null, 0x0
	s_barrier
	buffer_gl0_inv
	v_cmpx_gt_u32_e32 32, v36
	s_cbranch_execz .LBB327_20
; %bb.9:
	v_lshlrev_b32_e32 v0, 1, v36
	v_lshlrev_b32_e32 v1, 6, v36
	v_and_b32_e32 v0, 0x1f8, v0
	v_add_nc_u32_e32 v49, v0, v1
	ds_read_b64 v[34:35], v49
	ds_read2_b64 v[39:42], v49 offset0:1 offset1:2
	s_waitcnt lgkmcnt(1)
	v_mov_b32_e32 v0, v34
	v_mov_b32_e32 v1, v35
	s_waitcnt lgkmcnt(0)
	v_mov_b32_e32 v2, v39
	v_mov_b32_e32 v3, v40
	s_swappc_b64 s[30:31], s[18:19]
	v_mov_b32_e32 v2, v41
	v_mov_b32_e32 v3, v42
	s_swappc_b64 s[30:31], s[18:19]
	ds_read2_b64 v[39:42], v49 offset0:3 offset1:4
	s_waitcnt lgkmcnt(0)
	v_mov_b32_e32 v2, v39
	v_mov_b32_e32 v3, v40
	s_swappc_b64 s[30:31], s[18:19]
	v_mov_b32_e32 v2, v41
	v_mov_b32_e32 v3, v42
	s_swappc_b64 s[30:31], s[18:19]
	ds_read2_b64 v[39:42], v49 offset0:5 offset1:6
	s_waitcnt lgkmcnt(0)
	v_mov_b32_e32 v2, v39
	v_mov_b32_e32 v3, v40
	s_swappc_b64 s[30:31], s[18:19]
	v_mov_b32_e32 v2, v41
	v_mov_b32_e32 v3, v42
	s_swappc_b64 s[30:31], s[18:19]
	ds_read_b64 v[2:3], v49 offset:56
	s_swappc_b64 s[30:31], s[18:19]
	v_mov_b32_e32 v2, v0
	v_mov_b32_e32 v3, v1
	v_mbcnt_lo_u32_b32 v39, -1, 0
	s_mov_b32 s18, exec_lo
	v_mov_b32_dpp v0, v2 row_shr:1 row_mask:0xf bank_mask:0xf
	v_mov_b32_dpp v1, v3 row_shr:1 row_mask:0xf bank_mask:0xf
	v_and_b32_e32 v40, 15, v39
	v_cmpx_ne_u32_e32 0, v40
	s_cbranch_execz .LBB327_11
; %bb.10:
	s_getpc_b64 s[4:5]
	s_add_u32 s4, s4, _ZZZZN2at6native31launch_logcumsumexp_cuda_kernelERKNS_10TensorBaseES3_lENKUlvE_clEvENKUlvE2_clEvENKUlN3c107complexIfEES8_E_clES8_S8_@rel32@lo+4
	s_addc_u32 s5, s5, _ZZZZN2at6native31launch_logcumsumexp_cuda_kernelERKNS_10TensorBaseES3_lENKUlvE_clEvENKUlvE2_clEvENKUlN3c107complexIfEES8_E_clES8_S8_@rel32@hi+12
	s_swappc_b64 s[30:31], s[4:5]
	v_mov_b32_e32 v2, v0
	v_mov_b32_e32 v3, v1
.LBB327_11:
	s_or_b32 exec_lo, exec_lo, s18
	v_mov_b32_dpp v0, v2 row_shr:2 row_mask:0xf bank_mask:0xf
	v_mov_b32_dpp v1, v3 row_shr:2 row_mask:0xf bank_mask:0xf
	s_mov_b32 s18, exec_lo
	v_cmpx_lt_u32_e32 1, v40
	s_cbranch_execz .LBB327_13
; %bb.12:
	s_getpc_b64 s[4:5]
	s_add_u32 s4, s4, _ZZZZN2at6native31launch_logcumsumexp_cuda_kernelERKNS_10TensorBaseES3_lENKUlvE_clEvENKUlvE2_clEvENKUlN3c107complexIfEES8_E_clES8_S8_@rel32@lo+4
	s_addc_u32 s5, s5, _ZZZZN2at6native31launch_logcumsumexp_cuda_kernelERKNS_10TensorBaseES3_lENKUlvE_clEvENKUlvE2_clEvENKUlN3c107complexIfEES8_E_clES8_S8_@rel32@hi+12
	s_swappc_b64 s[30:31], s[4:5]
	v_mov_b32_e32 v2, v0
	v_mov_b32_e32 v3, v1
.LBB327_13:
	s_or_b32 exec_lo, exec_lo, s18
	v_mov_b32_dpp v0, v2 row_shr:4 row_mask:0xf bank_mask:0xf
	v_mov_b32_dpp v1, v3 row_shr:4 row_mask:0xf bank_mask:0xf
	s_mov_b32 s18, exec_lo
	v_cmpx_lt_u32_e32 3, v40
	;; [unrolled: 14-line block ×3, first 2 shown]
	s_cbranch_execz .LBB327_17
; %bb.16:
	s_getpc_b64 s[4:5]
	s_add_u32 s4, s4, _ZZZZN2at6native31launch_logcumsumexp_cuda_kernelERKNS_10TensorBaseES3_lENKUlvE_clEvENKUlvE2_clEvENKUlN3c107complexIfEES8_E_clES8_S8_@rel32@lo+4
	s_addc_u32 s5, s5, _ZZZZN2at6native31launch_logcumsumexp_cuda_kernelERKNS_10TensorBaseES3_lENKUlvE_clEvENKUlvE2_clEvENKUlN3c107complexIfEES8_E_clES8_S8_@rel32@hi+12
	s_swappc_b64 s[30:31], s[4:5]
	v_mov_b32_e32 v2, v0
	v_mov_b32_e32 v3, v1
.LBB327_17:
	s_or_b32 exec_lo, exec_lo, s18
	ds_swizzle_b32 v0, v2 offset:swizzle(BROADCAST,32,15)
	ds_swizzle_b32 v1, v3 offset:swizzle(BROADCAST,32,15)
	v_and_b32_e32 v4, 16, v39
	s_mov_b32 s18, exec_lo
	v_cmpx_ne_u32_e32 0, v4
	s_cbranch_execz .LBB327_19
; %bb.18:
	s_getpc_b64 s[4:5]
	s_add_u32 s4, s4, _ZZZZN2at6native31launch_logcumsumexp_cuda_kernelERKNS_10TensorBaseES3_lENKUlvE_clEvENKUlvE2_clEvENKUlN3c107complexIfEES8_E_clES8_S8_@rel32@lo+4
	s_addc_u32 s5, s5, _ZZZZN2at6native31launch_logcumsumexp_cuda_kernelERKNS_10TensorBaseES3_lENKUlvE_clEvENKUlvE2_clEvENKUlN3c107complexIfEES8_E_clES8_S8_@rel32@hi+12
	s_swappc_b64 s[30:31], s[4:5]
	v_mov_b32_e32 v2, v0
	v_mov_b32_e32 v3, v1
.LBB327_19:
	s_or_b32 exec_lo, exec_lo, s18
	s_waitcnt lgkmcnt(1)
	v_add_nc_u32_e32 v0, -1, v39
	s_getpc_b64 s[18:19]
	s_add_u32 s18, s18, _ZZZZN2at6native31launch_logcumsumexp_cuda_kernelERKNS_10TensorBaseES3_lENKUlvE_clEvENKUlvE2_clEvENKUlN3c107complexIfEES8_E_clES8_S8_@rel32@lo+4
	s_addc_u32 s19, s19, _ZZZZN2at6native31launch_logcumsumexp_cuda_kernelERKNS_10TensorBaseES3_lENKUlvE_clEvENKUlvE2_clEvENKUlN3c107complexIfEES8_E_clES8_S8_@rel32@hi+12
	v_cmp_gt_i32_e32 vcc_lo, 0, v0
	v_cndmask_b32_e32 v0, v0, v39, vcc_lo
	s_waitcnt lgkmcnt(0)
	v_lshlrev_b32_e32 v1, 2, v0
	ds_bpermute_b32 v0, v1, v2
	ds_bpermute_b32 v1, v1, v3
	v_mov_b32_e32 v2, v34
	v_mov_b32_e32 v3, v35
	s_swappc_b64 s[30:31], s[18:19]
	v_cmp_eq_u32_e32 vcc_lo, 0, v36
	; wave barrier
	v_cndmask_b32_e32 v0, v0, v32, vcc_lo
	v_cndmask_b32_e32 v1, v1, v33, vcc_lo
	ds_write_b64 v49, v[0:1]
	; wave barrier
	ds_read2_b64 v[39:42], v49 offset0:1 offset1:2
	s_waitcnt lgkmcnt(0)
	v_mov_b32_e32 v2, v39
	v_mov_b32_e32 v3, v40
	s_swappc_b64 s[30:31], s[18:19]
	v_mov_b32_e32 v2, v41
	v_mov_b32_e32 v3, v42
	v_mov_b32_e32 v34, v0
	v_mov_b32_e32 v35, v1
	s_swappc_b64 s[30:31], s[18:19]
	ds_read2_b64 v[39:42], v49 offset0:3 offset1:4
	ds_write2_b64 v49, v[34:35], v[0:1] offset0:1 offset1:2
	s_waitcnt lgkmcnt(1)
	v_mov_b32_e32 v2, v39
	v_mov_b32_e32 v3, v40
	s_swappc_b64 s[30:31], s[18:19]
	v_mov_b32_e32 v2, v41
	v_mov_b32_e32 v3, v42
	;; [unrolled: 1-line block ×4, first 2 shown]
	s_swappc_b64 s[30:31], s[18:19]
	ds_read2_b64 v[39:42], v49 offset0:5 offset1:6
	ds_write2_b64 v49, v[34:35], v[0:1] offset0:3 offset1:4
	s_waitcnt lgkmcnt(1)
	v_mov_b32_e32 v2, v39
	v_mov_b32_e32 v3, v40
	s_swappc_b64 s[30:31], s[18:19]
	v_mov_b32_e32 v2, v41
	v_mov_b32_e32 v3, v42
	;; [unrolled: 1-line block ×4, first 2 shown]
	s_swappc_b64 s[30:31], s[18:19]
	ds_read_b64 v[2:3], v49 offset:56
	ds_write2_b64 v49, v[34:35], v[0:1] offset0:5 offset1:6
	s_swappc_b64 s[30:31], s[18:19]
	ds_write_b64 v49, v[0:1] offset:56
.LBB327_20:
	s_or_b32 exec_lo, exec_lo, s15
	s_mov_b32 s15, exec_lo
	s_waitcnt lgkmcnt(0)
	s_waitcnt_vscnt null, 0x0
	s_barrier
	buffer_gl0_inv
	v_cmpx_ne_u32_e32 0, v36
	s_cbranch_execz .LBB327_22
; %bb.21:
	v_add_nc_u32_e32 v0, -1, v36
	v_mov_b32_e32 v2, v22
	v_mov_b32_e32 v3, v23
	s_getpc_b64 s[18:19]
	s_add_u32 s18, s18, _ZZZZN2at6native31launch_logcumsumexp_cuda_kernelERKNS_10TensorBaseES3_lENKUlvE_clEvENKUlvE2_clEvENKUlN3c107complexIfEES8_E_clES8_S8_@rel32@lo+4
	s_addc_u32 s19, s19, _ZZZZN2at6native31launch_logcumsumexp_cuda_kernelERKNS_10TensorBaseES3_lENKUlvE_clEvENKUlvE2_clEvENKUlN3c107complexIfEES8_E_clES8_S8_@rel32@hi+12
	v_lshrrev_b32_e32 v1, 2, v0
	v_and_b32_e32 v1, 0x3ffffff8, v1
	v_lshl_add_u32 v0, v0, 3, v1
	ds_read_b64 v[0:1], v0
	s_swappc_b64 s[30:31], s[18:19]
	v_mov_b32_e32 v2, v24
	v_mov_b32_e32 v3, v25
	;; [unrolled: 1-line block ×4, first 2 shown]
	;;#ASMSTART
	;;#ASMEND
	s_swappc_b64 s[30:31], s[18:19]
	v_mov_b32_e32 v2, v26
	v_mov_b32_e32 v3, v27
	;; [unrolled: 1-line block ×4, first 2 shown]
	s_swappc_b64 s[30:31], s[18:19]
	v_mov_b32_e32 v2, v28
	v_mov_b32_e32 v3, v29
	;; [unrolled: 1-line block ×4, first 2 shown]
	s_swappc_b64 s[30:31], s[18:19]
	v_mov_b32_e32 v32, v0
	v_mov_b32_e32 v33, v1
.LBB327_22:
	s_or_b32 exec_lo, exec_lo, s15
	v_mov_b32_e32 v0, v37
	v_mov_b32_e32 v1, v38
	s_waitcnt_vscnt null, 0x0
	s_barrier
	buffer_gl0_inv
	ds_write2_b64 v48, v[22:23], v[0:1] offset1:1
	ds_write2_b64 v48, v[30:31], v[32:33] offset0:2 offset1:3
	s_waitcnt lgkmcnt(0)
	s_barrier
	buffer_gl0_inv
	ds_read_b64 v[6:7], v45 offset:2048
	ds_read_b64 v[4:5], v46 offset:4096
	;; [unrolled: 1-line block ×3, first 2 shown]
	v_add_co_u32 v2, s4, s16, v43
	v_add_co_ci_u32_e64 v3, null, s17, 0, s4
	s_and_saveexec_b32 s4, s11
	s_cbranch_execnz .LBB327_27
; %bb.23:
	s_or_b32 exec_lo, exec_lo, s4
	s_and_saveexec_b32 s4, s12
	s_cbranch_execnz .LBB327_28
.LBB327_24:
	s_or_b32 exec_lo, exec_lo, s4
	s_and_saveexec_b32 s4, s13
	s_cbranch_execnz .LBB327_29
.LBB327_25:
	s_or_b32 exec_lo, exec_lo, s4
	s_and_saveexec_b32 s4, s14
	s_cbranch_execnz .LBB327_30
.LBB327_26:
	s_endpgm
.LBB327_27:
	ds_read_b64 v[8:9], v44
	s_waitcnt lgkmcnt(0)
	global_store_dwordx2 v[2:3], v[8:9], off
	s_or_b32 exec_lo, exec_lo, s4
	s_and_saveexec_b32 s4, s12
	s_cbranch_execz .LBB327_24
.LBB327_28:
	v_add_co_u32 v8, vcc_lo, 0x800, v2
	v_add_co_ci_u32_e64 v9, null, 0, v3, vcc_lo
	s_waitcnt lgkmcnt(2)
	global_store_dwordx2 v[8:9], v[6:7], off
	s_or_b32 exec_lo, exec_lo, s4
	s_and_saveexec_b32 s4, s13
	s_cbranch_execz .LBB327_25
.LBB327_29:
	s_waitcnt lgkmcnt(2)
	v_add_co_u32 v6, vcc_lo, 0x1000, v2
	v_add_co_ci_u32_e64 v7, null, 0, v3, vcc_lo
	s_waitcnt lgkmcnt(1)
	global_store_dwordx2 v[6:7], v[4:5], off
	s_or_b32 exec_lo, exec_lo, s4
	s_and_saveexec_b32 s4, s14
	s_cbranch_execz .LBB327_26
.LBB327_30:
	v_add_co_u32 v2, vcc_lo, 0x1800, v2
	v_add_co_ci_u32_e64 v3, null, 0, v3, vcc_lo
	s_waitcnt lgkmcnt(0)
	global_store_dwordx2 v[2:3], v[0:1], off
	s_endpgm
	.section	.rodata,"a",@progbits
	.p2align	6, 0x0
	.amdhsa_kernel _ZN7rocprim17ROCPRIM_400000_NS6detail17trampoline_kernelINS0_14default_configENS1_20scan_config_selectorIN3c107complexIfEEEEZZNS1_9scan_implILNS1_25lookback_scan_determinismE0ELb0ELb0ES3_PKS7_PS7_S7_ZZZN2at6native31launch_logcumsumexp_cuda_kernelERKNSE_10TensorBaseESI_lENKUlvE_clEvENKUlvE2_clEvEUlS7_S7_E_S7_EEDaPvRmT3_T4_T5_mT6_P12ihipStream_tbENKUlT_T0_E_clISt17integral_constantIbLb1EESY_IbLb0EEEEDaSU_SV_EUlSU_E0_NS1_11comp_targetILNS1_3genE8ELNS1_11target_archE1030ELNS1_3gpuE2ELNS1_3repE0EEENS1_30default_config_static_selectorELNS0_4arch9wavefront6targetE0EEEvT1_
		.amdhsa_group_segment_fixed_size 8448
		.amdhsa_private_segment_fixed_size 0
		.amdhsa_kernarg_size 40
		.amdhsa_user_sgpr_count 6
		.amdhsa_user_sgpr_private_segment_buffer 1
		.amdhsa_user_sgpr_dispatch_ptr 0
		.amdhsa_user_sgpr_queue_ptr 0
		.amdhsa_user_sgpr_kernarg_segment_ptr 1
		.amdhsa_user_sgpr_dispatch_id 0
		.amdhsa_user_sgpr_flat_scratch_init 0
		.amdhsa_user_sgpr_private_segment_size 0
		.amdhsa_wavefront_size32 1
		.amdhsa_uses_dynamic_stack 0
		.amdhsa_system_sgpr_private_segment_wavefront_offset 0
		.amdhsa_system_sgpr_workgroup_id_x 1
		.amdhsa_system_sgpr_workgroup_id_y 0
		.amdhsa_system_sgpr_workgroup_id_z 0
		.amdhsa_system_sgpr_workgroup_info 0
		.amdhsa_system_vgpr_workitem_id 0
		.amdhsa_next_free_vgpr 50
		.amdhsa_next_free_sgpr 33
		.amdhsa_reserve_vcc 1
		.amdhsa_reserve_flat_scratch 0
		.amdhsa_float_round_mode_32 0
		.amdhsa_float_round_mode_16_64 0
		.amdhsa_float_denorm_mode_32 3
		.amdhsa_float_denorm_mode_16_64 3
		.amdhsa_dx10_clamp 1
		.amdhsa_ieee_mode 1
		.amdhsa_fp16_overflow 0
		.amdhsa_workgroup_processor_mode 1
		.amdhsa_memory_ordered 1
		.amdhsa_forward_progress 1
		.amdhsa_shared_vgpr_count 0
		.amdhsa_exception_fp_ieee_invalid_op 0
		.amdhsa_exception_fp_denorm_src 0
		.amdhsa_exception_fp_ieee_div_zero 0
		.amdhsa_exception_fp_ieee_overflow 0
		.amdhsa_exception_fp_ieee_underflow 0
		.amdhsa_exception_fp_ieee_inexact 0
		.amdhsa_exception_int_div_zero 0
	.end_amdhsa_kernel
	.section	.text._ZN7rocprim17ROCPRIM_400000_NS6detail17trampoline_kernelINS0_14default_configENS1_20scan_config_selectorIN3c107complexIfEEEEZZNS1_9scan_implILNS1_25lookback_scan_determinismE0ELb0ELb0ES3_PKS7_PS7_S7_ZZZN2at6native31launch_logcumsumexp_cuda_kernelERKNSE_10TensorBaseESI_lENKUlvE_clEvENKUlvE2_clEvEUlS7_S7_E_S7_EEDaPvRmT3_T4_T5_mT6_P12ihipStream_tbENKUlT_T0_E_clISt17integral_constantIbLb1EESY_IbLb0EEEEDaSU_SV_EUlSU_E0_NS1_11comp_targetILNS1_3genE8ELNS1_11target_archE1030ELNS1_3gpuE2ELNS1_3repE0EEENS1_30default_config_static_selectorELNS0_4arch9wavefront6targetE0EEEvT1_,"axG",@progbits,_ZN7rocprim17ROCPRIM_400000_NS6detail17trampoline_kernelINS0_14default_configENS1_20scan_config_selectorIN3c107complexIfEEEEZZNS1_9scan_implILNS1_25lookback_scan_determinismE0ELb0ELb0ES3_PKS7_PS7_S7_ZZZN2at6native31launch_logcumsumexp_cuda_kernelERKNSE_10TensorBaseESI_lENKUlvE_clEvENKUlvE2_clEvEUlS7_S7_E_S7_EEDaPvRmT3_T4_T5_mT6_P12ihipStream_tbENKUlT_T0_E_clISt17integral_constantIbLb1EESY_IbLb0EEEEDaSU_SV_EUlSU_E0_NS1_11comp_targetILNS1_3genE8ELNS1_11target_archE1030ELNS1_3gpuE2ELNS1_3repE0EEENS1_30default_config_static_selectorELNS0_4arch9wavefront6targetE0EEEvT1_,comdat
.Lfunc_end327:
	.size	_ZN7rocprim17ROCPRIM_400000_NS6detail17trampoline_kernelINS0_14default_configENS1_20scan_config_selectorIN3c107complexIfEEEEZZNS1_9scan_implILNS1_25lookback_scan_determinismE0ELb0ELb0ES3_PKS7_PS7_S7_ZZZN2at6native31launch_logcumsumexp_cuda_kernelERKNSE_10TensorBaseESI_lENKUlvE_clEvENKUlvE2_clEvEUlS7_S7_E_S7_EEDaPvRmT3_T4_T5_mT6_P12ihipStream_tbENKUlT_T0_E_clISt17integral_constantIbLb1EESY_IbLb0EEEEDaSU_SV_EUlSU_E0_NS1_11comp_targetILNS1_3genE8ELNS1_11target_archE1030ELNS1_3gpuE2ELNS1_3repE0EEENS1_30default_config_static_selectorELNS0_4arch9wavefront6targetE0EEEvT1_, .Lfunc_end327-_ZN7rocprim17ROCPRIM_400000_NS6detail17trampoline_kernelINS0_14default_configENS1_20scan_config_selectorIN3c107complexIfEEEEZZNS1_9scan_implILNS1_25lookback_scan_determinismE0ELb0ELb0ES3_PKS7_PS7_S7_ZZZN2at6native31launch_logcumsumexp_cuda_kernelERKNSE_10TensorBaseESI_lENKUlvE_clEvENKUlvE2_clEvEUlS7_S7_E_S7_EEDaPvRmT3_T4_T5_mT6_P12ihipStream_tbENKUlT_T0_E_clISt17integral_constantIbLb1EESY_IbLb0EEEEDaSU_SV_EUlSU_E0_NS1_11comp_targetILNS1_3genE8ELNS1_11target_archE1030ELNS1_3gpuE2ELNS1_3repE0EEENS1_30default_config_static_selectorELNS0_4arch9wavefront6targetE0EEEvT1_
                                        ; -- End function
	.set _ZN7rocprim17ROCPRIM_400000_NS6detail17trampoline_kernelINS0_14default_configENS1_20scan_config_selectorIN3c107complexIfEEEEZZNS1_9scan_implILNS1_25lookback_scan_determinismE0ELb0ELb0ES3_PKS7_PS7_S7_ZZZN2at6native31launch_logcumsumexp_cuda_kernelERKNSE_10TensorBaseESI_lENKUlvE_clEvENKUlvE2_clEvEUlS7_S7_E_S7_EEDaPvRmT3_T4_T5_mT6_P12ihipStream_tbENKUlT_T0_E_clISt17integral_constantIbLb1EESY_IbLb0EEEEDaSU_SV_EUlSU_E0_NS1_11comp_targetILNS1_3genE8ELNS1_11target_archE1030ELNS1_3gpuE2ELNS1_3repE0EEENS1_30default_config_static_selectorELNS0_4arch9wavefront6targetE0EEEvT1_.num_vgpr, max(50, .L_ZZZZN2at6native31launch_logcumsumexp_cuda_kernelERKNS_10TensorBaseES3_lENKUlvE_clEvENKUlvE2_clEvENKUlN3c107complexIfEES8_E_clES8_S8_.num_vgpr)
	.set _ZN7rocprim17ROCPRIM_400000_NS6detail17trampoline_kernelINS0_14default_configENS1_20scan_config_selectorIN3c107complexIfEEEEZZNS1_9scan_implILNS1_25lookback_scan_determinismE0ELb0ELb0ES3_PKS7_PS7_S7_ZZZN2at6native31launch_logcumsumexp_cuda_kernelERKNSE_10TensorBaseESI_lENKUlvE_clEvENKUlvE2_clEvEUlS7_S7_E_S7_EEDaPvRmT3_T4_T5_mT6_P12ihipStream_tbENKUlT_T0_E_clISt17integral_constantIbLb1EESY_IbLb0EEEEDaSU_SV_EUlSU_E0_NS1_11comp_targetILNS1_3genE8ELNS1_11target_archE1030ELNS1_3gpuE2ELNS1_3repE0EEENS1_30default_config_static_selectorELNS0_4arch9wavefront6targetE0EEEvT1_.num_agpr, max(0, .L_ZZZZN2at6native31launch_logcumsumexp_cuda_kernelERKNS_10TensorBaseES3_lENKUlvE_clEvENKUlvE2_clEvENKUlN3c107complexIfEES8_E_clES8_S8_.num_agpr)
	.set _ZN7rocprim17ROCPRIM_400000_NS6detail17trampoline_kernelINS0_14default_configENS1_20scan_config_selectorIN3c107complexIfEEEEZZNS1_9scan_implILNS1_25lookback_scan_determinismE0ELb0ELb0ES3_PKS7_PS7_S7_ZZZN2at6native31launch_logcumsumexp_cuda_kernelERKNSE_10TensorBaseESI_lENKUlvE_clEvENKUlvE2_clEvEUlS7_S7_E_S7_EEDaPvRmT3_T4_T5_mT6_P12ihipStream_tbENKUlT_T0_E_clISt17integral_constantIbLb1EESY_IbLb0EEEEDaSU_SV_EUlSU_E0_NS1_11comp_targetILNS1_3genE8ELNS1_11target_archE1030ELNS1_3gpuE2ELNS1_3repE0EEENS1_30default_config_static_selectorELNS0_4arch9wavefront6targetE0EEEvT1_.numbered_sgpr, max(33, .L_ZZZZN2at6native31launch_logcumsumexp_cuda_kernelERKNS_10TensorBaseES3_lENKUlvE_clEvENKUlvE2_clEvENKUlN3c107complexIfEES8_E_clES8_S8_.numbered_sgpr)
	.set _ZN7rocprim17ROCPRIM_400000_NS6detail17trampoline_kernelINS0_14default_configENS1_20scan_config_selectorIN3c107complexIfEEEEZZNS1_9scan_implILNS1_25lookback_scan_determinismE0ELb0ELb0ES3_PKS7_PS7_S7_ZZZN2at6native31launch_logcumsumexp_cuda_kernelERKNSE_10TensorBaseESI_lENKUlvE_clEvENKUlvE2_clEvEUlS7_S7_E_S7_EEDaPvRmT3_T4_T5_mT6_P12ihipStream_tbENKUlT_T0_E_clISt17integral_constantIbLb1EESY_IbLb0EEEEDaSU_SV_EUlSU_E0_NS1_11comp_targetILNS1_3genE8ELNS1_11target_archE1030ELNS1_3gpuE2ELNS1_3repE0EEENS1_30default_config_static_selectorELNS0_4arch9wavefront6targetE0EEEvT1_.num_named_barrier, max(0, .L_ZZZZN2at6native31launch_logcumsumexp_cuda_kernelERKNS_10TensorBaseES3_lENKUlvE_clEvENKUlvE2_clEvENKUlN3c107complexIfEES8_E_clES8_S8_.num_named_barrier)
	.set _ZN7rocprim17ROCPRIM_400000_NS6detail17trampoline_kernelINS0_14default_configENS1_20scan_config_selectorIN3c107complexIfEEEEZZNS1_9scan_implILNS1_25lookback_scan_determinismE0ELb0ELb0ES3_PKS7_PS7_S7_ZZZN2at6native31launch_logcumsumexp_cuda_kernelERKNSE_10TensorBaseESI_lENKUlvE_clEvENKUlvE2_clEvEUlS7_S7_E_S7_EEDaPvRmT3_T4_T5_mT6_P12ihipStream_tbENKUlT_T0_E_clISt17integral_constantIbLb1EESY_IbLb0EEEEDaSU_SV_EUlSU_E0_NS1_11comp_targetILNS1_3genE8ELNS1_11target_archE1030ELNS1_3gpuE2ELNS1_3repE0EEENS1_30default_config_static_selectorELNS0_4arch9wavefront6targetE0EEEvT1_.private_seg_size, 0+max(.L_ZZZZN2at6native31launch_logcumsumexp_cuda_kernelERKNS_10TensorBaseES3_lENKUlvE_clEvENKUlvE2_clEvENKUlN3c107complexIfEES8_E_clES8_S8_.private_seg_size)
	.set _ZN7rocprim17ROCPRIM_400000_NS6detail17trampoline_kernelINS0_14default_configENS1_20scan_config_selectorIN3c107complexIfEEEEZZNS1_9scan_implILNS1_25lookback_scan_determinismE0ELb0ELb0ES3_PKS7_PS7_S7_ZZZN2at6native31launch_logcumsumexp_cuda_kernelERKNSE_10TensorBaseESI_lENKUlvE_clEvENKUlvE2_clEvEUlS7_S7_E_S7_EEDaPvRmT3_T4_T5_mT6_P12ihipStream_tbENKUlT_T0_E_clISt17integral_constantIbLb1EESY_IbLb0EEEEDaSU_SV_EUlSU_E0_NS1_11comp_targetILNS1_3genE8ELNS1_11target_archE1030ELNS1_3gpuE2ELNS1_3repE0EEENS1_30default_config_static_selectorELNS0_4arch9wavefront6targetE0EEEvT1_.uses_vcc, or(1, .L_ZZZZN2at6native31launch_logcumsumexp_cuda_kernelERKNS_10TensorBaseES3_lENKUlvE_clEvENKUlvE2_clEvENKUlN3c107complexIfEES8_E_clES8_S8_.uses_vcc)
	.set _ZN7rocprim17ROCPRIM_400000_NS6detail17trampoline_kernelINS0_14default_configENS1_20scan_config_selectorIN3c107complexIfEEEEZZNS1_9scan_implILNS1_25lookback_scan_determinismE0ELb0ELb0ES3_PKS7_PS7_S7_ZZZN2at6native31launch_logcumsumexp_cuda_kernelERKNSE_10TensorBaseESI_lENKUlvE_clEvENKUlvE2_clEvEUlS7_S7_E_S7_EEDaPvRmT3_T4_T5_mT6_P12ihipStream_tbENKUlT_T0_E_clISt17integral_constantIbLb1EESY_IbLb0EEEEDaSU_SV_EUlSU_E0_NS1_11comp_targetILNS1_3genE8ELNS1_11target_archE1030ELNS1_3gpuE2ELNS1_3repE0EEENS1_30default_config_static_selectorELNS0_4arch9wavefront6targetE0EEEvT1_.uses_flat_scratch, or(0, .L_ZZZZN2at6native31launch_logcumsumexp_cuda_kernelERKNS_10TensorBaseES3_lENKUlvE_clEvENKUlvE2_clEvENKUlN3c107complexIfEES8_E_clES8_S8_.uses_flat_scratch)
	.set _ZN7rocprim17ROCPRIM_400000_NS6detail17trampoline_kernelINS0_14default_configENS1_20scan_config_selectorIN3c107complexIfEEEEZZNS1_9scan_implILNS1_25lookback_scan_determinismE0ELb0ELb0ES3_PKS7_PS7_S7_ZZZN2at6native31launch_logcumsumexp_cuda_kernelERKNSE_10TensorBaseESI_lENKUlvE_clEvENKUlvE2_clEvEUlS7_S7_E_S7_EEDaPvRmT3_T4_T5_mT6_P12ihipStream_tbENKUlT_T0_E_clISt17integral_constantIbLb1EESY_IbLb0EEEEDaSU_SV_EUlSU_E0_NS1_11comp_targetILNS1_3genE8ELNS1_11target_archE1030ELNS1_3gpuE2ELNS1_3repE0EEENS1_30default_config_static_selectorELNS0_4arch9wavefront6targetE0EEEvT1_.has_dyn_sized_stack, or(0, .L_ZZZZN2at6native31launch_logcumsumexp_cuda_kernelERKNS_10TensorBaseES3_lENKUlvE_clEvENKUlvE2_clEvENKUlN3c107complexIfEES8_E_clES8_S8_.has_dyn_sized_stack)
	.set _ZN7rocprim17ROCPRIM_400000_NS6detail17trampoline_kernelINS0_14default_configENS1_20scan_config_selectorIN3c107complexIfEEEEZZNS1_9scan_implILNS1_25lookback_scan_determinismE0ELb0ELb0ES3_PKS7_PS7_S7_ZZZN2at6native31launch_logcumsumexp_cuda_kernelERKNSE_10TensorBaseESI_lENKUlvE_clEvENKUlvE2_clEvEUlS7_S7_E_S7_EEDaPvRmT3_T4_T5_mT6_P12ihipStream_tbENKUlT_T0_E_clISt17integral_constantIbLb1EESY_IbLb0EEEEDaSU_SV_EUlSU_E0_NS1_11comp_targetILNS1_3genE8ELNS1_11target_archE1030ELNS1_3gpuE2ELNS1_3repE0EEENS1_30default_config_static_selectorELNS0_4arch9wavefront6targetE0EEEvT1_.has_recursion, or(0, .L_ZZZZN2at6native31launch_logcumsumexp_cuda_kernelERKNS_10TensorBaseES3_lENKUlvE_clEvENKUlvE2_clEvENKUlN3c107complexIfEES8_E_clES8_S8_.has_recursion)
	.set _ZN7rocprim17ROCPRIM_400000_NS6detail17trampoline_kernelINS0_14default_configENS1_20scan_config_selectorIN3c107complexIfEEEEZZNS1_9scan_implILNS1_25lookback_scan_determinismE0ELb0ELb0ES3_PKS7_PS7_S7_ZZZN2at6native31launch_logcumsumexp_cuda_kernelERKNSE_10TensorBaseESI_lENKUlvE_clEvENKUlvE2_clEvEUlS7_S7_E_S7_EEDaPvRmT3_T4_T5_mT6_P12ihipStream_tbENKUlT_T0_E_clISt17integral_constantIbLb1EESY_IbLb0EEEEDaSU_SV_EUlSU_E0_NS1_11comp_targetILNS1_3genE8ELNS1_11target_archE1030ELNS1_3gpuE2ELNS1_3repE0EEENS1_30default_config_static_selectorELNS0_4arch9wavefront6targetE0EEEvT1_.has_indirect_call, or(0, .L_ZZZZN2at6native31launch_logcumsumexp_cuda_kernelERKNS_10TensorBaseES3_lENKUlvE_clEvENKUlvE2_clEvENKUlN3c107complexIfEES8_E_clES8_S8_.has_indirect_call)
	.section	.AMDGPU.csdata,"",@progbits
; Kernel info:
; codeLenInByte = 1768
; TotalNumSgprs: 35
; NumVgprs: 50
; ScratchSize: 0
; MemoryBound: 0
; FloatMode: 240
; IeeeMode: 1
; LDSByteSize: 8448 bytes/workgroup (compile time only)
; SGPRBlocks: 0
; VGPRBlocks: 6
; NumSGPRsForWavesPerEU: 35
; NumVGPRsForWavesPerEU: 50
; Occupancy: 16
; WaveLimiterHint : 0
; COMPUTE_PGM_RSRC2:SCRATCH_EN: 0
; COMPUTE_PGM_RSRC2:USER_SGPR: 6
; COMPUTE_PGM_RSRC2:TRAP_HANDLER: 0
; COMPUTE_PGM_RSRC2:TGID_X_EN: 1
; COMPUTE_PGM_RSRC2:TGID_Y_EN: 0
; COMPUTE_PGM_RSRC2:TGID_Z_EN: 0
; COMPUTE_PGM_RSRC2:TIDIG_COMP_CNT: 0
	.section	.text._ZN7rocprim17ROCPRIM_400000_NS6detail31init_lookback_scan_state_kernelINS1_19lookback_scan_stateIN3c107complexIfEELb0ELb1EEENS1_16block_id_wrapperIjLb1EEEEEvT_jT0_jPNSA_10value_typeE,"axG",@progbits,_ZN7rocprim17ROCPRIM_400000_NS6detail31init_lookback_scan_state_kernelINS1_19lookback_scan_stateIN3c107complexIfEELb0ELb1EEENS1_16block_id_wrapperIjLb1EEEEEvT_jT0_jPNSA_10value_typeE,comdat
	.protected	_ZN7rocprim17ROCPRIM_400000_NS6detail31init_lookback_scan_state_kernelINS1_19lookback_scan_stateIN3c107complexIfEELb0ELb1EEENS1_16block_id_wrapperIjLb1EEEEEvT_jT0_jPNSA_10value_typeE ; -- Begin function _ZN7rocprim17ROCPRIM_400000_NS6detail31init_lookback_scan_state_kernelINS1_19lookback_scan_stateIN3c107complexIfEELb0ELb1EEENS1_16block_id_wrapperIjLb1EEEEEvT_jT0_jPNSA_10value_typeE
	.globl	_ZN7rocprim17ROCPRIM_400000_NS6detail31init_lookback_scan_state_kernelINS1_19lookback_scan_stateIN3c107complexIfEELb0ELb1EEENS1_16block_id_wrapperIjLb1EEEEEvT_jT0_jPNSA_10value_typeE
	.p2align	8
	.type	_ZN7rocprim17ROCPRIM_400000_NS6detail31init_lookback_scan_state_kernelINS1_19lookback_scan_stateIN3c107complexIfEELb0ELb1EEENS1_16block_id_wrapperIjLb1EEEEEvT_jT0_jPNSA_10value_typeE,@function
_ZN7rocprim17ROCPRIM_400000_NS6detail31init_lookback_scan_state_kernelINS1_19lookback_scan_stateIN3c107complexIfEELb0ELb1EEENS1_16block_id_wrapperIjLb1EEEEEvT_jT0_jPNSA_10value_typeE: ; @_ZN7rocprim17ROCPRIM_400000_NS6detail31init_lookback_scan_state_kernelINS1_19lookback_scan_stateIN3c107complexIfEELb0ELb1EEENS1_16block_id_wrapperIjLb1EEEEEvT_jT0_jPNSA_10value_typeE
; %bb.0:
	s_clause 0x3
	s_load_dword s7, s[4:5], 0x34
	s_load_dwordx2 s[2:3], s[4:5], 0x20
	s_load_dwordx2 s[0:1], s[4:5], 0x0
	s_load_dword s8, s[4:5], 0x8
	s_waitcnt lgkmcnt(0)
	s_and_b32 s7, s7, 0xffff
	s_cmp_eq_u64 s[2:3], 0
	v_mad_u64_u32 v[0:1], null, s6, s7, v[0:1]
	s_cbranch_scc1 .LBB328_8
; %bb.1:
	s_load_dword s6, s[4:5], 0x18
	s_waitcnt lgkmcnt(0)
	s_cmp_lt_u32 s6, s8
	s_cselect_b32 s7, s6, 0
	v_cmp_eq_u32_e32 vcc_lo, s7, v0
	s_mov_b32 s7, 0
	s_and_saveexec_b32 s9, vcc_lo
	s_cbranch_execz .LBB328_7
; %bb.2:
	s_add_i32 s6, s6, 32
	v_mov_b32_e32 v5, 0
	s_lshl_b64 s[6:7], s[6:7], 4
	s_mov_b32 s10, exec_lo
	s_add_u32 s6, s0, s6
	s_addc_u32 s7, s1, s7
	v_mov_b32_e32 v1, s6
	v_mov_b32_e32 v2, s7
	;;#ASMSTART
	global_load_dwordx4 v[1:4], v[1:2] off glc dlc	
s_waitcnt vmcnt(0)
	;;#ASMEND
	v_and_b32_e32 v4, 0xff, v3
	v_cmpx_eq_u64_e32 0, v[4:5]
	s_cbranch_execz .LBB328_6
; %bb.3:
	v_mov_b32_e32 v6, s6
	v_mov_b32_e32 v7, s7
	s_mov_b32 s6, 0
.LBB328_4:                              ; =>This Inner Loop Header: Depth=1
	;;#ASMSTART
	global_load_dwordx4 v[1:4], v[6:7] off glc dlc	
s_waitcnt vmcnt(0)
	;;#ASMEND
	v_and_b32_e32 v4, 0xff, v3
	v_cmp_ne_u64_e32 vcc_lo, 0, v[4:5]
	s_or_b32 s6, vcc_lo, s6
	s_andn2_b32 exec_lo, exec_lo, s6
	s_cbranch_execnz .LBB328_4
; %bb.5:
	s_or_b32 exec_lo, exec_lo, s6
.LBB328_6:
	s_or_b32 exec_lo, exec_lo, s10
	v_mov_b32_e32 v3, 0
	global_store_dwordx2 v3, v[1:2], s[2:3]
.LBB328_7:
	s_or_b32 exec_lo, exec_lo, s9
.LBB328_8:
	s_mov_b32 s2, exec_lo
	v_cmpx_eq_u32_e32 0, v0
	s_cbranch_execz .LBB328_10
; %bb.9:
	s_load_dwordx2 s[4:5], s[4:5], 0x10
	v_mov_b32_e32 v1, 0
	s_waitcnt lgkmcnt(0)
	global_store_dword v1, v1, s[4:5]
.LBB328_10:
	s_or_b32 exec_lo, exec_lo, s2
	s_mov_b32 s2, exec_lo
	v_cmpx_gt_u32_e64 s8, v0
	s_cbranch_execz .LBB328_12
; %bb.11:
	v_add_nc_u32_e32 v1, 32, v0
	v_mov_b32_e32 v2, 0
	v_lshlrev_b64 v[4:5], 4, v[1:2]
	v_mov_b32_e32 v1, v2
	v_mov_b32_e32 v3, v2
	v_add_co_u32 v6, vcc_lo, s0, v4
	v_add_co_ci_u32_e64 v7, null, s1, v5, vcc_lo
	v_mov_b32_e32 v4, v2
	global_store_dwordx4 v[6:7], v[1:4], off
.LBB328_12:
	s_or_b32 exec_lo, exec_lo, s2
	s_mov_b32 s2, exec_lo
	v_cmpx_gt_u32_e32 32, v0
	s_cbranch_execz .LBB328_14
; %bb.13:
	v_mov_b32_e32 v1, 0
	v_mov_b32_e32 v2, 0xff
	v_lshlrev_b64 v[3:4], 4, v[0:1]
	v_mov_b32_e32 v0, v1
	v_add_co_u32 v5, vcc_lo, s0, v3
	v_add_co_ci_u32_e64 v6, null, s1, v4, vcc_lo
	v_mov_b32_e32 v3, v1
	global_store_dwordx4 v[5:6], v[0:3], off
.LBB328_14:
	s_endpgm
	.section	.rodata,"a",@progbits
	.p2align	6, 0x0
	.amdhsa_kernel _ZN7rocprim17ROCPRIM_400000_NS6detail31init_lookback_scan_state_kernelINS1_19lookback_scan_stateIN3c107complexIfEELb0ELb1EEENS1_16block_id_wrapperIjLb1EEEEEvT_jT0_jPNSA_10value_typeE
		.amdhsa_group_segment_fixed_size 0
		.amdhsa_private_segment_fixed_size 0
		.amdhsa_kernarg_size 296
		.amdhsa_user_sgpr_count 6
		.amdhsa_user_sgpr_private_segment_buffer 1
		.amdhsa_user_sgpr_dispatch_ptr 0
		.amdhsa_user_sgpr_queue_ptr 0
		.amdhsa_user_sgpr_kernarg_segment_ptr 1
		.amdhsa_user_sgpr_dispatch_id 0
		.amdhsa_user_sgpr_flat_scratch_init 0
		.amdhsa_user_sgpr_private_segment_size 0
		.amdhsa_wavefront_size32 1
		.amdhsa_uses_dynamic_stack 0
		.amdhsa_system_sgpr_private_segment_wavefront_offset 0
		.amdhsa_system_sgpr_workgroup_id_x 1
		.amdhsa_system_sgpr_workgroup_id_y 0
		.amdhsa_system_sgpr_workgroup_id_z 0
		.amdhsa_system_sgpr_workgroup_info 0
		.amdhsa_system_vgpr_workitem_id 0
		.amdhsa_next_free_vgpr 8
		.amdhsa_next_free_sgpr 11
		.amdhsa_reserve_vcc 1
		.amdhsa_reserve_flat_scratch 0
		.amdhsa_float_round_mode_32 0
		.amdhsa_float_round_mode_16_64 0
		.amdhsa_float_denorm_mode_32 3
		.amdhsa_float_denorm_mode_16_64 3
		.amdhsa_dx10_clamp 1
		.amdhsa_ieee_mode 1
		.amdhsa_fp16_overflow 0
		.amdhsa_workgroup_processor_mode 1
		.amdhsa_memory_ordered 1
		.amdhsa_forward_progress 1
		.amdhsa_shared_vgpr_count 0
		.amdhsa_exception_fp_ieee_invalid_op 0
		.amdhsa_exception_fp_denorm_src 0
		.amdhsa_exception_fp_ieee_div_zero 0
		.amdhsa_exception_fp_ieee_overflow 0
		.amdhsa_exception_fp_ieee_underflow 0
		.amdhsa_exception_fp_ieee_inexact 0
		.amdhsa_exception_int_div_zero 0
	.end_amdhsa_kernel
	.section	.text._ZN7rocprim17ROCPRIM_400000_NS6detail31init_lookback_scan_state_kernelINS1_19lookback_scan_stateIN3c107complexIfEELb0ELb1EEENS1_16block_id_wrapperIjLb1EEEEEvT_jT0_jPNSA_10value_typeE,"axG",@progbits,_ZN7rocprim17ROCPRIM_400000_NS6detail31init_lookback_scan_state_kernelINS1_19lookback_scan_stateIN3c107complexIfEELb0ELb1EEENS1_16block_id_wrapperIjLb1EEEEEvT_jT0_jPNSA_10value_typeE,comdat
.Lfunc_end328:
	.size	_ZN7rocprim17ROCPRIM_400000_NS6detail31init_lookback_scan_state_kernelINS1_19lookback_scan_stateIN3c107complexIfEELb0ELb1EEENS1_16block_id_wrapperIjLb1EEEEEvT_jT0_jPNSA_10value_typeE, .Lfunc_end328-_ZN7rocprim17ROCPRIM_400000_NS6detail31init_lookback_scan_state_kernelINS1_19lookback_scan_stateIN3c107complexIfEELb0ELb1EEENS1_16block_id_wrapperIjLb1EEEEEvT_jT0_jPNSA_10value_typeE
                                        ; -- End function
	.set _ZN7rocprim17ROCPRIM_400000_NS6detail31init_lookback_scan_state_kernelINS1_19lookback_scan_stateIN3c107complexIfEELb0ELb1EEENS1_16block_id_wrapperIjLb1EEEEEvT_jT0_jPNSA_10value_typeE.num_vgpr, 8
	.set _ZN7rocprim17ROCPRIM_400000_NS6detail31init_lookback_scan_state_kernelINS1_19lookback_scan_stateIN3c107complexIfEELb0ELb1EEENS1_16block_id_wrapperIjLb1EEEEEvT_jT0_jPNSA_10value_typeE.num_agpr, 0
	.set _ZN7rocprim17ROCPRIM_400000_NS6detail31init_lookback_scan_state_kernelINS1_19lookback_scan_stateIN3c107complexIfEELb0ELb1EEENS1_16block_id_wrapperIjLb1EEEEEvT_jT0_jPNSA_10value_typeE.numbered_sgpr, 11
	.set _ZN7rocprim17ROCPRIM_400000_NS6detail31init_lookback_scan_state_kernelINS1_19lookback_scan_stateIN3c107complexIfEELb0ELb1EEENS1_16block_id_wrapperIjLb1EEEEEvT_jT0_jPNSA_10value_typeE.num_named_barrier, 0
	.set _ZN7rocprim17ROCPRIM_400000_NS6detail31init_lookback_scan_state_kernelINS1_19lookback_scan_stateIN3c107complexIfEELb0ELb1EEENS1_16block_id_wrapperIjLb1EEEEEvT_jT0_jPNSA_10value_typeE.private_seg_size, 0
	.set _ZN7rocprim17ROCPRIM_400000_NS6detail31init_lookback_scan_state_kernelINS1_19lookback_scan_stateIN3c107complexIfEELb0ELb1EEENS1_16block_id_wrapperIjLb1EEEEEvT_jT0_jPNSA_10value_typeE.uses_vcc, 1
	.set _ZN7rocprim17ROCPRIM_400000_NS6detail31init_lookback_scan_state_kernelINS1_19lookback_scan_stateIN3c107complexIfEELb0ELb1EEENS1_16block_id_wrapperIjLb1EEEEEvT_jT0_jPNSA_10value_typeE.uses_flat_scratch, 0
	.set _ZN7rocprim17ROCPRIM_400000_NS6detail31init_lookback_scan_state_kernelINS1_19lookback_scan_stateIN3c107complexIfEELb0ELb1EEENS1_16block_id_wrapperIjLb1EEEEEvT_jT0_jPNSA_10value_typeE.has_dyn_sized_stack, 0
	.set _ZN7rocprim17ROCPRIM_400000_NS6detail31init_lookback_scan_state_kernelINS1_19lookback_scan_stateIN3c107complexIfEELb0ELb1EEENS1_16block_id_wrapperIjLb1EEEEEvT_jT0_jPNSA_10value_typeE.has_recursion, 0
	.set _ZN7rocprim17ROCPRIM_400000_NS6detail31init_lookback_scan_state_kernelINS1_19lookback_scan_stateIN3c107complexIfEELb0ELb1EEENS1_16block_id_wrapperIjLb1EEEEEvT_jT0_jPNSA_10value_typeE.has_indirect_call, 0
	.section	.AMDGPU.csdata,"",@progbits
; Kernel info:
; codeLenInByte = 468
; TotalNumSgprs: 13
; NumVgprs: 8
; ScratchSize: 0
; MemoryBound: 0
; FloatMode: 240
; IeeeMode: 1
; LDSByteSize: 0 bytes/workgroup (compile time only)
; SGPRBlocks: 0
; VGPRBlocks: 0
; NumSGPRsForWavesPerEU: 13
; NumVGPRsForWavesPerEU: 8
; Occupancy: 16
; WaveLimiterHint : 0
; COMPUTE_PGM_RSRC2:SCRATCH_EN: 0
; COMPUTE_PGM_RSRC2:USER_SGPR: 6
; COMPUTE_PGM_RSRC2:TRAP_HANDLER: 0
; COMPUTE_PGM_RSRC2:TGID_X_EN: 1
; COMPUTE_PGM_RSRC2:TGID_Y_EN: 0
; COMPUTE_PGM_RSRC2:TGID_Z_EN: 0
; COMPUTE_PGM_RSRC2:TIDIG_COMP_CNT: 0
	.section	.text._ZN7rocprim17ROCPRIM_400000_NS6detail17trampoline_kernelINS0_14default_configENS1_20scan_config_selectorIN3c107complexIfEEEEZZNS1_9scan_implILNS1_25lookback_scan_determinismE0ELb0ELb0ES3_PKS7_PS7_S7_ZZZN2at6native31launch_logcumsumexp_cuda_kernelERKNSE_10TensorBaseESI_lENKUlvE_clEvENKUlvE2_clEvEUlS7_S7_E_S7_EEDaPvRmT3_T4_T5_mT6_P12ihipStream_tbENKUlT_T0_E_clISt17integral_constantIbLb0EESY_IbLb1EEEEDaSU_SV_EUlSU_E_NS1_11comp_targetILNS1_3genE0ELNS1_11target_archE4294967295ELNS1_3gpuE0ELNS1_3repE0EEENS1_30default_config_static_selectorELNS0_4arch9wavefront6targetE0EEEvT1_,"axG",@progbits,_ZN7rocprim17ROCPRIM_400000_NS6detail17trampoline_kernelINS0_14default_configENS1_20scan_config_selectorIN3c107complexIfEEEEZZNS1_9scan_implILNS1_25lookback_scan_determinismE0ELb0ELb0ES3_PKS7_PS7_S7_ZZZN2at6native31launch_logcumsumexp_cuda_kernelERKNSE_10TensorBaseESI_lENKUlvE_clEvENKUlvE2_clEvEUlS7_S7_E_S7_EEDaPvRmT3_T4_T5_mT6_P12ihipStream_tbENKUlT_T0_E_clISt17integral_constantIbLb0EESY_IbLb1EEEEDaSU_SV_EUlSU_E_NS1_11comp_targetILNS1_3genE0ELNS1_11target_archE4294967295ELNS1_3gpuE0ELNS1_3repE0EEENS1_30default_config_static_selectorELNS0_4arch9wavefront6targetE0EEEvT1_,comdat
	.globl	_ZN7rocprim17ROCPRIM_400000_NS6detail17trampoline_kernelINS0_14default_configENS1_20scan_config_selectorIN3c107complexIfEEEEZZNS1_9scan_implILNS1_25lookback_scan_determinismE0ELb0ELb0ES3_PKS7_PS7_S7_ZZZN2at6native31launch_logcumsumexp_cuda_kernelERKNSE_10TensorBaseESI_lENKUlvE_clEvENKUlvE2_clEvEUlS7_S7_E_S7_EEDaPvRmT3_T4_T5_mT6_P12ihipStream_tbENKUlT_T0_E_clISt17integral_constantIbLb0EESY_IbLb1EEEEDaSU_SV_EUlSU_E_NS1_11comp_targetILNS1_3genE0ELNS1_11target_archE4294967295ELNS1_3gpuE0ELNS1_3repE0EEENS1_30default_config_static_selectorELNS0_4arch9wavefront6targetE0EEEvT1_ ; -- Begin function _ZN7rocprim17ROCPRIM_400000_NS6detail17trampoline_kernelINS0_14default_configENS1_20scan_config_selectorIN3c107complexIfEEEEZZNS1_9scan_implILNS1_25lookback_scan_determinismE0ELb0ELb0ES3_PKS7_PS7_S7_ZZZN2at6native31launch_logcumsumexp_cuda_kernelERKNSE_10TensorBaseESI_lENKUlvE_clEvENKUlvE2_clEvEUlS7_S7_E_S7_EEDaPvRmT3_T4_T5_mT6_P12ihipStream_tbENKUlT_T0_E_clISt17integral_constantIbLb0EESY_IbLb1EEEEDaSU_SV_EUlSU_E_NS1_11comp_targetILNS1_3genE0ELNS1_11target_archE4294967295ELNS1_3gpuE0ELNS1_3repE0EEENS1_30default_config_static_selectorELNS0_4arch9wavefront6targetE0EEEvT1_
	.p2align	8
	.type	_ZN7rocprim17ROCPRIM_400000_NS6detail17trampoline_kernelINS0_14default_configENS1_20scan_config_selectorIN3c107complexIfEEEEZZNS1_9scan_implILNS1_25lookback_scan_determinismE0ELb0ELb0ES3_PKS7_PS7_S7_ZZZN2at6native31launch_logcumsumexp_cuda_kernelERKNSE_10TensorBaseESI_lENKUlvE_clEvENKUlvE2_clEvEUlS7_S7_E_S7_EEDaPvRmT3_T4_T5_mT6_P12ihipStream_tbENKUlT_T0_E_clISt17integral_constantIbLb0EESY_IbLb1EEEEDaSU_SV_EUlSU_E_NS1_11comp_targetILNS1_3genE0ELNS1_11target_archE4294967295ELNS1_3gpuE0ELNS1_3repE0EEENS1_30default_config_static_selectorELNS0_4arch9wavefront6targetE0EEEvT1_,@function
_ZN7rocprim17ROCPRIM_400000_NS6detail17trampoline_kernelINS0_14default_configENS1_20scan_config_selectorIN3c107complexIfEEEEZZNS1_9scan_implILNS1_25lookback_scan_determinismE0ELb0ELb0ES3_PKS7_PS7_S7_ZZZN2at6native31launch_logcumsumexp_cuda_kernelERKNSE_10TensorBaseESI_lENKUlvE_clEvENKUlvE2_clEvEUlS7_S7_E_S7_EEDaPvRmT3_T4_T5_mT6_P12ihipStream_tbENKUlT_T0_E_clISt17integral_constantIbLb0EESY_IbLb1EEEEDaSU_SV_EUlSU_E_NS1_11comp_targetILNS1_3genE0ELNS1_11target_archE4294967295ELNS1_3gpuE0ELNS1_3repE0EEENS1_30default_config_static_selectorELNS0_4arch9wavefront6targetE0EEEvT1_: ; @_ZN7rocprim17ROCPRIM_400000_NS6detail17trampoline_kernelINS0_14default_configENS1_20scan_config_selectorIN3c107complexIfEEEEZZNS1_9scan_implILNS1_25lookback_scan_determinismE0ELb0ELb0ES3_PKS7_PS7_S7_ZZZN2at6native31launch_logcumsumexp_cuda_kernelERKNSE_10TensorBaseESI_lENKUlvE_clEvENKUlvE2_clEvEUlS7_S7_E_S7_EEDaPvRmT3_T4_T5_mT6_P12ihipStream_tbENKUlT_T0_E_clISt17integral_constantIbLb0EESY_IbLb1EEEEDaSU_SV_EUlSU_E_NS1_11comp_targetILNS1_3genE0ELNS1_11target_archE4294967295ELNS1_3gpuE0ELNS1_3repE0EEENS1_30default_config_static_selectorELNS0_4arch9wavefront6targetE0EEEvT1_
; %bb.0:
	.section	.rodata,"a",@progbits
	.p2align	6, 0x0
	.amdhsa_kernel _ZN7rocprim17ROCPRIM_400000_NS6detail17trampoline_kernelINS0_14default_configENS1_20scan_config_selectorIN3c107complexIfEEEEZZNS1_9scan_implILNS1_25lookback_scan_determinismE0ELb0ELb0ES3_PKS7_PS7_S7_ZZZN2at6native31launch_logcumsumexp_cuda_kernelERKNSE_10TensorBaseESI_lENKUlvE_clEvENKUlvE2_clEvEUlS7_S7_E_S7_EEDaPvRmT3_T4_T5_mT6_P12ihipStream_tbENKUlT_T0_E_clISt17integral_constantIbLb0EESY_IbLb1EEEEDaSU_SV_EUlSU_E_NS1_11comp_targetILNS1_3genE0ELNS1_11target_archE4294967295ELNS1_3gpuE0ELNS1_3repE0EEENS1_30default_config_static_selectorELNS0_4arch9wavefront6targetE0EEEvT1_
		.amdhsa_group_segment_fixed_size 0
		.amdhsa_private_segment_fixed_size 0
		.amdhsa_kernarg_size 104
		.amdhsa_user_sgpr_count 6
		.amdhsa_user_sgpr_private_segment_buffer 1
		.amdhsa_user_sgpr_dispatch_ptr 0
		.amdhsa_user_sgpr_queue_ptr 0
		.amdhsa_user_sgpr_kernarg_segment_ptr 1
		.amdhsa_user_sgpr_dispatch_id 0
		.amdhsa_user_sgpr_flat_scratch_init 0
		.amdhsa_user_sgpr_private_segment_size 0
		.amdhsa_wavefront_size32 1
		.amdhsa_uses_dynamic_stack 0
		.amdhsa_system_sgpr_private_segment_wavefront_offset 0
		.amdhsa_system_sgpr_workgroup_id_x 1
		.amdhsa_system_sgpr_workgroup_id_y 0
		.amdhsa_system_sgpr_workgroup_id_z 0
		.amdhsa_system_sgpr_workgroup_info 0
		.amdhsa_system_vgpr_workitem_id 0
		.amdhsa_next_free_vgpr 1
		.amdhsa_next_free_sgpr 1
		.amdhsa_reserve_vcc 0
		.amdhsa_reserve_flat_scratch 0
		.amdhsa_float_round_mode_32 0
		.amdhsa_float_round_mode_16_64 0
		.amdhsa_float_denorm_mode_32 3
		.amdhsa_float_denorm_mode_16_64 3
		.amdhsa_dx10_clamp 1
		.amdhsa_ieee_mode 1
		.amdhsa_fp16_overflow 0
		.amdhsa_workgroup_processor_mode 1
		.amdhsa_memory_ordered 1
		.amdhsa_forward_progress 1
		.amdhsa_shared_vgpr_count 0
		.amdhsa_exception_fp_ieee_invalid_op 0
		.amdhsa_exception_fp_denorm_src 0
		.amdhsa_exception_fp_ieee_div_zero 0
		.amdhsa_exception_fp_ieee_overflow 0
		.amdhsa_exception_fp_ieee_underflow 0
		.amdhsa_exception_fp_ieee_inexact 0
		.amdhsa_exception_int_div_zero 0
	.end_amdhsa_kernel
	.section	.text._ZN7rocprim17ROCPRIM_400000_NS6detail17trampoline_kernelINS0_14default_configENS1_20scan_config_selectorIN3c107complexIfEEEEZZNS1_9scan_implILNS1_25lookback_scan_determinismE0ELb0ELb0ES3_PKS7_PS7_S7_ZZZN2at6native31launch_logcumsumexp_cuda_kernelERKNSE_10TensorBaseESI_lENKUlvE_clEvENKUlvE2_clEvEUlS7_S7_E_S7_EEDaPvRmT3_T4_T5_mT6_P12ihipStream_tbENKUlT_T0_E_clISt17integral_constantIbLb0EESY_IbLb1EEEEDaSU_SV_EUlSU_E_NS1_11comp_targetILNS1_3genE0ELNS1_11target_archE4294967295ELNS1_3gpuE0ELNS1_3repE0EEENS1_30default_config_static_selectorELNS0_4arch9wavefront6targetE0EEEvT1_,"axG",@progbits,_ZN7rocprim17ROCPRIM_400000_NS6detail17trampoline_kernelINS0_14default_configENS1_20scan_config_selectorIN3c107complexIfEEEEZZNS1_9scan_implILNS1_25lookback_scan_determinismE0ELb0ELb0ES3_PKS7_PS7_S7_ZZZN2at6native31launch_logcumsumexp_cuda_kernelERKNSE_10TensorBaseESI_lENKUlvE_clEvENKUlvE2_clEvEUlS7_S7_E_S7_EEDaPvRmT3_T4_T5_mT6_P12ihipStream_tbENKUlT_T0_E_clISt17integral_constantIbLb0EESY_IbLb1EEEEDaSU_SV_EUlSU_E_NS1_11comp_targetILNS1_3genE0ELNS1_11target_archE4294967295ELNS1_3gpuE0ELNS1_3repE0EEENS1_30default_config_static_selectorELNS0_4arch9wavefront6targetE0EEEvT1_,comdat
.Lfunc_end329:
	.size	_ZN7rocprim17ROCPRIM_400000_NS6detail17trampoline_kernelINS0_14default_configENS1_20scan_config_selectorIN3c107complexIfEEEEZZNS1_9scan_implILNS1_25lookback_scan_determinismE0ELb0ELb0ES3_PKS7_PS7_S7_ZZZN2at6native31launch_logcumsumexp_cuda_kernelERKNSE_10TensorBaseESI_lENKUlvE_clEvENKUlvE2_clEvEUlS7_S7_E_S7_EEDaPvRmT3_T4_T5_mT6_P12ihipStream_tbENKUlT_T0_E_clISt17integral_constantIbLb0EESY_IbLb1EEEEDaSU_SV_EUlSU_E_NS1_11comp_targetILNS1_3genE0ELNS1_11target_archE4294967295ELNS1_3gpuE0ELNS1_3repE0EEENS1_30default_config_static_selectorELNS0_4arch9wavefront6targetE0EEEvT1_, .Lfunc_end329-_ZN7rocprim17ROCPRIM_400000_NS6detail17trampoline_kernelINS0_14default_configENS1_20scan_config_selectorIN3c107complexIfEEEEZZNS1_9scan_implILNS1_25lookback_scan_determinismE0ELb0ELb0ES3_PKS7_PS7_S7_ZZZN2at6native31launch_logcumsumexp_cuda_kernelERKNSE_10TensorBaseESI_lENKUlvE_clEvENKUlvE2_clEvEUlS7_S7_E_S7_EEDaPvRmT3_T4_T5_mT6_P12ihipStream_tbENKUlT_T0_E_clISt17integral_constantIbLb0EESY_IbLb1EEEEDaSU_SV_EUlSU_E_NS1_11comp_targetILNS1_3genE0ELNS1_11target_archE4294967295ELNS1_3gpuE0ELNS1_3repE0EEENS1_30default_config_static_selectorELNS0_4arch9wavefront6targetE0EEEvT1_
                                        ; -- End function
	.set _ZN7rocprim17ROCPRIM_400000_NS6detail17trampoline_kernelINS0_14default_configENS1_20scan_config_selectorIN3c107complexIfEEEEZZNS1_9scan_implILNS1_25lookback_scan_determinismE0ELb0ELb0ES3_PKS7_PS7_S7_ZZZN2at6native31launch_logcumsumexp_cuda_kernelERKNSE_10TensorBaseESI_lENKUlvE_clEvENKUlvE2_clEvEUlS7_S7_E_S7_EEDaPvRmT3_T4_T5_mT6_P12ihipStream_tbENKUlT_T0_E_clISt17integral_constantIbLb0EESY_IbLb1EEEEDaSU_SV_EUlSU_E_NS1_11comp_targetILNS1_3genE0ELNS1_11target_archE4294967295ELNS1_3gpuE0ELNS1_3repE0EEENS1_30default_config_static_selectorELNS0_4arch9wavefront6targetE0EEEvT1_.num_vgpr, 0
	.set _ZN7rocprim17ROCPRIM_400000_NS6detail17trampoline_kernelINS0_14default_configENS1_20scan_config_selectorIN3c107complexIfEEEEZZNS1_9scan_implILNS1_25lookback_scan_determinismE0ELb0ELb0ES3_PKS7_PS7_S7_ZZZN2at6native31launch_logcumsumexp_cuda_kernelERKNSE_10TensorBaseESI_lENKUlvE_clEvENKUlvE2_clEvEUlS7_S7_E_S7_EEDaPvRmT3_T4_T5_mT6_P12ihipStream_tbENKUlT_T0_E_clISt17integral_constantIbLb0EESY_IbLb1EEEEDaSU_SV_EUlSU_E_NS1_11comp_targetILNS1_3genE0ELNS1_11target_archE4294967295ELNS1_3gpuE0ELNS1_3repE0EEENS1_30default_config_static_selectorELNS0_4arch9wavefront6targetE0EEEvT1_.num_agpr, 0
	.set _ZN7rocprim17ROCPRIM_400000_NS6detail17trampoline_kernelINS0_14default_configENS1_20scan_config_selectorIN3c107complexIfEEEEZZNS1_9scan_implILNS1_25lookback_scan_determinismE0ELb0ELb0ES3_PKS7_PS7_S7_ZZZN2at6native31launch_logcumsumexp_cuda_kernelERKNSE_10TensorBaseESI_lENKUlvE_clEvENKUlvE2_clEvEUlS7_S7_E_S7_EEDaPvRmT3_T4_T5_mT6_P12ihipStream_tbENKUlT_T0_E_clISt17integral_constantIbLb0EESY_IbLb1EEEEDaSU_SV_EUlSU_E_NS1_11comp_targetILNS1_3genE0ELNS1_11target_archE4294967295ELNS1_3gpuE0ELNS1_3repE0EEENS1_30default_config_static_selectorELNS0_4arch9wavefront6targetE0EEEvT1_.numbered_sgpr, 0
	.set _ZN7rocprim17ROCPRIM_400000_NS6detail17trampoline_kernelINS0_14default_configENS1_20scan_config_selectorIN3c107complexIfEEEEZZNS1_9scan_implILNS1_25lookback_scan_determinismE0ELb0ELb0ES3_PKS7_PS7_S7_ZZZN2at6native31launch_logcumsumexp_cuda_kernelERKNSE_10TensorBaseESI_lENKUlvE_clEvENKUlvE2_clEvEUlS7_S7_E_S7_EEDaPvRmT3_T4_T5_mT6_P12ihipStream_tbENKUlT_T0_E_clISt17integral_constantIbLb0EESY_IbLb1EEEEDaSU_SV_EUlSU_E_NS1_11comp_targetILNS1_3genE0ELNS1_11target_archE4294967295ELNS1_3gpuE0ELNS1_3repE0EEENS1_30default_config_static_selectorELNS0_4arch9wavefront6targetE0EEEvT1_.num_named_barrier, 0
	.set _ZN7rocprim17ROCPRIM_400000_NS6detail17trampoline_kernelINS0_14default_configENS1_20scan_config_selectorIN3c107complexIfEEEEZZNS1_9scan_implILNS1_25lookback_scan_determinismE0ELb0ELb0ES3_PKS7_PS7_S7_ZZZN2at6native31launch_logcumsumexp_cuda_kernelERKNSE_10TensorBaseESI_lENKUlvE_clEvENKUlvE2_clEvEUlS7_S7_E_S7_EEDaPvRmT3_T4_T5_mT6_P12ihipStream_tbENKUlT_T0_E_clISt17integral_constantIbLb0EESY_IbLb1EEEEDaSU_SV_EUlSU_E_NS1_11comp_targetILNS1_3genE0ELNS1_11target_archE4294967295ELNS1_3gpuE0ELNS1_3repE0EEENS1_30default_config_static_selectorELNS0_4arch9wavefront6targetE0EEEvT1_.private_seg_size, 0
	.set _ZN7rocprim17ROCPRIM_400000_NS6detail17trampoline_kernelINS0_14default_configENS1_20scan_config_selectorIN3c107complexIfEEEEZZNS1_9scan_implILNS1_25lookback_scan_determinismE0ELb0ELb0ES3_PKS7_PS7_S7_ZZZN2at6native31launch_logcumsumexp_cuda_kernelERKNSE_10TensorBaseESI_lENKUlvE_clEvENKUlvE2_clEvEUlS7_S7_E_S7_EEDaPvRmT3_T4_T5_mT6_P12ihipStream_tbENKUlT_T0_E_clISt17integral_constantIbLb0EESY_IbLb1EEEEDaSU_SV_EUlSU_E_NS1_11comp_targetILNS1_3genE0ELNS1_11target_archE4294967295ELNS1_3gpuE0ELNS1_3repE0EEENS1_30default_config_static_selectorELNS0_4arch9wavefront6targetE0EEEvT1_.uses_vcc, 0
	.set _ZN7rocprim17ROCPRIM_400000_NS6detail17trampoline_kernelINS0_14default_configENS1_20scan_config_selectorIN3c107complexIfEEEEZZNS1_9scan_implILNS1_25lookback_scan_determinismE0ELb0ELb0ES3_PKS7_PS7_S7_ZZZN2at6native31launch_logcumsumexp_cuda_kernelERKNSE_10TensorBaseESI_lENKUlvE_clEvENKUlvE2_clEvEUlS7_S7_E_S7_EEDaPvRmT3_T4_T5_mT6_P12ihipStream_tbENKUlT_T0_E_clISt17integral_constantIbLb0EESY_IbLb1EEEEDaSU_SV_EUlSU_E_NS1_11comp_targetILNS1_3genE0ELNS1_11target_archE4294967295ELNS1_3gpuE0ELNS1_3repE0EEENS1_30default_config_static_selectorELNS0_4arch9wavefront6targetE0EEEvT1_.uses_flat_scratch, 0
	.set _ZN7rocprim17ROCPRIM_400000_NS6detail17trampoline_kernelINS0_14default_configENS1_20scan_config_selectorIN3c107complexIfEEEEZZNS1_9scan_implILNS1_25lookback_scan_determinismE0ELb0ELb0ES3_PKS7_PS7_S7_ZZZN2at6native31launch_logcumsumexp_cuda_kernelERKNSE_10TensorBaseESI_lENKUlvE_clEvENKUlvE2_clEvEUlS7_S7_E_S7_EEDaPvRmT3_T4_T5_mT6_P12ihipStream_tbENKUlT_T0_E_clISt17integral_constantIbLb0EESY_IbLb1EEEEDaSU_SV_EUlSU_E_NS1_11comp_targetILNS1_3genE0ELNS1_11target_archE4294967295ELNS1_3gpuE0ELNS1_3repE0EEENS1_30default_config_static_selectorELNS0_4arch9wavefront6targetE0EEEvT1_.has_dyn_sized_stack, 0
	.set _ZN7rocprim17ROCPRIM_400000_NS6detail17trampoline_kernelINS0_14default_configENS1_20scan_config_selectorIN3c107complexIfEEEEZZNS1_9scan_implILNS1_25lookback_scan_determinismE0ELb0ELb0ES3_PKS7_PS7_S7_ZZZN2at6native31launch_logcumsumexp_cuda_kernelERKNSE_10TensorBaseESI_lENKUlvE_clEvENKUlvE2_clEvEUlS7_S7_E_S7_EEDaPvRmT3_T4_T5_mT6_P12ihipStream_tbENKUlT_T0_E_clISt17integral_constantIbLb0EESY_IbLb1EEEEDaSU_SV_EUlSU_E_NS1_11comp_targetILNS1_3genE0ELNS1_11target_archE4294967295ELNS1_3gpuE0ELNS1_3repE0EEENS1_30default_config_static_selectorELNS0_4arch9wavefront6targetE0EEEvT1_.has_recursion, 0
	.set _ZN7rocprim17ROCPRIM_400000_NS6detail17trampoline_kernelINS0_14default_configENS1_20scan_config_selectorIN3c107complexIfEEEEZZNS1_9scan_implILNS1_25lookback_scan_determinismE0ELb0ELb0ES3_PKS7_PS7_S7_ZZZN2at6native31launch_logcumsumexp_cuda_kernelERKNSE_10TensorBaseESI_lENKUlvE_clEvENKUlvE2_clEvEUlS7_S7_E_S7_EEDaPvRmT3_T4_T5_mT6_P12ihipStream_tbENKUlT_T0_E_clISt17integral_constantIbLb0EESY_IbLb1EEEEDaSU_SV_EUlSU_E_NS1_11comp_targetILNS1_3genE0ELNS1_11target_archE4294967295ELNS1_3gpuE0ELNS1_3repE0EEENS1_30default_config_static_selectorELNS0_4arch9wavefront6targetE0EEEvT1_.has_indirect_call, 0
	.section	.AMDGPU.csdata,"",@progbits
; Kernel info:
; codeLenInByte = 0
; TotalNumSgprs: 0
; NumVgprs: 0
; ScratchSize: 0
; MemoryBound: 0
; FloatMode: 240
; IeeeMode: 1
; LDSByteSize: 0 bytes/workgroup (compile time only)
; SGPRBlocks: 0
; VGPRBlocks: 0
; NumSGPRsForWavesPerEU: 1
; NumVGPRsForWavesPerEU: 1
; Occupancy: 16
; WaveLimiterHint : 0
; COMPUTE_PGM_RSRC2:SCRATCH_EN: 0
; COMPUTE_PGM_RSRC2:USER_SGPR: 6
; COMPUTE_PGM_RSRC2:TRAP_HANDLER: 0
; COMPUTE_PGM_RSRC2:TGID_X_EN: 1
; COMPUTE_PGM_RSRC2:TGID_Y_EN: 0
; COMPUTE_PGM_RSRC2:TGID_Z_EN: 0
; COMPUTE_PGM_RSRC2:TIDIG_COMP_CNT: 0
	.section	.text._ZN7rocprim17ROCPRIM_400000_NS6detail17trampoline_kernelINS0_14default_configENS1_20scan_config_selectorIN3c107complexIfEEEEZZNS1_9scan_implILNS1_25lookback_scan_determinismE0ELb0ELb0ES3_PKS7_PS7_S7_ZZZN2at6native31launch_logcumsumexp_cuda_kernelERKNSE_10TensorBaseESI_lENKUlvE_clEvENKUlvE2_clEvEUlS7_S7_E_S7_EEDaPvRmT3_T4_T5_mT6_P12ihipStream_tbENKUlT_T0_E_clISt17integral_constantIbLb0EESY_IbLb1EEEEDaSU_SV_EUlSU_E_NS1_11comp_targetILNS1_3genE5ELNS1_11target_archE942ELNS1_3gpuE9ELNS1_3repE0EEENS1_30default_config_static_selectorELNS0_4arch9wavefront6targetE0EEEvT1_,"axG",@progbits,_ZN7rocprim17ROCPRIM_400000_NS6detail17trampoline_kernelINS0_14default_configENS1_20scan_config_selectorIN3c107complexIfEEEEZZNS1_9scan_implILNS1_25lookback_scan_determinismE0ELb0ELb0ES3_PKS7_PS7_S7_ZZZN2at6native31launch_logcumsumexp_cuda_kernelERKNSE_10TensorBaseESI_lENKUlvE_clEvENKUlvE2_clEvEUlS7_S7_E_S7_EEDaPvRmT3_T4_T5_mT6_P12ihipStream_tbENKUlT_T0_E_clISt17integral_constantIbLb0EESY_IbLb1EEEEDaSU_SV_EUlSU_E_NS1_11comp_targetILNS1_3genE5ELNS1_11target_archE942ELNS1_3gpuE9ELNS1_3repE0EEENS1_30default_config_static_selectorELNS0_4arch9wavefront6targetE0EEEvT1_,comdat
	.globl	_ZN7rocprim17ROCPRIM_400000_NS6detail17trampoline_kernelINS0_14default_configENS1_20scan_config_selectorIN3c107complexIfEEEEZZNS1_9scan_implILNS1_25lookback_scan_determinismE0ELb0ELb0ES3_PKS7_PS7_S7_ZZZN2at6native31launch_logcumsumexp_cuda_kernelERKNSE_10TensorBaseESI_lENKUlvE_clEvENKUlvE2_clEvEUlS7_S7_E_S7_EEDaPvRmT3_T4_T5_mT6_P12ihipStream_tbENKUlT_T0_E_clISt17integral_constantIbLb0EESY_IbLb1EEEEDaSU_SV_EUlSU_E_NS1_11comp_targetILNS1_3genE5ELNS1_11target_archE942ELNS1_3gpuE9ELNS1_3repE0EEENS1_30default_config_static_selectorELNS0_4arch9wavefront6targetE0EEEvT1_ ; -- Begin function _ZN7rocprim17ROCPRIM_400000_NS6detail17trampoline_kernelINS0_14default_configENS1_20scan_config_selectorIN3c107complexIfEEEEZZNS1_9scan_implILNS1_25lookback_scan_determinismE0ELb0ELb0ES3_PKS7_PS7_S7_ZZZN2at6native31launch_logcumsumexp_cuda_kernelERKNSE_10TensorBaseESI_lENKUlvE_clEvENKUlvE2_clEvEUlS7_S7_E_S7_EEDaPvRmT3_T4_T5_mT6_P12ihipStream_tbENKUlT_T0_E_clISt17integral_constantIbLb0EESY_IbLb1EEEEDaSU_SV_EUlSU_E_NS1_11comp_targetILNS1_3genE5ELNS1_11target_archE942ELNS1_3gpuE9ELNS1_3repE0EEENS1_30default_config_static_selectorELNS0_4arch9wavefront6targetE0EEEvT1_
	.p2align	8
	.type	_ZN7rocprim17ROCPRIM_400000_NS6detail17trampoline_kernelINS0_14default_configENS1_20scan_config_selectorIN3c107complexIfEEEEZZNS1_9scan_implILNS1_25lookback_scan_determinismE0ELb0ELb0ES3_PKS7_PS7_S7_ZZZN2at6native31launch_logcumsumexp_cuda_kernelERKNSE_10TensorBaseESI_lENKUlvE_clEvENKUlvE2_clEvEUlS7_S7_E_S7_EEDaPvRmT3_T4_T5_mT6_P12ihipStream_tbENKUlT_T0_E_clISt17integral_constantIbLb0EESY_IbLb1EEEEDaSU_SV_EUlSU_E_NS1_11comp_targetILNS1_3genE5ELNS1_11target_archE942ELNS1_3gpuE9ELNS1_3repE0EEENS1_30default_config_static_selectorELNS0_4arch9wavefront6targetE0EEEvT1_,@function
_ZN7rocprim17ROCPRIM_400000_NS6detail17trampoline_kernelINS0_14default_configENS1_20scan_config_selectorIN3c107complexIfEEEEZZNS1_9scan_implILNS1_25lookback_scan_determinismE0ELb0ELb0ES3_PKS7_PS7_S7_ZZZN2at6native31launch_logcumsumexp_cuda_kernelERKNSE_10TensorBaseESI_lENKUlvE_clEvENKUlvE2_clEvEUlS7_S7_E_S7_EEDaPvRmT3_T4_T5_mT6_P12ihipStream_tbENKUlT_T0_E_clISt17integral_constantIbLb0EESY_IbLb1EEEEDaSU_SV_EUlSU_E_NS1_11comp_targetILNS1_3genE5ELNS1_11target_archE942ELNS1_3gpuE9ELNS1_3repE0EEENS1_30default_config_static_selectorELNS0_4arch9wavefront6targetE0EEEvT1_: ; @_ZN7rocprim17ROCPRIM_400000_NS6detail17trampoline_kernelINS0_14default_configENS1_20scan_config_selectorIN3c107complexIfEEEEZZNS1_9scan_implILNS1_25lookback_scan_determinismE0ELb0ELb0ES3_PKS7_PS7_S7_ZZZN2at6native31launch_logcumsumexp_cuda_kernelERKNSE_10TensorBaseESI_lENKUlvE_clEvENKUlvE2_clEvEUlS7_S7_E_S7_EEDaPvRmT3_T4_T5_mT6_P12ihipStream_tbENKUlT_T0_E_clISt17integral_constantIbLb0EESY_IbLb1EEEEDaSU_SV_EUlSU_E_NS1_11comp_targetILNS1_3genE5ELNS1_11target_archE942ELNS1_3gpuE9ELNS1_3repE0EEENS1_30default_config_static_selectorELNS0_4arch9wavefront6targetE0EEEvT1_
; %bb.0:
	.section	.rodata,"a",@progbits
	.p2align	6, 0x0
	.amdhsa_kernel _ZN7rocprim17ROCPRIM_400000_NS6detail17trampoline_kernelINS0_14default_configENS1_20scan_config_selectorIN3c107complexIfEEEEZZNS1_9scan_implILNS1_25lookback_scan_determinismE0ELb0ELb0ES3_PKS7_PS7_S7_ZZZN2at6native31launch_logcumsumexp_cuda_kernelERKNSE_10TensorBaseESI_lENKUlvE_clEvENKUlvE2_clEvEUlS7_S7_E_S7_EEDaPvRmT3_T4_T5_mT6_P12ihipStream_tbENKUlT_T0_E_clISt17integral_constantIbLb0EESY_IbLb1EEEEDaSU_SV_EUlSU_E_NS1_11comp_targetILNS1_3genE5ELNS1_11target_archE942ELNS1_3gpuE9ELNS1_3repE0EEENS1_30default_config_static_selectorELNS0_4arch9wavefront6targetE0EEEvT1_
		.amdhsa_group_segment_fixed_size 0
		.amdhsa_private_segment_fixed_size 0
		.amdhsa_kernarg_size 104
		.amdhsa_user_sgpr_count 6
		.amdhsa_user_sgpr_private_segment_buffer 1
		.amdhsa_user_sgpr_dispatch_ptr 0
		.amdhsa_user_sgpr_queue_ptr 0
		.amdhsa_user_sgpr_kernarg_segment_ptr 1
		.amdhsa_user_sgpr_dispatch_id 0
		.amdhsa_user_sgpr_flat_scratch_init 0
		.amdhsa_user_sgpr_private_segment_size 0
		.amdhsa_wavefront_size32 1
		.amdhsa_uses_dynamic_stack 0
		.amdhsa_system_sgpr_private_segment_wavefront_offset 0
		.amdhsa_system_sgpr_workgroup_id_x 1
		.amdhsa_system_sgpr_workgroup_id_y 0
		.amdhsa_system_sgpr_workgroup_id_z 0
		.amdhsa_system_sgpr_workgroup_info 0
		.amdhsa_system_vgpr_workitem_id 0
		.amdhsa_next_free_vgpr 1
		.amdhsa_next_free_sgpr 1
		.amdhsa_reserve_vcc 0
		.amdhsa_reserve_flat_scratch 0
		.amdhsa_float_round_mode_32 0
		.amdhsa_float_round_mode_16_64 0
		.amdhsa_float_denorm_mode_32 3
		.amdhsa_float_denorm_mode_16_64 3
		.amdhsa_dx10_clamp 1
		.amdhsa_ieee_mode 1
		.amdhsa_fp16_overflow 0
		.amdhsa_workgroup_processor_mode 1
		.amdhsa_memory_ordered 1
		.amdhsa_forward_progress 1
		.amdhsa_shared_vgpr_count 0
		.amdhsa_exception_fp_ieee_invalid_op 0
		.amdhsa_exception_fp_denorm_src 0
		.amdhsa_exception_fp_ieee_div_zero 0
		.amdhsa_exception_fp_ieee_overflow 0
		.amdhsa_exception_fp_ieee_underflow 0
		.amdhsa_exception_fp_ieee_inexact 0
		.amdhsa_exception_int_div_zero 0
	.end_amdhsa_kernel
	.section	.text._ZN7rocprim17ROCPRIM_400000_NS6detail17trampoline_kernelINS0_14default_configENS1_20scan_config_selectorIN3c107complexIfEEEEZZNS1_9scan_implILNS1_25lookback_scan_determinismE0ELb0ELb0ES3_PKS7_PS7_S7_ZZZN2at6native31launch_logcumsumexp_cuda_kernelERKNSE_10TensorBaseESI_lENKUlvE_clEvENKUlvE2_clEvEUlS7_S7_E_S7_EEDaPvRmT3_T4_T5_mT6_P12ihipStream_tbENKUlT_T0_E_clISt17integral_constantIbLb0EESY_IbLb1EEEEDaSU_SV_EUlSU_E_NS1_11comp_targetILNS1_3genE5ELNS1_11target_archE942ELNS1_3gpuE9ELNS1_3repE0EEENS1_30default_config_static_selectorELNS0_4arch9wavefront6targetE0EEEvT1_,"axG",@progbits,_ZN7rocprim17ROCPRIM_400000_NS6detail17trampoline_kernelINS0_14default_configENS1_20scan_config_selectorIN3c107complexIfEEEEZZNS1_9scan_implILNS1_25lookback_scan_determinismE0ELb0ELb0ES3_PKS7_PS7_S7_ZZZN2at6native31launch_logcumsumexp_cuda_kernelERKNSE_10TensorBaseESI_lENKUlvE_clEvENKUlvE2_clEvEUlS7_S7_E_S7_EEDaPvRmT3_T4_T5_mT6_P12ihipStream_tbENKUlT_T0_E_clISt17integral_constantIbLb0EESY_IbLb1EEEEDaSU_SV_EUlSU_E_NS1_11comp_targetILNS1_3genE5ELNS1_11target_archE942ELNS1_3gpuE9ELNS1_3repE0EEENS1_30default_config_static_selectorELNS0_4arch9wavefront6targetE0EEEvT1_,comdat
.Lfunc_end330:
	.size	_ZN7rocprim17ROCPRIM_400000_NS6detail17trampoline_kernelINS0_14default_configENS1_20scan_config_selectorIN3c107complexIfEEEEZZNS1_9scan_implILNS1_25lookback_scan_determinismE0ELb0ELb0ES3_PKS7_PS7_S7_ZZZN2at6native31launch_logcumsumexp_cuda_kernelERKNSE_10TensorBaseESI_lENKUlvE_clEvENKUlvE2_clEvEUlS7_S7_E_S7_EEDaPvRmT3_T4_T5_mT6_P12ihipStream_tbENKUlT_T0_E_clISt17integral_constantIbLb0EESY_IbLb1EEEEDaSU_SV_EUlSU_E_NS1_11comp_targetILNS1_3genE5ELNS1_11target_archE942ELNS1_3gpuE9ELNS1_3repE0EEENS1_30default_config_static_selectorELNS0_4arch9wavefront6targetE0EEEvT1_, .Lfunc_end330-_ZN7rocprim17ROCPRIM_400000_NS6detail17trampoline_kernelINS0_14default_configENS1_20scan_config_selectorIN3c107complexIfEEEEZZNS1_9scan_implILNS1_25lookback_scan_determinismE0ELb0ELb0ES3_PKS7_PS7_S7_ZZZN2at6native31launch_logcumsumexp_cuda_kernelERKNSE_10TensorBaseESI_lENKUlvE_clEvENKUlvE2_clEvEUlS7_S7_E_S7_EEDaPvRmT3_T4_T5_mT6_P12ihipStream_tbENKUlT_T0_E_clISt17integral_constantIbLb0EESY_IbLb1EEEEDaSU_SV_EUlSU_E_NS1_11comp_targetILNS1_3genE5ELNS1_11target_archE942ELNS1_3gpuE9ELNS1_3repE0EEENS1_30default_config_static_selectorELNS0_4arch9wavefront6targetE0EEEvT1_
                                        ; -- End function
	.set _ZN7rocprim17ROCPRIM_400000_NS6detail17trampoline_kernelINS0_14default_configENS1_20scan_config_selectorIN3c107complexIfEEEEZZNS1_9scan_implILNS1_25lookback_scan_determinismE0ELb0ELb0ES3_PKS7_PS7_S7_ZZZN2at6native31launch_logcumsumexp_cuda_kernelERKNSE_10TensorBaseESI_lENKUlvE_clEvENKUlvE2_clEvEUlS7_S7_E_S7_EEDaPvRmT3_T4_T5_mT6_P12ihipStream_tbENKUlT_T0_E_clISt17integral_constantIbLb0EESY_IbLb1EEEEDaSU_SV_EUlSU_E_NS1_11comp_targetILNS1_3genE5ELNS1_11target_archE942ELNS1_3gpuE9ELNS1_3repE0EEENS1_30default_config_static_selectorELNS0_4arch9wavefront6targetE0EEEvT1_.num_vgpr, 0
	.set _ZN7rocprim17ROCPRIM_400000_NS6detail17trampoline_kernelINS0_14default_configENS1_20scan_config_selectorIN3c107complexIfEEEEZZNS1_9scan_implILNS1_25lookback_scan_determinismE0ELb0ELb0ES3_PKS7_PS7_S7_ZZZN2at6native31launch_logcumsumexp_cuda_kernelERKNSE_10TensorBaseESI_lENKUlvE_clEvENKUlvE2_clEvEUlS7_S7_E_S7_EEDaPvRmT3_T4_T5_mT6_P12ihipStream_tbENKUlT_T0_E_clISt17integral_constantIbLb0EESY_IbLb1EEEEDaSU_SV_EUlSU_E_NS1_11comp_targetILNS1_3genE5ELNS1_11target_archE942ELNS1_3gpuE9ELNS1_3repE0EEENS1_30default_config_static_selectorELNS0_4arch9wavefront6targetE0EEEvT1_.num_agpr, 0
	.set _ZN7rocprim17ROCPRIM_400000_NS6detail17trampoline_kernelINS0_14default_configENS1_20scan_config_selectorIN3c107complexIfEEEEZZNS1_9scan_implILNS1_25lookback_scan_determinismE0ELb0ELb0ES3_PKS7_PS7_S7_ZZZN2at6native31launch_logcumsumexp_cuda_kernelERKNSE_10TensorBaseESI_lENKUlvE_clEvENKUlvE2_clEvEUlS7_S7_E_S7_EEDaPvRmT3_T4_T5_mT6_P12ihipStream_tbENKUlT_T0_E_clISt17integral_constantIbLb0EESY_IbLb1EEEEDaSU_SV_EUlSU_E_NS1_11comp_targetILNS1_3genE5ELNS1_11target_archE942ELNS1_3gpuE9ELNS1_3repE0EEENS1_30default_config_static_selectorELNS0_4arch9wavefront6targetE0EEEvT1_.numbered_sgpr, 0
	.set _ZN7rocprim17ROCPRIM_400000_NS6detail17trampoline_kernelINS0_14default_configENS1_20scan_config_selectorIN3c107complexIfEEEEZZNS1_9scan_implILNS1_25lookback_scan_determinismE0ELb0ELb0ES3_PKS7_PS7_S7_ZZZN2at6native31launch_logcumsumexp_cuda_kernelERKNSE_10TensorBaseESI_lENKUlvE_clEvENKUlvE2_clEvEUlS7_S7_E_S7_EEDaPvRmT3_T4_T5_mT6_P12ihipStream_tbENKUlT_T0_E_clISt17integral_constantIbLb0EESY_IbLb1EEEEDaSU_SV_EUlSU_E_NS1_11comp_targetILNS1_3genE5ELNS1_11target_archE942ELNS1_3gpuE9ELNS1_3repE0EEENS1_30default_config_static_selectorELNS0_4arch9wavefront6targetE0EEEvT1_.num_named_barrier, 0
	.set _ZN7rocprim17ROCPRIM_400000_NS6detail17trampoline_kernelINS0_14default_configENS1_20scan_config_selectorIN3c107complexIfEEEEZZNS1_9scan_implILNS1_25lookback_scan_determinismE0ELb0ELb0ES3_PKS7_PS7_S7_ZZZN2at6native31launch_logcumsumexp_cuda_kernelERKNSE_10TensorBaseESI_lENKUlvE_clEvENKUlvE2_clEvEUlS7_S7_E_S7_EEDaPvRmT3_T4_T5_mT6_P12ihipStream_tbENKUlT_T0_E_clISt17integral_constantIbLb0EESY_IbLb1EEEEDaSU_SV_EUlSU_E_NS1_11comp_targetILNS1_3genE5ELNS1_11target_archE942ELNS1_3gpuE9ELNS1_3repE0EEENS1_30default_config_static_selectorELNS0_4arch9wavefront6targetE0EEEvT1_.private_seg_size, 0
	.set _ZN7rocprim17ROCPRIM_400000_NS6detail17trampoline_kernelINS0_14default_configENS1_20scan_config_selectorIN3c107complexIfEEEEZZNS1_9scan_implILNS1_25lookback_scan_determinismE0ELb0ELb0ES3_PKS7_PS7_S7_ZZZN2at6native31launch_logcumsumexp_cuda_kernelERKNSE_10TensorBaseESI_lENKUlvE_clEvENKUlvE2_clEvEUlS7_S7_E_S7_EEDaPvRmT3_T4_T5_mT6_P12ihipStream_tbENKUlT_T0_E_clISt17integral_constantIbLb0EESY_IbLb1EEEEDaSU_SV_EUlSU_E_NS1_11comp_targetILNS1_3genE5ELNS1_11target_archE942ELNS1_3gpuE9ELNS1_3repE0EEENS1_30default_config_static_selectorELNS0_4arch9wavefront6targetE0EEEvT1_.uses_vcc, 0
	.set _ZN7rocprim17ROCPRIM_400000_NS6detail17trampoline_kernelINS0_14default_configENS1_20scan_config_selectorIN3c107complexIfEEEEZZNS1_9scan_implILNS1_25lookback_scan_determinismE0ELb0ELb0ES3_PKS7_PS7_S7_ZZZN2at6native31launch_logcumsumexp_cuda_kernelERKNSE_10TensorBaseESI_lENKUlvE_clEvENKUlvE2_clEvEUlS7_S7_E_S7_EEDaPvRmT3_T4_T5_mT6_P12ihipStream_tbENKUlT_T0_E_clISt17integral_constantIbLb0EESY_IbLb1EEEEDaSU_SV_EUlSU_E_NS1_11comp_targetILNS1_3genE5ELNS1_11target_archE942ELNS1_3gpuE9ELNS1_3repE0EEENS1_30default_config_static_selectorELNS0_4arch9wavefront6targetE0EEEvT1_.uses_flat_scratch, 0
	.set _ZN7rocprim17ROCPRIM_400000_NS6detail17trampoline_kernelINS0_14default_configENS1_20scan_config_selectorIN3c107complexIfEEEEZZNS1_9scan_implILNS1_25lookback_scan_determinismE0ELb0ELb0ES3_PKS7_PS7_S7_ZZZN2at6native31launch_logcumsumexp_cuda_kernelERKNSE_10TensorBaseESI_lENKUlvE_clEvENKUlvE2_clEvEUlS7_S7_E_S7_EEDaPvRmT3_T4_T5_mT6_P12ihipStream_tbENKUlT_T0_E_clISt17integral_constantIbLb0EESY_IbLb1EEEEDaSU_SV_EUlSU_E_NS1_11comp_targetILNS1_3genE5ELNS1_11target_archE942ELNS1_3gpuE9ELNS1_3repE0EEENS1_30default_config_static_selectorELNS0_4arch9wavefront6targetE0EEEvT1_.has_dyn_sized_stack, 0
	.set _ZN7rocprim17ROCPRIM_400000_NS6detail17trampoline_kernelINS0_14default_configENS1_20scan_config_selectorIN3c107complexIfEEEEZZNS1_9scan_implILNS1_25lookback_scan_determinismE0ELb0ELb0ES3_PKS7_PS7_S7_ZZZN2at6native31launch_logcumsumexp_cuda_kernelERKNSE_10TensorBaseESI_lENKUlvE_clEvENKUlvE2_clEvEUlS7_S7_E_S7_EEDaPvRmT3_T4_T5_mT6_P12ihipStream_tbENKUlT_T0_E_clISt17integral_constantIbLb0EESY_IbLb1EEEEDaSU_SV_EUlSU_E_NS1_11comp_targetILNS1_3genE5ELNS1_11target_archE942ELNS1_3gpuE9ELNS1_3repE0EEENS1_30default_config_static_selectorELNS0_4arch9wavefront6targetE0EEEvT1_.has_recursion, 0
	.set _ZN7rocprim17ROCPRIM_400000_NS6detail17trampoline_kernelINS0_14default_configENS1_20scan_config_selectorIN3c107complexIfEEEEZZNS1_9scan_implILNS1_25lookback_scan_determinismE0ELb0ELb0ES3_PKS7_PS7_S7_ZZZN2at6native31launch_logcumsumexp_cuda_kernelERKNSE_10TensorBaseESI_lENKUlvE_clEvENKUlvE2_clEvEUlS7_S7_E_S7_EEDaPvRmT3_T4_T5_mT6_P12ihipStream_tbENKUlT_T0_E_clISt17integral_constantIbLb0EESY_IbLb1EEEEDaSU_SV_EUlSU_E_NS1_11comp_targetILNS1_3genE5ELNS1_11target_archE942ELNS1_3gpuE9ELNS1_3repE0EEENS1_30default_config_static_selectorELNS0_4arch9wavefront6targetE0EEEvT1_.has_indirect_call, 0
	.section	.AMDGPU.csdata,"",@progbits
; Kernel info:
; codeLenInByte = 0
; TotalNumSgprs: 0
; NumVgprs: 0
; ScratchSize: 0
; MemoryBound: 0
; FloatMode: 240
; IeeeMode: 1
; LDSByteSize: 0 bytes/workgroup (compile time only)
; SGPRBlocks: 0
; VGPRBlocks: 0
; NumSGPRsForWavesPerEU: 1
; NumVGPRsForWavesPerEU: 1
; Occupancy: 16
; WaveLimiterHint : 0
; COMPUTE_PGM_RSRC2:SCRATCH_EN: 0
; COMPUTE_PGM_RSRC2:USER_SGPR: 6
; COMPUTE_PGM_RSRC2:TRAP_HANDLER: 0
; COMPUTE_PGM_RSRC2:TGID_X_EN: 1
; COMPUTE_PGM_RSRC2:TGID_Y_EN: 0
; COMPUTE_PGM_RSRC2:TGID_Z_EN: 0
; COMPUTE_PGM_RSRC2:TIDIG_COMP_CNT: 0
	.section	.text._ZN7rocprim17ROCPRIM_400000_NS6detail17trampoline_kernelINS0_14default_configENS1_20scan_config_selectorIN3c107complexIfEEEEZZNS1_9scan_implILNS1_25lookback_scan_determinismE0ELb0ELb0ES3_PKS7_PS7_S7_ZZZN2at6native31launch_logcumsumexp_cuda_kernelERKNSE_10TensorBaseESI_lENKUlvE_clEvENKUlvE2_clEvEUlS7_S7_E_S7_EEDaPvRmT3_T4_T5_mT6_P12ihipStream_tbENKUlT_T0_E_clISt17integral_constantIbLb0EESY_IbLb1EEEEDaSU_SV_EUlSU_E_NS1_11comp_targetILNS1_3genE4ELNS1_11target_archE910ELNS1_3gpuE8ELNS1_3repE0EEENS1_30default_config_static_selectorELNS0_4arch9wavefront6targetE0EEEvT1_,"axG",@progbits,_ZN7rocprim17ROCPRIM_400000_NS6detail17trampoline_kernelINS0_14default_configENS1_20scan_config_selectorIN3c107complexIfEEEEZZNS1_9scan_implILNS1_25lookback_scan_determinismE0ELb0ELb0ES3_PKS7_PS7_S7_ZZZN2at6native31launch_logcumsumexp_cuda_kernelERKNSE_10TensorBaseESI_lENKUlvE_clEvENKUlvE2_clEvEUlS7_S7_E_S7_EEDaPvRmT3_T4_T5_mT6_P12ihipStream_tbENKUlT_T0_E_clISt17integral_constantIbLb0EESY_IbLb1EEEEDaSU_SV_EUlSU_E_NS1_11comp_targetILNS1_3genE4ELNS1_11target_archE910ELNS1_3gpuE8ELNS1_3repE0EEENS1_30default_config_static_selectorELNS0_4arch9wavefront6targetE0EEEvT1_,comdat
	.globl	_ZN7rocprim17ROCPRIM_400000_NS6detail17trampoline_kernelINS0_14default_configENS1_20scan_config_selectorIN3c107complexIfEEEEZZNS1_9scan_implILNS1_25lookback_scan_determinismE0ELb0ELb0ES3_PKS7_PS7_S7_ZZZN2at6native31launch_logcumsumexp_cuda_kernelERKNSE_10TensorBaseESI_lENKUlvE_clEvENKUlvE2_clEvEUlS7_S7_E_S7_EEDaPvRmT3_T4_T5_mT6_P12ihipStream_tbENKUlT_T0_E_clISt17integral_constantIbLb0EESY_IbLb1EEEEDaSU_SV_EUlSU_E_NS1_11comp_targetILNS1_3genE4ELNS1_11target_archE910ELNS1_3gpuE8ELNS1_3repE0EEENS1_30default_config_static_selectorELNS0_4arch9wavefront6targetE0EEEvT1_ ; -- Begin function _ZN7rocprim17ROCPRIM_400000_NS6detail17trampoline_kernelINS0_14default_configENS1_20scan_config_selectorIN3c107complexIfEEEEZZNS1_9scan_implILNS1_25lookback_scan_determinismE0ELb0ELb0ES3_PKS7_PS7_S7_ZZZN2at6native31launch_logcumsumexp_cuda_kernelERKNSE_10TensorBaseESI_lENKUlvE_clEvENKUlvE2_clEvEUlS7_S7_E_S7_EEDaPvRmT3_T4_T5_mT6_P12ihipStream_tbENKUlT_T0_E_clISt17integral_constantIbLb0EESY_IbLb1EEEEDaSU_SV_EUlSU_E_NS1_11comp_targetILNS1_3genE4ELNS1_11target_archE910ELNS1_3gpuE8ELNS1_3repE0EEENS1_30default_config_static_selectorELNS0_4arch9wavefront6targetE0EEEvT1_
	.p2align	8
	.type	_ZN7rocprim17ROCPRIM_400000_NS6detail17trampoline_kernelINS0_14default_configENS1_20scan_config_selectorIN3c107complexIfEEEEZZNS1_9scan_implILNS1_25lookback_scan_determinismE0ELb0ELb0ES3_PKS7_PS7_S7_ZZZN2at6native31launch_logcumsumexp_cuda_kernelERKNSE_10TensorBaseESI_lENKUlvE_clEvENKUlvE2_clEvEUlS7_S7_E_S7_EEDaPvRmT3_T4_T5_mT6_P12ihipStream_tbENKUlT_T0_E_clISt17integral_constantIbLb0EESY_IbLb1EEEEDaSU_SV_EUlSU_E_NS1_11comp_targetILNS1_3genE4ELNS1_11target_archE910ELNS1_3gpuE8ELNS1_3repE0EEENS1_30default_config_static_selectorELNS0_4arch9wavefront6targetE0EEEvT1_,@function
_ZN7rocprim17ROCPRIM_400000_NS6detail17trampoline_kernelINS0_14default_configENS1_20scan_config_selectorIN3c107complexIfEEEEZZNS1_9scan_implILNS1_25lookback_scan_determinismE0ELb0ELb0ES3_PKS7_PS7_S7_ZZZN2at6native31launch_logcumsumexp_cuda_kernelERKNSE_10TensorBaseESI_lENKUlvE_clEvENKUlvE2_clEvEUlS7_S7_E_S7_EEDaPvRmT3_T4_T5_mT6_P12ihipStream_tbENKUlT_T0_E_clISt17integral_constantIbLb0EESY_IbLb1EEEEDaSU_SV_EUlSU_E_NS1_11comp_targetILNS1_3genE4ELNS1_11target_archE910ELNS1_3gpuE8ELNS1_3repE0EEENS1_30default_config_static_selectorELNS0_4arch9wavefront6targetE0EEEvT1_: ; @_ZN7rocprim17ROCPRIM_400000_NS6detail17trampoline_kernelINS0_14default_configENS1_20scan_config_selectorIN3c107complexIfEEEEZZNS1_9scan_implILNS1_25lookback_scan_determinismE0ELb0ELb0ES3_PKS7_PS7_S7_ZZZN2at6native31launch_logcumsumexp_cuda_kernelERKNSE_10TensorBaseESI_lENKUlvE_clEvENKUlvE2_clEvEUlS7_S7_E_S7_EEDaPvRmT3_T4_T5_mT6_P12ihipStream_tbENKUlT_T0_E_clISt17integral_constantIbLb0EESY_IbLb1EEEEDaSU_SV_EUlSU_E_NS1_11comp_targetILNS1_3genE4ELNS1_11target_archE910ELNS1_3gpuE8ELNS1_3repE0EEENS1_30default_config_static_selectorELNS0_4arch9wavefront6targetE0EEEvT1_
; %bb.0:
	.section	.rodata,"a",@progbits
	.p2align	6, 0x0
	.amdhsa_kernel _ZN7rocprim17ROCPRIM_400000_NS6detail17trampoline_kernelINS0_14default_configENS1_20scan_config_selectorIN3c107complexIfEEEEZZNS1_9scan_implILNS1_25lookback_scan_determinismE0ELb0ELb0ES3_PKS7_PS7_S7_ZZZN2at6native31launch_logcumsumexp_cuda_kernelERKNSE_10TensorBaseESI_lENKUlvE_clEvENKUlvE2_clEvEUlS7_S7_E_S7_EEDaPvRmT3_T4_T5_mT6_P12ihipStream_tbENKUlT_T0_E_clISt17integral_constantIbLb0EESY_IbLb1EEEEDaSU_SV_EUlSU_E_NS1_11comp_targetILNS1_3genE4ELNS1_11target_archE910ELNS1_3gpuE8ELNS1_3repE0EEENS1_30default_config_static_selectorELNS0_4arch9wavefront6targetE0EEEvT1_
		.amdhsa_group_segment_fixed_size 0
		.amdhsa_private_segment_fixed_size 0
		.amdhsa_kernarg_size 104
		.amdhsa_user_sgpr_count 6
		.amdhsa_user_sgpr_private_segment_buffer 1
		.amdhsa_user_sgpr_dispatch_ptr 0
		.amdhsa_user_sgpr_queue_ptr 0
		.amdhsa_user_sgpr_kernarg_segment_ptr 1
		.amdhsa_user_sgpr_dispatch_id 0
		.amdhsa_user_sgpr_flat_scratch_init 0
		.amdhsa_user_sgpr_private_segment_size 0
		.amdhsa_wavefront_size32 1
		.amdhsa_uses_dynamic_stack 0
		.amdhsa_system_sgpr_private_segment_wavefront_offset 0
		.amdhsa_system_sgpr_workgroup_id_x 1
		.amdhsa_system_sgpr_workgroup_id_y 0
		.amdhsa_system_sgpr_workgroup_id_z 0
		.amdhsa_system_sgpr_workgroup_info 0
		.amdhsa_system_vgpr_workitem_id 0
		.amdhsa_next_free_vgpr 1
		.amdhsa_next_free_sgpr 1
		.amdhsa_reserve_vcc 0
		.amdhsa_reserve_flat_scratch 0
		.amdhsa_float_round_mode_32 0
		.amdhsa_float_round_mode_16_64 0
		.amdhsa_float_denorm_mode_32 3
		.amdhsa_float_denorm_mode_16_64 3
		.amdhsa_dx10_clamp 1
		.amdhsa_ieee_mode 1
		.amdhsa_fp16_overflow 0
		.amdhsa_workgroup_processor_mode 1
		.amdhsa_memory_ordered 1
		.amdhsa_forward_progress 1
		.amdhsa_shared_vgpr_count 0
		.amdhsa_exception_fp_ieee_invalid_op 0
		.amdhsa_exception_fp_denorm_src 0
		.amdhsa_exception_fp_ieee_div_zero 0
		.amdhsa_exception_fp_ieee_overflow 0
		.amdhsa_exception_fp_ieee_underflow 0
		.amdhsa_exception_fp_ieee_inexact 0
		.amdhsa_exception_int_div_zero 0
	.end_amdhsa_kernel
	.section	.text._ZN7rocprim17ROCPRIM_400000_NS6detail17trampoline_kernelINS0_14default_configENS1_20scan_config_selectorIN3c107complexIfEEEEZZNS1_9scan_implILNS1_25lookback_scan_determinismE0ELb0ELb0ES3_PKS7_PS7_S7_ZZZN2at6native31launch_logcumsumexp_cuda_kernelERKNSE_10TensorBaseESI_lENKUlvE_clEvENKUlvE2_clEvEUlS7_S7_E_S7_EEDaPvRmT3_T4_T5_mT6_P12ihipStream_tbENKUlT_T0_E_clISt17integral_constantIbLb0EESY_IbLb1EEEEDaSU_SV_EUlSU_E_NS1_11comp_targetILNS1_3genE4ELNS1_11target_archE910ELNS1_3gpuE8ELNS1_3repE0EEENS1_30default_config_static_selectorELNS0_4arch9wavefront6targetE0EEEvT1_,"axG",@progbits,_ZN7rocprim17ROCPRIM_400000_NS6detail17trampoline_kernelINS0_14default_configENS1_20scan_config_selectorIN3c107complexIfEEEEZZNS1_9scan_implILNS1_25lookback_scan_determinismE0ELb0ELb0ES3_PKS7_PS7_S7_ZZZN2at6native31launch_logcumsumexp_cuda_kernelERKNSE_10TensorBaseESI_lENKUlvE_clEvENKUlvE2_clEvEUlS7_S7_E_S7_EEDaPvRmT3_T4_T5_mT6_P12ihipStream_tbENKUlT_T0_E_clISt17integral_constantIbLb0EESY_IbLb1EEEEDaSU_SV_EUlSU_E_NS1_11comp_targetILNS1_3genE4ELNS1_11target_archE910ELNS1_3gpuE8ELNS1_3repE0EEENS1_30default_config_static_selectorELNS0_4arch9wavefront6targetE0EEEvT1_,comdat
.Lfunc_end331:
	.size	_ZN7rocprim17ROCPRIM_400000_NS6detail17trampoline_kernelINS0_14default_configENS1_20scan_config_selectorIN3c107complexIfEEEEZZNS1_9scan_implILNS1_25lookback_scan_determinismE0ELb0ELb0ES3_PKS7_PS7_S7_ZZZN2at6native31launch_logcumsumexp_cuda_kernelERKNSE_10TensorBaseESI_lENKUlvE_clEvENKUlvE2_clEvEUlS7_S7_E_S7_EEDaPvRmT3_T4_T5_mT6_P12ihipStream_tbENKUlT_T0_E_clISt17integral_constantIbLb0EESY_IbLb1EEEEDaSU_SV_EUlSU_E_NS1_11comp_targetILNS1_3genE4ELNS1_11target_archE910ELNS1_3gpuE8ELNS1_3repE0EEENS1_30default_config_static_selectorELNS0_4arch9wavefront6targetE0EEEvT1_, .Lfunc_end331-_ZN7rocprim17ROCPRIM_400000_NS6detail17trampoline_kernelINS0_14default_configENS1_20scan_config_selectorIN3c107complexIfEEEEZZNS1_9scan_implILNS1_25lookback_scan_determinismE0ELb0ELb0ES3_PKS7_PS7_S7_ZZZN2at6native31launch_logcumsumexp_cuda_kernelERKNSE_10TensorBaseESI_lENKUlvE_clEvENKUlvE2_clEvEUlS7_S7_E_S7_EEDaPvRmT3_T4_T5_mT6_P12ihipStream_tbENKUlT_T0_E_clISt17integral_constantIbLb0EESY_IbLb1EEEEDaSU_SV_EUlSU_E_NS1_11comp_targetILNS1_3genE4ELNS1_11target_archE910ELNS1_3gpuE8ELNS1_3repE0EEENS1_30default_config_static_selectorELNS0_4arch9wavefront6targetE0EEEvT1_
                                        ; -- End function
	.set _ZN7rocprim17ROCPRIM_400000_NS6detail17trampoline_kernelINS0_14default_configENS1_20scan_config_selectorIN3c107complexIfEEEEZZNS1_9scan_implILNS1_25lookback_scan_determinismE0ELb0ELb0ES3_PKS7_PS7_S7_ZZZN2at6native31launch_logcumsumexp_cuda_kernelERKNSE_10TensorBaseESI_lENKUlvE_clEvENKUlvE2_clEvEUlS7_S7_E_S7_EEDaPvRmT3_T4_T5_mT6_P12ihipStream_tbENKUlT_T0_E_clISt17integral_constantIbLb0EESY_IbLb1EEEEDaSU_SV_EUlSU_E_NS1_11comp_targetILNS1_3genE4ELNS1_11target_archE910ELNS1_3gpuE8ELNS1_3repE0EEENS1_30default_config_static_selectorELNS0_4arch9wavefront6targetE0EEEvT1_.num_vgpr, 0
	.set _ZN7rocprim17ROCPRIM_400000_NS6detail17trampoline_kernelINS0_14default_configENS1_20scan_config_selectorIN3c107complexIfEEEEZZNS1_9scan_implILNS1_25lookback_scan_determinismE0ELb0ELb0ES3_PKS7_PS7_S7_ZZZN2at6native31launch_logcumsumexp_cuda_kernelERKNSE_10TensorBaseESI_lENKUlvE_clEvENKUlvE2_clEvEUlS7_S7_E_S7_EEDaPvRmT3_T4_T5_mT6_P12ihipStream_tbENKUlT_T0_E_clISt17integral_constantIbLb0EESY_IbLb1EEEEDaSU_SV_EUlSU_E_NS1_11comp_targetILNS1_3genE4ELNS1_11target_archE910ELNS1_3gpuE8ELNS1_3repE0EEENS1_30default_config_static_selectorELNS0_4arch9wavefront6targetE0EEEvT1_.num_agpr, 0
	.set _ZN7rocprim17ROCPRIM_400000_NS6detail17trampoline_kernelINS0_14default_configENS1_20scan_config_selectorIN3c107complexIfEEEEZZNS1_9scan_implILNS1_25lookback_scan_determinismE0ELb0ELb0ES3_PKS7_PS7_S7_ZZZN2at6native31launch_logcumsumexp_cuda_kernelERKNSE_10TensorBaseESI_lENKUlvE_clEvENKUlvE2_clEvEUlS7_S7_E_S7_EEDaPvRmT3_T4_T5_mT6_P12ihipStream_tbENKUlT_T0_E_clISt17integral_constantIbLb0EESY_IbLb1EEEEDaSU_SV_EUlSU_E_NS1_11comp_targetILNS1_3genE4ELNS1_11target_archE910ELNS1_3gpuE8ELNS1_3repE0EEENS1_30default_config_static_selectorELNS0_4arch9wavefront6targetE0EEEvT1_.numbered_sgpr, 0
	.set _ZN7rocprim17ROCPRIM_400000_NS6detail17trampoline_kernelINS0_14default_configENS1_20scan_config_selectorIN3c107complexIfEEEEZZNS1_9scan_implILNS1_25lookback_scan_determinismE0ELb0ELb0ES3_PKS7_PS7_S7_ZZZN2at6native31launch_logcumsumexp_cuda_kernelERKNSE_10TensorBaseESI_lENKUlvE_clEvENKUlvE2_clEvEUlS7_S7_E_S7_EEDaPvRmT3_T4_T5_mT6_P12ihipStream_tbENKUlT_T0_E_clISt17integral_constantIbLb0EESY_IbLb1EEEEDaSU_SV_EUlSU_E_NS1_11comp_targetILNS1_3genE4ELNS1_11target_archE910ELNS1_3gpuE8ELNS1_3repE0EEENS1_30default_config_static_selectorELNS0_4arch9wavefront6targetE0EEEvT1_.num_named_barrier, 0
	.set _ZN7rocprim17ROCPRIM_400000_NS6detail17trampoline_kernelINS0_14default_configENS1_20scan_config_selectorIN3c107complexIfEEEEZZNS1_9scan_implILNS1_25lookback_scan_determinismE0ELb0ELb0ES3_PKS7_PS7_S7_ZZZN2at6native31launch_logcumsumexp_cuda_kernelERKNSE_10TensorBaseESI_lENKUlvE_clEvENKUlvE2_clEvEUlS7_S7_E_S7_EEDaPvRmT3_T4_T5_mT6_P12ihipStream_tbENKUlT_T0_E_clISt17integral_constantIbLb0EESY_IbLb1EEEEDaSU_SV_EUlSU_E_NS1_11comp_targetILNS1_3genE4ELNS1_11target_archE910ELNS1_3gpuE8ELNS1_3repE0EEENS1_30default_config_static_selectorELNS0_4arch9wavefront6targetE0EEEvT1_.private_seg_size, 0
	.set _ZN7rocprim17ROCPRIM_400000_NS6detail17trampoline_kernelINS0_14default_configENS1_20scan_config_selectorIN3c107complexIfEEEEZZNS1_9scan_implILNS1_25lookback_scan_determinismE0ELb0ELb0ES3_PKS7_PS7_S7_ZZZN2at6native31launch_logcumsumexp_cuda_kernelERKNSE_10TensorBaseESI_lENKUlvE_clEvENKUlvE2_clEvEUlS7_S7_E_S7_EEDaPvRmT3_T4_T5_mT6_P12ihipStream_tbENKUlT_T0_E_clISt17integral_constantIbLb0EESY_IbLb1EEEEDaSU_SV_EUlSU_E_NS1_11comp_targetILNS1_3genE4ELNS1_11target_archE910ELNS1_3gpuE8ELNS1_3repE0EEENS1_30default_config_static_selectorELNS0_4arch9wavefront6targetE0EEEvT1_.uses_vcc, 0
	.set _ZN7rocprim17ROCPRIM_400000_NS6detail17trampoline_kernelINS0_14default_configENS1_20scan_config_selectorIN3c107complexIfEEEEZZNS1_9scan_implILNS1_25lookback_scan_determinismE0ELb0ELb0ES3_PKS7_PS7_S7_ZZZN2at6native31launch_logcumsumexp_cuda_kernelERKNSE_10TensorBaseESI_lENKUlvE_clEvENKUlvE2_clEvEUlS7_S7_E_S7_EEDaPvRmT3_T4_T5_mT6_P12ihipStream_tbENKUlT_T0_E_clISt17integral_constantIbLb0EESY_IbLb1EEEEDaSU_SV_EUlSU_E_NS1_11comp_targetILNS1_3genE4ELNS1_11target_archE910ELNS1_3gpuE8ELNS1_3repE0EEENS1_30default_config_static_selectorELNS0_4arch9wavefront6targetE0EEEvT1_.uses_flat_scratch, 0
	.set _ZN7rocprim17ROCPRIM_400000_NS6detail17trampoline_kernelINS0_14default_configENS1_20scan_config_selectorIN3c107complexIfEEEEZZNS1_9scan_implILNS1_25lookback_scan_determinismE0ELb0ELb0ES3_PKS7_PS7_S7_ZZZN2at6native31launch_logcumsumexp_cuda_kernelERKNSE_10TensorBaseESI_lENKUlvE_clEvENKUlvE2_clEvEUlS7_S7_E_S7_EEDaPvRmT3_T4_T5_mT6_P12ihipStream_tbENKUlT_T0_E_clISt17integral_constantIbLb0EESY_IbLb1EEEEDaSU_SV_EUlSU_E_NS1_11comp_targetILNS1_3genE4ELNS1_11target_archE910ELNS1_3gpuE8ELNS1_3repE0EEENS1_30default_config_static_selectorELNS0_4arch9wavefront6targetE0EEEvT1_.has_dyn_sized_stack, 0
	.set _ZN7rocprim17ROCPRIM_400000_NS6detail17trampoline_kernelINS0_14default_configENS1_20scan_config_selectorIN3c107complexIfEEEEZZNS1_9scan_implILNS1_25lookback_scan_determinismE0ELb0ELb0ES3_PKS7_PS7_S7_ZZZN2at6native31launch_logcumsumexp_cuda_kernelERKNSE_10TensorBaseESI_lENKUlvE_clEvENKUlvE2_clEvEUlS7_S7_E_S7_EEDaPvRmT3_T4_T5_mT6_P12ihipStream_tbENKUlT_T0_E_clISt17integral_constantIbLb0EESY_IbLb1EEEEDaSU_SV_EUlSU_E_NS1_11comp_targetILNS1_3genE4ELNS1_11target_archE910ELNS1_3gpuE8ELNS1_3repE0EEENS1_30default_config_static_selectorELNS0_4arch9wavefront6targetE0EEEvT1_.has_recursion, 0
	.set _ZN7rocprim17ROCPRIM_400000_NS6detail17trampoline_kernelINS0_14default_configENS1_20scan_config_selectorIN3c107complexIfEEEEZZNS1_9scan_implILNS1_25lookback_scan_determinismE0ELb0ELb0ES3_PKS7_PS7_S7_ZZZN2at6native31launch_logcumsumexp_cuda_kernelERKNSE_10TensorBaseESI_lENKUlvE_clEvENKUlvE2_clEvEUlS7_S7_E_S7_EEDaPvRmT3_T4_T5_mT6_P12ihipStream_tbENKUlT_T0_E_clISt17integral_constantIbLb0EESY_IbLb1EEEEDaSU_SV_EUlSU_E_NS1_11comp_targetILNS1_3genE4ELNS1_11target_archE910ELNS1_3gpuE8ELNS1_3repE0EEENS1_30default_config_static_selectorELNS0_4arch9wavefront6targetE0EEEvT1_.has_indirect_call, 0
	.section	.AMDGPU.csdata,"",@progbits
; Kernel info:
; codeLenInByte = 0
; TotalNumSgprs: 0
; NumVgprs: 0
; ScratchSize: 0
; MemoryBound: 0
; FloatMode: 240
; IeeeMode: 1
; LDSByteSize: 0 bytes/workgroup (compile time only)
; SGPRBlocks: 0
; VGPRBlocks: 0
; NumSGPRsForWavesPerEU: 1
; NumVGPRsForWavesPerEU: 1
; Occupancy: 16
; WaveLimiterHint : 0
; COMPUTE_PGM_RSRC2:SCRATCH_EN: 0
; COMPUTE_PGM_RSRC2:USER_SGPR: 6
; COMPUTE_PGM_RSRC2:TRAP_HANDLER: 0
; COMPUTE_PGM_RSRC2:TGID_X_EN: 1
; COMPUTE_PGM_RSRC2:TGID_Y_EN: 0
; COMPUTE_PGM_RSRC2:TGID_Z_EN: 0
; COMPUTE_PGM_RSRC2:TIDIG_COMP_CNT: 0
	.section	.text._ZN7rocprim17ROCPRIM_400000_NS6detail17trampoline_kernelINS0_14default_configENS1_20scan_config_selectorIN3c107complexIfEEEEZZNS1_9scan_implILNS1_25lookback_scan_determinismE0ELb0ELb0ES3_PKS7_PS7_S7_ZZZN2at6native31launch_logcumsumexp_cuda_kernelERKNSE_10TensorBaseESI_lENKUlvE_clEvENKUlvE2_clEvEUlS7_S7_E_S7_EEDaPvRmT3_T4_T5_mT6_P12ihipStream_tbENKUlT_T0_E_clISt17integral_constantIbLb0EESY_IbLb1EEEEDaSU_SV_EUlSU_E_NS1_11comp_targetILNS1_3genE3ELNS1_11target_archE908ELNS1_3gpuE7ELNS1_3repE0EEENS1_30default_config_static_selectorELNS0_4arch9wavefront6targetE0EEEvT1_,"axG",@progbits,_ZN7rocprim17ROCPRIM_400000_NS6detail17trampoline_kernelINS0_14default_configENS1_20scan_config_selectorIN3c107complexIfEEEEZZNS1_9scan_implILNS1_25lookback_scan_determinismE0ELb0ELb0ES3_PKS7_PS7_S7_ZZZN2at6native31launch_logcumsumexp_cuda_kernelERKNSE_10TensorBaseESI_lENKUlvE_clEvENKUlvE2_clEvEUlS7_S7_E_S7_EEDaPvRmT3_T4_T5_mT6_P12ihipStream_tbENKUlT_T0_E_clISt17integral_constantIbLb0EESY_IbLb1EEEEDaSU_SV_EUlSU_E_NS1_11comp_targetILNS1_3genE3ELNS1_11target_archE908ELNS1_3gpuE7ELNS1_3repE0EEENS1_30default_config_static_selectorELNS0_4arch9wavefront6targetE0EEEvT1_,comdat
	.globl	_ZN7rocprim17ROCPRIM_400000_NS6detail17trampoline_kernelINS0_14default_configENS1_20scan_config_selectorIN3c107complexIfEEEEZZNS1_9scan_implILNS1_25lookback_scan_determinismE0ELb0ELb0ES3_PKS7_PS7_S7_ZZZN2at6native31launch_logcumsumexp_cuda_kernelERKNSE_10TensorBaseESI_lENKUlvE_clEvENKUlvE2_clEvEUlS7_S7_E_S7_EEDaPvRmT3_T4_T5_mT6_P12ihipStream_tbENKUlT_T0_E_clISt17integral_constantIbLb0EESY_IbLb1EEEEDaSU_SV_EUlSU_E_NS1_11comp_targetILNS1_3genE3ELNS1_11target_archE908ELNS1_3gpuE7ELNS1_3repE0EEENS1_30default_config_static_selectorELNS0_4arch9wavefront6targetE0EEEvT1_ ; -- Begin function _ZN7rocprim17ROCPRIM_400000_NS6detail17trampoline_kernelINS0_14default_configENS1_20scan_config_selectorIN3c107complexIfEEEEZZNS1_9scan_implILNS1_25lookback_scan_determinismE0ELb0ELb0ES3_PKS7_PS7_S7_ZZZN2at6native31launch_logcumsumexp_cuda_kernelERKNSE_10TensorBaseESI_lENKUlvE_clEvENKUlvE2_clEvEUlS7_S7_E_S7_EEDaPvRmT3_T4_T5_mT6_P12ihipStream_tbENKUlT_T0_E_clISt17integral_constantIbLb0EESY_IbLb1EEEEDaSU_SV_EUlSU_E_NS1_11comp_targetILNS1_3genE3ELNS1_11target_archE908ELNS1_3gpuE7ELNS1_3repE0EEENS1_30default_config_static_selectorELNS0_4arch9wavefront6targetE0EEEvT1_
	.p2align	8
	.type	_ZN7rocprim17ROCPRIM_400000_NS6detail17trampoline_kernelINS0_14default_configENS1_20scan_config_selectorIN3c107complexIfEEEEZZNS1_9scan_implILNS1_25lookback_scan_determinismE0ELb0ELb0ES3_PKS7_PS7_S7_ZZZN2at6native31launch_logcumsumexp_cuda_kernelERKNSE_10TensorBaseESI_lENKUlvE_clEvENKUlvE2_clEvEUlS7_S7_E_S7_EEDaPvRmT3_T4_T5_mT6_P12ihipStream_tbENKUlT_T0_E_clISt17integral_constantIbLb0EESY_IbLb1EEEEDaSU_SV_EUlSU_E_NS1_11comp_targetILNS1_3genE3ELNS1_11target_archE908ELNS1_3gpuE7ELNS1_3repE0EEENS1_30default_config_static_selectorELNS0_4arch9wavefront6targetE0EEEvT1_,@function
_ZN7rocprim17ROCPRIM_400000_NS6detail17trampoline_kernelINS0_14default_configENS1_20scan_config_selectorIN3c107complexIfEEEEZZNS1_9scan_implILNS1_25lookback_scan_determinismE0ELb0ELb0ES3_PKS7_PS7_S7_ZZZN2at6native31launch_logcumsumexp_cuda_kernelERKNSE_10TensorBaseESI_lENKUlvE_clEvENKUlvE2_clEvEUlS7_S7_E_S7_EEDaPvRmT3_T4_T5_mT6_P12ihipStream_tbENKUlT_T0_E_clISt17integral_constantIbLb0EESY_IbLb1EEEEDaSU_SV_EUlSU_E_NS1_11comp_targetILNS1_3genE3ELNS1_11target_archE908ELNS1_3gpuE7ELNS1_3repE0EEENS1_30default_config_static_selectorELNS0_4arch9wavefront6targetE0EEEvT1_: ; @_ZN7rocprim17ROCPRIM_400000_NS6detail17trampoline_kernelINS0_14default_configENS1_20scan_config_selectorIN3c107complexIfEEEEZZNS1_9scan_implILNS1_25lookback_scan_determinismE0ELb0ELb0ES3_PKS7_PS7_S7_ZZZN2at6native31launch_logcumsumexp_cuda_kernelERKNSE_10TensorBaseESI_lENKUlvE_clEvENKUlvE2_clEvEUlS7_S7_E_S7_EEDaPvRmT3_T4_T5_mT6_P12ihipStream_tbENKUlT_T0_E_clISt17integral_constantIbLb0EESY_IbLb1EEEEDaSU_SV_EUlSU_E_NS1_11comp_targetILNS1_3genE3ELNS1_11target_archE908ELNS1_3gpuE7ELNS1_3repE0EEENS1_30default_config_static_selectorELNS0_4arch9wavefront6targetE0EEEvT1_
; %bb.0:
	.section	.rodata,"a",@progbits
	.p2align	6, 0x0
	.amdhsa_kernel _ZN7rocprim17ROCPRIM_400000_NS6detail17trampoline_kernelINS0_14default_configENS1_20scan_config_selectorIN3c107complexIfEEEEZZNS1_9scan_implILNS1_25lookback_scan_determinismE0ELb0ELb0ES3_PKS7_PS7_S7_ZZZN2at6native31launch_logcumsumexp_cuda_kernelERKNSE_10TensorBaseESI_lENKUlvE_clEvENKUlvE2_clEvEUlS7_S7_E_S7_EEDaPvRmT3_T4_T5_mT6_P12ihipStream_tbENKUlT_T0_E_clISt17integral_constantIbLb0EESY_IbLb1EEEEDaSU_SV_EUlSU_E_NS1_11comp_targetILNS1_3genE3ELNS1_11target_archE908ELNS1_3gpuE7ELNS1_3repE0EEENS1_30default_config_static_selectorELNS0_4arch9wavefront6targetE0EEEvT1_
		.amdhsa_group_segment_fixed_size 0
		.amdhsa_private_segment_fixed_size 0
		.amdhsa_kernarg_size 104
		.amdhsa_user_sgpr_count 6
		.amdhsa_user_sgpr_private_segment_buffer 1
		.amdhsa_user_sgpr_dispatch_ptr 0
		.amdhsa_user_sgpr_queue_ptr 0
		.amdhsa_user_sgpr_kernarg_segment_ptr 1
		.amdhsa_user_sgpr_dispatch_id 0
		.amdhsa_user_sgpr_flat_scratch_init 0
		.amdhsa_user_sgpr_private_segment_size 0
		.amdhsa_wavefront_size32 1
		.amdhsa_uses_dynamic_stack 0
		.amdhsa_system_sgpr_private_segment_wavefront_offset 0
		.amdhsa_system_sgpr_workgroup_id_x 1
		.amdhsa_system_sgpr_workgroup_id_y 0
		.amdhsa_system_sgpr_workgroup_id_z 0
		.amdhsa_system_sgpr_workgroup_info 0
		.amdhsa_system_vgpr_workitem_id 0
		.amdhsa_next_free_vgpr 1
		.amdhsa_next_free_sgpr 1
		.amdhsa_reserve_vcc 0
		.amdhsa_reserve_flat_scratch 0
		.amdhsa_float_round_mode_32 0
		.amdhsa_float_round_mode_16_64 0
		.amdhsa_float_denorm_mode_32 3
		.amdhsa_float_denorm_mode_16_64 3
		.amdhsa_dx10_clamp 1
		.amdhsa_ieee_mode 1
		.amdhsa_fp16_overflow 0
		.amdhsa_workgroup_processor_mode 1
		.amdhsa_memory_ordered 1
		.amdhsa_forward_progress 1
		.amdhsa_shared_vgpr_count 0
		.amdhsa_exception_fp_ieee_invalid_op 0
		.amdhsa_exception_fp_denorm_src 0
		.amdhsa_exception_fp_ieee_div_zero 0
		.amdhsa_exception_fp_ieee_overflow 0
		.amdhsa_exception_fp_ieee_underflow 0
		.amdhsa_exception_fp_ieee_inexact 0
		.amdhsa_exception_int_div_zero 0
	.end_amdhsa_kernel
	.section	.text._ZN7rocprim17ROCPRIM_400000_NS6detail17trampoline_kernelINS0_14default_configENS1_20scan_config_selectorIN3c107complexIfEEEEZZNS1_9scan_implILNS1_25lookback_scan_determinismE0ELb0ELb0ES3_PKS7_PS7_S7_ZZZN2at6native31launch_logcumsumexp_cuda_kernelERKNSE_10TensorBaseESI_lENKUlvE_clEvENKUlvE2_clEvEUlS7_S7_E_S7_EEDaPvRmT3_T4_T5_mT6_P12ihipStream_tbENKUlT_T0_E_clISt17integral_constantIbLb0EESY_IbLb1EEEEDaSU_SV_EUlSU_E_NS1_11comp_targetILNS1_3genE3ELNS1_11target_archE908ELNS1_3gpuE7ELNS1_3repE0EEENS1_30default_config_static_selectorELNS0_4arch9wavefront6targetE0EEEvT1_,"axG",@progbits,_ZN7rocprim17ROCPRIM_400000_NS6detail17trampoline_kernelINS0_14default_configENS1_20scan_config_selectorIN3c107complexIfEEEEZZNS1_9scan_implILNS1_25lookback_scan_determinismE0ELb0ELb0ES3_PKS7_PS7_S7_ZZZN2at6native31launch_logcumsumexp_cuda_kernelERKNSE_10TensorBaseESI_lENKUlvE_clEvENKUlvE2_clEvEUlS7_S7_E_S7_EEDaPvRmT3_T4_T5_mT6_P12ihipStream_tbENKUlT_T0_E_clISt17integral_constantIbLb0EESY_IbLb1EEEEDaSU_SV_EUlSU_E_NS1_11comp_targetILNS1_3genE3ELNS1_11target_archE908ELNS1_3gpuE7ELNS1_3repE0EEENS1_30default_config_static_selectorELNS0_4arch9wavefront6targetE0EEEvT1_,comdat
.Lfunc_end332:
	.size	_ZN7rocprim17ROCPRIM_400000_NS6detail17trampoline_kernelINS0_14default_configENS1_20scan_config_selectorIN3c107complexIfEEEEZZNS1_9scan_implILNS1_25lookback_scan_determinismE0ELb0ELb0ES3_PKS7_PS7_S7_ZZZN2at6native31launch_logcumsumexp_cuda_kernelERKNSE_10TensorBaseESI_lENKUlvE_clEvENKUlvE2_clEvEUlS7_S7_E_S7_EEDaPvRmT3_T4_T5_mT6_P12ihipStream_tbENKUlT_T0_E_clISt17integral_constantIbLb0EESY_IbLb1EEEEDaSU_SV_EUlSU_E_NS1_11comp_targetILNS1_3genE3ELNS1_11target_archE908ELNS1_3gpuE7ELNS1_3repE0EEENS1_30default_config_static_selectorELNS0_4arch9wavefront6targetE0EEEvT1_, .Lfunc_end332-_ZN7rocprim17ROCPRIM_400000_NS6detail17trampoline_kernelINS0_14default_configENS1_20scan_config_selectorIN3c107complexIfEEEEZZNS1_9scan_implILNS1_25lookback_scan_determinismE0ELb0ELb0ES3_PKS7_PS7_S7_ZZZN2at6native31launch_logcumsumexp_cuda_kernelERKNSE_10TensorBaseESI_lENKUlvE_clEvENKUlvE2_clEvEUlS7_S7_E_S7_EEDaPvRmT3_T4_T5_mT6_P12ihipStream_tbENKUlT_T0_E_clISt17integral_constantIbLb0EESY_IbLb1EEEEDaSU_SV_EUlSU_E_NS1_11comp_targetILNS1_3genE3ELNS1_11target_archE908ELNS1_3gpuE7ELNS1_3repE0EEENS1_30default_config_static_selectorELNS0_4arch9wavefront6targetE0EEEvT1_
                                        ; -- End function
	.set _ZN7rocprim17ROCPRIM_400000_NS6detail17trampoline_kernelINS0_14default_configENS1_20scan_config_selectorIN3c107complexIfEEEEZZNS1_9scan_implILNS1_25lookback_scan_determinismE0ELb0ELb0ES3_PKS7_PS7_S7_ZZZN2at6native31launch_logcumsumexp_cuda_kernelERKNSE_10TensorBaseESI_lENKUlvE_clEvENKUlvE2_clEvEUlS7_S7_E_S7_EEDaPvRmT3_T4_T5_mT6_P12ihipStream_tbENKUlT_T0_E_clISt17integral_constantIbLb0EESY_IbLb1EEEEDaSU_SV_EUlSU_E_NS1_11comp_targetILNS1_3genE3ELNS1_11target_archE908ELNS1_3gpuE7ELNS1_3repE0EEENS1_30default_config_static_selectorELNS0_4arch9wavefront6targetE0EEEvT1_.num_vgpr, 0
	.set _ZN7rocprim17ROCPRIM_400000_NS6detail17trampoline_kernelINS0_14default_configENS1_20scan_config_selectorIN3c107complexIfEEEEZZNS1_9scan_implILNS1_25lookback_scan_determinismE0ELb0ELb0ES3_PKS7_PS7_S7_ZZZN2at6native31launch_logcumsumexp_cuda_kernelERKNSE_10TensorBaseESI_lENKUlvE_clEvENKUlvE2_clEvEUlS7_S7_E_S7_EEDaPvRmT3_T4_T5_mT6_P12ihipStream_tbENKUlT_T0_E_clISt17integral_constantIbLb0EESY_IbLb1EEEEDaSU_SV_EUlSU_E_NS1_11comp_targetILNS1_3genE3ELNS1_11target_archE908ELNS1_3gpuE7ELNS1_3repE0EEENS1_30default_config_static_selectorELNS0_4arch9wavefront6targetE0EEEvT1_.num_agpr, 0
	.set _ZN7rocprim17ROCPRIM_400000_NS6detail17trampoline_kernelINS0_14default_configENS1_20scan_config_selectorIN3c107complexIfEEEEZZNS1_9scan_implILNS1_25lookback_scan_determinismE0ELb0ELb0ES3_PKS7_PS7_S7_ZZZN2at6native31launch_logcumsumexp_cuda_kernelERKNSE_10TensorBaseESI_lENKUlvE_clEvENKUlvE2_clEvEUlS7_S7_E_S7_EEDaPvRmT3_T4_T5_mT6_P12ihipStream_tbENKUlT_T0_E_clISt17integral_constantIbLb0EESY_IbLb1EEEEDaSU_SV_EUlSU_E_NS1_11comp_targetILNS1_3genE3ELNS1_11target_archE908ELNS1_3gpuE7ELNS1_3repE0EEENS1_30default_config_static_selectorELNS0_4arch9wavefront6targetE0EEEvT1_.numbered_sgpr, 0
	.set _ZN7rocprim17ROCPRIM_400000_NS6detail17trampoline_kernelINS0_14default_configENS1_20scan_config_selectorIN3c107complexIfEEEEZZNS1_9scan_implILNS1_25lookback_scan_determinismE0ELb0ELb0ES3_PKS7_PS7_S7_ZZZN2at6native31launch_logcumsumexp_cuda_kernelERKNSE_10TensorBaseESI_lENKUlvE_clEvENKUlvE2_clEvEUlS7_S7_E_S7_EEDaPvRmT3_T4_T5_mT6_P12ihipStream_tbENKUlT_T0_E_clISt17integral_constantIbLb0EESY_IbLb1EEEEDaSU_SV_EUlSU_E_NS1_11comp_targetILNS1_3genE3ELNS1_11target_archE908ELNS1_3gpuE7ELNS1_3repE0EEENS1_30default_config_static_selectorELNS0_4arch9wavefront6targetE0EEEvT1_.num_named_barrier, 0
	.set _ZN7rocprim17ROCPRIM_400000_NS6detail17trampoline_kernelINS0_14default_configENS1_20scan_config_selectorIN3c107complexIfEEEEZZNS1_9scan_implILNS1_25lookback_scan_determinismE0ELb0ELb0ES3_PKS7_PS7_S7_ZZZN2at6native31launch_logcumsumexp_cuda_kernelERKNSE_10TensorBaseESI_lENKUlvE_clEvENKUlvE2_clEvEUlS7_S7_E_S7_EEDaPvRmT3_T4_T5_mT6_P12ihipStream_tbENKUlT_T0_E_clISt17integral_constantIbLb0EESY_IbLb1EEEEDaSU_SV_EUlSU_E_NS1_11comp_targetILNS1_3genE3ELNS1_11target_archE908ELNS1_3gpuE7ELNS1_3repE0EEENS1_30default_config_static_selectorELNS0_4arch9wavefront6targetE0EEEvT1_.private_seg_size, 0
	.set _ZN7rocprim17ROCPRIM_400000_NS6detail17trampoline_kernelINS0_14default_configENS1_20scan_config_selectorIN3c107complexIfEEEEZZNS1_9scan_implILNS1_25lookback_scan_determinismE0ELb0ELb0ES3_PKS7_PS7_S7_ZZZN2at6native31launch_logcumsumexp_cuda_kernelERKNSE_10TensorBaseESI_lENKUlvE_clEvENKUlvE2_clEvEUlS7_S7_E_S7_EEDaPvRmT3_T4_T5_mT6_P12ihipStream_tbENKUlT_T0_E_clISt17integral_constantIbLb0EESY_IbLb1EEEEDaSU_SV_EUlSU_E_NS1_11comp_targetILNS1_3genE3ELNS1_11target_archE908ELNS1_3gpuE7ELNS1_3repE0EEENS1_30default_config_static_selectorELNS0_4arch9wavefront6targetE0EEEvT1_.uses_vcc, 0
	.set _ZN7rocprim17ROCPRIM_400000_NS6detail17trampoline_kernelINS0_14default_configENS1_20scan_config_selectorIN3c107complexIfEEEEZZNS1_9scan_implILNS1_25lookback_scan_determinismE0ELb0ELb0ES3_PKS7_PS7_S7_ZZZN2at6native31launch_logcumsumexp_cuda_kernelERKNSE_10TensorBaseESI_lENKUlvE_clEvENKUlvE2_clEvEUlS7_S7_E_S7_EEDaPvRmT3_T4_T5_mT6_P12ihipStream_tbENKUlT_T0_E_clISt17integral_constantIbLb0EESY_IbLb1EEEEDaSU_SV_EUlSU_E_NS1_11comp_targetILNS1_3genE3ELNS1_11target_archE908ELNS1_3gpuE7ELNS1_3repE0EEENS1_30default_config_static_selectorELNS0_4arch9wavefront6targetE0EEEvT1_.uses_flat_scratch, 0
	.set _ZN7rocprim17ROCPRIM_400000_NS6detail17trampoline_kernelINS0_14default_configENS1_20scan_config_selectorIN3c107complexIfEEEEZZNS1_9scan_implILNS1_25lookback_scan_determinismE0ELb0ELb0ES3_PKS7_PS7_S7_ZZZN2at6native31launch_logcumsumexp_cuda_kernelERKNSE_10TensorBaseESI_lENKUlvE_clEvENKUlvE2_clEvEUlS7_S7_E_S7_EEDaPvRmT3_T4_T5_mT6_P12ihipStream_tbENKUlT_T0_E_clISt17integral_constantIbLb0EESY_IbLb1EEEEDaSU_SV_EUlSU_E_NS1_11comp_targetILNS1_3genE3ELNS1_11target_archE908ELNS1_3gpuE7ELNS1_3repE0EEENS1_30default_config_static_selectorELNS0_4arch9wavefront6targetE0EEEvT1_.has_dyn_sized_stack, 0
	.set _ZN7rocprim17ROCPRIM_400000_NS6detail17trampoline_kernelINS0_14default_configENS1_20scan_config_selectorIN3c107complexIfEEEEZZNS1_9scan_implILNS1_25lookback_scan_determinismE0ELb0ELb0ES3_PKS7_PS7_S7_ZZZN2at6native31launch_logcumsumexp_cuda_kernelERKNSE_10TensorBaseESI_lENKUlvE_clEvENKUlvE2_clEvEUlS7_S7_E_S7_EEDaPvRmT3_T4_T5_mT6_P12ihipStream_tbENKUlT_T0_E_clISt17integral_constantIbLb0EESY_IbLb1EEEEDaSU_SV_EUlSU_E_NS1_11comp_targetILNS1_3genE3ELNS1_11target_archE908ELNS1_3gpuE7ELNS1_3repE0EEENS1_30default_config_static_selectorELNS0_4arch9wavefront6targetE0EEEvT1_.has_recursion, 0
	.set _ZN7rocprim17ROCPRIM_400000_NS6detail17trampoline_kernelINS0_14default_configENS1_20scan_config_selectorIN3c107complexIfEEEEZZNS1_9scan_implILNS1_25lookback_scan_determinismE0ELb0ELb0ES3_PKS7_PS7_S7_ZZZN2at6native31launch_logcumsumexp_cuda_kernelERKNSE_10TensorBaseESI_lENKUlvE_clEvENKUlvE2_clEvEUlS7_S7_E_S7_EEDaPvRmT3_T4_T5_mT6_P12ihipStream_tbENKUlT_T0_E_clISt17integral_constantIbLb0EESY_IbLb1EEEEDaSU_SV_EUlSU_E_NS1_11comp_targetILNS1_3genE3ELNS1_11target_archE908ELNS1_3gpuE7ELNS1_3repE0EEENS1_30default_config_static_selectorELNS0_4arch9wavefront6targetE0EEEvT1_.has_indirect_call, 0
	.section	.AMDGPU.csdata,"",@progbits
; Kernel info:
; codeLenInByte = 0
; TotalNumSgprs: 0
; NumVgprs: 0
; ScratchSize: 0
; MemoryBound: 0
; FloatMode: 240
; IeeeMode: 1
; LDSByteSize: 0 bytes/workgroup (compile time only)
; SGPRBlocks: 0
; VGPRBlocks: 0
; NumSGPRsForWavesPerEU: 1
; NumVGPRsForWavesPerEU: 1
; Occupancy: 16
; WaveLimiterHint : 0
; COMPUTE_PGM_RSRC2:SCRATCH_EN: 0
; COMPUTE_PGM_RSRC2:USER_SGPR: 6
; COMPUTE_PGM_RSRC2:TRAP_HANDLER: 0
; COMPUTE_PGM_RSRC2:TGID_X_EN: 1
; COMPUTE_PGM_RSRC2:TGID_Y_EN: 0
; COMPUTE_PGM_RSRC2:TGID_Z_EN: 0
; COMPUTE_PGM_RSRC2:TIDIG_COMP_CNT: 0
	.section	.text._ZN7rocprim17ROCPRIM_400000_NS6detail17trampoline_kernelINS0_14default_configENS1_20scan_config_selectorIN3c107complexIfEEEEZZNS1_9scan_implILNS1_25lookback_scan_determinismE0ELb0ELb0ES3_PKS7_PS7_S7_ZZZN2at6native31launch_logcumsumexp_cuda_kernelERKNSE_10TensorBaseESI_lENKUlvE_clEvENKUlvE2_clEvEUlS7_S7_E_S7_EEDaPvRmT3_T4_T5_mT6_P12ihipStream_tbENKUlT_T0_E_clISt17integral_constantIbLb0EESY_IbLb1EEEEDaSU_SV_EUlSU_E_NS1_11comp_targetILNS1_3genE2ELNS1_11target_archE906ELNS1_3gpuE6ELNS1_3repE0EEENS1_30default_config_static_selectorELNS0_4arch9wavefront6targetE0EEEvT1_,"axG",@progbits,_ZN7rocprim17ROCPRIM_400000_NS6detail17trampoline_kernelINS0_14default_configENS1_20scan_config_selectorIN3c107complexIfEEEEZZNS1_9scan_implILNS1_25lookback_scan_determinismE0ELb0ELb0ES3_PKS7_PS7_S7_ZZZN2at6native31launch_logcumsumexp_cuda_kernelERKNSE_10TensorBaseESI_lENKUlvE_clEvENKUlvE2_clEvEUlS7_S7_E_S7_EEDaPvRmT3_T4_T5_mT6_P12ihipStream_tbENKUlT_T0_E_clISt17integral_constantIbLb0EESY_IbLb1EEEEDaSU_SV_EUlSU_E_NS1_11comp_targetILNS1_3genE2ELNS1_11target_archE906ELNS1_3gpuE6ELNS1_3repE0EEENS1_30default_config_static_selectorELNS0_4arch9wavefront6targetE0EEEvT1_,comdat
	.globl	_ZN7rocprim17ROCPRIM_400000_NS6detail17trampoline_kernelINS0_14default_configENS1_20scan_config_selectorIN3c107complexIfEEEEZZNS1_9scan_implILNS1_25lookback_scan_determinismE0ELb0ELb0ES3_PKS7_PS7_S7_ZZZN2at6native31launch_logcumsumexp_cuda_kernelERKNSE_10TensorBaseESI_lENKUlvE_clEvENKUlvE2_clEvEUlS7_S7_E_S7_EEDaPvRmT3_T4_T5_mT6_P12ihipStream_tbENKUlT_T0_E_clISt17integral_constantIbLb0EESY_IbLb1EEEEDaSU_SV_EUlSU_E_NS1_11comp_targetILNS1_3genE2ELNS1_11target_archE906ELNS1_3gpuE6ELNS1_3repE0EEENS1_30default_config_static_selectorELNS0_4arch9wavefront6targetE0EEEvT1_ ; -- Begin function _ZN7rocprim17ROCPRIM_400000_NS6detail17trampoline_kernelINS0_14default_configENS1_20scan_config_selectorIN3c107complexIfEEEEZZNS1_9scan_implILNS1_25lookback_scan_determinismE0ELb0ELb0ES3_PKS7_PS7_S7_ZZZN2at6native31launch_logcumsumexp_cuda_kernelERKNSE_10TensorBaseESI_lENKUlvE_clEvENKUlvE2_clEvEUlS7_S7_E_S7_EEDaPvRmT3_T4_T5_mT6_P12ihipStream_tbENKUlT_T0_E_clISt17integral_constantIbLb0EESY_IbLb1EEEEDaSU_SV_EUlSU_E_NS1_11comp_targetILNS1_3genE2ELNS1_11target_archE906ELNS1_3gpuE6ELNS1_3repE0EEENS1_30default_config_static_selectorELNS0_4arch9wavefront6targetE0EEEvT1_
	.p2align	8
	.type	_ZN7rocprim17ROCPRIM_400000_NS6detail17trampoline_kernelINS0_14default_configENS1_20scan_config_selectorIN3c107complexIfEEEEZZNS1_9scan_implILNS1_25lookback_scan_determinismE0ELb0ELb0ES3_PKS7_PS7_S7_ZZZN2at6native31launch_logcumsumexp_cuda_kernelERKNSE_10TensorBaseESI_lENKUlvE_clEvENKUlvE2_clEvEUlS7_S7_E_S7_EEDaPvRmT3_T4_T5_mT6_P12ihipStream_tbENKUlT_T0_E_clISt17integral_constantIbLb0EESY_IbLb1EEEEDaSU_SV_EUlSU_E_NS1_11comp_targetILNS1_3genE2ELNS1_11target_archE906ELNS1_3gpuE6ELNS1_3repE0EEENS1_30default_config_static_selectorELNS0_4arch9wavefront6targetE0EEEvT1_,@function
_ZN7rocprim17ROCPRIM_400000_NS6detail17trampoline_kernelINS0_14default_configENS1_20scan_config_selectorIN3c107complexIfEEEEZZNS1_9scan_implILNS1_25lookback_scan_determinismE0ELb0ELb0ES3_PKS7_PS7_S7_ZZZN2at6native31launch_logcumsumexp_cuda_kernelERKNSE_10TensorBaseESI_lENKUlvE_clEvENKUlvE2_clEvEUlS7_S7_E_S7_EEDaPvRmT3_T4_T5_mT6_P12ihipStream_tbENKUlT_T0_E_clISt17integral_constantIbLb0EESY_IbLb1EEEEDaSU_SV_EUlSU_E_NS1_11comp_targetILNS1_3genE2ELNS1_11target_archE906ELNS1_3gpuE6ELNS1_3repE0EEENS1_30default_config_static_selectorELNS0_4arch9wavefront6targetE0EEEvT1_: ; @_ZN7rocprim17ROCPRIM_400000_NS6detail17trampoline_kernelINS0_14default_configENS1_20scan_config_selectorIN3c107complexIfEEEEZZNS1_9scan_implILNS1_25lookback_scan_determinismE0ELb0ELb0ES3_PKS7_PS7_S7_ZZZN2at6native31launch_logcumsumexp_cuda_kernelERKNSE_10TensorBaseESI_lENKUlvE_clEvENKUlvE2_clEvEUlS7_S7_E_S7_EEDaPvRmT3_T4_T5_mT6_P12ihipStream_tbENKUlT_T0_E_clISt17integral_constantIbLb0EESY_IbLb1EEEEDaSU_SV_EUlSU_E_NS1_11comp_targetILNS1_3genE2ELNS1_11target_archE906ELNS1_3gpuE6ELNS1_3repE0EEENS1_30default_config_static_selectorELNS0_4arch9wavefront6targetE0EEEvT1_
; %bb.0:
	.section	.rodata,"a",@progbits
	.p2align	6, 0x0
	.amdhsa_kernel _ZN7rocprim17ROCPRIM_400000_NS6detail17trampoline_kernelINS0_14default_configENS1_20scan_config_selectorIN3c107complexIfEEEEZZNS1_9scan_implILNS1_25lookback_scan_determinismE0ELb0ELb0ES3_PKS7_PS7_S7_ZZZN2at6native31launch_logcumsumexp_cuda_kernelERKNSE_10TensorBaseESI_lENKUlvE_clEvENKUlvE2_clEvEUlS7_S7_E_S7_EEDaPvRmT3_T4_T5_mT6_P12ihipStream_tbENKUlT_T0_E_clISt17integral_constantIbLb0EESY_IbLb1EEEEDaSU_SV_EUlSU_E_NS1_11comp_targetILNS1_3genE2ELNS1_11target_archE906ELNS1_3gpuE6ELNS1_3repE0EEENS1_30default_config_static_selectorELNS0_4arch9wavefront6targetE0EEEvT1_
		.amdhsa_group_segment_fixed_size 0
		.amdhsa_private_segment_fixed_size 0
		.amdhsa_kernarg_size 104
		.amdhsa_user_sgpr_count 6
		.amdhsa_user_sgpr_private_segment_buffer 1
		.amdhsa_user_sgpr_dispatch_ptr 0
		.amdhsa_user_sgpr_queue_ptr 0
		.amdhsa_user_sgpr_kernarg_segment_ptr 1
		.amdhsa_user_sgpr_dispatch_id 0
		.amdhsa_user_sgpr_flat_scratch_init 0
		.amdhsa_user_sgpr_private_segment_size 0
		.amdhsa_wavefront_size32 1
		.amdhsa_uses_dynamic_stack 0
		.amdhsa_system_sgpr_private_segment_wavefront_offset 0
		.amdhsa_system_sgpr_workgroup_id_x 1
		.amdhsa_system_sgpr_workgroup_id_y 0
		.amdhsa_system_sgpr_workgroup_id_z 0
		.amdhsa_system_sgpr_workgroup_info 0
		.amdhsa_system_vgpr_workitem_id 0
		.amdhsa_next_free_vgpr 1
		.amdhsa_next_free_sgpr 1
		.amdhsa_reserve_vcc 0
		.amdhsa_reserve_flat_scratch 0
		.amdhsa_float_round_mode_32 0
		.amdhsa_float_round_mode_16_64 0
		.amdhsa_float_denorm_mode_32 3
		.amdhsa_float_denorm_mode_16_64 3
		.amdhsa_dx10_clamp 1
		.amdhsa_ieee_mode 1
		.amdhsa_fp16_overflow 0
		.amdhsa_workgroup_processor_mode 1
		.amdhsa_memory_ordered 1
		.amdhsa_forward_progress 1
		.amdhsa_shared_vgpr_count 0
		.amdhsa_exception_fp_ieee_invalid_op 0
		.amdhsa_exception_fp_denorm_src 0
		.amdhsa_exception_fp_ieee_div_zero 0
		.amdhsa_exception_fp_ieee_overflow 0
		.amdhsa_exception_fp_ieee_underflow 0
		.amdhsa_exception_fp_ieee_inexact 0
		.amdhsa_exception_int_div_zero 0
	.end_amdhsa_kernel
	.section	.text._ZN7rocprim17ROCPRIM_400000_NS6detail17trampoline_kernelINS0_14default_configENS1_20scan_config_selectorIN3c107complexIfEEEEZZNS1_9scan_implILNS1_25lookback_scan_determinismE0ELb0ELb0ES3_PKS7_PS7_S7_ZZZN2at6native31launch_logcumsumexp_cuda_kernelERKNSE_10TensorBaseESI_lENKUlvE_clEvENKUlvE2_clEvEUlS7_S7_E_S7_EEDaPvRmT3_T4_T5_mT6_P12ihipStream_tbENKUlT_T0_E_clISt17integral_constantIbLb0EESY_IbLb1EEEEDaSU_SV_EUlSU_E_NS1_11comp_targetILNS1_3genE2ELNS1_11target_archE906ELNS1_3gpuE6ELNS1_3repE0EEENS1_30default_config_static_selectorELNS0_4arch9wavefront6targetE0EEEvT1_,"axG",@progbits,_ZN7rocprim17ROCPRIM_400000_NS6detail17trampoline_kernelINS0_14default_configENS1_20scan_config_selectorIN3c107complexIfEEEEZZNS1_9scan_implILNS1_25lookback_scan_determinismE0ELb0ELb0ES3_PKS7_PS7_S7_ZZZN2at6native31launch_logcumsumexp_cuda_kernelERKNSE_10TensorBaseESI_lENKUlvE_clEvENKUlvE2_clEvEUlS7_S7_E_S7_EEDaPvRmT3_T4_T5_mT6_P12ihipStream_tbENKUlT_T0_E_clISt17integral_constantIbLb0EESY_IbLb1EEEEDaSU_SV_EUlSU_E_NS1_11comp_targetILNS1_3genE2ELNS1_11target_archE906ELNS1_3gpuE6ELNS1_3repE0EEENS1_30default_config_static_selectorELNS0_4arch9wavefront6targetE0EEEvT1_,comdat
.Lfunc_end333:
	.size	_ZN7rocprim17ROCPRIM_400000_NS6detail17trampoline_kernelINS0_14default_configENS1_20scan_config_selectorIN3c107complexIfEEEEZZNS1_9scan_implILNS1_25lookback_scan_determinismE0ELb0ELb0ES3_PKS7_PS7_S7_ZZZN2at6native31launch_logcumsumexp_cuda_kernelERKNSE_10TensorBaseESI_lENKUlvE_clEvENKUlvE2_clEvEUlS7_S7_E_S7_EEDaPvRmT3_T4_T5_mT6_P12ihipStream_tbENKUlT_T0_E_clISt17integral_constantIbLb0EESY_IbLb1EEEEDaSU_SV_EUlSU_E_NS1_11comp_targetILNS1_3genE2ELNS1_11target_archE906ELNS1_3gpuE6ELNS1_3repE0EEENS1_30default_config_static_selectorELNS0_4arch9wavefront6targetE0EEEvT1_, .Lfunc_end333-_ZN7rocprim17ROCPRIM_400000_NS6detail17trampoline_kernelINS0_14default_configENS1_20scan_config_selectorIN3c107complexIfEEEEZZNS1_9scan_implILNS1_25lookback_scan_determinismE0ELb0ELb0ES3_PKS7_PS7_S7_ZZZN2at6native31launch_logcumsumexp_cuda_kernelERKNSE_10TensorBaseESI_lENKUlvE_clEvENKUlvE2_clEvEUlS7_S7_E_S7_EEDaPvRmT3_T4_T5_mT6_P12ihipStream_tbENKUlT_T0_E_clISt17integral_constantIbLb0EESY_IbLb1EEEEDaSU_SV_EUlSU_E_NS1_11comp_targetILNS1_3genE2ELNS1_11target_archE906ELNS1_3gpuE6ELNS1_3repE0EEENS1_30default_config_static_selectorELNS0_4arch9wavefront6targetE0EEEvT1_
                                        ; -- End function
	.set _ZN7rocprim17ROCPRIM_400000_NS6detail17trampoline_kernelINS0_14default_configENS1_20scan_config_selectorIN3c107complexIfEEEEZZNS1_9scan_implILNS1_25lookback_scan_determinismE0ELb0ELb0ES3_PKS7_PS7_S7_ZZZN2at6native31launch_logcumsumexp_cuda_kernelERKNSE_10TensorBaseESI_lENKUlvE_clEvENKUlvE2_clEvEUlS7_S7_E_S7_EEDaPvRmT3_T4_T5_mT6_P12ihipStream_tbENKUlT_T0_E_clISt17integral_constantIbLb0EESY_IbLb1EEEEDaSU_SV_EUlSU_E_NS1_11comp_targetILNS1_3genE2ELNS1_11target_archE906ELNS1_3gpuE6ELNS1_3repE0EEENS1_30default_config_static_selectorELNS0_4arch9wavefront6targetE0EEEvT1_.num_vgpr, 0
	.set _ZN7rocprim17ROCPRIM_400000_NS6detail17trampoline_kernelINS0_14default_configENS1_20scan_config_selectorIN3c107complexIfEEEEZZNS1_9scan_implILNS1_25lookback_scan_determinismE0ELb0ELb0ES3_PKS7_PS7_S7_ZZZN2at6native31launch_logcumsumexp_cuda_kernelERKNSE_10TensorBaseESI_lENKUlvE_clEvENKUlvE2_clEvEUlS7_S7_E_S7_EEDaPvRmT3_T4_T5_mT6_P12ihipStream_tbENKUlT_T0_E_clISt17integral_constantIbLb0EESY_IbLb1EEEEDaSU_SV_EUlSU_E_NS1_11comp_targetILNS1_3genE2ELNS1_11target_archE906ELNS1_3gpuE6ELNS1_3repE0EEENS1_30default_config_static_selectorELNS0_4arch9wavefront6targetE0EEEvT1_.num_agpr, 0
	.set _ZN7rocprim17ROCPRIM_400000_NS6detail17trampoline_kernelINS0_14default_configENS1_20scan_config_selectorIN3c107complexIfEEEEZZNS1_9scan_implILNS1_25lookback_scan_determinismE0ELb0ELb0ES3_PKS7_PS7_S7_ZZZN2at6native31launch_logcumsumexp_cuda_kernelERKNSE_10TensorBaseESI_lENKUlvE_clEvENKUlvE2_clEvEUlS7_S7_E_S7_EEDaPvRmT3_T4_T5_mT6_P12ihipStream_tbENKUlT_T0_E_clISt17integral_constantIbLb0EESY_IbLb1EEEEDaSU_SV_EUlSU_E_NS1_11comp_targetILNS1_3genE2ELNS1_11target_archE906ELNS1_3gpuE6ELNS1_3repE0EEENS1_30default_config_static_selectorELNS0_4arch9wavefront6targetE0EEEvT1_.numbered_sgpr, 0
	.set _ZN7rocprim17ROCPRIM_400000_NS6detail17trampoline_kernelINS0_14default_configENS1_20scan_config_selectorIN3c107complexIfEEEEZZNS1_9scan_implILNS1_25lookback_scan_determinismE0ELb0ELb0ES3_PKS7_PS7_S7_ZZZN2at6native31launch_logcumsumexp_cuda_kernelERKNSE_10TensorBaseESI_lENKUlvE_clEvENKUlvE2_clEvEUlS7_S7_E_S7_EEDaPvRmT3_T4_T5_mT6_P12ihipStream_tbENKUlT_T0_E_clISt17integral_constantIbLb0EESY_IbLb1EEEEDaSU_SV_EUlSU_E_NS1_11comp_targetILNS1_3genE2ELNS1_11target_archE906ELNS1_3gpuE6ELNS1_3repE0EEENS1_30default_config_static_selectorELNS0_4arch9wavefront6targetE0EEEvT1_.num_named_barrier, 0
	.set _ZN7rocprim17ROCPRIM_400000_NS6detail17trampoline_kernelINS0_14default_configENS1_20scan_config_selectorIN3c107complexIfEEEEZZNS1_9scan_implILNS1_25lookback_scan_determinismE0ELb0ELb0ES3_PKS7_PS7_S7_ZZZN2at6native31launch_logcumsumexp_cuda_kernelERKNSE_10TensorBaseESI_lENKUlvE_clEvENKUlvE2_clEvEUlS7_S7_E_S7_EEDaPvRmT3_T4_T5_mT6_P12ihipStream_tbENKUlT_T0_E_clISt17integral_constantIbLb0EESY_IbLb1EEEEDaSU_SV_EUlSU_E_NS1_11comp_targetILNS1_3genE2ELNS1_11target_archE906ELNS1_3gpuE6ELNS1_3repE0EEENS1_30default_config_static_selectorELNS0_4arch9wavefront6targetE0EEEvT1_.private_seg_size, 0
	.set _ZN7rocprim17ROCPRIM_400000_NS6detail17trampoline_kernelINS0_14default_configENS1_20scan_config_selectorIN3c107complexIfEEEEZZNS1_9scan_implILNS1_25lookback_scan_determinismE0ELb0ELb0ES3_PKS7_PS7_S7_ZZZN2at6native31launch_logcumsumexp_cuda_kernelERKNSE_10TensorBaseESI_lENKUlvE_clEvENKUlvE2_clEvEUlS7_S7_E_S7_EEDaPvRmT3_T4_T5_mT6_P12ihipStream_tbENKUlT_T0_E_clISt17integral_constantIbLb0EESY_IbLb1EEEEDaSU_SV_EUlSU_E_NS1_11comp_targetILNS1_3genE2ELNS1_11target_archE906ELNS1_3gpuE6ELNS1_3repE0EEENS1_30default_config_static_selectorELNS0_4arch9wavefront6targetE0EEEvT1_.uses_vcc, 0
	.set _ZN7rocprim17ROCPRIM_400000_NS6detail17trampoline_kernelINS0_14default_configENS1_20scan_config_selectorIN3c107complexIfEEEEZZNS1_9scan_implILNS1_25lookback_scan_determinismE0ELb0ELb0ES3_PKS7_PS7_S7_ZZZN2at6native31launch_logcumsumexp_cuda_kernelERKNSE_10TensorBaseESI_lENKUlvE_clEvENKUlvE2_clEvEUlS7_S7_E_S7_EEDaPvRmT3_T4_T5_mT6_P12ihipStream_tbENKUlT_T0_E_clISt17integral_constantIbLb0EESY_IbLb1EEEEDaSU_SV_EUlSU_E_NS1_11comp_targetILNS1_3genE2ELNS1_11target_archE906ELNS1_3gpuE6ELNS1_3repE0EEENS1_30default_config_static_selectorELNS0_4arch9wavefront6targetE0EEEvT1_.uses_flat_scratch, 0
	.set _ZN7rocprim17ROCPRIM_400000_NS6detail17trampoline_kernelINS0_14default_configENS1_20scan_config_selectorIN3c107complexIfEEEEZZNS1_9scan_implILNS1_25lookback_scan_determinismE0ELb0ELb0ES3_PKS7_PS7_S7_ZZZN2at6native31launch_logcumsumexp_cuda_kernelERKNSE_10TensorBaseESI_lENKUlvE_clEvENKUlvE2_clEvEUlS7_S7_E_S7_EEDaPvRmT3_T4_T5_mT6_P12ihipStream_tbENKUlT_T0_E_clISt17integral_constantIbLb0EESY_IbLb1EEEEDaSU_SV_EUlSU_E_NS1_11comp_targetILNS1_3genE2ELNS1_11target_archE906ELNS1_3gpuE6ELNS1_3repE0EEENS1_30default_config_static_selectorELNS0_4arch9wavefront6targetE0EEEvT1_.has_dyn_sized_stack, 0
	.set _ZN7rocprim17ROCPRIM_400000_NS6detail17trampoline_kernelINS0_14default_configENS1_20scan_config_selectorIN3c107complexIfEEEEZZNS1_9scan_implILNS1_25lookback_scan_determinismE0ELb0ELb0ES3_PKS7_PS7_S7_ZZZN2at6native31launch_logcumsumexp_cuda_kernelERKNSE_10TensorBaseESI_lENKUlvE_clEvENKUlvE2_clEvEUlS7_S7_E_S7_EEDaPvRmT3_T4_T5_mT6_P12ihipStream_tbENKUlT_T0_E_clISt17integral_constantIbLb0EESY_IbLb1EEEEDaSU_SV_EUlSU_E_NS1_11comp_targetILNS1_3genE2ELNS1_11target_archE906ELNS1_3gpuE6ELNS1_3repE0EEENS1_30default_config_static_selectorELNS0_4arch9wavefront6targetE0EEEvT1_.has_recursion, 0
	.set _ZN7rocprim17ROCPRIM_400000_NS6detail17trampoline_kernelINS0_14default_configENS1_20scan_config_selectorIN3c107complexIfEEEEZZNS1_9scan_implILNS1_25lookback_scan_determinismE0ELb0ELb0ES3_PKS7_PS7_S7_ZZZN2at6native31launch_logcumsumexp_cuda_kernelERKNSE_10TensorBaseESI_lENKUlvE_clEvENKUlvE2_clEvEUlS7_S7_E_S7_EEDaPvRmT3_T4_T5_mT6_P12ihipStream_tbENKUlT_T0_E_clISt17integral_constantIbLb0EESY_IbLb1EEEEDaSU_SV_EUlSU_E_NS1_11comp_targetILNS1_3genE2ELNS1_11target_archE906ELNS1_3gpuE6ELNS1_3repE0EEENS1_30default_config_static_selectorELNS0_4arch9wavefront6targetE0EEEvT1_.has_indirect_call, 0
	.section	.AMDGPU.csdata,"",@progbits
; Kernel info:
; codeLenInByte = 0
; TotalNumSgprs: 0
; NumVgprs: 0
; ScratchSize: 0
; MemoryBound: 0
; FloatMode: 240
; IeeeMode: 1
; LDSByteSize: 0 bytes/workgroup (compile time only)
; SGPRBlocks: 0
; VGPRBlocks: 0
; NumSGPRsForWavesPerEU: 1
; NumVGPRsForWavesPerEU: 1
; Occupancy: 16
; WaveLimiterHint : 0
; COMPUTE_PGM_RSRC2:SCRATCH_EN: 0
; COMPUTE_PGM_RSRC2:USER_SGPR: 6
; COMPUTE_PGM_RSRC2:TRAP_HANDLER: 0
; COMPUTE_PGM_RSRC2:TGID_X_EN: 1
; COMPUTE_PGM_RSRC2:TGID_Y_EN: 0
; COMPUTE_PGM_RSRC2:TGID_Z_EN: 0
; COMPUTE_PGM_RSRC2:TIDIG_COMP_CNT: 0
	.section	.text._ZN7rocprim17ROCPRIM_400000_NS6detail17trampoline_kernelINS0_14default_configENS1_20scan_config_selectorIN3c107complexIfEEEEZZNS1_9scan_implILNS1_25lookback_scan_determinismE0ELb0ELb0ES3_PKS7_PS7_S7_ZZZN2at6native31launch_logcumsumexp_cuda_kernelERKNSE_10TensorBaseESI_lENKUlvE_clEvENKUlvE2_clEvEUlS7_S7_E_S7_EEDaPvRmT3_T4_T5_mT6_P12ihipStream_tbENKUlT_T0_E_clISt17integral_constantIbLb0EESY_IbLb1EEEEDaSU_SV_EUlSU_E_NS1_11comp_targetILNS1_3genE10ELNS1_11target_archE1201ELNS1_3gpuE5ELNS1_3repE0EEENS1_30default_config_static_selectorELNS0_4arch9wavefront6targetE0EEEvT1_,"axG",@progbits,_ZN7rocprim17ROCPRIM_400000_NS6detail17trampoline_kernelINS0_14default_configENS1_20scan_config_selectorIN3c107complexIfEEEEZZNS1_9scan_implILNS1_25lookback_scan_determinismE0ELb0ELb0ES3_PKS7_PS7_S7_ZZZN2at6native31launch_logcumsumexp_cuda_kernelERKNSE_10TensorBaseESI_lENKUlvE_clEvENKUlvE2_clEvEUlS7_S7_E_S7_EEDaPvRmT3_T4_T5_mT6_P12ihipStream_tbENKUlT_T0_E_clISt17integral_constantIbLb0EESY_IbLb1EEEEDaSU_SV_EUlSU_E_NS1_11comp_targetILNS1_3genE10ELNS1_11target_archE1201ELNS1_3gpuE5ELNS1_3repE0EEENS1_30default_config_static_selectorELNS0_4arch9wavefront6targetE0EEEvT1_,comdat
	.globl	_ZN7rocprim17ROCPRIM_400000_NS6detail17trampoline_kernelINS0_14default_configENS1_20scan_config_selectorIN3c107complexIfEEEEZZNS1_9scan_implILNS1_25lookback_scan_determinismE0ELb0ELb0ES3_PKS7_PS7_S7_ZZZN2at6native31launch_logcumsumexp_cuda_kernelERKNSE_10TensorBaseESI_lENKUlvE_clEvENKUlvE2_clEvEUlS7_S7_E_S7_EEDaPvRmT3_T4_T5_mT6_P12ihipStream_tbENKUlT_T0_E_clISt17integral_constantIbLb0EESY_IbLb1EEEEDaSU_SV_EUlSU_E_NS1_11comp_targetILNS1_3genE10ELNS1_11target_archE1201ELNS1_3gpuE5ELNS1_3repE0EEENS1_30default_config_static_selectorELNS0_4arch9wavefront6targetE0EEEvT1_ ; -- Begin function _ZN7rocprim17ROCPRIM_400000_NS6detail17trampoline_kernelINS0_14default_configENS1_20scan_config_selectorIN3c107complexIfEEEEZZNS1_9scan_implILNS1_25lookback_scan_determinismE0ELb0ELb0ES3_PKS7_PS7_S7_ZZZN2at6native31launch_logcumsumexp_cuda_kernelERKNSE_10TensorBaseESI_lENKUlvE_clEvENKUlvE2_clEvEUlS7_S7_E_S7_EEDaPvRmT3_T4_T5_mT6_P12ihipStream_tbENKUlT_T0_E_clISt17integral_constantIbLb0EESY_IbLb1EEEEDaSU_SV_EUlSU_E_NS1_11comp_targetILNS1_3genE10ELNS1_11target_archE1201ELNS1_3gpuE5ELNS1_3repE0EEENS1_30default_config_static_selectorELNS0_4arch9wavefront6targetE0EEEvT1_
	.p2align	8
	.type	_ZN7rocprim17ROCPRIM_400000_NS6detail17trampoline_kernelINS0_14default_configENS1_20scan_config_selectorIN3c107complexIfEEEEZZNS1_9scan_implILNS1_25lookback_scan_determinismE0ELb0ELb0ES3_PKS7_PS7_S7_ZZZN2at6native31launch_logcumsumexp_cuda_kernelERKNSE_10TensorBaseESI_lENKUlvE_clEvENKUlvE2_clEvEUlS7_S7_E_S7_EEDaPvRmT3_T4_T5_mT6_P12ihipStream_tbENKUlT_T0_E_clISt17integral_constantIbLb0EESY_IbLb1EEEEDaSU_SV_EUlSU_E_NS1_11comp_targetILNS1_3genE10ELNS1_11target_archE1201ELNS1_3gpuE5ELNS1_3repE0EEENS1_30default_config_static_selectorELNS0_4arch9wavefront6targetE0EEEvT1_,@function
_ZN7rocprim17ROCPRIM_400000_NS6detail17trampoline_kernelINS0_14default_configENS1_20scan_config_selectorIN3c107complexIfEEEEZZNS1_9scan_implILNS1_25lookback_scan_determinismE0ELb0ELb0ES3_PKS7_PS7_S7_ZZZN2at6native31launch_logcumsumexp_cuda_kernelERKNSE_10TensorBaseESI_lENKUlvE_clEvENKUlvE2_clEvEUlS7_S7_E_S7_EEDaPvRmT3_T4_T5_mT6_P12ihipStream_tbENKUlT_T0_E_clISt17integral_constantIbLb0EESY_IbLb1EEEEDaSU_SV_EUlSU_E_NS1_11comp_targetILNS1_3genE10ELNS1_11target_archE1201ELNS1_3gpuE5ELNS1_3repE0EEENS1_30default_config_static_selectorELNS0_4arch9wavefront6targetE0EEEvT1_: ; @_ZN7rocprim17ROCPRIM_400000_NS6detail17trampoline_kernelINS0_14default_configENS1_20scan_config_selectorIN3c107complexIfEEEEZZNS1_9scan_implILNS1_25lookback_scan_determinismE0ELb0ELb0ES3_PKS7_PS7_S7_ZZZN2at6native31launch_logcumsumexp_cuda_kernelERKNSE_10TensorBaseESI_lENKUlvE_clEvENKUlvE2_clEvEUlS7_S7_E_S7_EEDaPvRmT3_T4_T5_mT6_P12ihipStream_tbENKUlT_T0_E_clISt17integral_constantIbLb0EESY_IbLb1EEEEDaSU_SV_EUlSU_E_NS1_11comp_targetILNS1_3genE10ELNS1_11target_archE1201ELNS1_3gpuE5ELNS1_3repE0EEENS1_30default_config_static_selectorELNS0_4arch9wavefront6targetE0EEEvT1_
; %bb.0:
	.section	.rodata,"a",@progbits
	.p2align	6, 0x0
	.amdhsa_kernel _ZN7rocprim17ROCPRIM_400000_NS6detail17trampoline_kernelINS0_14default_configENS1_20scan_config_selectorIN3c107complexIfEEEEZZNS1_9scan_implILNS1_25lookback_scan_determinismE0ELb0ELb0ES3_PKS7_PS7_S7_ZZZN2at6native31launch_logcumsumexp_cuda_kernelERKNSE_10TensorBaseESI_lENKUlvE_clEvENKUlvE2_clEvEUlS7_S7_E_S7_EEDaPvRmT3_T4_T5_mT6_P12ihipStream_tbENKUlT_T0_E_clISt17integral_constantIbLb0EESY_IbLb1EEEEDaSU_SV_EUlSU_E_NS1_11comp_targetILNS1_3genE10ELNS1_11target_archE1201ELNS1_3gpuE5ELNS1_3repE0EEENS1_30default_config_static_selectorELNS0_4arch9wavefront6targetE0EEEvT1_
		.amdhsa_group_segment_fixed_size 0
		.amdhsa_private_segment_fixed_size 0
		.amdhsa_kernarg_size 104
		.amdhsa_user_sgpr_count 6
		.amdhsa_user_sgpr_private_segment_buffer 1
		.amdhsa_user_sgpr_dispatch_ptr 0
		.amdhsa_user_sgpr_queue_ptr 0
		.amdhsa_user_sgpr_kernarg_segment_ptr 1
		.amdhsa_user_sgpr_dispatch_id 0
		.amdhsa_user_sgpr_flat_scratch_init 0
		.amdhsa_user_sgpr_private_segment_size 0
		.amdhsa_wavefront_size32 1
		.amdhsa_uses_dynamic_stack 0
		.amdhsa_system_sgpr_private_segment_wavefront_offset 0
		.amdhsa_system_sgpr_workgroup_id_x 1
		.amdhsa_system_sgpr_workgroup_id_y 0
		.amdhsa_system_sgpr_workgroup_id_z 0
		.amdhsa_system_sgpr_workgroup_info 0
		.amdhsa_system_vgpr_workitem_id 0
		.amdhsa_next_free_vgpr 1
		.amdhsa_next_free_sgpr 1
		.amdhsa_reserve_vcc 0
		.amdhsa_reserve_flat_scratch 0
		.amdhsa_float_round_mode_32 0
		.amdhsa_float_round_mode_16_64 0
		.amdhsa_float_denorm_mode_32 3
		.amdhsa_float_denorm_mode_16_64 3
		.amdhsa_dx10_clamp 1
		.amdhsa_ieee_mode 1
		.amdhsa_fp16_overflow 0
		.amdhsa_workgroup_processor_mode 1
		.amdhsa_memory_ordered 1
		.amdhsa_forward_progress 1
		.amdhsa_shared_vgpr_count 0
		.amdhsa_exception_fp_ieee_invalid_op 0
		.amdhsa_exception_fp_denorm_src 0
		.amdhsa_exception_fp_ieee_div_zero 0
		.amdhsa_exception_fp_ieee_overflow 0
		.amdhsa_exception_fp_ieee_underflow 0
		.amdhsa_exception_fp_ieee_inexact 0
		.amdhsa_exception_int_div_zero 0
	.end_amdhsa_kernel
	.section	.text._ZN7rocprim17ROCPRIM_400000_NS6detail17trampoline_kernelINS0_14default_configENS1_20scan_config_selectorIN3c107complexIfEEEEZZNS1_9scan_implILNS1_25lookback_scan_determinismE0ELb0ELb0ES3_PKS7_PS7_S7_ZZZN2at6native31launch_logcumsumexp_cuda_kernelERKNSE_10TensorBaseESI_lENKUlvE_clEvENKUlvE2_clEvEUlS7_S7_E_S7_EEDaPvRmT3_T4_T5_mT6_P12ihipStream_tbENKUlT_T0_E_clISt17integral_constantIbLb0EESY_IbLb1EEEEDaSU_SV_EUlSU_E_NS1_11comp_targetILNS1_3genE10ELNS1_11target_archE1201ELNS1_3gpuE5ELNS1_3repE0EEENS1_30default_config_static_selectorELNS0_4arch9wavefront6targetE0EEEvT1_,"axG",@progbits,_ZN7rocprim17ROCPRIM_400000_NS6detail17trampoline_kernelINS0_14default_configENS1_20scan_config_selectorIN3c107complexIfEEEEZZNS1_9scan_implILNS1_25lookback_scan_determinismE0ELb0ELb0ES3_PKS7_PS7_S7_ZZZN2at6native31launch_logcumsumexp_cuda_kernelERKNSE_10TensorBaseESI_lENKUlvE_clEvENKUlvE2_clEvEUlS7_S7_E_S7_EEDaPvRmT3_T4_T5_mT6_P12ihipStream_tbENKUlT_T0_E_clISt17integral_constantIbLb0EESY_IbLb1EEEEDaSU_SV_EUlSU_E_NS1_11comp_targetILNS1_3genE10ELNS1_11target_archE1201ELNS1_3gpuE5ELNS1_3repE0EEENS1_30default_config_static_selectorELNS0_4arch9wavefront6targetE0EEEvT1_,comdat
.Lfunc_end334:
	.size	_ZN7rocprim17ROCPRIM_400000_NS6detail17trampoline_kernelINS0_14default_configENS1_20scan_config_selectorIN3c107complexIfEEEEZZNS1_9scan_implILNS1_25lookback_scan_determinismE0ELb0ELb0ES3_PKS7_PS7_S7_ZZZN2at6native31launch_logcumsumexp_cuda_kernelERKNSE_10TensorBaseESI_lENKUlvE_clEvENKUlvE2_clEvEUlS7_S7_E_S7_EEDaPvRmT3_T4_T5_mT6_P12ihipStream_tbENKUlT_T0_E_clISt17integral_constantIbLb0EESY_IbLb1EEEEDaSU_SV_EUlSU_E_NS1_11comp_targetILNS1_3genE10ELNS1_11target_archE1201ELNS1_3gpuE5ELNS1_3repE0EEENS1_30default_config_static_selectorELNS0_4arch9wavefront6targetE0EEEvT1_, .Lfunc_end334-_ZN7rocprim17ROCPRIM_400000_NS6detail17trampoline_kernelINS0_14default_configENS1_20scan_config_selectorIN3c107complexIfEEEEZZNS1_9scan_implILNS1_25lookback_scan_determinismE0ELb0ELb0ES3_PKS7_PS7_S7_ZZZN2at6native31launch_logcumsumexp_cuda_kernelERKNSE_10TensorBaseESI_lENKUlvE_clEvENKUlvE2_clEvEUlS7_S7_E_S7_EEDaPvRmT3_T4_T5_mT6_P12ihipStream_tbENKUlT_T0_E_clISt17integral_constantIbLb0EESY_IbLb1EEEEDaSU_SV_EUlSU_E_NS1_11comp_targetILNS1_3genE10ELNS1_11target_archE1201ELNS1_3gpuE5ELNS1_3repE0EEENS1_30default_config_static_selectorELNS0_4arch9wavefront6targetE0EEEvT1_
                                        ; -- End function
	.set _ZN7rocprim17ROCPRIM_400000_NS6detail17trampoline_kernelINS0_14default_configENS1_20scan_config_selectorIN3c107complexIfEEEEZZNS1_9scan_implILNS1_25lookback_scan_determinismE0ELb0ELb0ES3_PKS7_PS7_S7_ZZZN2at6native31launch_logcumsumexp_cuda_kernelERKNSE_10TensorBaseESI_lENKUlvE_clEvENKUlvE2_clEvEUlS7_S7_E_S7_EEDaPvRmT3_T4_T5_mT6_P12ihipStream_tbENKUlT_T0_E_clISt17integral_constantIbLb0EESY_IbLb1EEEEDaSU_SV_EUlSU_E_NS1_11comp_targetILNS1_3genE10ELNS1_11target_archE1201ELNS1_3gpuE5ELNS1_3repE0EEENS1_30default_config_static_selectorELNS0_4arch9wavefront6targetE0EEEvT1_.num_vgpr, 0
	.set _ZN7rocprim17ROCPRIM_400000_NS6detail17trampoline_kernelINS0_14default_configENS1_20scan_config_selectorIN3c107complexIfEEEEZZNS1_9scan_implILNS1_25lookback_scan_determinismE0ELb0ELb0ES3_PKS7_PS7_S7_ZZZN2at6native31launch_logcumsumexp_cuda_kernelERKNSE_10TensorBaseESI_lENKUlvE_clEvENKUlvE2_clEvEUlS7_S7_E_S7_EEDaPvRmT3_T4_T5_mT6_P12ihipStream_tbENKUlT_T0_E_clISt17integral_constantIbLb0EESY_IbLb1EEEEDaSU_SV_EUlSU_E_NS1_11comp_targetILNS1_3genE10ELNS1_11target_archE1201ELNS1_3gpuE5ELNS1_3repE0EEENS1_30default_config_static_selectorELNS0_4arch9wavefront6targetE0EEEvT1_.num_agpr, 0
	.set _ZN7rocprim17ROCPRIM_400000_NS6detail17trampoline_kernelINS0_14default_configENS1_20scan_config_selectorIN3c107complexIfEEEEZZNS1_9scan_implILNS1_25lookback_scan_determinismE0ELb0ELb0ES3_PKS7_PS7_S7_ZZZN2at6native31launch_logcumsumexp_cuda_kernelERKNSE_10TensorBaseESI_lENKUlvE_clEvENKUlvE2_clEvEUlS7_S7_E_S7_EEDaPvRmT3_T4_T5_mT6_P12ihipStream_tbENKUlT_T0_E_clISt17integral_constantIbLb0EESY_IbLb1EEEEDaSU_SV_EUlSU_E_NS1_11comp_targetILNS1_3genE10ELNS1_11target_archE1201ELNS1_3gpuE5ELNS1_3repE0EEENS1_30default_config_static_selectorELNS0_4arch9wavefront6targetE0EEEvT1_.numbered_sgpr, 0
	.set _ZN7rocprim17ROCPRIM_400000_NS6detail17trampoline_kernelINS0_14default_configENS1_20scan_config_selectorIN3c107complexIfEEEEZZNS1_9scan_implILNS1_25lookback_scan_determinismE0ELb0ELb0ES3_PKS7_PS7_S7_ZZZN2at6native31launch_logcumsumexp_cuda_kernelERKNSE_10TensorBaseESI_lENKUlvE_clEvENKUlvE2_clEvEUlS7_S7_E_S7_EEDaPvRmT3_T4_T5_mT6_P12ihipStream_tbENKUlT_T0_E_clISt17integral_constantIbLb0EESY_IbLb1EEEEDaSU_SV_EUlSU_E_NS1_11comp_targetILNS1_3genE10ELNS1_11target_archE1201ELNS1_3gpuE5ELNS1_3repE0EEENS1_30default_config_static_selectorELNS0_4arch9wavefront6targetE0EEEvT1_.num_named_barrier, 0
	.set _ZN7rocprim17ROCPRIM_400000_NS6detail17trampoline_kernelINS0_14default_configENS1_20scan_config_selectorIN3c107complexIfEEEEZZNS1_9scan_implILNS1_25lookback_scan_determinismE0ELb0ELb0ES3_PKS7_PS7_S7_ZZZN2at6native31launch_logcumsumexp_cuda_kernelERKNSE_10TensorBaseESI_lENKUlvE_clEvENKUlvE2_clEvEUlS7_S7_E_S7_EEDaPvRmT3_T4_T5_mT6_P12ihipStream_tbENKUlT_T0_E_clISt17integral_constantIbLb0EESY_IbLb1EEEEDaSU_SV_EUlSU_E_NS1_11comp_targetILNS1_3genE10ELNS1_11target_archE1201ELNS1_3gpuE5ELNS1_3repE0EEENS1_30default_config_static_selectorELNS0_4arch9wavefront6targetE0EEEvT1_.private_seg_size, 0
	.set _ZN7rocprim17ROCPRIM_400000_NS6detail17trampoline_kernelINS0_14default_configENS1_20scan_config_selectorIN3c107complexIfEEEEZZNS1_9scan_implILNS1_25lookback_scan_determinismE0ELb0ELb0ES3_PKS7_PS7_S7_ZZZN2at6native31launch_logcumsumexp_cuda_kernelERKNSE_10TensorBaseESI_lENKUlvE_clEvENKUlvE2_clEvEUlS7_S7_E_S7_EEDaPvRmT3_T4_T5_mT6_P12ihipStream_tbENKUlT_T0_E_clISt17integral_constantIbLb0EESY_IbLb1EEEEDaSU_SV_EUlSU_E_NS1_11comp_targetILNS1_3genE10ELNS1_11target_archE1201ELNS1_3gpuE5ELNS1_3repE0EEENS1_30default_config_static_selectorELNS0_4arch9wavefront6targetE0EEEvT1_.uses_vcc, 0
	.set _ZN7rocprim17ROCPRIM_400000_NS6detail17trampoline_kernelINS0_14default_configENS1_20scan_config_selectorIN3c107complexIfEEEEZZNS1_9scan_implILNS1_25lookback_scan_determinismE0ELb0ELb0ES3_PKS7_PS7_S7_ZZZN2at6native31launch_logcumsumexp_cuda_kernelERKNSE_10TensorBaseESI_lENKUlvE_clEvENKUlvE2_clEvEUlS7_S7_E_S7_EEDaPvRmT3_T4_T5_mT6_P12ihipStream_tbENKUlT_T0_E_clISt17integral_constantIbLb0EESY_IbLb1EEEEDaSU_SV_EUlSU_E_NS1_11comp_targetILNS1_3genE10ELNS1_11target_archE1201ELNS1_3gpuE5ELNS1_3repE0EEENS1_30default_config_static_selectorELNS0_4arch9wavefront6targetE0EEEvT1_.uses_flat_scratch, 0
	.set _ZN7rocprim17ROCPRIM_400000_NS6detail17trampoline_kernelINS0_14default_configENS1_20scan_config_selectorIN3c107complexIfEEEEZZNS1_9scan_implILNS1_25lookback_scan_determinismE0ELb0ELb0ES3_PKS7_PS7_S7_ZZZN2at6native31launch_logcumsumexp_cuda_kernelERKNSE_10TensorBaseESI_lENKUlvE_clEvENKUlvE2_clEvEUlS7_S7_E_S7_EEDaPvRmT3_T4_T5_mT6_P12ihipStream_tbENKUlT_T0_E_clISt17integral_constantIbLb0EESY_IbLb1EEEEDaSU_SV_EUlSU_E_NS1_11comp_targetILNS1_3genE10ELNS1_11target_archE1201ELNS1_3gpuE5ELNS1_3repE0EEENS1_30default_config_static_selectorELNS0_4arch9wavefront6targetE0EEEvT1_.has_dyn_sized_stack, 0
	.set _ZN7rocprim17ROCPRIM_400000_NS6detail17trampoline_kernelINS0_14default_configENS1_20scan_config_selectorIN3c107complexIfEEEEZZNS1_9scan_implILNS1_25lookback_scan_determinismE0ELb0ELb0ES3_PKS7_PS7_S7_ZZZN2at6native31launch_logcumsumexp_cuda_kernelERKNSE_10TensorBaseESI_lENKUlvE_clEvENKUlvE2_clEvEUlS7_S7_E_S7_EEDaPvRmT3_T4_T5_mT6_P12ihipStream_tbENKUlT_T0_E_clISt17integral_constantIbLb0EESY_IbLb1EEEEDaSU_SV_EUlSU_E_NS1_11comp_targetILNS1_3genE10ELNS1_11target_archE1201ELNS1_3gpuE5ELNS1_3repE0EEENS1_30default_config_static_selectorELNS0_4arch9wavefront6targetE0EEEvT1_.has_recursion, 0
	.set _ZN7rocprim17ROCPRIM_400000_NS6detail17trampoline_kernelINS0_14default_configENS1_20scan_config_selectorIN3c107complexIfEEEEZZNS1_9scan_implILNS1_25lookback_scan_determinismE0ELb0ELb0ES3_PKS7_PS7_S7_ZZZN2at6native31launch_logcumsumexp_cuda_kernelERKNSE_10TensorBaseESI_lENKUlvE_clEvENKUlvE2_clEvEUlS7_S7_E_S7_EEDaPvRmT3_T4_T5_mT6_P12ihipStream_tbENKUlT_T0_E_clISt17integral_constantIbLb0EESY_IbLb1EEEEDaSU_SV_EUlSU_E_NS1_11comp_targetILNS1_3genE10ELNS1_11target_archE1201ELNS1_3gpuE5ELNS1_3repE0EEENS1_30default_config_static_selectorELNS0_4arch9wavefront6targetE0EEEvT1_.has_indirect_call, 0
	.section	.AMDGPU.csdata,"",@progbits
; Kernel info:
; codeLenInByte = 0
; TotalNumSgprs: 0
; NumVgprs: 0
; ScratchSize: 0
; MemoryBound: 0
; FloatMode: 240
; IeeeMode: 1
; LDSByteSize: 0 bytes/workgroup (compile time only)
; SGPRBlocks: 0
; VGPRBlocks: 0
; NumSGPRsForWavesPerEU: 1
; NumVGPRsForWavesPerEU: 1
; Occupancy: 16
; WaveLimiterHint : 0
; COMPUTE_PGM_RSRC2:SCRATCH_EN: 0
; COMPUTE_PGM_RSRC2:USER_SGPR: 6
; COMPUTE_PGM_RSRC2:TRAP_HANDLER: 0
; COMPUTE_PGM_RSRC2:TGID_X_EN: 1
; COMPUTE_PGM_RSRC2:TGID_Y_EN: 0
; COMPUTE_PGM_RSRC2:TGID_Z_EN: 0
; COMPUTE_PGM_RSRC2:TIDIG_COMP_CNT: 0
	.section	.text._ZN7rocprim17ROCPRIM_400000_NS6detail17trampoline_kernelINS0_14default_configENS1_20scan_config_selectorIN3c107complexIfEEEEZZNS1_9scan_implILNS1_25lookback_scan_determinismE0ELb0ELb0ES3_PKS7_PS7_S7_ZZZN2at6native31launch_logcumsumexp_cuda_kernelERKNSE_10TensorBaseESI_lENKUlvE_clEvENKUlvE2_clEvEUlS7_S7_E_S7_EEDaPvRmT3_T4_T5_mT6_P12ihipStream_tbENKUlT_T0_E_clISt17integral_constantIbLb0EESY_IbLb1EEEEDaSU_SV_EUlSU_E_NS1_11comp_targetILNS1_3genE10ELNS1_11target_archE1200ELNS1_3gpuE4ELNS1_3repE0EEENS1_30default_config_static_selectorELNS0_4arch9wavefront6targetE0EEEvT1_,"axG",@progbits,_ZN7rocprim17ROCPRIM_400000_NS6detail17trampoline_kernelINS0_14default_configENS1_20scan_config_selectorIN3c107complexIfEEEEZZNS1_9scan_implILNS1_25lookback_scan_determinismE0ELb0ELb0ES3_PKS7_PS7_S7_ZZZN2at6native31launch_logcumsumexp_cuda_kernelERKNSE_10TensorBaseESI_lENKUlvE_clEvENKUlvE2_clEvEUlS7_S7_E_S7_EEDaPvRmT3_T4_T5_mT6_P12ihipStream_tbENKUlT_T0_E_clISt17integral_constantIbLb0EESY_IbLb1EEEEDaSU_SV_EUlSU_E_NS1_11comp_targetILNS1_3genE10ELNS1_11target_archE1200ELNS1_3gpuE4ELNS1_3repE0EEENS1_30default_config_static_selectorELNS0_4arch9wavefront6targetE0EEEvT1_,comdat
	.globl	_ZN7rocprim17ROCPRIM_400000_NS6detail17trampoline_kernelINS0_14default_configENS1_20scan_config_selectorIN3c107complexIfEEEEZZNS1_9scan_implILNS1_25lookback_scan_determinismE0ELb0ELb0ES3_PKS7_PS7_S7_ZZZN2at6native31launch_logcumsumexp_cuda_kernelERKNSE_10TensorBaseESI_lENKUlvE_clEvENKUlvE2_clEvEUlS7_S7_E_S7_EEDaPvRmT3_T4_T5_mT6_P12ihipStream_tbENKUlT_T0_E_clISt17integral_constantIbLb0EESY_IbLb1EEEEDaSU_SV_EUlSU_E_NS1_11comp_targetILNS1_3genE10ELNS1_11target_archE1200ELNS1_3gpuE4ELNS1_3repE0EEENS1_30default_config_static_selectorELNS0_4arch9wavefront6targetE0EEEvT1_ ; -- Begin function _ZN7rocprim17ROCPRIM_400000_NS6detail17trampoline_kernelINS0_14default_configENS1_20scan_config_selectorIN3c107complexIfEEEEZZNS1_9scan_implILNS1_25lookback_scan_determinismE0ELb0ELb0ES3_PKS7_PS7_S7_ZZZN2at6native31launch_logcumsumexp_cuda_kernelERKNSE_10TensorBaseESI_lENKUlvE_clEvENKUlvE2_clEvEUlS7_S7_E_S7_EEDaPvRmT3_T4_T5_mT6_P12ihipStream_tbENKUlT_T0_E_clISt17integral_constantIbLb0EESY_IbLb1EEEEDaSU_SV_EUlSU_E_NS1_11comp_targetILNS1_3genE10ELNS1_11target_archE1200ELNS1_3gpuE4ELNS1_3repE0EEENS1_30default_config_static_selectorELNS0_4arch9wavefront6targetE0EEEvT1_
	.p2align	8
	.type	_ZN7rocprim17ROCPRIM_400000_NS6detail17trampoline_kernelINS0_14default_configENS1_20scan_config_selectorIN3c107complexIfEEEEZZNS1_9scan_implILNS1_25lookback_scan_determinismE0ELb0ELb0ES3_PKS7_PS7_S7_ZZZN2at6native31launch_logcumsumexp_cuda_kernelERKNSE_10TensorBaseESI_lENKUlvE_clEvENKUlvE2_clEvEUlS7_S7_E_S7_EEDaPvRmT3_T4_T5_mT6_P12ihipStream_tbENKUlT_T0_E_clISt17integral_constantIbLb0EESY_IbLb1EEEEDaSU_SV_EUlSU_E_NS1_11comp_targetILNS1_3genE10ELNS1_11target_archE1200ELNS1_3gpuE4ELNS1_3repE0EEENS1_30default_config_static_selectorELNS0_4arch9wavefront6targetE0EEEvT1_,@function
_ZN7rocprim17ROCPRIM_400000_NS6detail17trampoline_kernelINS0_14default_configENS1_20scan_config_selectorIN3c107complexIfEEEEZZNS1_9scan_implILNS1_25lookback_scan_determinismE0ELb0ELb0ES3_PKS7_PS7_S7_ZZZN2at6native31launch_logcumsumexp_cuda_kernelERKNSE_10TensorBaseESI_lENKUlvE_clEvENKUlvE2_clEvEUlS7_S7_E_S7_EEDaPvRmT3_T4_T5_mT6_P12ihipStream_tbENKUlT_T0_E_clISt17integral_constantIbLb0EESY_IbLb1EEEEDaSU_SV_EUlSU_E_NS1_11comp_targetILNS1_3genE10ELNS1_11target_archE1200ELNS1_3gpuE4ELNS1_3repE0EEENS1_30default_config_static_selectorELNS0_4arch9wavefront6targetE0EEEvT1_: ; @_ZN7rocprim17ROCPRIM_400000_NS6detail17trampoline_kernelINS0_14default_configENS1_20scan_config_selectorIN3c107complexIfEEEEZZNS1_9scan_implILNS1_25lookback_scan_determinismE0ELb0ELb0ES3_PKS7_PS7_S7_ZZZN2at6native31launch_logcumsumexp_cuda_kernelERKNSE_10TensorBaseESI_lENKUlvE_clEvENKUlvE2_clEvEUlS7_S7_E_S7_EEDaPvRmT3_T4_T5_mT6_P12ihipStream_tbENKUlT_T0_E_clISt17integral_constantIbLb0EESY_IbLb1EEEEDaSU_SV_EUlSU_E_NS1_11comp_targetILNS1_3genE10ELNS1_11target_archE1200ELNS1_3gpuE4ELNS1_3repE0EEENS1_30default_config_static_selectorELNS0_4arch9wavefront6targetE0EEEvT1_
; %bb.0:
	.section	.rodata,"a",@progbits
	.p2align	6, 0x0
	.amdhsa_kernel _ZN7rocprim17ROCPRIM_400000_NS6detail17trampoline_kernelINS0_14default_configENS1_20scan_config_selectorIN3c107complexIfEEEEZZNS1_9scan_implILNS1_25lookback_scan_determinismE0ELb0ELb0ES3_PKS7_PS7_S7_ZZZN2at6native31launch_logcumsumexp_cuda_kernelERKNSE_10TensorBaseESI_lENKUlvE_clEvENKUlvE2_clEvEUlS7_S7_E_S7_EEDaPvRmT3_T4_T5_mT6_P12ihipStream_tbENKUlT_T0_E_clISt17integral_constantIbLb0EESY_IbLb1EEEEDaSU_SV_EUlSU_E_NS1_11comp_targetILNS1_3genE10ELNS1_11target_archE1200ELNS1_3gpuE4ELNS1_3repE0EEENS1_30default_config_static_selectorELNS0_4arch9wavefront6targetE0EEEvT1_
		.amdhsa_group_segment_fixed_size 0
		.amdhsa_private_segment_fixed_size 0
		.amdhsa_kernarg_size 104
		.amdhsa_user_sgpr_count 6
		.amdhsa_user_sgpr_private_segment_buffer 1
		.amdhsa_user_sgpr_dispatch_ptr 0
		.amdhsa_user_sgpr_queue_ptr 0
		.amdhsa_user_sgpr_kernarg_segment_ptr 1
		.amdhsa_user_sgpr_dispatch_id 0
		.amdhsa_user_sgpr_flat_scratch_init 0
		.amdhsa_user_sgpr_private_segment_size 0
		.amdhsa_wavefront_size32 1
		.amdhsa_uses_dynamic_stack 0
		.amdhsa_system_sgpr_private_segment_wavefront_offset 0
		.amdhsa_system_sgpr_workgroup_id_x 1
		.amdhsa_system_sgpr_workgroup_id_y 0
		.amdhsa_system_sgpr_workgroup_id_z 0
		.amdhsa_system_sgpr_workgroup_info 0
		.amdhsa_system_vgpr_workitem_id 0
		.amdhsa_next_free_vgpr 1
		.amdhsa_next_free_sgpr 1
		.amdhsa_reserve_vcc 0
		.amdhsa_reserve_flat_scratch 0
		.amdhsa_float_round_mode_32 0
		.amdhsa_float_round_mode_16_64 0
		.amdhsa_float_denorm_mode_32 3
		.amdhsa_float_denorm_mode_16_64 3
		.amdhsa_dx10_clamp 1
		.amdhsa_ieee_mode 1
		.amdhsa_fp16_overflow 0
		.amdhsa_workgroup_processor_mode 1
		.amdhsa_memory_ordered 1
		.amdhsa_forward_progress 1
		.amdhsa_shared_vgpr_count 0
		.amdhsa_exception_fp_ieee_invalid_op 0
		.amdhsa_exception_fp_denorm_src 0
		.amdhsa_exception_fp_ieee_div_zero 0
		.amdhsa_exception_fp_ieee_overflow 0
		.amdhsa_exception_fp_ieee_underflow 0
		.amdhsa_exception_fp_ieee_inexact 0
		.amdhsa_exception_int_div_zero 0
	.end_amdhsa_kernel
	.section	.text._ZN7rocprim17ROCPRIM_400000_NS6detail17trampoline_kernelINS0_14default_configENS1_20scan_config_selectorIN3c107complexIfEEEEZZNS1_9scan_implILNS1_25lookback_scan_determinismE0ELb0ELb0ES3_PKS7_PS7_S7_ZZZN2at6native31launch_logcumsumexp_cuda_kernelERKNSE_10TensorBaseESI_lENKUlvE_clEvENKUlvE2_clEvEUlS7_S7_E_S7_EEDaPvRmT3_T4_T5_mT6_P12ihipStream_tbENKUlT_T0_E_clISt17integral_constantIbLb0EESY_IbLb1EEEEDaSU_SV_EUlSU_E_NS1_11comp_targetILNS1_3genE10ELNS1_11target_archE1200ELNS1_3gpuE4ELNS1_3repE0EEENS1_30default_config_static_selectorELNS0_4arch9wavefront6targetE0EEEvT1_,"axG",@progbits,_ZN7rocprim17ROCPRIM_400000_NS6detail17trampoline_kernelINS0_14default_configENS1_20scan_config_selectorIN3c107complexIfEEEEZZNS1_9scan_implILNS1_25lookback_scan_determinismE0ELb0ELb0ES3_PKS7_PS7_S7_ZZZN2at6native31launch_logcumsumexp_cuda_kernelERKNSE_10TensorBaseESI_lENKUlvE_clEvENKUlvE2_clEvEUlS7_S7_E_S7_EEDaPvRmT3_T4_T5_mT6_P12ihipStream_tbENKUlT_T0_E_clISt17integral_constantIbLb0EESY_IbLb1EEEEDaSU_SV_EUlSU_E_NS1_11comp_targetILNS1_3genE10ELNS1_11target_archE1200ELNS1_3gpuE4ELNS1_3repE0EEENS1_30default_config_static_selectorELNS0_4arch9wavefront6targetE0EEEvT1_,comdat
.Lfunc_end335:
	.size	_ZN7rocprim17ROCPRIM_400000_NS6detail17trampoline_kernelINS0_14default_configENS1_20scan_config_selectorIN3c107complexIfEEEEZZNS1_9scan_implILNS1_25lookback_scan_determinismE0ELb0ELb0ES3_PKS7_PS7_S7_ZZZN2at6native31launch_logcumsumexp_cuda_kernelERKNSE_10TensorBaseESI_lENKUlvE_clEvENKUlvE2_clEvEUlS7_S7_E_S7_EEDaPvRmT3_T4_T5_mT6_P12ihipStream_tbENKUlT_T0_E_clISt17integral_constantIbLb0EESY_IbLb1EEEEDaSU_SV_EUlSU_E_NS1_11comp_targetILNS1_3genE10ELNS1_11target_archE1200ELNS1_3gpuE4ELNS1_3repE0EEENS1_30default_config_static_selectorELNS0_4arch9wavefront6targetE0EEEvT1_, .Lfunc_end335-_ZN7rocprim17ROCPRIM_400000_NS6detail17trampoline_kernelINS0_14default_configENS1_20scan_config_selectorIN3c107complexIfEEEEZZNS1_9scan_implILNS1_25lookback_scan_determinismE0ELb0ELb0ES3_PKS7_PS7_S7_ZZZN2at6native31launch_logcumsumexp_cuda_kernelERKNSE_10TensorBaseESI_lENKUlvE_clEvENKUlvE2_clEvEUlS7_S7_E_S7_EEDaPvRmT3_T4_T5_mT6_P12ihipStream_tbENKUlT_T0_E_clISt17integral_constantIbLb0EESY_IbLb1EEEEDaSU_SV_EUlSU_E_NS1_11comp_targetILNS1_3genE10ELNS1_11target_archE1200ELNS1_3gpuE4ELNS1_3repE0EEENS1_30default_config_static_selectorELNS0_4arch9wavefront6targetE0EEEvT1_
                                        ; -- End function
	.set _ZN7rocprim17ROCPRIM_400000_NS6detail17trampoline_kernelINS0_14default_configENS1_20scan_config_selectorIN3c107complexIfEEEEZZNS1_9scan_implILNS1_25lookback_scan_determinismE0ELb0ELb0ES3_PKS7_PS7_S7_ZZZN2at6native31launch_logcumsumexp_cuda_kernelERKNSE_10TensorBaseESI_lENKUlvE_clEvENKUlvE2_clEvEUlS7_S7_E_S7_EEDaPvRmT3_T4_T5_mT6_P12ihipStream_tbENKUlT_T0_E_clISt17integral_constantIbLb0EESY_IbLb1EEEEDaSU_SV_EUlSU_E_NS1_11comp_targetILNS1_3genE10ELNS1_11target_archE1200ELNS1_3gpuE4ELNS1_3repE0EEENS1_30default_config_static_selectorELNS0_4arch9wavefront6targetE0EEEvT1_.num_vgpr, 0
	.set _ZN7rocprim17ROCPRIM_400000_NS6detail17trampoline_kernelINS0_14default_configENS1_20scan_config_selectorIN3c107complexIfEEEEZZNS1_9scan_implILNS1_25lookback_scan_determinismE0ELb0ELb0ES3_PKS7_PS7_S7_ZZZN2at6native31launch_logcumsumexp_cuda_kernelERKNSE_10TensorBaseESI_lENKUlvE_clEvENKUlvE2_clEvEUlS7_S7_E_S7_EEDaPvRmT3_T4_T5_mT6_P12ihipStream_tbENKUlT_T0_E_clISt17integral_constantIbLb0EESY_IbLb1EEEEDaSU_SV_EUlSU_E_NS1_11comp_targetILNS1_3genE10ELNS1_11target_archE1200ELNS1_3gpuE4ELNS1_3repE0EEENS1_30default_config_static_selectorELNS0_4arch9wavefront6targetE0EEEvT1_.num_agpr, 0
	.set _ZN7rocprim17ROCPRIM_400000_NS6detail17trampoline_kernelINS0_14default_configENS1_20scan_config_selectorIN3c107complexIfEEEEZZNS1_9scan_implILNS1_25lookback_scan_determinismE0ELb0ELb0ES3_PKS7_PS7_S7_ZZZN2at6native31launch_logcumsumexp_cuda_kernelERKNSE_10TensorBaseESI_lENKUlvE_clEvENKUlvE2_clEvEUlS7_S7_E_S7_EEDaPvRmT3_T4_T5_mT6_P12ihipStream_tbENKUlT_T0_E_clISt17integral_constantIbLb0EESY_IbLb1EEEEDaSU_SV_EUlSU_E_NS1_11comp_targetILNS1_3genE10ELNS1_11target_archE1200ELNS1_3gpuE4ELNS1_3repE0EEENS1_30default_config_static_selectorELNS0_4arch9wavefront6targetE0EEEvT1_.numbered_sgpr, 0
	.set _ZN7rocprim17ROCPRIM_400000_NS6detail17trampoline_kernelINS0_14default_configENS1_20scan_config_selectorIN3c107complexIfEEEEZZNS1_9scan_implILNS1_25lookback_scan_determinismE0ELb0ELb0ES3_PKS7_PS7_S7_ZZZN2at6native31launch_logcumsumexp_cuda_kernelERKNSE_10TensorBaseESI_lENKUlvE_clEvENKUlvE2_clEvEUlS7_S7_E_S7_EEDaPvRmT3_T4_T5_mT6_P12ihipStream_tbENKUlT_T0_E_clISt17integral_constantIbLb0EESY_IbLb1EEEEDaSU_SV_EUlSU_E_NS1_11comp_targetILNS1_3genE10ELNS1_11target_archE1200ELNS1_3gpuE4ELNS1_3repE0EEENS1_30default_config_static_selectorELNS0_4arch9wavefront6targetE0EEEvT1_.num_named_barrier, 0
	.set _ZN7rocprim17ROCPRIM_400000_NS6detail17trampoline_kernelINS0_14default_configENS1_20scan_config_selectorIN3c107complexIfEEEEZZNS1_9scan_implILNS1_25lookback_scan_determinismE0ELb0ELb0ES3_PKS7_PS7_S7_ZZZN2at6native31launch_logcumsumexp_cuda_kernelERKNSE_10TensorBaseESI_lENKUlvE_clEvENKUlvE2_clEvEUlS7_S7_E_S7_EEDaPvRmT3_T4_T5_mT6_P12ihipStream_tbENKUlT_T0_E_clISt17integral_constantIbLb0EESY_IbLb1EEEEDaSU_SV_EUlSU_E_NS1_11comp_targetILNS1_3genE10ELNS1_11target_archE1200ELNS1_3gpuE4ELNS1_3repE0EEENS1_30default_config_static_selectorELNS0_4arch9wavefront6targetE0EEEvT1_.private_seg_size, 0
	.set _ZN7rocprim17ROCPRIM_400000_NS6detail17trampoline_kernelINS0_14default_configENS1_20scan_config_selectorIN3c107complexIfEEEEZZNS1_9scan_implILNS1_25lookback_scan_determinismE0ELb0ELb0ES3_PKS7_PS7_S7_ZZZN2at6native31launch_logcumsumexp_cuda_kernelERKNSE_10TensorBaseESI_lENKUlvE_clEvENKUlvE2_clEvEUlS7_S7_E_S7_EEDaPvRmT3_T4_T5_mT6_P12ihipStream_tbENKUlT_T0_E_clISt17integral_constantIbLb0EESY_IbLb1EEEEDaSU_SV_EUlSU_E_NS1_11comp_targetILNS1_3genE10ELNS1_11target_archE1200ELNS1_3gpuE4ELNS1_3repE0EEENS1_30default_config_static_selectorELNS0_4arch9wavefront6targetE0EEEvT1_.uses_vcc, 0
	.set _ZN7rocprim17ROCPRIM_400000_NS6detail17trampoline_kernelINS0_14default_configENS1_20scan_config_selectorIN3c107complexIfEEEEZZNS1_9scan_implILNS1_25lookback_scan_determinismE0ELb0ELb0ES3_PKS7_PS7_S7_ZZZN2at6native31launch_logcumsumexp_cuda_kernelERKNSE_10TensorBaseESI_lENKUlvE_clEvENKUlvE2_clEvEUlS7_S7_E_S7_EEDaPvRmT3_T4_T5_mT6_P12ihipStream_tbENKUlT_T0_E_clISt17integral_constantIbLb0EESY_IbLb1EEEEDaSU_SV_EUlSU_E_NS1_11comp_targetILNS1_3genE10ELNS1_11target_archE1200ELNS1_3gpuE4ELNS1_3repE0EEENS1_30default_config_static_selectorELNS0_4arch9wavefront6targetE0EEEvT1_.uses_flat_scratch, 0
	.set _ZN7rocprim17ROCPRIM_400000_NS6detail17trampoline_kernelINS0_14default_configENS1_20scan_config_selectorIN3c107complexIfEEEEZZNS1_9scan_implILNS1_25lookback_scan_determinismE0ELb0ELb0ES3_PKS7_PS7_S7_ZZZN2at6native31launch_logcumsumexp_cuda_kernelERKNSE_10TensorBaseESI_lENKUlvE_clEvENKUlvE2_clEvEUlS7_S7_E_S7_EEDaPvRmT3_T4_T5_mT6_P12ihipStream_tbENKUlT_T0_E_clISt17integral_constantIbLb0EESY_IbLb1EEEEDaSU_SV_EUlSU_E_NS1_11comp_targetILNS1_3genE10ELNS1_11target_archE1200ELNS1_3gpuE4ELNS1_3repE0EEENS1_30default_config_static_selectorELNS0_4arch9wavefront6targetE0EEEvT1_.has_dyn_sized_stack, 0
	.set _ZN7rocprim17ROCPRIM_400000_NS6detail17trampoline_kernelINS0_14default_configENS1_20scan_config_selectorIN3c107complexIfEEEEZZNS1_9scan_implILNS1_25lookback_scan_determinismE0ELb0ELb0ES3_PKS7_PS7_S7_ZZZN2at6native31launch_logcumsumexp_cuda_kernelERKNSE_10TensorBaseESI_lENKUlvE_clEvENKUlvE2_clEvEUlS7_S7_E_S7_EEDaPvRmT3_T4_T5_mT6_P12ihipStream_tbENKUlT_T0_E_clISt17integral_constantIbLb0EESY_IbLb1EEEEDaSU_SV_EUlSU_E_NS1_11comp_targetILNS1_3genE10ELNS1_11target_archE1200ELNS1_3gpuE4ELNS1_3repE0EEENS1_30default_config_static_selectorELNS0_4arch9wavefront6targetE0EEEvT1_.has_recursion, 0
	.set _ZN7rocprim17ROCPRIM_400000_NS6detail17trampoline_kernelINS0_14default_configENS1_20scan_config_selectorIN3c107complexIfEEEEZZNS1_9scan_implILNS1_25lookback_scan_determinismE0ELb0ELb0ES3_PKS7_PS7_S7_ZZZN2at6native31launch_logcumsumexp_cuda_kernelERKNSE_10TensorBaseESI_lENKUlvE_clEvENKUlvE2_clEvEUlS7_S7_E_S7_EEDaPvRmT3_T4_T5_mT6_P12ihipStream_tbENKUlT_T0_E_clISt17integral_constantIbLb0EESY_IbLb1EEEEDaSU_SV_EUlSU_E_NS1_11comp_targetILNS1_3genE10ELNS1_11target_archE1200ELNS1_3gpuE4ELNS1_3repE0EEENS1_30default_config_static_selectorELNS0_4arch9wavefront6targetE0EEEvT1_.has_indirect_call, 0
	.section	.AMDGPU.csdata,"",@progbits
; Kernel info:
; codeLenInByte = 0
; TotalNumSgprs: 0
; NumVgprs: 0
; ScratchSize: 0
; MemoryBound: 0
; FloatMode: 240
; IeeeMode: 1
; LDSByteSize: 0 bytes/workgroup (compile time only)
; SGPRBlocks: 0
; VGPRBlocks: 0
; NumSGPRsForWavesPerEU: 1
; NumVGPRsForWavesPerEU: 1
; Occupancy: 16
; WaveLimiterHint : 0
; COMPUTE_PGM_RSRC2:SCRATCH_EN: 0
; COMPUTE_PGM_RSRC2:USER_SGPR: 6
; COMPUTE_PGM_RSRC2:TRAP_HANDLER: 0
; COMPUTE_PGM_RSRC2:TGID_X_EN: 1
; COMPUTE_PGM_RSRC2:TGID_Y_EN: 0
; COMPUTE_PGM_RSRC2:TGID_Z_EN: 0
; COMPUTE_PGM_RSRC2:TIDIG_COMP_CNT: 0
	.section	.text._ZN7rocprim17ROCPRIM_400000_NS6detail17trampoline_kernelINS0_14default_configENS1_20scan_config_selectorIN3c107complexIfEEEEZZNS1_9scan_implILNS1_25lookback_scan_determinismE0ELb0ELb0ES3_PKS7_PS7_S7_ZZZN2at6native31launch_logcumsumexp_cuda_kernelERKNSE_10TensorBaseESI_lENKUlvE_clEvENKUlvE2_clEvEUlS7_S7_E_S7_EEDaPvRmT3_T4_T5_mT6_P12ihipStream_tbENKUlT_T0_E_clISt17integral_constantIbLb0EESY_IbLb1EEEEDaSU_SV_EUlSU_E_NS1_11comp_targetILNS1_3genE9ELNS1_11target_archE1100ELNS1_3gpuE3ELNS1_3repE0EEENS1_30default_config_static_selectorELNS0_4arch9wavefront6targetE0EEEvT1_,"axG",@progbits,_ZN7rocprim17ROCPRIM_400000_NS6detail17trampoline_kernelINS0_14default_configENS1_20scan_config_selectorIN3c107complexIfEEEEZZNS1_9scan_implILNS1_25lookback_scan_determinismE0ELb0ELb0ES3_PKS7_PS7_S7_ZZZN2at6native31launch_logcumsumexp_cuda_kernelERKNSE_10TensorBaseESI_lENKUlvE_clEvENKUlvE2_clEvEUlS7_S7_E_S7_EEDaPvRmT3_T4_T5_mT6_P12ihipStream_tbENKUlT_T0_E_clISt17integral_constantIbLb0EESY_IbLb1EEEEDaSU_SV_EUlSU_E_NS1_11comp_targetILNS1_3genE9ELNS1_11target_archE1100ELNS1_3gpuE3ELNS1_3repE0EEENS1_30default_config_static_selectorELNS0_4arch9wavefront6targetE0EEEvT1_,comdat
	.globl	_ZN7rocprim17ROCPRIM_400000_NS6detail17trampoline_kernelINS0_14default_configENS1_20scan_config_selectorIN3c107complexIfEEEEZZNS1_9scan_implILNS1_25lookback_scan_determinismE0ELb0ELb0ES3_PKS7_PS7_S7_ZZZN2at6native31launch_logcumsumexp_cuda_kernelERKNSE_10TensorBaseESI_lENKUlvE_clEvENKUlvE2_clEvEUlS7_S7_E_S7_EEDaPvRmT3_T4_T5_mT6_P12ihipStream_tbENKUlT_T0_E_clISt17integral_constantIbLb0EESY_IbLb1EEEEDaSU_SV_EUlSU_E_NS1_11comp_targetILNS1_3genE9ELNS1_11target_archE1100ELNS1_3gpuE3ELNS1_3repE0EEENS1_30default_config_static_selectorELNS0_4arch9wavefront6targetE0EEEvT1_ ; -- Begin function _ZN7rocprim17ROCPRIM_400000_NS6detail17trampoline_kernelINS0_14default_configENS1_20scan_config_selectorIN3c107complexIfEEEEZZNS1_9scan_implILNS1_25lookback_scan_determinismE0ELb0ELb0ES3_PKS7_PS7_S7_ZZZN2at6native31launch_logcumsumexp_cuda_kernelERKNSE_10TensorBaseESI_lENKUlvE_clEvENKUlvE2_clEvEUlS7_S7_E_S7_EEDaPvRmT3_T4_T5_mT6_P12ihipStream_tbENKUlT_T0_E_clISt17integral_constantIbLb0EESY_IbLb1EEEEDaSU_SV_EUlSU_E_NS1_11comp_targetILNS1_3genE9ELNS1_11target_archE1100ELNS1_3gpuE3ELNS1_3repE0EEENS1_30default_config_static_selectorELNS0_4arch9wavefront6targetE0EEEvT1_
	.p2align	8
	.type	_ZN7rocprim17ROCPRIM_400000_NS6detail17trampoline_kernelINS0_14default_configENS1_20scan_config_selectorIN3c107complexIfEEEEZZNS1_9scan_implILNS1_25lookback_scan_determinismE0ELb0ELb0ES3_PKS7_PS7_S7_ZZZN2at6native31launch_logcumsumexp_cuda_kernelERKNSE_10TensorBaseESI_lENKUlvE_clEvENKUlvE2_clEvEUlS7_S7_E_S7_EEDaPvRmT3_T4_T5_mT6_P12ihipStream_tbENKUlT_T0_E_clISt17integral_constantIbLb0EESY_IbLb1EEEEDaSU_SV_EUlSU_E_NS1_11comp_targetILNS1_3genE9ELNS1_11target_archE1100ELNS1_3gpuE3ELNS1_3repE0EEENS1_30default_config_static_selectorELNS0_4arch9wavefront6targetE0EEEvT1_,@function
_ZN7rocprim17ROCPRIM_400000_NS6detail17trampoline_kernelINS0_14default_configENS1_20scan_config_selectorIN3c107complexIfEEEEZZNS1_9scan_implILNS1_25lookback_scan_determinismE0ELb0ELb0ES3_PKS7_PS7_S7_ZZZN2at6native31launch_logcumsumexp_cuda_kernelERKNSE_10TensorBaseESI_lENKUlvE_clEvENKUlvE2_clEvEUlS7_S7_E_S7_EEDaPvRmT3_T4_T5_mT6_P12ihipStream_tbENKUlT_T0_E_clISt17integral_constantIbLb0EESY_IbLb1EEEEDaSU_SV_EUlSU_E_NS1_11comp_targetILNS1_3genE9ELNS1_11target_archE1100ELNS1_3gpuE3ELNS1_3repE0EEENS1_30default_config_static_selectorELNS0_4arch9wavefront6targetE0EEEvT1_: ; @_ZN7rocprim17ROCPRIM_400000_NS6detail17trampoline_kernelINS0_14default_configENS1_20scan_config_selectorIN3c107complexIfEEEEZZNS1_9scan_implILNS1_25lookback_scan_determinismE0ELb0ELb0ES3_PKS7_PS7_S7_ZZZN2at6native31launch_logcumsumexp_cuda_kernelERKNSE_10TensorBaseESI_lENKUlvE_clEvENKUlvE2_clEvEUlS7_S7_E_S7_EEDaPvRmT3_T4_T5_mT6_P12ihipStream_tbENKUlT_T0_E_clISt17integral_constantIbLb0EESY_IbLb1EEEEDaSU_SV_EUlSU_E_NS1_11comp_targetILNS1_3genE9ELNS1_11target_archE1100ELNS1_3gpuE3ELNS1_3repE0EEENS1_30default_config_static_selectorELNS0_4arch9wavefront6targetE0EEEvT1_
; %bb.0:
	.section	.rodata,"a",@progbits
	.p2align	6, 0x0
	.amdhsa_kernel _ZN7rocprim17ROCPRIM_400000_NS6detail17trampoline_kernelINS0_14default_configENS1_20scan_config_selectorIN3c107complexIfEEEEZZNS1_9scan_implILNS1_25lookback_scan_determinismE0ELb0ELb0ES3_PKS7_PS7_S7_ZZZN2at6native31launch_logcumsumexp_cuda_kernelERKNSE_10TensorBaseESI_lENKUlvE_clEvENKUlvE2_clEvEUlS7_S7_E_S7_EEDaPvRmT3_T4_T5_mT6_P12ihipStream_tbENKUlT_T0_E_clISt17integral_constantIbLb0EESY_IbLb1EEEEDaSU_SV_EUlSU_E_NS1_11comp_targetILNS1_3genE9ELNS1_11target_archE1100ELNS1_3gpuE3ELNS1_3repE0EEENS1_30default_config_static_selectorELNS0_4arch9wavefront6targetE0EEEvT1_
		.amdhsa_group_segment_fixed_size 0
		.amdhsa_private_segment_fixed_size 0
		.amdhsa_kernarg_size 104
		.amdhsa_user_sgpr_count 6
		.amdhsa_user_sgpr_private_segment_buffer 1
		.amdhsa_user_sgpr_dispatch_ptr 0
		.amdhsa_user_sgpr_queue_ptr 0
		.amdhsa_user_sgpr_kernarg_segment_ptr 1
		.amdhsa_user_sgpr_dispatch_id 0
		.amdhsa_user_sgpr_flat_scratch_init 0
		.amdhsa_user_sgpr_private_segment_size 0
		.amdhsa_wavefront_size32 1
		.amdhsa_uses_dynamic_stack 0
		.amdhsa_system_sgpr_private_segment_wavefront_offset 0
		.amdhsa_system_sgpr_workgroup_id_x 1
		.amdhsa_system_sgpr_workgroup_id_y 0
		.amdhsa_system_sgpr_workgroup_id_z 0
		.amdhsa_system_sgpr_workgroup_info 0
		.amdhsa_system_vgpr_workitem_id 0
		.amdhsa_next_free_vgpr 1
		.amdhsa_next_free_sgpr 1
		.amdhsa_reserve_vcc 0
		.amdhsa_reserve_flat_scratch 0
		.amdhsa_float_round_mode_32 0
		.amdhsa_float_round_mode_16_64 0
		.amdhsa_float_denorm_mode_32 3
		.amdhsa_float_denorm_mode_16_64 3
		.amdhsa_dx10_clamp 1
		.amdhsa_ieee_mode 1
		.amdhsa_fp16_overflow 0
		.amdhsa_workgroup_processor_mode 1
		.amdhsa_memory_ordered 1
		.amdhsa_forward_progress 1
		.amdhsa_shared_vgpr_count 0
		.amdhsa_exception_fp_ieee_invalid_op 0
		.amdhsa_exception_fp_denorm_src 0
		.amdhsa_exception_fp_ieee_div_zero 0
		.amdhsa_exception_fp_ieee_overflow 0
		.amdhsa_exception_fp_ieee_underflow 0
		.amdhsa_exception_fp_ieee_inexact 0
		.amdhsa_exception_int_div_zero 0
	.end_amdhsa_kernel
	.section	.text._ZN7rocprim17ROCPRIM_400000_NS6detail17trampoline_kernelINS0_14default_configENS1_20scan_config_selectorIN3c107complexIfEEEEZZNS1_9scan_implILNS1_25lookback_scan_determinismE0ELb0ELb0ES3_PKS7_PS7_S7_ZZZN2at6native31launch_logcumsumexp_cuda_kernelERKNSE_10TensorBaseESI_lENKUlvE_clEvENKUlvE2_clEvEUlS7_S7_E_S7_EEDaPvRmT3_T4_T5_mT6_P12ihipStream_tbENKUlT_T0_E_clISt17integral_constantIbLb0EESY_IbLb1EEEEDaSU_SV_EUlSU_E_NS1_11comp_targetILNS1_3genE9ELNS1_11target_archE1100ELNS1_3gpuE3ELNS1_3repE0EEENS1_30default_config_static_selectorELNS0_4arch9wavefront6targetE0EEEvT1_,"axG",@progbits,_ZN7rocprim17ROCPRIM_400000_NS6detail17trampoline_kernelINS0_14default_configENS1_20scan_config_selectorIN3c107complexIfEEEEZZNS1_9scan_implILNS1_25lookback_scan_determinismE0ELb0ELb0ES3_PKS7_PS7_S7_ZZZN2at6native31launch_logcumsumexp_cuda_kernelERKNSE_10TensorBaseESI_lENKUlvE_clEvENKUlvE2_clEvEUlS7_S7_E_S7_EEDaPvRmT3_T4_T5_mT6_P12ihipStream_tbENKUlT_T0_E_clISt17integral_constantIbLb0EESY_IbLb1EEEEDaSU_SV_EUlSU_E_NS1_11comp_targetILNS1_3genE9ELNS1_11target_archE1100ELNS1_3gpuE3ELNS1_3repE0EEENS1_30default_config_static_selectorELNS0_4arch9wavefront6targetE0EEEvT1_,comdat
.Lfunc_end336:
	.size	_ZN7rocprim17ROCPRIM_400000_NS6detail17trampoline_kernelINS0_14default_configENS1_20scan_config_selectorIN3c107complexIfEEEEZZNS1_9scan_implILNS1_25lookback_scan_determinismE0ELb0ELb0ES3_PKS7_PS7_S7_ZZZN2at6native31launch_logcumsumexp_cuda_kernelERKNSE_10TensorBaseESI_lENKUlvE_clEvENKUlvE2_clEvEUlS7_S7_E_S7_EEDaPvRmT3_T4_T5_mT6_P12ihipStream_tbENKUlT_T0_E_clISt17integral_constantIbLb0EESY_IbLb1EEEEDaSU_SV_EUlSU_E_NS1_11comp_targetILNS1_3genE9ELNS1_11target_archE1100ELNS1_3gpuE3ELNS1_3repE0EEENS1_30default_config_static_selectorELNS0_4arch9wavefront6targetE0EEEvT1_, .Lfunc_end336-_ZN7rocprim17ROCPRIM_400000_NS6detail17trampoline_kernelINS0_14default_configENS1_20scan_config_selectorIN3c107complexIfEEEEZZNS1_9scan_implILNS1_25lookback_scan_determinismE0ELb0ELb0ES3_PKS7_PS7_S7_ZZZN2at6native31launch_logcumsumexp_cuda_kernelERKNSE_10TensorBaseESI_lENKUlvE_clEvENKUlvE2_clEvEUlS7_S7_E_S7_EEDaPvRmT3_T4_T5_mT6_P12ihipStream_tbENKUlT_T0_E_clISt17integral_constantIbLb0EESY_IbLb1EEEEDaSU_SV_EUlSU_E_NS1_11comp_targetILNS1_3genE9ELNS1_11target_archE1100ELNS1_3gpuE3ELNS1_3repE0EEENS1_30default_config_static_selectorELNS0_4arch9wavefront6targetE0EEEvT1_
                                        ; -- End function
	.set _ZN7rocprim17ROCPRIM_400000_NS6detail17trampoline_kernelINS0_14default_configENS1_20scan_config_selectorIN3c107complexIfEEEEZZNS1_9scan_implILNS1_25lookback_scan_determinismE0ELb0ELb0ES3_PKS7_PS7_S7_ZZZN2at6native31launch_logcumsumexp_cuda_kernelERKNSE_10TensorBaseESI_lENKUlvE_clEvENKUlvE2_clEvEUlS7_S7_E_S7_EEDaPvRmT3_T4_T5_mT6_P12ihipStream_tbENKUlT_T0_E_clISt17integral_constantIbLb0EESY_IbLb1EEEEDaSU_SV_EUlSU_E_NS1_11comp_targetILNS1_3genE9ELNS1_11target_archE1100ELNS1_3gpuE3ELNS1_3repE0EEENS1_30default_config_static_selectorELNS0_4arch9wavefront6targetE0EEEvT1_.num_vgpr, 0
	.set _ZN7rocprim17ROCPRIM_400000_NS6detail17trampoline_kernelINS0_14default_configENS1_20scan_config_selectorIN3c107complexIfEEEEZZNS1_9scan_implILNS1_25lookback_scan_determinismE0ELb0ELb0ES3_PKS7_PS7_S7_ZZZN2at6native31launch_logcumsumexp_cuda_kernelERKNSE_10TensorBaseESI_lENKUlvE_clEvENKUlvE2_clEvEUlS7_S7_E_S7_EEDaPvRmT3_T4_T5_mT6_P12ihipStream_tbENKUlT_T0_E_clISt17integral_constantIbLb0EESY_IbLb1EEEEDaSU_SV_EUlSU_E_NS1_11comp_targetILNS1_3genE9ELNS1_11target_archE1100ELNS1_3gpuE3ELNS1_3repE0EEENS1_30default_config_static_selectorELNS0_4arch9wavefront6targetE0EEEvT1_.num_agpr, 0
	.set _ZN7rocprim17ROCPRIM_400000_NS6detail17trampoline_kernelINS0_14default_configENS1_20scan_config_selectorIN3c107complexIfEEEEZZNS1_9scan_implILNS1_25lookback_scan_determinismE0ELb0ELb0ES3_PKS7_PS7_S7_ZZZN2at6native31launch_logcumsumexp_cuda_kernelERKNSE_10TensorBaseESI_lENKUlvE_clEvENKUlvE2_clEvEUlS7_S7_E_S7_EEDaPvRmT3_T4_T5_mT6_P12ihipStream_tbENKUlT_T0_E_clISt17integral_constantIbLb0EESY_IbLb1EEEEDaSU_SV_EUlSU_E_NS1_11comp_targetILNS1_3genE9ELNS1_11target_archE1100ELNS1_3gpuE3ELNS1_3repE0EEENS1_30default_config_static_selectorELNS0_4arch9wavefront6targetE0EEEvT1_.numbered_sgpr, 0
	.set _ZN7rocprim17ROCPRIM_400000_NS6detail17trampoline_kernelINS0_14default_configENS1_20scan_config_selectorIN3c107complexIfEEEEZZNS1_9scan_implILNS1_25lookback_scan_determinismE0ELb0ELb0ES3_PKS7_PS7_S7_ZZZN2at6native31launch_logcumsumexp_cuda_kernelERKNSE_10TensorBaseESI_lENKUlvE_clEvENKUlvE2_clEvEUlS7_S7_E_S7_EEDaPvRmT3_T4_T5_mT6_P12ihipStream_tbENKUlT_T0_E_clISt17integral_constantIbLb0EESY_IbLb1EEEEDaSU_SV_EUlSU_E_NS1_11comp_targetILNS1_3genE9ELNS1_11target_archE1100ELNS1_3gpuE3ELNS1_3repE0EEENS1_30default_config_static_selectorELNS0_4arch9wavefront6targetE0EEEvT1_.num_named_barrier, 0
	.set _ZN7rocprim17ROCPRIM_400000_NS6detail17trampoline_kernelINS0_14default_configENS1_20scan_config_selectorIN3c107complexIfEEEEZZNS1_9scan_implILNS1_25lookback_scan_determinismE0ELb0ELb0ES3_PKS7_PS7_S7_ZZZN2at6native31launch_logcumsumexp_cuda_kernelERKNSE_10TensorBaseESI_lENKUlvE_clEvENKUlvE2_clEvEUlS7_S7_E_S7_EEDaPvRmT3_T4_T5_mT6_P12ihipStream_tbENKUlT_T0_E_clISt17integral_constantIbLb0EESY_IbLb1EEEEDaSU_SV_EUlSU_E_NS1_11comp_targetILNS1_3genE9ELNS1_11target_archE1100ELNS1_3gpuE3ELNS1_3repE0EEENS1_30default_config_static_selectorELNS0_4arch9wavefront6targetE0EEEvT1_.private_seg_size, 0
	.set _ZN7rocprim17ROCPRIM_400000_NS6detail17trampoline_kernelINS0_14default_configENS1_20scan_config_selectorIN3c107complexIfEEEEZZNS1_9scan_implILNS1_25lookback_scan_determinismE0ELb0ELb0ES3_PKS7_PS7_S7_ZZZN2at6native31launch_logcumsumexp_cuda_kernelERKNSE_10TensorBaseESI_lENKUlvE_clEvENKUlvE2_clEvEUlS7_S7_E_S7_EEDaPvRmT3_T4_T5_mT6_P12ihipStream_tbENKUlT_T0_E_clISt17integral_constantIbLb0EESY_IbLb1EEEEDaSU_SV_EUlSU_E_NS1_11comp_targetILNS1_3genE9ELNS1_11target_archE1100ELNS1_3gpuE3ELNS1_3repE0EEENS1_30default_config_static_selectorELNS0_4arch9wavefront6targetE0EEEvT1_.uses_vcc, 0
	.set _ZN7rocprim17ROCPRIM_400000_NS6detail17trampoline_kernelINS0_14default_configENS1_20scan_config_selectorIN3c107complexIfEEEEZZNS1_9scan_implILNS1_25lookback_scan_determinismE0ELb0ELb0ES3_PKS7_PS7_S7_ZZZN2at6native31launch_logcumsumexp_cuda_kernelERKNSE_10TensorBaseESI_lENKUlvE_clEvENKUlvE2_clEvEUlS7_S7_E_S7_EEDaPvRmT3_T4_T5_mT6_P12ihipStream_tbENKUlT_T0_E_clISt17integral_constantIbLb0EESY_IbLb1EEEEDaSU_SV_EUlSU_E_NS1_11comp_targetILNS1_3genE9ELNS1_11target_archE1100ELNS1_3gpuE3ELNS1_3repE0EEENS1_30default_config_static_selectorELNS0_4arch9wavefront6targetE0EEEvT1_.uses_flat_scratch, 0
	.set _ZN7rocprim17ROCPRIM_400000_NS6detail17trampoline_kernelINS0_14default_configENS1_20scan_config_selectorIN3c107complexIfEEEEZZNS1_9scan_implILNS1_25lookback_scan_determinismE0ELb0ELb0ES3_PKS7_PS7_S7_ZZZN2at6native31launch_logcumsumexp_cuda_kernelERKNSE_10TensorBaseESI_lENKUlvE_clEvENKUlvE2_clEvEUlS7_S7_E_S7_EEDaPvRmT3_T4_T5_mT6_P12ihipStream_tbENKUlT_T0_E_clISt17integral_constantIbLb0EESY_IbLb1EEEEDaSU_SV_EUlSU_E_NS1_11comp_targetILNS1_3genE9ELNS1_11target_archE1100ELNS1_3gpuE3ELNS1_3repE0EEENS1_30default_config_static_selectorELNS0_4arch9wavefront6targetE0EEEvT1_.has_dyn_sized_stack, 0
	.set _ZN7rocprim17ROCPRIM_400000_NS6detail17trampoline_kernelINS0_14default_configENS1_20scan_config_selectorIN3c107complexIfEEEEZZNS1_9scan_implILNS1_25lookback_scan_determinismE0ELb0ELb0ES3_PKS7_PS7_S7_ZZZN2at6native31launch_logcumsumexp_cuda_kernelERKNSE_10TensorBaseESI_lENKUlvE_clEvENKUlvE2_clEvEUlS7_S7_E_S7_EEDaPvRmT3_T4_T5_mT6_P12ihipStream_tbENKUlT_T0_E_clISt17integral_constantIbLb0EESY_IbLb1EEEEDaSU_SV_EUlSU_E_NS1_11comp_targetILNS1_3genE9ELNS1_11target_archE1100ELNS1_3gpuE3ELNS1_3repE0EEENS1_30default_config_static_selectorELNS0_4arch9wavefront6targetE0EEEvT1_.has_recursion, 0
	.set _ZN7rocprim17ROCPRIM_400000_NS6detail17trampoline_kernelINS0_14default_configENS1_20scan_config_selectorIN3c107complexIfEEEEZZNS1_9scan_implILNS1_25lookback_scan_determinismE0ELb0ELb0ES3_PKS7_PS7_S7_ZZZN2at6native31launch_logcumsumexp_cuda_kernelERKNSE_10TensorBaseESI_lENKUlvE_clEvENKUlvE2_clEvEUlS7_S7_E_S7_EEDaPvRmT3_T4_T5_mT6_P12ihipStream_tbENKUlT_T0_E_clISt17integral_constantIbLb0EESY_IbLb1EEEEDaSU_SV_EUlSU_E_NS1_11comp_targetILNS1_3genE9ELNS1_11target_archE1100ELNS1_3gpuE3ELNS1_3repE0EEENS1_30default_config_static_selectorELNS0_4arch9wavefront6targetE0EEEvT1_.has_indirect_call, 0
	.section	.AMDGPU.csdata,"",@progbits
; Kernel info:
; codeLenInByte = 0
; TotalNumSgprs: 0
; NumVgprs: 0
; ScratchSize: 0
; MemoryBound: 0
; FloatMode: 240
; IeeeMode: 1
; LDSByteSize: 0 bytes/workgroup (compile time only)
; SGPRBlocks: 0
; VGPRBlocks: 0
; NumSGPRsForWavesPerEU: 1
; NumVGPRsForWavesPerEU: 1
; Occupancy: 16
; WaveLimiterHint : 0
; COMPUTE_PGM_RSRC2:SCRATCH_EN: 0
; COMPUTE_PGM_RSRC2:USER_SGPR: 6
; COMPUTE_PGM_RSRC2:TRAP_HANDLER: 0
; COMPUTE_PGM_RSRC2:TGID_X_EN: 1
; COMPUTE_PGM_RSRC2:TGID_Y_EN: 0
; COMPUTE_PGM_RSRC2:TGID_Z_EN: 0
; COMPUTE_PGM_RSRC2:TIDIG_COMP_CNT: 0
	.section	.text._ZN7rocprim17ROCPRIM_400000_NS6detail17trampoline_kernelINS0_14default_configENS1_20scan_config_selectorIN3c107complexIfEEEEZZNS1_9scan_implILNS1_25lookback_scan_determinismE0ELb0ELb0ES3_PKS7_PS7_S7_ZZZN2at6native31launch_logcumsumexp_cuda_kernelERKNSE_10TensorBaseESI_lENKUlvE_clEvENKUlvE2_clEvEUlS7_S7_E_S7_EEDaPvRmT3_T4_T5_mT6_P12ihipStream_tbENKUlT_T0_E_clISt17integral_constantIbLb0EESY_IbLb1EEEEDaSU_SV_EUlSU_E_NS1_11comp_targetILNS1_3genE8ELNS1_11target_archE1030ELNS1_3gpuE2ELNS1_3repE0EEENS1_30default_config_static_selectorELNS0_4arch9wavefront6targetE0EEEvT1_,"axG",@progbits,_ZN7rocprim17ROCPRIM_400000_NS6detail17trampoline_kernelINS0_14default_configENS1_20scan_config_selectorIN3c107complexIfEEEEZZNS1_9scan_implILNS1_25lookback_scan_determinismE0ELb0ELb0ES3_PKS7_PS7_S7_ZZZN2at6native31launch_logcumsumexp_cuda_kernelERKNSE_10TensorBaseESI_lENKUlvE_clEvENKUlvE2_clEvEUlS7_S7_E_S7_EEDaPvRmT3_T4_T5_mT6_P12ihipStream_tbENKUlT_T0_E_clISt17integral_constantIbLb0EESY_IbLb1EEEEDaSU_SV_EUlSU_E_NS1_11comp_targetILNS1_3genE8ELNS1_11target_archE1030ELNS1_3gpuE2ELNS1_3repE0EEENS1_30default_config_static_selectorELNS0_4arch9wavefront6targetE0EEEvT1_,comdat
	.globl	_ZN7rocprim17ROCPRIM_400000_NS6detail17trampoline_kernelINS0_14default_configENS1_20scan_config_selectorIN3c107complexIfEEEEZZNS1_9scan_implILNS1_25lookback_scan_determinismE0ELb0ELb0ES3_PKS7_PS7_S7_ZZZN2at6native31launch_logcumsumexp_cuda_kernelERKNSE_10TensorBaseESI_lENKUlvE_clEvENKUlvE2_clEvEUlS7_S7_E_S7_EEDaPvRmT3_T4_T5_mT6_P12ihipStream_tbENKUlT_T0_E_clISt17integral_constantIbLb0EESY_IbLb1EEEEDaSU_SV_EUlSU_E_NS1_11comp_targetILNS1_3genE8ELNS1_11target_archE1030ELNS1_3gpuE2ELNS1_3repE0EEENS1_30default_config_static_selectorELNS0_4arch9wavefront6targetE0EEEvT1_ ; -- Begin function _ZN7rocprim17ROCPRIM_400000_NS6detail17trampoline_kernelINS0_14default_configENS1_20scan_config_selectorIN3c107complexIfEEEEZZNS1_9scan_implILNS1_25lookback_scan_determinismE0ELb0ELb0ES3_PKS7_PS7_S7_ZZZN2at6native31launch_logcumsumexp_cuda_kernelERKNSE_10TensorBaseESI_lENKUlvE_clEvENKUlvE2_clEvEUlS7_S7_E_S7_EEDaPvRmT3_T4_T5_mT6_P12ihipStream_tbENKUlT_T0_E_clISt17integral_constantIbLb0EESY_IbLb1EEEEDaSU_SV_EUlSU_E_NS1_11comp_targetILNS1_3genE8ELNS1_11target_archE1030ELNS1_3gpuE2ELNS1_3repE0EEENS1_30default_config_static_selectorELNS0_4arch9wavefront6targetE0EEEvT1_
	.p2align	8
	.type	_ZN7rocprim17ROCPRIM_400000_NS6detail17trampoline_kernelINS0_14default_configENS1_20scan_config_selectorIN3c107complexIfEEEEZZNS1_9scan_implILNS1_25lookback_scan_determinismE0ELb0ELb0ES3_PKS7_PS7_S7_ZZZN2at6native31launch_logcumsumexp_cuda_kernelERKNSE_10TensorBaseESI_lENKUlvE_clEvENKUlvE2_clEvEUlS7_S7_E_S7_EEDaPvRmT3_T4_T5_mT6_P12ihipStream_tbENKUlT_T0_E_clISt17integral_constantIbLb0EESY_IbLb1EEEEDaSU_SV_EUlSU_E_NS1_11comp_targetILNS1_3genE8ELNS1_11target_archE1030ELNS1_3gpuE2ELNS1_3repE0EEENS1_30default_config_static_selectorELNS0_4arch9wavefront6targetE0EEEvT1_,@function
_ZN7rocprim17ROCPRIM_400000_NS6detail17trampoline_kernelINS0_14default_configENS1_20scan_config_selectorIN3c107complexIfEEEEZZNS1_9scan_implILNS1_25lookback_scan_determinismE0ELb0ELb0ES3_PKS7_PS7_S7_ZZZN2at6native31launch_logcumsumexp_cuda_kernelERKNSE_10TensorBaseESI_lENKUlvE_clEvENKUlvE2_clEvEUlS7_S7_E_S7_EEDaPvRmT3_T4_T5_mT6_P12ihipStream_tbENKUlT_T0_E_clISt17integral_constantIbLb0EESY_IbLb1EEEEDaSU_SV_EUlSU_E_NS1_11comp_targetILNS1_3genE8ELNS1_11target_archE1030ELNS1_3gpuE2ELNS1_3repE0EEENS1_30default_config_static_selectorELNS0_4arch9wavefront6targetE0EEEvT1_: ; @_ZN7rocprim17ROCPRIM_400000_NS6detail17trampoline_kernelINS0_14default_configENS1_20scan_config_selectorIN3c107complexIfEEEEZZNS1_9scan_implILNS1_25lookback_scan_determinismE0ELb0ELb0ES3_PKS7_PS7_S7_ZZZN2at6native31launch_logcumsumexp_cuda_kernelERKNSE_10TensorBaseESI_lENKUlvE_clEvENKUlvE2_clEvEUlS7_S7_E_S7_EEDaPvRmT3_T4_T5_mT6_P12ihipStream_tbENKUlT_T0_E_clISt17integral_constantIbLb0EESY_IbLb1EEEEDaSU_SV_EUlSU_E_NS1_11comp_targetILNS1_3genE8ELNS1_11target_archE1030ELNS1_3gpuE2ELNS1_3repE0EEENS1_30default_config_static_selectorELNS0_4arch9wavefront6targetE0EEEvT1_
; %bb.0:
	s_load_dwordx2 s[34:35], s[4:5], 0x30
	v_mov_b32_e32 v41, v0
	s_add_u32 s0, s0, s7
	s_addc_u32 s1, s1, 0
	s_mov_b32 s32, 0
	v_cmp_ne_u32_e64 s12, 0, v41
	v_cmp_eq_u32_e64 s13, 0, v41
	s_and_saveexec_b32 s6, s13
	s_cbranch_execz .LBB337_4
; %bb.1:
	s_mov_b32 s8, exec_lo
	s_mov_b32 s7, exec_lo
	v_mbcnt_lo_u32_b32 v0, s8, 0
                                        ; implicit-def: $vgpr1
	v_cmpx_eq_u32_e32 0, v0
	s_cbranch_execz .LBB337_3
; %bb.2:
	s_load_dwordx2 s[10:11], s[4:5], 0x60
	s_bcnt1_i32_b32 s8, s8
	v_mov_b32_e32 v1, 0
	v_mov_b32_e32 v2, s8
	s_waitcnt lgkmcnt(0)
	global_atomic_add v1, v1, v2, s[10:11] glc
.LBB337_3:
	s_or_b32 exec_lo, exec_lo, s7
	s_waitcnt vmcnt(0)
	v_readfirstlane_b32 s7, v1
	v_mov_b32_e32 v1, 0
	v_add_nc_u32_e32 v0, s7, v0
	ds_write_b32 v1, v0
.LBB337_4:
	s_or_b32 exec_lo, exec_lo, s6
	v_mov_b32_e32 v0, 0
	s_clause 0x2
	s_load_dwordx8 s[24:31], s[4:5], 0x0
	s_load_dword s6, s[4:5], 0x38
	s_load_dwordx8 s[16:23], s[4:5], 0x40
	s_waitcnt lgkmcnt(0)
	s_barrier
	buffer_gl0_inv
	ds_read_b32 v0, v0
	s_mov_b32 s5, 0
	v_lshlrev_b32_e32 v49, 3, v41
	v_lshrrev_b32_e32 v50, 2, v41
	v_or_b32_e32 v48, 0x100, v41
	v_or_b32_e32 v46, 0x200, v41
	;; [unrolled: 1-line block ×3, first 2 shown]
	s_waitcnt lgkmcnt(0)
	s_barrier
	buffer_gl0_inv
	s_lshl_b64 s[26:27], s[26:27], 3
	s_add_u32 s7, s24, s26
	s_addc_u32 s8, s25, s27
	s_add_i32 s6, s6, -1
	s_lshl_b32 s9, s6, 10
	v_readfirstlane_b32 s15, v0
	v_cmp_ne_u32_e64 s11, s6, v0
	s_lshl_b32 s4, s15, 10
	s_sub_u32 s33, s30, s9
	s_subb_u32 s38, s31, 0
	s_lshl_b64 s[24:25], s[4:5], 3
	s_mov_b32 s5, -1
	s_add_u32 s6, s7, s24
	s_addc_u32 s7, s8, s25
	s_and_b32 vcc_lo, exec_lo, s11
	s_cbranch_vccz .LBB337_6
; %bb.5:
	v_add_co_u32 v2, s4, s6, v49
	v_add_co_ci_u32_e64 v3, null, s7, 0, s4
	v_lshrrev_b32_e32 v8, 2, v48
	v_add_co_u32 v0, vcc_lo, v2, 0x1000
	v_add_co_ci_u32_e64 v1, null, 0, v3, vcc_lo
	v_add_co_u32 v2, vcc_lo, 0x1800, v2
	v_add_co_ci_u32_e64 v3, null, 0, v3, vcc_lo
	s_clause 0x3
	global_load_dwordx2 v[4:5], v49, s[6:7]
	global_load_dwordx2 v[6:7], v[0:1], off offset:-2048
	global_load_dwordx2 v[0:1], v[0:1], off
	global_load_dwordx2 v[2:3], v[2:3], off
	v_lshrrev_b32_e32 v9, 2, v46
	v_lshrrev_b32_e32 v10, 2, v47
	v_and_b32_e32 v11, 56, v50
	v_and_b32_e32 v8, 0x78, v8
	s_mov_b32 s5, 0
	v_and_b32_e32 v9, 0xb8, v9
	v_and_b32_e32 v10, 0xf8, v10
	v_add_nc_u32_e32 v11, v11, v49
	v_add_nc_u32_e32 v8, v8, v49
	;; [unrolled: 1-line block ×4, first 2 shown]
	s_waitcnt vmcnt(3)
	ds_write_b64 v11, v[4:5]
	s_waitcnt vmcnt(2)
	ds_write_b64 v8, v[6:7] offset:2048
	s_waitcnt vmcnt(1)
	ds_write_b64 v9, v[0:1] offset:4096
	;; [unrolled: 2-line block ×3, first 2 shown]
	s_waitcnt lgkmcnt(0)
	s_barrier
.LBB337_6:
	v_cmp_gt_u32_e64 s4, s33, v41
	s_andn2_b32 vcc_lo, exec_lo, s5
	s_cbranch_vccnz .LBB337_16
; %bb.7:
	v_mov_b32_e32 v0, 0
	global_load_dwordx2 v[0:1], v0, s[6:7]
	s_waitcnt vmcnt(0)
	v_mov_b32_e32 v3, v1
	v_mov_b32_e32 v2, v0
	s_and_saveexec_b32 s5, s4
	s_cbranch_execz .LBB337_9
; %bb.8:
	global_load_dwordx2 v[2:3], v49, s[6:7]
.LBB337_9:
	s_or_b32 exec_lo, exec_lo, s5
	v_mov_b32_e32 v5, v1
	v_mov_b32_e32 v4, v0
	s_mov_b32 s4, exec_lo
	v_cmpx_gt_u32_e64 s33, v48
	s_cbranch_execz .LBB337_11
; %bb.10:
	v_lshlrev_b32_e32 v4, 3, v48
	global_load_dwordx2 v[4:5], v4, s[6:7]
.LBB337_11:
	s_or_b32 exec_lo, exec_lo, s4
	v_mov_b32_e32 v7, v1
	v_mov_b32_e32 v6, v0
	s_mov_b32 s4, exec_lo
	v_cmpx_gt_u32_e64 s33, v46
	s_cbranch_execz .LBB337_13
; %bb.12:
	v_lshlrev_b32_e32 v6, 3, v46
	global_load_dwordx2 v[6:7], v6, s[6:7]
.LBB337_13:
	s_or_b32 exec_lo, exec_lo, s4
	s_mov_b32 s4, exec_lo
	v_cmpx_gt_u32_e64 s33, v47
	s_cbranch_execz .LBB337_15
; %bb.14:
	v_lshlrev_b32_e32 v0, 3, v47
	global_load_dwordx2 v[0:1], v0, s[6:7]
.LBB337_15:
	s_or_b32 exec_lo, exec_lo, s4
	v_lshrrev_b32_e32 v8, 2, v48
	v_lshrrev_b32_e32 v9, 2, v46
	;; [unrolled: 1-line block ×3, first 2 shown]
	v_and_b32_e32 v11, 56, v50
	v_and_b32_e32 v8, 0x78, v8
	;; [unrolled: 1-line block ×4, first 2 shown]
	v_add_nc_u32_e32 v11, v11, v49
	v_add_nc_u32_e32 v8, v8, v49
	;; [unrolled: 1-line block ×4, first 2 shown]
	s_waitcnt vmcnt(0)
	ds_write_b64 v11, v[2:3]
	ds_write_b64 v8, v[4:5] offset:2048
	ds_write_b64 v9, v[6:7] offset:4096
	;; [unrolled: 1-line block ×3, first 2 shown]
	s_waitcnt lgkmcnt(0)
	s_barrier
.LBB337_16:
	v_and_b32_e32 v0, 0xf8, v41
	v_lshlrev_b32_e32 v1, 5, v41
	buffer_gl0_inv
	s_cmp_lg_u32 s15, 0
	v_add_nc_u32_e32 v51, v0, v1
	ds_read2_b64 v[22:25], v51 offset1:1
	ds_read2_b64 v[26:29], v51 offset0:2 offset1:3
	s_waitcnt lgkmcnt(0)
	s_barrier
	buffer_gl0_inv
	s_cbranch_scc0 .LBB337_67
; %bb.17:
	v_mov_b32_e32 v0, v22
	v_mov_b32_e32 v1, v23
	;; [unrolled: 1-line block ×4, first 2 shown]
	s_getpc_b64 s[36:37]
	s_add_u32 s36, s36, _ZZZZN2at6native31launch_logcumsumexp_cuda_kernelERKNS_10TensorBaseES3_lENKUlvE_clEvENKUlvE2_clEvENKUlN3c107complexIfEES8_E_clES8_S8_@rel32@lo+4
	s_addc_u32 s37, s37, _ZZZZN2at6native31launch_logcumsumexp_cuda_kernelERKNS_10TensorBaseES3_lENKUlvE_clEvENKUlvE2_clEvENKUlN3c107complexIfEES8_E_clES8_S8_@rel32@hi+12
	s_swappc_b64 s[30:31], s[36:37]
	v_mov_b32_e32 v2, v26
	v_mov_b32_e32 v3, v27
	s_swappc_b64 s[30:31], s[36:37]
	v_mov_b32_e32 v2, v28
	v_mov_b32_e32 v3, v29
	s_swappc_b64 s[30:31], s[36:37]
	v_mov_b32_e32 v42, v0
	v_and_b32_e32 v0, 56, v50
	v_mov_b32_e32 v43, v1
	v_cmp_gt_u32_e64 s14, 32, v41
	v_lshl_add_u32 v0, v41, 3, v0
	ds_write_b64 v0, v[42:43]
	s_waitcnt lgkmcnt(0)
	s_waitcnt_vscnt null, 0x0
	s_barrier
	buffer_gl0_inv
	s_and_saveexec_b32 s39, s14
	s_cbranch_execz .LBB337_29
; %bb.18:
	v_lshlrev_b32_e32 v0, 1, v41
	v_lshlrev_b32_e32 v1, 6, v41
	v_and_b32_e32 v0, 0x1f8, v0
	v_add_nc_u32_e32 v36, v0, v1
	ds_read_b64 v[30:31], v36
	ds_read2_b64 v[32:35], v36 offset0:1 offset1:2
	s_waitcnt lgkmcnt(1)
	v_mov_b32_e32 v0, v30
	v_mov_b32_e32 v1, v31
	s_waitcnt lgkmcnt(0)
	v_mov_b32_e32 v2, v32
	v_mov_b32_e32 v3, v33
	s_swappc_b64 s[30:31], s[36:37]
	v_mov_b32_e32 v2, v34
	v_mov_b32_e32 v3, v35
	s_swappc_b64 s[30:31], s[36:37]
	ds_read2_b64 v[32:35], v36 offset0:3 offset1:4
	s_waitcnt lgkmcnt(0)
	v_mov_b32_e32 v2, v32
	v_mov_b32_e32 v3, v33
	s_swappc_b64 s[30:31], s[36:37]
	v_mov_b32_e32 v2, v34
	v_mov_b32_e32 v3, v35
	s_swappc_b64 s[30:31], s[36:37]
	ds_read2_b64 v[32:35], v36 offset0:5 offset1:6
	s_waitcnt lgkmcnt(0)
	v_mov_b32_e32 v2, v32
	v_mov_b32_e32 v3, v33
	s_swappc_b64 s[30:31], s[36:37]
	v_mov_b32_e32 v2, v34
	v_mov_b32_e32 v3, v35
	s_swappc_b64 s[30:31], s[36:37]
	ds_read_b64 v[2:3], v36 offset:56
	s_swappc_b64 s[30:31], s[36:37]
	v_mov_b32_e32 v2, v0
	v_mov_b32_e32 v3, v1
	v_mbcnt_lo_u32_b32 v32, -1, 0
	s_mov_b32 s36, exec_lo
	v_mov_b32_dpp v0, v2 row_shr:1 row_mask:0xf bank_mask:0xf
	v_mov_b32_dpp v1, v3 row_shr:1 row_mask:0xf bank_mask:0xf
	v_and_b32_e32 v33, 15, v32
	v_cmpx_ne_u32_e32 0, v33
	s_cbranch_execz .LBB337_20
; %bb.19:
	s_getpc_b64 s[4:5]
	s_add_u32 s4, s4, _ZZZZN2at6native31launch_logcumsumexp_cuda_kernelERKNS_10TensorBaseES3_lENKUlvE_clEvENKUlvE2_clEvENKUlN3c107complexIfEES8_E_clES8_S8_@rel32@lo+4
	s_addc_u32 s5, s5, _ZZZZN2at6native31launch_logcumsumexp_cuda_kernelERKNS_10TensorBaseES3_lENKUlvE_clEvENKUlvE2_clEvENKUlN3c107complexIfEES8_E_clES8_S8_@rel32@hi+12
	s_swappc_b64 s[30:31], s[4:5]
	v_mov_b32_e32 v2, v0
	v_mov_b32_e32 v3, v1
.LBB337_20:
	s_or_b32 exec_lo, exec_lo, s36
	v_mov_b32_dpp v0, v2 row_shr:2 row_mask:0xf bank_mask:0xf
	v_mov_b32_dpp v1, v3 row_shr:2 row_mask:0xf bank_mask:0xf
	s_mov_b32 s36, exec_lo
	v_cmpx_lt_u32_e32 1, v33
	s_cbranch_execz .LBB337_22
; %bb.21:
	s_getpc_b64 s[4:5]
	s_add_u32 s4, s4, _ZZZZN2at6native31launch_logcumsumexp_cuda_kernelERKNS_10TensorBaseES3_lENKUlvE_clEvENKUlvE2_clEvENKUlN3c107complexIfEES8_E_clES8_S8_@rel32@lo+4
	s_addc_u32 s5, s5, _ZZZZN2at6native31launch_logcumsumexp_cuda_kernelERKNS_10TensorBaseES3_lENKUlvE_clEvENKUlvE2_clEvENKUlN3c107complexIfEES8_E_clES8_S8_@rel32@hi+12
	s_swappc_b64 s[30:31], s[4:5]
	v_mov_b32_e32 v2, v0
	v_mov_b32_e32 v3, v1
.LBB337_22:
	s_or_b32 exec_lo, exec_lo, s36
	v_mov_b32_dpp v0, v2 row_shr:4 row_mask:0xf bank_mask:0xf
	v_mov_b32_dpp v1, v3 row_shr:4 row_mask:0xf bank_mask:0xf
	s_mov_b32 s36, exec_lo
	v_cmpx_lt_u32_e32 3, v33
	;; [unrolled: 14-line block ×3, first 2 shown]
	s_cbranch_execz .LBB337_26
; %bb.25:
	s_getpc_b64 s[4:5]
	s_add_u32 s4, s4, _ZZZZN2at6native31launch_logcumsumexp_cuda_kernelERKNS_10TensorBaseES3_lENKUlvE_clEvENKUlvE2_clEvENKUlN3c107complexIfEES8_E_clES8_S8_@rel32@lo+4
	s_addc_u32 s5, s5, _ZZZZN2at6native31launch_logcumsumexp_cuda_kernelERKNS_10TensorBaseES3_lENKUlvE_clEvENKUlvE2_clEvENKUlN3c107complexIfEES8_E_clES8_S8_@rel32@hi+12
	s_swappc_b64 s[30:31], s[4:5]
	v_mov_b32_e32 v2, v0
	v_mov_b32_e32 v3, v1
.LBB337_26:
	s_or_b32 exec_lo, exec_lo, s36
	ds_swizzle_b32 v0, v2 offset:swizzle(BROADCAST,32,15)
	ds_swizzle_b32 v1, v3 offset:swizzle(BROADCAST,32,15)
	v_and_b32_e32 v4, 16, v32
	s_mov_b32 s36, exec_lo
	v_cmpx_ne_u32_e32 0, v4
	s_cbranch_execz .LBB337_28
; %bb.27:
	s_getpc_b64 s[4:5]
	s_add_u32 s4, s4, _ZZZZN2at6native31launch_logcumsumexp_cuda_kernelERKNS_10TensorBaseES3_lENKUlvE_clEvENKUlvE2_clEvENKUlN3c107complexIfEES8_E_clES8_S8_@rel32@lo+4
	s_addc_u32 s5, s5, _ZZZZN2at6native31launch_logcumsumexp_cuda_kernelERKNS_10TensorBaseES3_lENKUlvE_clEvENKUlvE2_clEvENKUlN3c107complexIfEES8_E_clES8_S8_@rel32@hi+12
	s_swappc_b64 s[30:31], s[4:5]
	v_mov_b32_e32 v2, v0
	v_mov_b32_e32 v3, v1
.LBB337_28:
	s_or_b32 exec_lo, exec_lo, s36
	s_waitcnt lgkmcnt(1)
	v_add_nc_u32_e32 v0, -1, v32
	s_getpc_b64 s[36:37]
	s_add_u32 s36, s36, _ZZZZN2at6native31launch_logcumsumexp_cuda_kernelERKNS_10TensorBaseES3_lENKUlvE_clEvENKUlvE2_clEvENKUlN3c107complexIfEES8_E_clES8_S8_@rel32@lo+4
	s_addc_u32 s37, s37, _ZZZZN2at6native31launch_logcumsumexp_cuda_kernelERKNS_10TensorBaseES3_lENKUlvE_clEvENKUlvE2_clEvENKUlN3c107complexIfEES8_E_clES8_S8_@rel32@hi+12
	v_cmp_gt_i32_e32 vcc_lo, 0, v0
	v_cndmask_b32_e32 v0, v0, v32, vcc_lo
	s_waitcnt lgkmcnt(0)
	v_lshlrev_b32_e32 v1, 2, v0
	ds_bpermute_b32 v0, v1, v2
	ds_bpermute_b32 v1, v1, v3
	v_mov_b32_e32 v2, v30
	v_mov_b32_e32 v3, v31
	s_swappc_b64 s[30:31], s[36:37]
	v_cndmask_b32_e64 v0, v0, v42, s13
	v_cndmask_b32_e64 v1, v1, v43, s13
	; wave barrier
	ds_write_b64 v36, v[0:1]
	; wave barrier
	ds_read2_b64 v[30:33], v36 offset0:1 offset1:2
	s_waitcnt lgkmcnt(0)
	v_mov_b32_e32 v2, v30
	v_mov_b32_e32 v3, v31
	s_swappc_b64 s[30:31], s[36:37]
	v_mov_b32_e32 v2, v32
	v_mov_b32_e32 v3, v33
	v_mov_b32_e32 v34, v0
	v_mov_b32_e32 v35, v1
	s_swappc_b64 s[30:31], s[36:37]
	ds_read2_b64 v[30:33], v36 offset0:3 offset1:4
	ds_write2_b64 v36, v[34:35], v[0:1] offset0:1 offset1:2
	s_waitcnt lgkmcnt(1)
	v_mov_b32_e32 v2, v30
	v_mov_b32_e32 v3, v31
	s_swappc_b64 s[30:31], s[36:37]
	v_mov_b32_e32 v2, v32
	v_mov_b32_e32 v3, v33
	;; [unrolled: 1-line block ×4, first 2 shown]
	s_swappc_b64 s[30:31], s[36:37]
	ds_read2_b64 v[30:33], v36 offset0:5 offset1:6
	ds_write2_b64 v36, v[34:35], v[0:1] offset0:3 offset1:4
	s_waitcnt lgkmcnt(1)
	v_mov_b32_e32 v2, v30
	v_mov_b32_e32 v3, v31
	s_swappc_b64 s[30:31], s[36:37]
	v_mov_b32_e32 v2, v32
	v_mov_b32_e32 v3, v33
	;; [unrolled: 1-line block ×4, first 2 shown]
	s_swappc_b64 s[30:31], s[36:37]
	ds_read_b64 v[2:3], v36 offset:56
	ds_write2_b64 v36, v[30:31], v[0:1] offset0:5 offset1:6
	s_swappc_b64 s[30:31], s[36:37]
	ds_write_b64 v36, v[0:1] offset:56
.LBB337_29:
	s_or_b32 exec_lo, exec_lo, s39
	s_waitcnt lgkmcnt(0)
	s_waitcnt_vscnt null, 0x0
	s_barrier
	buffer_gl0_inv
	s_and_saveexec_b32 s4, s12
	s_cbranch_execz .LBB337_31
; %bb.30:
	v_add_nc_u32_e32 v0, -1, v41
	v_lshrrev_b32_e32 v1, 2, v0
	v_and_b32_e32 v1, 0x3ffffff8, v1
	v_lshl_add_u32 v0, v0, 3, v1
	ds_read_b64 v[42:43], v0
.LBB337_31:
	s_or_b32 exec_lo, exec_lo, s4
	s_and_saveexec_b32 s36, s14
	s_cbranch_execz .LBB337_72
; %bb.32:
	v_mov_b32_e32 v33, 0
	v_mbcnt_lo_u32_b32 v52, -1, 0
	s_mov_b32 s5, 0
	ds_read_b64 v[30:31], v33 offset:2096
	v_cmp_eq_u32_e64 s14, 0, v52
	s_and_saveexec_b32 s6, s14
	s_cbranch_execz .LBB337_34
; %bb.33:
	s_add_i32 s4, s15, 32
	v_mov_b32_e32 v32, 1
	s_lshl_b64 s[4:5], s[4:5], 4
	s_add_u32 s4, s34, s4
	s_addc_u32 s5, s35, s5
	v_mov_b32_e32 v0, s4
	v_mov_b32_e32 v1, s5
	s_waitcnt lgkmcnt(0)
	;;#ASMSTART
	global_store_dwordx4 v[0:1], v[30:33] off	
s_waitcnt vmcnt(0)
	;;#ASMEND
.LBB337_34:
	s_or_b32 exec_lo, exec_lo, s6
	v_xad_u32 v53, v52, -1, s15
	v_add_nc_u32_e32 v32, 32, v53
	v_lshlrev_b64 v[0:1], 4, v[32:33]
	v_add_co_u32 v0, vcc_lo, s34, v0
	v_add_co_ci_u32_e64 v1, null, s35, v1, vcc_lo
	;;#ASMSTART
	global_load_dwordx4 v[34:37], v[0:1] off glc dlc	
s_waitcnt vmcnt(0)
	;;#ASMEND
	v_cmp_eq_u16_sdwa s5, v36, v33 src0_sel:BYTE_0 src1_sel:DWORD
	s_and_saveexec_b32 s4, s5
	s_cbranch_execz .LBB337_38
; %bb.35:
	v_mov_b32_e32 v2, 0
	s_mov_b32 s5, 0
.LBB337_36:                             ; =>This Inner Loop Header: Depth=1
	;;#ASMSTART
	global_load_dwordx4 v[34:37], v[0:1] off glc dlc	
s_waitcnt vmcnt(0)
	;;#ASMEND
	v_cmp_ne_u16_sdwa s6, v36, v2 src0_sel:BYTE_0 src1_sel:DWORD
	s_or_b32 s5, s6, s5
	s_andn2_b32 exec_lo, exec_lo, s5
	s_cbranch_execnz .LBB337_36
; %bb.37:
	s_or_b32 exec_lo, exec_lo, s5
.LBB337_38:
	s_or_b32 exec_lo, exec_lo, s4
	v_cmp_ne_u32_e32 vcc_lo, 31, v52
	v_mov_b32_e32 v1, 2
	v_lshlrev_b32_e64 v55, v52, -1
	s_mov_b32 s37, exec_lo
	v_add_co_ci_u32_e64 v0, null, 0, v52, vcc_lo
	v_cmp_eq_u16_sdwa s4, v36, v1 src0_sel:BYTE_0 src1_sel:DWORD
	v_lshlrev_b32_e32 v54, 2, v0
	v_and_or_b32 v2, s4, v55, 0x80000000
	ds_bpermute_b32 v0, v54, v34
	ds_bpermute_b32 v1, v54, v35
	v_ffbl_b32_e32 v32, v2
	v_cmpx_lt_u32_e64 v52, v32
	s_cbranch_execz .LBB337_40
; %bb.39:
	v_mov_b32_e32 v2, v34
	v_mov_b32_e32 v3, v35
	s_getpc_b64 s[4:5]
	s_add_u32 s4, s4, _ZZZZN2at6native31launch_logcumsumexp_cuda_kernelERKNS_10TensorBaseES3_lENKUlvE_clEvENKUlvE2_clEvENKUlN3c107complexIfEES8_E_clES8_S8_@rel32@lo+4
	s_addc_u32 s5, s5, _ZZZZN2at6native31launch_logcumsumexp_cuda_kernelERKNS_10TensorBaseES3_lENKUlvE_clEvENKUlvE2_clEvENKUlN3c107complexIfEES8_E_clES8_S8_@rel32@hi+12
	s_swappc_b64 s[30:31], s[4:5]
	v_mov_b32_e32 v34, v0
	v_mov_b32_e32 v35, v1
.LBB337_40:
	s_or_b32 exec_lo, exec_lo, s37
	v_cmp_gt_u32_e32 vcc_lo, 30, v52
	v_add_nc_u32_e32 v57, 2, v52
	s_mov_b32 s37, exec_lo
	s_waitcnt lgkmcnt(1)
	v_cndmask_b32_e64 v0, 0, 2, vcc_lo
	v_add_lshl_u32 v56, v0, v52, 2
	ds_bpermute_b32 v0, v56, v34
	s_waitcnt lgkmcnt(1)
	ds_bpermute_b32 v1, v56, v35
	v_cmpx_le_u32_e64 v57, v32
	s_cbranch_execz .LBB337_42
; %bb.41:
	v_mov_b32_e32 v2, v34
	v_mov_b32_e32 v3, v35
	s_getpc_b64 s[4:5]
	s_add_u32 s4, s4, _ZZZZN2at6native31launch_logcumsumexp_cuda_kernelERKNS_10TensorBaseES3_lENKUlvE_clEvENKUlvE2_clEvENKUlN3c107complexIfEES8_E_clES8_S8_@rel32@lo+4
	s_addc_u32 s5, s5, _ZZZZN2at6native31launch_logcumsumexp_cuda_kernelERKNS_10TensorBaseES3_lENKUlvE_clEvENKUlvE2_clEvENKUlN3c107complexIfEES8_E_clES8_S8_@rel32@hi+12
	s_swappc_b64 s[30:31], s[4:5]
	v_mov_b32_e32 v34, v0
	v_mov_b32_e32 v35, v1
.LBB337_42:
	s_or_b32 exec_lo, exec_lo, s37
	v_cmp_gt_u32_e32 vcc_lo, 28, v52
	v_add_nc_u32_e32 v59, 4, v52
	s_mov_b32 s37, exec_lo
	s_waitcnt lgkmcnt(1)
	v_cndmask_b32_e64 v0, 0, 4, vcc_lo
	v_add_lshl_u32 v58, v0, v52, 2
	ds_bpermute_b32 v0, v58, v34
	s_waitcnt lgkmcnt(1)
	ds_bpermute_b32 v1, v58, v35
	v_cmpx_le_u32_e64 v59, v32
	;; [unrolled: 22-line block ×3, first 2 shown]
	s_cbranch_execz .LBB337_46
; %bb.45:
	v_mov_b32_e32 v2, v34
	v_mov_b32_e32 v3, v35
	s_getpc_b64 s[4:5]
	s_add_u32 s4, s4, _ZZZZN2at6native31launch_logcumsumexp_cuda_kernelERKNS_10TensorBaseES3_lENKUlvE_clEvENKUlvE2_clEvENKUlN3c107complexIfEES8_E_clES8_S8_@rel32@lo+4
	s_addc_u32 s5, s5, _ZZZZN2at6native31launch_logcumsumexp_cuda_kernelERKNS_10TensorBaseES3_lENKUlvE_clEvENKUlvE2_clEvENKUlN3c107complexIfEES8_E_clES8_S8_@rel32@hi+12
	s_swappc_b64 s[30:31], s[4:5]
	v_mov_b32_e32 v34, v0
	v_mov_b32_e32 v35, v1
.LBB337_46:
	s_or_b32 exec_lo, exec_lo, s37
	v_lshl_or_b32 v62, v52, 2, 64
	v_add_nc_u32_e32 v63, 16, v52
	v_mov_b32_e32 v45, 0
	v_mov_b32_e32 v64, 2
	;; [unrolled: 1-line block ×3, first 2 shown]
	ds_bpermute_b32 v37, v62, v34
	ds_bpermute_b32 v38, v62, v35
	v_cmp_le_u32_e64 s37, v63, v32
	v_mov_b32_e32 v39, v36
	v_mov_b32_e32 v3, v35
	;; [unrolled: 1-line block ×3, first 2 shown]
.LBB337_47:                             ; =>This Loop Header: Depth=1
                                        ;     Child Loop BB337_52 Depth 2
	s_waitcnt lgkmcnt(1)
	v_mov_b32_e32 v0, v36
	v_mov_b32_e32 v44, v53
	;; [unrolled: 1-line block ×4, first 2 shown]
	s_and_saveexec_b32 s4, s37
	s_xor_b32 s37, exec_lo, s4
	s_cbranch_execz .LBB337_49
; %bb.48:                               ;   in Loop: Header=BB337_47 Depth=1
	s_waitcnt lgkmcnt(1)
	v_mov_b32_e32 v0, v37
	s_waitcnt lgkmcnt(0)
	v_mov_b32_e32 v1, v38
	s_getpc_b64 s[4:5]
	s_add_u32 s4, s4, _ZZZZN2at6native31launch_logcumsumexp_cuda_kernelERKNS_10TensorBaseES3_lENKUlvE_clEvENKUlvE2_clEvENKUlN3c107complexIfEES8_E_clES8_S8_@rel32@lo+4
	s_addc_u32 s5, s5, _ZZZZN2at6native31launch_logcumsumexp_cuda_kernelERKNS_10TensorBaseES3_lENKUlvE_clEvENKUlvE2_clEvENKUlN3c107complexIfEES8_E_clES8_S8_@rel32@hi+12
	s_swappc_b64 s[30:31], s[4:5]
	v_mov_b32_e32 v32, v0
	v_mov_b32_e32 v33, v1
	;; [unrolled: 1-line block ×4, first 2 shown]
.LBB337_49:                             ;   in Loop: Header=BB337_47 Depth=1
	s_or_b32 exec_lo, exec_lo, s37
	v_cmp_ne_u16_sdwa s4, v0, v64 src0_sel:BYTE_0 src1_sel:DWORD
	s_mov_b32 s37, -1
                                        ; implicit-def: $vgpr37
                                        ; implicit-def: $vgpr40
	s_cmp_lg_u32 s4, exec_lo
	s_mov_b32 s4, -1
	s_cbranch_scc1 .LBB337_65
; %bb.50:                               ;   in Loop: Header=BB337_47 Depth=1
	s_waitcnt lgkmcnt(0)
	v_lshlrev_b64 v[0:1], 4, v[44:45]
	v_add_co_u32 v0, vcc_lo, s34, v0
	v_add_co_ci_u32_e64 v1, null, s35, v1, vcc_lo
	s_waitcnt lgkmcnt(0)
	;;#ASMSTART
	global_load_dwordx4 v[37:40], v[0:1] off glc dlc	
s_waitcnt vmcnt(0)
	;;#ASMEND
	v_cmp_eq_u16_sdwa s5, v39, v45 src0_sel:BYTE_0 src1_sel:DWORD
	s_and_saveexec_b32 s4, s5
	s_cbranch_execz .LBB337_54
; %bb.51:                               ;   in Loop: Header=BB337_47 Depth=1
	s_mov_b32 s5, 0
.LBB337_52:                             ;   Parent Loop BB337_47 Depth=1
                                        ; =>  This Inner Loop Header: Depth=2
	;;#ASMSTART
	global_load_dwordx4 v[37:40], v[0:1] off glc dlc	
s_waitcnt vmcnt(0)
	;;#ASMEND
	v_cmp_ne_u16_sdwa s6, v39, v45 src0_sel:BYTE_0 src1_sel:DWORD
	s_or_b32 s5, s6, s5
	s_andn2_b32 exec_lo, exec_lo, s5
	s_cbranch_execnz .LBB337_52
; %bb.53:                               ;   in Loop: Header=BB337_47 Depth=1
	s_or_b32 exec_lo, exec_lo, s5
.LBB337_54:                             ;   in Loop: Header=BB337_47 Depth=1
	s_or_b32 exec_lo, exec_lo, s4
	ds_bpermute_b32 v0, v54, v37
	ds_bpermute_b32 v1, v54, v38
	v_cmp_eq_u16_sdwa s4, v39, v64 src0_sel:BYTE_0 src1_sel:DWORD
	s_mov_b32 s39, exec_lo
	v_and_or_b32 v2, s4, v55, 0x80000000
	v_ffbl_b32_e32 v40, v2
	v_cmpx_lt_u32_e64 v52, v40
	s_cbranch_execz .LBB337_56
; %bb.55:                               ;   in Loop: Header=BB337_47 Depth=1
	v_mov_b32_e32 v2, v37
	v_mov_b32_e32 v3, v38
	s_getpc_b64 s[4:5]
	s_add_u32 s4, s4, _ZZZZN2at6native31launch_logcumsumexp_cuda_kernelERKNS_10TensorBaseES3_lENKUlvE_clEvENKUlvE2_clEvENKUlN3c107complexIfEES8_E_clES8_S8_@rel32@lo+4
	s_addc_u32 s5, s5, _ZZZZN2at6native31launch_logcumsumexp_cuda_kernelERKNS_10TensorBaseES3_lENKUlvE_clEvENKUlvE2_clEvENKUlN3c107complexIfEES8_E_clES8_S8_@rel32@hi+12
	s_swappc_b64 s[30:31], s[4:5]
	v_mov_b32_e32 v37, v0
	v_mov_b32_e32 v38, v1
.LBB337_56:                             ;   in Loop: Header=BB337_47 Depth=1
	s_or_b32 exec_lo, exec_lo, s39
	s_waitcnt lgkmcnt(1)
	ds_bpermute_b32 v0, v56, v37
	s_waitcnt lgkmcnt(1)
	ds_bpermute_b32 v1, v56, v38
	s_mov_b32 s39, exec_lo
	v_cmpx_le_u32_e64 v57, v40
	s_cbranch_execz .LBB337_58
; %bb.57:                               ;   in Loop: Header=BB337_47 Depth=1
	v_mov_b32_e32 v2, v37
	v_mov_b32_e32 v3, v38
	s_getpc_b64 s[4:5]
	s_add_u32 s4, s4, _ZZZZN2at6native31launch_logcumsumexp_cuda_kernelERKNS_10TensorBaseES3_lENKUlvE_clEvENKUlvE2_clEvENKUlN3c107complexIfEES8_E_clES8_S8_@rel32@lo+4
	s_addc_u32 s5, s5, _ZZZZN2at6native31launch_logcumsumexp_cuda_kernelERKNS_10TensorBaseES3_lENKUlvE_clEvENKUlvE2_clEvENKUlN3c107complexIfEES8_E_clES8_S8_@rel32@hi+12
	s_swappc_b64 s[30:31], s[4:5]
	v_mov_b32_e32 v37, v0
	v_mov_b32_e32 v38, v1
.LBB337_58:                             ;   in Loop: Header=BB337_47 Depth=1
	s_or_b32 exec_lo, exec_lo, s39
	s_waitcnt lgkmcnt(1)
	ds_bpermute_b32 v0, v58, v37
	s_waitcnt lgkmcnt(1)
	ds_bpermute_b32 v1, v58, v38
	s_mov_b32 s39, exec_lo
	v_cmpx_le_u32_e64 v59, v40
	;; [unrolled: 18-line block ×4, first 2 shown]
	s_cbranch_execz .LBB337_64
; %bb.63:                               ;   in Loop: Header=BB337_47 Depth=1
	v_mov_b32_e32 v2, v37
	v_mov_b32_e32 v3, v38
	s_getpc_b64 s[4:5]
	s_add_u32 s4, s4, _ZZZZN2at6native31launch_logcumsumexp_cuda_kernelERKNS_10TensorBaseES3_lENKUlvE_clEvENKUlvE2_clEvENKUlN3c107complexIfEES8_E_clES8_S8_@rel32@lo+4
	s_addc_u32 s5, s5, _ZZZZN2at6native31launch_logcumsumexp_cuda_kernelERKNS_10TensorBaseES3_lENKUlvE_clEvENKUlvE2_clEvENKUlN3c107complexIfEES8_E_clES8_S8_@rel32@hi+12
	s_swappc_b64 s[30:31], s[4:5]
	v_mov_b32_e32 v37, v0
	v_mov_b32_e32 v38, v1
.LBB337_64:                             ;   in Loop: Header=BB337_47 Depth=1
	s_or_b32 exec_lo, exec_lo, s39
	v_subrev_nc_u32_e32 v40, 32, v44
	s_mov_b32 s4, 0
.LBB337_65:                             ;   in Loop: Header=BB337_47 Depth=1
	s_and_b32 vcc_lo, exec_lo, s4
	s_cbranch_vccnz .LBB337_68
; %bb.66:                               ;   in Loop: Header=BB337_47 Depth=1
	v_mov_b32_e32 v3, v33
	v_mov_b32_e32 v2, v32
	s_branch .LBB337_47
.LBB337_67:
                                        ; implicit-def: $vgpr30
                                        ; implicit-def: $vgpr32
                                        ; implicit-def: $vgpr34_vgpr35
                                        ; implicit-def: $vgpr36_vgpr37
	s_cbranch_execnz .LBB337_75
	s_branch .LBB337_94
.LBB337_68:
	s_and_saveexec_b32 s37, s14
	s_cbranch_execz .LBB337_70
; %bb.69:
	s_waitcnt lgkmcnt(1)
	v_mov_b32_e32 v0, v32
	s_waitcnt lgkmcnt(0)
	v_mov_b32_e32 v1, v33
	v_mov_b32_e32 v2, v30
	;; [unrolled: 1-line block ×3, first 2 shown]
	s_getpc_b64 s[4:5]
	s_add_u32 s4, s4, _ZZZZN2at6native31launch_logcumsumexp_cuda_kernelERKNS_10TensorBaseES3_lENKUlvE_clEvENKUlvE2_clEvENKUlN3c107complexIfEES8_E_clES8_S8_@rel32@lo+4
	s_addc_u32 s5, s5, _ZZZZN2at6native31launch_logcumsumexp_cuda_kernelERKNS_10TensorBaseES3_lENKUlvE_clEvENKUlvE2_clEvENKUlN3c107complexIfEES8_E_clES8_S8_@rel32@hi+12
	s_swappc_b64 s[30:31], s[4:5]
	s_add_i32 s4, s15, 32
	s_mov_b32 s5, 0
	v_mov_b32_e32 v2, 2
	s_lshl_b64 s[4:5], s[4:5], 4
	v_mov_b32_e32 v3, 0
	s_add_u32 s4, s34, s4
	s_addc_u32 s5, s35, s5
	v_mov_b32_e32 v4, s4
	v_mov_b32_e32 v5, s5
	;;#ASMSTART
	global_store_dwordx4 v[4:5], v[0:3] off	
s_waitcnt vmcnt(0)
	;;#ASMEND
.LBB337_70:
	s_or_b32 exec_lo, exec_lo, s37
	s_and_b32 exec_lo, exec_lo, s13
	s_cbranch_execz .LBB337_72
; %bb.71:
	s_waitcnt lgkmcnt(1)
	v_mov_b32_e32 v0, 0
	ds_write_b64 v0, v[32:33]
.LBB337_72:
	s_or_b32 exec_lo, exec_lo, s36
	s_waitcnt lgkmcnt(1)
	v_mov_b32_e32 v0, 0
	s_waitcnt lgkmcnt(0)
	s_waitcnt_vscnt null, 0x0
	s_barrier
	buffer_gl0_inv
	v_mov_b32_e32 v2, v22
	ds_read_b64 v[30:31], v0
	v_mov_b32_e32 v3, v23
	s_and_saveexec_b32 s14, s12
	s_cbranch_execz .LBB337_74
; %bb.73:
	v_mov_b32_e32 v0, v42
	v_mov_b32_e32 v1, v43
	;; [unrolled: 1-line block ×4, first 2 shown]
	s_getpc_b64 s[4:5]
	s_add_u32 s4, s4, _ZZZZN2at6native31launch_logcumsumexp_cuda_kernelERKNS_10TensorBaseES3_lENKUlvE_clEvENKUlvE2_clEvENKUlN3c107complexIfEES8_E_clES8_S8_@rel32@lo+4
	s_addc_u32 s5, s5, _ZZZZN2at6native31launch_logcumsumexp_cuda_kernelERKNS_10TensorBaseES3_lENKUlvE_clEvENKUlvE2_clEvENKUlN3c107complexIfEES8_E_clES8_S8_@rel32@hi+12
	s_swappc_b64 s[30:31], s[4:5]
	v_mov_b32_e32 v2, v0
	v_mov_b32_e32 v3, v1
.LBB337_74:
	s_or_b32 exec_lo, exec_lo, s14
	s_waitcnt lgkmcnt(0)
	v_mov_b32_e32 v0, v30
	v_mov_b32_e32 v1, v31
	s_getpc_b64 s[14:15]
	s_add_u32 s14, s14, _ZZZZN2at6native31launch_logcumsumexp_cuda_kernelERKNS_10TensorBaseES3_lENKUlvE_clEvENKUlvE2_clEvENKUlN3c107complexIfEES8_E_clES8_S8_@rel32@lo+4
	s_addc_u32 s15, s15, _ZZZZN2at6native31launch_logcumsumexp_cuda_kernelERKNS_10TensorBaseES3_lENKUlvE_clEvENKUlvE2_clEvENKUlN3c107complexIfEES8_E_clES8_S8_@rel32@hi+12
	s_swappc_b64 s[30:31], s[14:15]
	v_mov_b32_e32 v2, v24
	v_mov_b32_e32 v3, v25
	v_mov_b32_e32 v36, v0
	v_mov_b32_e32 v37, v1
	s_swappc_b64 s[30:31], s[14:15]
	v_mov_b32_e32 v2, v26
	v_mov_b32_e32 v3, v27
	v_mov_b32_e32 v30, v0
	v_mov_b32_e32 v31, v1
	;; [unrolled: 5-line block ×3, first 2 shown]
	s_swappc_b64 s[30:31], s[14:15]
	v_mov_b32_e32 v34, v0
	v_mov_b32_e32 v35, v1
	s_branch .LBB337_94
.LBB337_75:
	s_cmp_lg_u64 s[20:21], 0
	s_cselect_b32 s4, -1, 0
	s_and_b32 s4, s13, s4
	s_and_saveexec_b32 s14, s4
	s_cbranch_execz .LBB337_77
; %bb.76:
	v_mov_b32_e32 v0, 0
	v_mov_b32_e32 v2, v22
	;; [unrolled: 1-line block ×3, first 2 shown]
	s_getpc_b64 s[4:5]
	s_add_u32 s4, s4, _ZZZZN2at6native31launch_logcumsumexp_cuda_kernelERKNS_10TensorBaseES3_lENKUlvE_clEvENKUlvE2_clEvENKUlN3c107complexIfEES8_E_clES8_S8_@rel32@lo+4
	s_addc_u32 s5, s5, _ZZZZN2at6native31launch_logcumsumexp_cuda_kernelERKNS_10TensorBaseES3_lENKUlvE_clEvENKUlvE2_clEvENKUlN3c107complexIfEES8_E_clES8_S8_@rel32@hi+12
	global_load_dwordx2 v[0:1], v0, s[16:17]
	s_swappc_b64 s[30:31], s[4:5]
	v_mov_b32_e32 v22, v0
	v_mov_b32_e32 v23, v1
.LBB337_77:
	s_or_b32 exec_lo, exec_lo, s14
	v_mov_b32_e32 v0, v22
	v_mov_b32_e32 v1, v23
	;; [unrolled: 1-line block ×4, first 2 shown]
	s_getpc_b64 s[14:15]
	s_add_u32 s14, s14, _ZZZZN2at6native31launch_logcumsumexp_cuda_kernelERKNS_10TensorBaseES3_lENKUlvE_clEvENKUlvE2_clEvENKUlN3c107complexIfEES8_E_clES8_S8_@rel32@lo+4
	s_addc_u32 s15, s15, _ZZZZN2at6native31launch_logcumsumexp_cuda_kernelERKNS_10TensorBaseES3_lENKUlvE_clEvENKUlvE2_clEvENKUlN3c107complexIfEES8_E_clES8_S8_@rel32@hi+12
	s_swappc_b64 s[30:31], s[14:15]
	v_mov_b32_e32 v2, v26
	v_mov_b32_e32 v3, v27
	;; [unrolled: 1-line block ×4, first 2 shown]
	s_swappc_b64 s[30:31], s[14:15]
	v_mov_b32_e32 v2, v28
	v_mov_b32_e32 v3, v29
	;; [unrolled: 1-line block ×4, first 2 shown]
	s_swappc_b64 s[30:31], s[14:15]
	v_mov_b32_e32 v34, v0
	v_and_b32_e32 v0, 56, v50
	v_mov_b32_e32 v35, v1
	s_mov_b32 s16, exec_lo
	v_lshl_add_u32 v0, v41, 3, v0
	ds_write_b64 v0, v[34:35]
	s_waitcnt lgkmcnt(0)
	s_waitcnt_vscnt null, 0x0
	s_barrier
	buffer_gl0_inv
	v_cmpx_gt_u32_e32 32, v41
	s_cbranch_execz .LBB337_89
; %bb.78:
	v_lshlrev_b32_e32 v0, 1, v41
	v_lshlrev_b32_e32 v1, 6, v41
	v_and_b32_e32 v0, 0x1f8, v0
	v_add_nc_u32_e32 v40, v0, v1
	ds_read_b64 v[36:37], v40
	ds_read2_b64 v[42:45], v40 offset0:1 offset1:2
	s_waitcnt lgkmcnt(1)
	v_mov_b32_e32 v0, v36
	v_mov_b32_e32 v1, v37
	s_waitcnt lgkmcnt(0)
	v_mov_b32_e32 v2, v42
	v_mov_b32_e32 v3, v43
	s_swappc_b64 s[30:31], s[14:15]
	v_mov_b32_e32 v2, v44
	v_mov_b32_e32 v3, v45
	s_swappc_b64 s[30:31], s[14:15]
	ds_read2_b64 v[42:45], v40 offset0:3 offset1:4
	s_waitcnt lgkmcnt(0)
	v_mov_b32_e32 v2, v42
	v_mov_b32_e32 v3, v43
	s_swappc_b64 s[30:31], s[14:15]
	v_mov_b32_e32 v2, v44
	v_mov_b32_e32 v3, v45
	s_swappc_b64 s[30:31], s[14:15]
	ds_read2_b64 v[42:45], v40 offset0:5 offset1:6
	s_waitcnt lgkmcnt(0)
	v_mov_b32_e32 v2, v42
	v_mov_b32_e32 v3, v43
	s_swappc_b64 s[30:31], s[14:15]
	v_mov_b32_e32 v2, v44
	v_mov_b32_e32 v3, v45
	s_swappc_b64 s[30:31], s[14:15]
	ds_read_b64 v[2:3], v40 offset:56
	s_swappc_b64 s[30:31], s[14:15]
	v_mov_b32_e32 v2, v0
	v_mov_b32_e32 v3, v1
	v_mbcnt_lo_u32_b32 v38, -1, 0
	s_mov_b32 s14, exec_lo
	v_mov_b32_dpp v0, v2 row_shr:1 row_mask:0xf bank_mask:0xf
	v_mov_b32_dpp v1, v3 row_shr:1 row_mask:0xf bank_mask:0xf
	v_and_b32_e32 v39, 15, v38
	v_cmpx_ne_u32_e32 0, v39
	s_cbranch_execz .LBB337_80
; %bb.79:
	s_getpc_b64 s[4:5]
	s_add_u32 s4, s4, _ZZZZN2at6native31launch_logcumsumexp_cuda_kernelERKNS_10TensorBaseES3_lENKUlvE_clEvENKUlvE2_clEvENKUlN3c107complexIfEES8_E_clES8_S8_@rel32@lo+4
	s_addc_u32 s5, s5, _ZZZZN2at6native31launch_logcumsumexp_cuda_kernelERKNS_10TensorBaseES3_lENKUlvE_clEvENKUlvE2_clEvENKUlN3c107complexIfEES8_E_clES8_S8_@rel32@hi+12
	s_swappc_b64 s[30:31], s[4:5]
	v_mov_b32_e32 v2, v0
	v_mov_b32_e32 v3, v1
.LBB337_80:
	s_or_b32 exec_lo, exec_lo, s14
	v_mov_b32_dpp v0, v2 row_shr:2 row_mask:0xf bank_mask:0xf
	v_mov_b32_dpp v1, v3 row_shr:2 row_mask:0xf bank_mask:0xf
	s_mov_b32 s14, exec_lo
	v_cmpx_lt_u32_e32 1, v39
	s_cbranch_execz .LBB337_82
; %bb.81:
	s_getpc_b64 s[4:5]
	s_add_u32 s4, s4, _ZZZZN2at6native31launch_logcumsumexp_cuda_kernelERKNS_10TensorBaseES3_lENKUlvE_clEvENKUlvE2_clEvENKUlN3c107complexIfEES8_E_clES8_S8_@rel32@lo+4
	s_addc_u32 s5, s5, _ZZZZN2at6native31launch_logcumsumexp_cuda_kernelERKNS_10TensorBaseES3_lENKUlvE_clEvENKUlvE2_clEvENKUlN3c107complexIfEES8_E_clES8_S8_@rel32@hi+12
	s_swappc_b64 s[30:31], s[4:5]
	v_mov_b32_e32 v2, v0
	v_mov_b32_e32 v3, v1
.LBB337_82:
	s_or_b32 exec_lo, exec_lo, s14
	v_mov_b32_dpp v0, v2 row_shr:4 row_mask:0xf bank_mask:0xf
	v_mov_b32_dpp v1, v3 row_shr:4 row_mask:0xf bank_mask:0xf
	s_mov_b32 s14, exec_lo
	v_cmpx_lt_u32_e32 3, v39
	;; [unrolled: 14-line block ×3, first 2 shown]
	s_cbranch_execz .LBB337_86
; %bb.85:
	s_getpc_b64 s[4:5]
	s_add_u32 s4, s4, _ZZZZN2at6native31launch_logcumsumexp_cuda_kernelERKNS_10TensorBaseES3_lENKUlvE_clEvENKUlvE2_clEvENKUlN3c107complexIfEES8_E_clES8_S8_@rel32@lo+4
	s_addc_u32 s5, s5, _ZZZZN2at6native31launch_logcumsumexp_cuda_kernelERKNS_10TensorBaseES3_lENKUlvE_clEvENKUlvE2_clEvENKUlN3c107complexIfEES8_E_clES8_S8_@rel32@hi+12
	s_swappc_b64 s[30:31], s[4:5]
	v_mov_b32_e32 v2, v0
	v_mov_b32_e32 v3, v1
.LBB337_86:
	s_or_b32 exec_lo, exec_lo, s14
	ds_swizzle_b32 v0, v2 offset:swizzle(BROADCAST,32,15)
	ds_swizzle_b32 v1, v3 offset:swizzle(BROADCAST,32,15)
	v_and_b32_e32 v4, 16, v38
	s_mov_b32 s14, exec_lo
	v_cmpx_ne_u32_e32 0, v4
	s_cbranch_execz .LBB337_88
; %bb.87:
	s_getpc_b64 s[4:5]
	s_add_u32 s4, s4, _ZZZZN2at6native31launch_logcumsumexp_cuda_kernelERKNS_10TensorBaseES3_lENKUlvE_clEvENKUlvE2_clEvENKUlN3c107complexIfEES8_E_clES8_S8_@rel32@lo+4
	s_addc_u32 s5, s5, _ZZZZN2at6native31launch_logcumsumexp_cuda_kernelERKNS_10TensorBaseES3_lENKUlvE_clEvENKUlvE2_clEvENKUlN3c107complexIfEES8_E_clES8_S8_@rel32@hi+12
	s_swappc_b64 s[30:31], s[4:5]
	v_mov_b32_e32 v2, v0
	v_mov_b32_e32 v3, v1
.LBB337_88:
	s_or_b32 exec_lo, exec_lo, s14
	s_waitcnt lgkmcnt(1)
	v_add_nc_u32_e32 v0, -1, v38
	s_getpc_b64 s[14:15]
	s_add_u32 s14, s14, _ZZZZN2at6native31launch_logcumsumexp_cuda_kernelERKNS_10TensorBaseES3_lENKUlvE_clEvENKUlvE2_clEvENKUlN3c107complexIfEES8_E_clES8_S8_@rel32@lo+4
	s_addc_u32 s15, s15, _ZZZZN2at6native31launch_logcumsumexp_cuda_kernelERKNS_10TensorBaseES3_lENKUlvE_clEvENKUlvE2_clEvENKUlN3c107complexIfEES8_E_clES8_S8_@rel32@hi+12
	v_cmp_gt_i32_e32 vcc_lo, 0, v0
	v_cndmask_b32_e32 v0, v0, v38, vcc_lo
	s_waitcnt lgkmcnt(0)
	v_lshlrev_b32_e32 v1, 2, v0
	ds_bpermute_b32 v0, v1, v2
	ds_bpermute_b32 v1, v1, v3
	v_mov_b32_e32 v2, v36
	v_mov_b32_e32 v3, v37
	s_swappc_b64 s[30:31], s[14:15]
	v_cndmask_b32_e64 v0, v0, v34, s13
	v_cndmask_b32_e64 v1, v1, v35, s13
	; wave barrier
	ds_write_b64 v40, v[0:1]
	; wave barrier
	ds_read2_b64 v[36:39], v40 offset0:1 offset1:2
	s_waitcnt lgkmcnt(0)
	v_mov_b32_e32 v2, v36
	v_mov_b32_e32 v3, v37
	s_swappc_b64 s[30:31], s[14:15]
	v_mov_b32_e32 v2, v38
	v_mov_b32_e32 v3, v39
	;; [unrolled: 1-line block ×4, first 2 shown]
	s_swappc_b64 s[30:31], s[14:15]
	ds_read2_b64 v[36:39], v40 offset0:3 offset1:4
	ds_write2_b64 v40, v[42:43], v[0:1] offset0:1 offset1:2
	s_waitcnt lgkmcnt(1)
	v_mov_b32_e32 v2, v36
	v_mov_b32_e32 v3, v37
	s_swappc_b64 s[30:31], s[14:15]
	v_mov_b32_e32 v2, v38
	v_mov_b32_e32 v3, v39
	;; [unrolled: 1-line block ×4, first 2 shown]
	s_swappc_b64 s[30:31], s[14:15]
	ds_read2_b64 v[36:39], v40 offset0:5 offset1:6
	ds_write2_b64 v40, v[42:43], v[0:1] offset0:3 offset1:4
	s_waitcnt lgkmcnt(1)
	v_mov_b32_e32 v2, v36
	v_mov_b32_e32 v3, v37
	s_swappc_b64 s[30:31], s[14:15]
	v_mov_b32_e32 v2, v38
	v_mov_b32_e32 v3, v39
	;; [unrolled: 1-line block ×4, first 2 shown]
	s_swappc_b64 s[30:31], s[14:15]
	ds_read_b64 v[2:3], v40 offset:56
	ds_write2_b64 v40, v[36:37], v[0:1] offset0:5 offset1:6
	s_swappc_b64 s[30:31], s[14:15]
	ds_write_b64 v40, v[0:1] offset:56
.LBB337_89:
	s_or_b32 exec_lo, exec_lo, s16
	s_waitcnt lgkmcnt(0)
	s_waitcnt_vscnt null, 0x0
	s_barrier
	buffer_gl0_inv
	s_and_saveexec_b32 s13, s12
	s_cbranch_execz .LBB337_91
; %bb.90:
	v_add_nc_u32_e32 v0, -1, v41
	v_mov_b32_e32 v2, v22
	v_mov_b32_e32 v3, v23
	s_getpc_b64 s[14:15]
	s_add_u32 s14, s14, _ZZZZN2at6native31launch_logcumsumexp_cuda_kernelERKNS_10TensorBaseES3_lENKUlvE_clEvENKUlvE2_clEvENKUlN3c107complexIfEES8_E_clES8_S8_@rel32@lo+4
	s_addc_u32 s15, s15, _ZZZZN2at6native31launch_logcumsumexp_cuda_kernelERKNS_10TensorBaseES3_lENKUlvE_clEvENKUlvE2_clEvENKUlN3c107complexIfEES8_E_clES8_S8_@rel32@hi+12
	v_lshrrev_b32_e32 v1, 2, v0
	v_and_b32_e32 v1, 0x3ffffff8, v1
	v_lshl_add_u32 v0, v0, 3, v1
	ds_read_b64 v[0:1], v0
	s_swappc_b64 s[30:31], s[14:15]
	v_mov_b32_e32 v2, v24
	v_mov_b32_e32 v3, v25
	;; [unrolled: 1-line block ×4, first 2 shown]
	;;#ASMSTART
	;;#ASMEND
	s_swappc_b64 s[30:31], s[14:15]
	v_mov_b32_e32 v2, v26
	v_mov_b32_e32 v3, v27
	;; [unrolled: 1-line block ×4, first 2 shown]
	s_swappc_b64 s[30:31], s[14:15]
	v_mov_b32_e32 v2, v28
	v_mov_b32_e32 v3, v29
	;; [unrolled: 1-line block ×4, first 2 shown]
	s_swappc_b64 s[30:31], s[14:15]
	v_mov_b32_e32 v34, v0
	v_mov_b32_e32 v35, v1
.LBB337_91:
	s_or_b32 exec_lo, exec_lo, s13
	s_mov_b32 s4, exec_lo
	v_cmpx_eq_u32_e32 0xff, v41
	s_cbranch_execz .LBB337_93
; %bb.92:
	s_add_u32 s6, s34, 0x200
	s_addc_u32 s7, s35, 0
	v_mov_b32_e32 v4, s6
	v_mov_b32_e32 v2, 2
	;; [unrolled: 1-line block ×6, first 2 shown]
	;;#ASMSTART
	global_store_dwordx4 v[4:5], v[0:3] off	
s_waitcnt vmcnt(0)
	;;#ASMEND
.LBB337_93:
	s_or_b32 exec_lo, exec_lo, s4
	v_mov_b32_e32 v36, v22
	v_mov_b32_e32 v37, v23
.LBB337_94:
	s_add_u32 s4, s28, s26
	s_addc_u32 s5, s29, s27
	s_add_u32 s4, s4, s24
	s_addc_u32 s5, s5, s25
	s_and_b32 vcc_lo, exec_lo, s11
	s_mov_b32 s6, -1
	s_waitcnt_vscnt null, 0x0
	s_barrier
	buffer_gl0_inv
	s_cbranch_vccz .LBB337_96
; %bb.95:
	v_lshrrev_b32_e32 v0, 2, v48
	v_lshrrev_b32_e32 v1, 2, v46
	;; [unrolled: 1-line block ×3, first 2 shown]
	v_and_b32_e32 v3, 56, v50
	ds_write2_b64 v51, v[36:37], v[30:31] offset1:1
	ds_write2_b64 v51, v[32:33], v[34:35] offset0:2 offset1:3
	v_and_b32_e32 v0, 0x78, v0
	v_and_b32_e32 v1, 0xb8, v1
	;; [unrolled: 1-line block ×3, first 2 shown]
	v_add_nc_u32_e32 v3, v3, v49
	s_waitcnt lgkmcnt(0)
	v_add_nc_u32_e32 v4, v0, v49
	v_add_nc_u32_e32 v5, v1, v49
	;; [unrolled: 1-line block ×3, first 2 shown]
	s_barrier
	buffer_gl0_inv
	ds_read_b64 v[0:1], v3
	ds_read_b64 v[2:3], v4 offset:2048
	ds_read_b64 v[4:5], v5 offset:4096
	;; [unrolled: 1-line block ×3, first 2 shown]
	v_add_co_u32 v10, s6, s4, v49
	v_add_co_ci_u32_e64 v11, null, s5, 0, s6
	s_mov_b32 s6, 0
	v_add_co_u32 v8, vcc_lo, v10, 0x1000
	v_add_co_ci_u32_e64 v9, null, 0, v11, vcc_lo
	v_add_co_u32 v10, vcc_lo, 0x1800, v10
	v_add_co_ci_u32_e64 v11, null, 0, v11, vcc_lo
	s_waitcnt lgkmcnt(3)
	global_store_dwordx2 v49, v[0:1], s[4:5]
	s_waitcnt lgkmcnt(2)
	global_store_dwordx2 v[8:9], v[2:3], off offset:-2048
	s_waitcnt lgkmcnt(1)
	global_store_dwordx2 v[8:9], v[4:5], off
	s_waitcnt lgkmcnt(0)
	global_store_dwordx2 v[10:11], v[6:7], off
.LBB337_96:
	s_andn2_b32 vcc_lo, exec_lo, s6
	s_cbranch_vccnz .LBB337_102
; %bb.97:
	v_lshrrev_b32_e32 v0, 2, v48
	v_lshrrev_b32_e32 v1, 2, v46
	;; [unrolled: 1-line block ×3, first 2 shown]
	v_and_b32_e32 v3, 56, v50
	ds_write2_b64 v51, v[36:37], v[30:31] offset1:1
	ds_write2_b64 v51, v[32:33], v[34:35] offset0:2 offset1:3
	v_and_b32_e32 v0, 0x78, v0
	v_and_b32_e32 v1, 0xb8, v1
	v_and_b32_e32 v2, 0xf8, v2
	v_add_nc_u32_e32 v10, v3, v49
	s_waitcnt lgkmcnt(0)
	s_waitcnt_vscnt null, 0x0
	v_add_nc_u32_e32 v0, v0, v49
	v_add_nc_u32_e32 v4, v1, v49
	;; [unrolled: 1-line block ×3, first 2 shown]
	s_barrier
	buffer_gl0_inv
	ds_read_b64 v[2:3], v10
	ds_read_b64 v[0:1], v0 offset:2048
	ds_read_b64 v[4:5], v4 offset:4096
	;; [unrolled: 1-line block ×3, first 2 shown]
	v_add_co_u32 v8, s4, s4, v49
	v_mov_b32_e32 v42, 0
	v_add_co_ci_u32_e64 v9, null, s5, 0, s4
	s_mov_b32 s4, exec_lo
	v_cmpx_gt_u32_e64 s33, v41
	s_cbranch_execnz .LBB337_103
; %bb.98:
	s_or_b32 exec_lo, exec_lo, s4
	s_mov_b32 s4, exec_lo
	v_cmpx_gt_u32_e64 s33, v48
	s_cbranch_execnz .LBB337_104
.LBB337_99:
	s_or_b32 exec_lo, exec_lo, s4
	s_mov_b32 s4, exec_lo
	v_cmpx_gt_u32_e64 s33, v46
	s_cbranch_execnz .LBB337_105
.LBB337_100:
	s_or_b32 exec_lo, exec_lo, s4
	s_mov_b32 s4, exec_lo
	v_cmpx_gt_u32_e64 s33, v47
	s_cbranch_execnz .LBB337_106
.LBB337_101:
	s_or_b32 exec_lo, exec_lo, s4
	v_cmp_lt_u64_e64 s4, s[22:23], 2
	s_and_b32 vcc_lo, exec_lo, s4
	s_cbranch_vccz .LBB337_107
.LBB337_102:
	s_endpgm
.LBB337_103:
	ds_read_b64 v[10:11], v10
	s_waitcnt lgkmcnt(0)
	global_store_dwordx2 v[8:9], v[10:11], off
	s_or_b32 exec_lo, exec_lo, s4
	s_mov_b32 s4, exec_lo
	v_cmpx_gt_u32_e64 s33, v48
	s_cbranch_execz .LBB337_99
.LBB337_104:
	v_add_co_u32 v10, vcc_lo, 0x800, v8
	v_add_co_ci_u32_e64 v11, null, 0, v9, vcc_lo
	s_waitcnt lgkmcnt(2)
	global_store_dwordx2 v[10:11], v[0:1], off
	s_or_b32 exec_lo, exec_lo, s4
	s_mov_b32 s4, exec_lo
	v_cmpx_gt_u32_e64 s33, v46
	s_cbranch_execz .LBB337_100
.LBB337_105:
	v_add_co_u32 v10, vcc_lo, 0x1000, v8
	v_add_co_ci_u32_e64 v11, null, 0, v9, vcc_lo
	s_waitcnt lgkmcnt(1)
	global_store_dwordx2 v[10:11], v[4:5], off
	s_or_b32 exec_lo, exec_lo, s4
	s_mov_b32 s4, exec_lo
	v_cmpx_gt_u32_e64 s33, v47
	s_cbranch_execz .LBB337_101
.LBB337_106:
	v_add_co_u32 v8, vcc_lo, 0x1800, v8
	v_add_co_ci_u32_e64 v9, null, 0, v9, vcc_lo
	s_waitcnt lgkmcnt(0)
	global_store_dwordx2 v[8:9], v[6:7], off
	s_or_b32 exec_lo, exec_lo, s4
	v_cmp_lt_u64_e64 s4, s[22:23], 2
	s_and_b32 vcc_lo, exec_lo, s4
	s_cbranch_vccnz .LBB337_102
.LBB337_107:
	s_add_u32 s4, s33, -1
	s_addc_u32 s5, s38, -1
	s_lshr_b64 s[6:7], s[4:5], 2
	s_mov_b32 s5, exec_lo
	v_cmpx_eq_u64_e64 s[6:7], v[41:42]
	s_cbranch_execz .LBB337_102
; %bb.108:
	s_and_b32 s4, s4, 3
	s_mov_b32 s5, 0
	v_cmp_lt_i64_e64 s6, s[4:5], 2
	s_and_b32 vcc_lo, exec_lo, s6
	s_mov_b32 s6, -1
	s_cbranch_vccnz .LBB337_114
; %bb.109:
	v_cmp_gt_i64_e64 s6, s[4:5], 2
	s_and_b32 vcc_lo, exec_lo, s6
	s_mov_b32 s6, -1
	s_cbranch_vccz .LBB337_111
; %bb.110:
	v_mov_b32_e32 v8, 0
	s_mov_b32 s6, 0
	s_waitcnt lgkmcnt(0)
	global_store_dwordx2 v8, v[6:7], s[18:19]
.LBB337_111:
	s_andn2_b32 vcc_lo, exec_lo, s6
	s_cbranch_vccnz .LBB337_113
; %bb.112:
	s_waitcnt lgkmcnt(0)
	v_mov_b32_e32 v6, 0
	global_store_dwordx2 v6, v[4:5], s[18:19]
.LBB337_113:
	s_mov_b32 s6, 0
.LBB337_114:
	s_andn2_b32 vcc_lo, exec_lo, s6
	s_cbranch_vccnz .LBB337_102
; %bb.115:
	s_cmp_eq_u64 s[4:5], 1
	s_mov_b32 s4, -1
	s_cbranch_scc1 .LBB337_117
; %bb.116:
	s_waitcnt lgkmcnt(1)
	v_mov_b32_e32 v4, 0
	s_mov_b32 s4, 0
	global_store_dwordx2 v4, v[2:3], s[18:19]
.LBB337_117:
	s_andn2_b32 vcc_lo, exec_lo, s4
	s_cbranch_vccnz .LBB337_102
; %bb.118:
	s_waitcnt lgkmcnt(3)
	v_mov_b32_e32 v2, 0
	s_waitcnt lgkmcnt(2)
	global_store_dwordx2 v2, v[0:1], s[18:19]
	s_endpgm
	.section	.rodata,"a",@progbits
	.p2align	6, 0x0
	.amdhsa_kernel _ZN7rocprim17ROCPRIM_400000_NS6detail17trampoline_kernelINS0_14default_configENS1_20scan_config_selectorIN3c107complexIfEEEEZZNS1_9scan_implILNS1_25lookback_scan_determinismE0ELb0ELb0ES3_PKS7_PS7_S7_ZZZN2at6native31launch_logcumsumexp_cuda_kernelERKNSE_10TensorBaseESI_lENKUlvE_clEvENKUlvE2_clEvEUlS7_S7_E_S7_EEDaPvRmT3_T4_T5_mT6_P12ihipStream_tbENKUlT_T0_E_clISt17integral_constantIbLb0EESY_IbLb1EEEEDaSU_SV_EUlSU_E_NS1_11comp_targetILNS1_3genE8ELNS1_11target_archE1030ELNS1_3gpuE2ELNS1_3repE0EEENS1_30default_config_static_selectorELNS0_4arch9wavefront6targetE0EEEvT1_
		.amdhsa_group_segment_fixed_size 8448
		.amdhsa_private_segment_fixed_size 0
		.amdhsa_kernarg_size 104
		.amdhsa_user_sgpr_count 6
		.amdhsa_user_sgpr_private_segment_buffer 1
		.amdhsa_user_sgpr_dispatch_ptr 0
		.amdhsa_user_sgpr_queue_ptr 0
		.amdhsa_user_sgpr_kernarg_segment_ptr 1
		.amdhsa_user_sgpr_dispatch_id 0
		.amdhsa_user_sgpr_flat_scratch_init 0
		.amdhsa_user_sgpr_private_segment_size 0
		.amdhsa_wavefront_size32 1
		.amdhsa_uses_dynamic_stack 0
		.amdhsa_system_sgpr_private_segment_wavefront_offset 0
		.amdhsa_system_sgpr_workgroup_id_x 1
		.amdhsa_system_sgpr_workgroup_id_y 0
		.amdhsa_system_sgpr_workgroup_id_z 0
		.amdhsa_system_sgpr_workgroup_info 0
		.amdhsa_system_vgpr_workitem_id 0
		.amdhsa_next_free_vgpr 65
		.amdhsa_next_free_sgpr 40
		.amdhsa_reserve_vcc 1
		.amdhsa_reserve_flat_scratch 0
		.amdhsa_float_round_mode_32 0
		.amdhsa_float_round_mode_16_64 0
		.amdhsa_float_denorm_mode_32 3
		.amdhsa_float_denorm_mode_16_64 3
		.amdhsa_dx10_clamp 1
		.amdhsa_ieee_mode 1
		.amdhsa_fp16_overflow 0
		.amdhsa_workgroup_processor_mode 1
		.amdhsa_memory_ordered 1
		.amdhsa_forward_progress 1
		.amdhsa_shared_vgpr_count 0
		.amdhsa_exception_fp_ieee_invalid_op 0
		.amdhsa_exception_fp_denorm_src 0
		.amdhsa_exception_fp_ieee_div_zero 0
		.amdhsa_exception_fp_ieee_overflow 0
		.amdhsa_exception_fp_ieee_underflow 0
		.amdhsa_exception_fp_ieee_inexact 0
		.amdhsa_exception_int_div_zero 0
	.end_amdhsa_kernel
	.section	.text._ZN7rocprim17ROCPRIM_400000_NS6detail17trampoline_kernelINS0_14default_configENS1_20scan_config_selectorIN3c107complexIfEEEEZZNS1_9scan_implILNS1_25lookback_scan_determinismE0ELb0ELb0ES3_PKS7_PS7_S7_ZZZN2at6native31launch_logcumsumexp_cuda_kernelERKNSE_10TensorBaseESI_lENKUlvE_clEvENKUlvE2_clEvEUlS7_S7_E_S7_EEDaPvRmT3_T4_T5_mT6_P12ihipStream_tbENKUlT_T0_E_clISt17integral_constantIbLb0EESY_IbLb1EEEEDaSU_SV_EUlSU_E_NS1_11comp_targetILNS1_3genE8ELNS1_11target_archE1030ELNS1_3gpuE2ELNS1_3repE0EEENS1_30default_config_static_selectorELNS0_4arch9wavefront6targetE0EEEvT1_,"axG",@progbits,_ZN7rocprim17ROCPRIM_400000_NS6detail17trampoline_kernelINS0_14default_configENS1_20scan_config_selectorIN3c107complexIfEEEEZZNS1_9scan_implILNS1_25lookback_scan_determinismE0ELb0ELb0ES3_PKS7_PS7_S7_ZZZN2at6native31launch_logcumsumexp_cuda_kernelERKNSE_10TensorBaseESI_lENKUlvE_clEvENKUlvE2_clEvEUlS7_S7_E_S7_EEDaPvRmT3_T4_T5_mT6_P12ihipStream_tbENKUlT_T0_E_clISt17integral_constantIbLb0EESY_IbLb1EEEEDaSU_SV_EUlSU_E_NS1_11comp_targetILNS1_3genE8ELNS1_11target_archE1030ELNS1_3gpuE2ELNS1_3repE0EEENS1_30default_config_static_selectorELNS0_4arch9wavefront6targetE0EEEvT1_,comdat
.Lfunc_end337:
	.size	_ZN7rocprim17ROCPRIM_400000_NS6detail17trampoline_kernelINS0_14default_configENS1_20scan_config_selectorIN3c107complexIfEEEEZZNS1_9scan_implILNS1_25lookback_scan_determinismE0ELb0ELb0ES3_PKS7_PS7_S7_ZZZN2at6native31launch_logcumsumexp_cuda_kernelERKNSE_10TensorBaseESI_lENKUlvE_clEvENKUlvE2_clEvEUlS7_S7_E_S7_EEDaPvRmT3_T4_T5_mT6_P12ihipStream_tbENKUlT_T0_E_clISt17integral_constantIbLb0EESY_IbLb1EEEEDaSU_SV_EUlSU_E_NS1_11comp_targetILNS1_3genE8ELNS1_11target_archE1030ELNS1_3gpuE2ELNS1_3repE0EEENS1_30default_config_static_selectorELNS0_4arch9wavefront6targetE0EEEvT1_, .Lfunc_end337-_ZN7rocprim17ROCPRIM_400000_NS6detail17trampoline_kernelINS0_14default_configENS1_20scan_config_selectorIN3c107complexIfEEEEZZNS1_9scan_implILNS1_25lookback_scan_determinismE0ELb0ELb0ES3_PKS7_PS7_S7_ZZZN2at6native31launch_logcumsumexp_cuda_kernelERKNSE_10TensorBaseESI_lENKUlvE_clEvENKUlvE2_clEvEUlS7_S7_E_S7_EEDaPvRmT3_T4_T5_mT6_P12ihipStream_tbENKUlT_T0_E_clISt17integral_constantIbLb0EESY_IbLb1EEEEDaSU_SV_EUlSU_E_NS1_11comp_targetILNS1_3genE8ELNS1_11target_archE1030ELNS1_3gpuE2ELNS1_3repE0EEENS1_30default_config_static_selectorELNS0_4arch9wavefront6targetE0EEEvT1_
                                        ; -- End function
	.set _ZN7rocprim17ROCPRIM_400000_NS6detail17trampoline_kernelINS0_14default_configENS1_20scan_config_selectorIN3c107complexIfEEEEZZNS1_9scan_implILNS1_25lookback_scan_determinismE0ELb0ELb0ES3_PKS7_PS7_S7_ZZZN2at6native31launch_logcumsumexp_cuda_kernelERKNSE_10TensorBaseESI_lENKUlvE_clEvENKUlvE2_clEvEUlS7_S7_E_S7_EEDaPvRmT3_T4_T5_mT6_P12ihipStream_tbENKUlT_T0_E_clISt17integral_constantIbLb0EESY_IbLb1EEEEDaSU_SV_EUlSU_E_NS1_11comp_targetILNS1_3genE8ELNS1_11target_archE1030ELNS1_3gpuE2ELNS1_3repE0EEENS1_30default_config_static_selectorELNS0_4arch9wavefront6targetE0EEEvT1_.num_vgpr, max(65, .L_ZZZZN2at6native31launch_logcumsumexp_cuda_kernelERKNS_10TensorBaseES3_lENKUlvE_clEvENKUlvE2_clEvENKUlN3c107complexIfEES8_E_clES8_S8_.num_vgpr)
	.set _ZN7rocprim17ROCPRIM_400000_NS6detail17trampoline_kernelINS0_14default_configENS1_20scan_config_selectorIN3c107complexIfEEEEZZNS1_9scan_implILNS1_25lookback_scan_determinismE0ELb0ELb0ES3_PKS7_PS7_S7_ZZZN2at6native31launch_logcumsumexp_cuda_kernelERKNSE_10TensorBaseESI_lENKUlvE_clEvENKUlvE2_clEvEUlS7_S7_E_S7_EEDaPvRmT3_T4_T5_mT6_P12ihipStream_tbENKUlT_T0_E_clISt17integral_constantIbLb0EESY_IbLb1EEEEDaSU_SV_EUlSU_E_NS1_11comp_targetILNS1_3genE8ELNS1_11target_archE1030ELNS1_3gpuE2ELNS1_3repE0EEENS1_30default_config_static_selectorELNS0_4arch9wavefront6targetE0EEEvT1_.num_agpr, max(0, .L_ZZZZN2at6native31launch_logcumsumexp_cuda_kernelERKNS_10TensorBaseES3_lENKUlvE_clEvENKUlvE2_clEvENKUlN3c107complexIfEES8_E_clES8_S8_.num_agpr)
	.set _ZN7rocprim17ROCPRIM_400000_NS6detail17trampoline_kernelINS0_14default_configENS1_20scan_config_selectorIN3c107complexIfEEEEZZNS1_9scan_implILNS1_25lookback_scan_determinismE0ELb0ELb0ES3_PKS7_PS7_S7_ZZZN2at6native31launch_logcumsumexp_cuda_kernelERKNSE_10TensorBaseESI_lENKUlvE_clEvENKUlvE2_clEvEUlS7_S7_E_S7_EEDaPvRmT3_T4_T5_mT6_P12ihipStream_tbENKUlT_T0_E_clISt17integral_constantIbLb0EESY_IbLb1EEEEDaSU_SV_EUlSU_E_NS1_11comp_targetILNS1_3genE8ELNS1_11target_archE1030ELNS1_3gpuE2ELNS1_3repE0EEENS1_30default_config_static_selectorELNS0_4arch9wavefront6targetE0EEEvT1_.numbered_sgpr, max(40, .L_ZZZZN2at6native31launch_logcumsumexp_cuda_kernelERKNS_10TensorBaseES3_lENKUlvE_clEvENKUlvE2_clEvENKUlN3c107complexIfEES8_E_clES8_S8_.numbered_sgpr)
	.set _ZN7rocprim17ROCPRIM_400000_NS6detail17trampoline_kernelINS0_14default_configENS1_20scan_config_selectorIN3c107complexIfEEEEZZNS1_9scan_implILNS1_25lookback_scan_determinismE0ELb0ELb0ES3_PKS7_PS7_S7_ZZZN2at6native31launch_logcumsumexp_cuda_kernelERKNSE_10TensorBaseESI_lENKUlvE_clEvENKUlvE2_clEvEUlS7_S7_E_S7_EEDaPvRmT3_T4_T5_mT6_P12ihipStream_tbENKUlT_T0_E_clISt17integral_constantIbLb0EESY_IbLb1EEEEDaSU_SV_EUlSU_E_NS1_11comp_targetILNS1_3genE8ELNS1_11target_archE1030ELNS1_3gpuE2ELNS1_3repE0EEENS1_30default_config_static_selectorELNS0_4arch9wavefront6targetE0EEEvT1_.num_named_barrier, max(0, .L_ZZZZN2at6native31launch_logcumsumexp_cuda_kernelERKNS_10TensorBaseES3_lENKUlvE_clEvENKUlvE2_clEvENKUlN3c107complexIfEES8_E_clES8_S8_.num_named_barrier)
	.set _ZN7rocprim17ROCPRIM_400000_NS6detail17trampoline_kernelINS0_14default_configENS1_20scan_config_selectorIN3c107complexIfEEEEZZNS1_9scan_implILNS1_25lookback_scan_determinismE0ELb0ELb0ES3_PKS7_PS7_S7_ZZZN2at6native31launch_logcumsumexp_cuda_kernelERKNSE_10TensorBaseESI_lENKUlvE_clEvENKUlvE2_clEvEUlS7_S7_E_S7_EEDaPvRmT3_T4_T5_mT6_P12ihipStream_tbENKUlT_T0_E_clISt17integral_constantIbLb0EESY_IbLb1EEEEDaSU_SV_EUlSU_E_NS1_11comp_targetILNS1_3genE8ELNS1_11target_archE1030ELNS1_3gpuE2ELNS1_3repE0EEENS1_30default_config_static_selectorELNS0_4arch9wavefront6targetE0EEEvT1_.private_seg_size, 0+max(.L_ZZZZN2at6native31launch_logcumsumexp_cuda_kernelERKNS_10TensorBaseES3_lENKUlvE_clEvENKUlvE2_clEvENKUlN3c107complexIfEES8_E_clES8_S8_.private_seg_size)
	.set _ZN7rocprim17ROCPRIM_400000_NS6detail17trampoline_kernelINS0_14default_configENS1_20scan_config_selectorIN3c107complexIfEEEEZZNS1_9scan_implILNS1_25lookback_scan_determinismE0ELb0ELb0ES3_PKS7_PS7_S7_ZZZN2at6native31launch_logcumsumexp_cuda_kernelERKNSE_10TensorBaseESI_lENKUlvE_clEvENKUlvE2_clEvEUlS7_S7_E_S7_EEDaPvRmT3_T4_T5_mT6_P12ihipStream_tbENKUlT_T0_E_clISt17integral_constantIbLb0EESY_IbLb1EEEEDaSU_SV_EUlSU_E_NS1_11comp_targetILNS1_3genE8ELNS1_11target_archE1030ELNS1_3gpuE2ELNS1_3repE0EEENS1_30default_config_static_selectorELNS0_4arch9wavefront6targetE0EEEvT1_.uses_vcc, or(1, .L_ZZZZN2at6native31launch_logcumsumexp_cuda_kernelERKNS_10TensorBaseES3_lENKUlvE_clEvENKUlvE2_clEvENKUlN3c107complexIfEES8_E_clES8_S8_.uses_vcc)
	.set _ZN7rocprim17ROCPRIM_400000_NS6detail17trampoline_kernelINS0_14default_configENS1_20scan_config_selectorIN3c107complexIfEEEEZZNS1_9scan_implILNS1_25lookback_scan_determinismE0ELb0ELb0ES3_PKS7_PS7_S7_ZZZN2at6native31launch_logcumsumexp_cuda_kernelERKNSE_10TensorBaseESI_lENKUlvE_clEvENKUlvE2_clEvEUlS7_S7_E_S7_EEDaPvRmT3_T4_T5_mT6_P12ihipStream_tbENKUlT_T0_E_clISt17integral_constantIbLb0EESY_IbLb1EEEEDaSU_SV_EUlSU_E_NS1_11comp_targetILNS1_3genE8ELNS1_11target_archE1030ELNS1_3gpuE2ELNS1_3repE0EEENS1_30default_config_static_selectorELNS0_4arch9wavefront6targetE0EEEvT1_.uses_flat_scratch, or(0, .L_ZZZZN2at6native31launch_logcumsumexp_cuda_kernelERKNS_10TensorBaseES3_lENKUlvE_clEvENKUlvE2_clEvENKUlN3c107complexIfEES8_E_clES8_S8_.uses_flat_scratch)
	.set _ZN7rocprim17ROCPRIM_400000_NS6detail17trampoline_kernelINS0_14default_configENS1_20scan_config_selectorIN3c107complexIfEEEEZZNS1_9scan_implILNS1_25lookback_scan_determinismE0ELb0ELb0ES3_PKS7_PS7_S7_ZZZN2at6native31launch_logcumsumexp_cuda_kernelERKNSE_10TensorBaseESI_lENKUlvE_clEvENKUlvE2_clEvEUlS7_S7_E_S7_EEDaPvRmT3_T4_T5_mT6_P12ihipStream_tbENKUlT_T0_E_clISt17integral_constantIbLb0EESY_IbLb1EEEEDaSU_SV_EUlSU_E_NS1_11comp_targetILNS1_3genE8ELNS1_11target_archE1030ELNS1_3gpuE2ELNS1_3repE0EEENS1_30default_config_static_selectorELNS0_4arch9wavefront6targetE0EEEvT1_.has_dyn_sized_stack, or(0, .L_ZZZZN2at6native31launch_logcumsumexp_cuda_kernelERKNS_10TensorBaseES3_lENKUlvE_clEvENKUlvE2_clEvENKUlN3c107complexIfEES8_E_clES8_S8_.has_dyn_sized_stack)
	.set _ZN7rocprim17ROCPRIM_400000_NS6detail17trampoline_kernelINS0_14default_configENS1_20scan_config_selectorIN3c107complexIfEEEEZZNS1_9scan_implILNS1_25lookback_scan_determinismE0ELb0ELb0ES3_PKS7_PS7_S7_ZZZN2at6native31launch_logcumsumexp_cuda_kernelERKNSE_10TensorBaseESI_lENKUlvE_clEvENKUlvE2_clEvEUlS7_S7_E_S7_EEDaPvRmT3_T4_T5_mT6_P12ihipStream_tbENKUlT_T0_E_clISt17integral_constantIbLb0EESY_IbLb1EEEEDaSU_SV_EUlSU_E_NS1_11comp_targetILNS1_3genE8ELNS1_11target_archE1030ELNS1_3gpuE2ELNS1_3repE0EEENS1_30default_config_static_selectorELNS0_4arch9wavefront6targetE0EEEvT1_.has_recursion, or(0, .L_ZZZZN2at6native31launch_logcumsumexp_cuda_kernelERKNS_10TensorBaseES3_lENKUlvE_clEvENKUlvE2_clEvENKUlN3c107complexIfEES8_E_clES8_S8_.has_recursion)
	.set _ZN7rocprim17ROCPRIM_400000_NS6detail17trampoline_kernelINS0_14default_configENS1_20scan_config_selectorIN3c107complexIfEEEEZZNS1_9scan_implILNS1_25lookback_scan_determinismE0ELb0ELb0ES3_PKS7_PS7_S7_ZZZN2at6native31launch_logcumsumexp_cuda_kernelERKNSE_10TensorBaseESI_lENKUlvE_clEvENKUlvE2_clEvEUlS7_S7_E_S7_EEDaPvRmT3_T4_T5_mT6_P12ihipStream_tbENKUlT_T0_E_clISt17integral_constantIbLb0EESY_IbLb1EEEEDaSU_SV_EUlSU_E_NS1_11comp_targetILNS1_3genE8ELNS1_11target_archE1030ELNS1_3gpuE2ELNS1_3repE0EEENS1_30default_config_static_selectorELNS0_4arch9wavefront6targetE0EEEvT1_.has_indirect_call, or(0, .L_ZZZZN2at6native31launch_logcumsumexp_cuda_kernelERKNS_10TensorBaseES3_lENKUlvE_clEvENKUlvE2_clEvENKUlN3c107complexIfEES8_E_clES8_S8_.has_indirect_call)
	.section	.AMDGPU.csdata,"",@progbits
; Kernel info:
; codeLenInByte = 5936
; TotalNumSgprs: 42
; NumVgprs: 65
; ScratchSize: 0
; MemoryBound: 0
; FloatMode: 240
; IeeeMode: 1
; LDSByteSize: 8448 bytes/workgroup (compile time only)
; SGPRBlocks: 0
; VGPRBlocks: 8
; NumSGPRsForWavesPerEU: 42
; NumVGPRsForWavesPerEU: 65
; Occupancy: 12
; WaveLimiterHint : 0
; COMPUTE_PGM_RSRC2:SCRATCH_EN: 0
; COMPUTE_PGM_RSRC2:USER_SGPR: 6
; COMPUTE_PGM_RSRC2:TRAP_HANDLER: 0
; COMPUTE_PGM_RSRC2:TGID_X_EN: 1
; COMPUTE_PGM_RSRC2:TGID_Y_EN: 0
; COMPUTE_PGM_RSRC2:TGID_Z_EN: 0
; COMPUTE_PGM_RSRC2:TIDIG_COMP_CNT: 0
	.section	.text._ZN7rocprim17ROCPRIM_400000_NS6detail17trampoline_kernelINS0_14default_configENS1_20scan_config_selectorIN3c107complexIfEEEEZZNS1_9scan_implILNS1_25lookback_scan_determinismE0ELb0ELb0ES3_PKS7_PS7_S7_ZZZN2at6native31launch_logcumsumexp_cuda_kernelERKNSE_10TensorBaseESI_lENKUlvE_clEvENKUlvE2_clEvEUlS7_S7_E_S7_EEDaPvRmT3_T4_T5_mT6_P12ihipStream_tbENKUlT_T0_E_clISt17integral_constantIbLb0EESY_IbLb1EEEEDaSU_SV_EUlSU_E0_NS1_11comp_targetILNS1_3genE0ELNS1_11target_archE4294967295ELNS1_3gpuE0ELNS1_3repE0EEENS1_30default_config_static_selectorELNS0_4arch9wavefront6targetE0EEEvT1_,"axG",@progbits,_ZN7rocprim17ROCPRIM_400000_NS6detail17trampoline_kernelINS0_14default_configENS1_20scan_config_selectorIN3c107complexIfEEEEZZNS1_9scan_implILNS1_25lookback_scan_determinismE0ELb0ELb0ES3_PKS7_PS7_S7_ZZZN2at6native31launch_logcumsumexp_cuda_kernelERKNSE_10TensorBaseESI_lENKUlvE_clEvENKUlvE2_clEvEUlS7_S7_E_S7_EEDaPvRmT3_T4_T5_mT6_P12ihipStream_tbENKUlT_T0_E_clISt17integral_constantIbLb0EESY_IbLb1EEEEDaSU_SV_EUlSU_E0_NS1_11comp_targetILNS1_3genE0ELNS1_11target_archE4294967295ELNS1_3gpuE0ELNS1_3repE0EEENS1_30default_config_static_selectorELNS0_4arch9wavefront6targetE0EEEvT1_,comdat
	.globl	_ZN7rocprim17ROCPRIM_400000_NS6detail17trampoline_kernelINS0_14default_configENS1_20scan_config_selectorIN3c107complexIfEEEEZZNS1_9scan_implILNS1_25lookback_scan_determinismE0ELb0ELb0ES3_PKS7_PS7_S7_ZZZN2at6native31launch_logcumsumexp_cuda_kernelERKNSE_10TensorBaseESI_lENKUlvE_clEvENKUlvE2_clEvEUlS7_S7_E_S7_EEDaPvRmT3_T4_T5_mT6_P12ihipStream_tbENKUlT_T0_E_clISt17integral_constantIbLb0EESY_IbLb1EEEEDaSU_SV_EUlSU_E0_NS1_11comp_targetILNS1_3genE0ELNS1_11target_archE4294967295ELNS1_3gpuE0ELNS1_3repE0EEENS1_30default_config_static_selectorELNS0_4arch9wavefront6targetE0EEEvT1_ ; -- Begin function _ZN7rocprim17ROCPRIM_400000_NS6detail17trampoline_kernelINS0_14default_configENS1_20scan_config_selectorIN3c107complexIfEEEEZZNS1_9scan_implILNS1_25lookback_scan_determinismE0ELb0ELb0ES3_PKS7_PS7_S7_ZZZN2at6native31launch_logcumsumexp_cuda_kernelERKNSE_10TensorBaseESI_lENKUlvE_clEvENKUlvE2_clEvEUlS7_S7_E_S7_EEDaPvRmT3_T4_T5_mT6_P12ihipStream_tbENKUlT_T0_E_clISt17integral_constantIbLb0EESY_IbLb1EEEEDaSU_SV_EUlSU_E0_NS1_11comp_targetILNS1_3genE0ELNS1_11target_archE4294967295ELNS1_3gpuE0ELNS1_3repE0EEENS1_30default_config_static_selectorELNS0_4arch9wavefront6targetE0EEEvT1_
	.p2align	8
	.type	_ZN7rocprim17ROCPRIM_400000_NS6detail17trampoline_kernelINS0_14default_configENS1_20scan_config_selectorIN3c107complexIfEEEEZZNS1_9scan_implILNS1_25lookback_scan_determinismE0ELb0ELb0ES3_PKS7_PS7_S7_ZZZN2at6native31launch_logcumsumexp_cuda_kernelERKNSE_10TensorBaseESI_lENKUlvE_clEvENKUlvE2_clEvEUlS7_S7_E_S7_EEDaPvRmT3_T4_T5_mT6_P12ihipStream_tbENKUlT_T0_E_clISt17integral_constantIbLb0EESY_IbLb1EEEEDaSU_SV_EUlSU_E0_NS1_11comp_targetILNS1_3genE0ELNS1_11target_archE4294967295ELNS1_3gpuE0ELNS1_3repE0EEENS1_30default_config_static_selectorELNS0_4arch9wavefront6targetE0EEEvT1_,@function
_ZN7rocprim17ROCPRIM_400000_NS6detail17trampoline_kernelINS0_14default_configENS1_20scan_config_selectorIN3c107complexIfEEEEZZNS1_9scan_implILNS1_25lookback_scan_determinismE0ELb0ELb0ES3_PKS7_PS7_S7_ZZZN2at6native31launch_logcumsumexp_cuda_kernelERKNSE_10TensorBaseESI_lENKUlvE_clEvENKUlvE2_clEvEUlS7_S7_E_S7_EEDaPvRmT3_T4_T5_mT6_P12ihipStream_tbENKUlT_T0_E_clISt17integral_constantIbLb0EESY_IbLb1EEEEDaSU_SV_EUlSU_E0_NS1_11comp_targetILNS1_3genE0ELNS1_11target_archE4294967295ELNS1_3gpuE0ELNS1_3repE0EEENS1_30default_config_static_selectorELNS0_4arch9wavefront6targetE0EEEvT1_: ; @_ZN7rocprim17ROCPRIM_400000_NS6detail17trampoline_kernelINS0_14default_configENS1_20scan_config_selectorIN3c107complexIfEEEEZZNS1_9scan_implILNS1_25lookback_scan_determinismE0ELb0ELb0ES3_PKS7_PS7_S7_ZZZN2at6native31launch_logcumsumexp_cuda_kernelERKNSE_10TensorBaseESI_lENKUlvE_clEvENKUlvE2_clEvEUlS7_S7_E_S7_EEDaPvRmT3_T4_T5_mT6_P12ihipStream_tbENKUlT_T0_E_clISt17integral_constantIbLb0EESY_IbLb1EEEEDaSU_SV_EUlSU_E0_NS1_11comp_targetILNS1_3genE0ELNS1_11target_archE4294967295ELNS1_3gpuE0ELNS1_3repE0EEENS1_30default_config_static_selectorELNS0_4arch9wavefront6targetE0EEEvT1_
; %bb.0:
	.section	.rodata,"a",@progbits
	.p2align	6, 0x0
	.amdhsa_kernel _ZN7rocprim17ROCPRIM_400000_NS6detail17trampoline_kernelINS0_14default_configENS1_20scan_config_selectorIN3c107complexIfEEEEZZNS1_9scan_implILNS1_25lookback_scan_determinismE0ELb0ELb0ES3_PKS7_PS7_S7_ZZZN2at6native31launch_logcumsumexp_cuda_kernelERKNSE_10TensorBaseESI_lENKUlvE_clEvENKUlvE2_clEvEUlS7_S7_E_S7_EEDaPvRmT3_T4_T5_mT6_P12ihipStream_tbENKUlT_T0_E_clISt17integral_constantIbLb0EESY_IbLb1EEEEDaSU_SV_EUlSU_E0_NS1_11comp_targetILNS1_3genE0ELNS1_11target_archE4294967295ELNS1_3gpuE0ELNS1_3repE0EEENS1_30default_config_static_selectorELNS0_4arch9wavefront6targetE0EEEvT1_
		.amdhsa_group_segment_fixed_size 0
		.amdhsa_private_segment_fixed_size 0
		.amdhsa_kernarg_size 40
		.amdhsa_user_sgpr_count 6
		.amdhsa_user_sgpr_private_segment_buffer 1
		.amdhsa_user_sgpr_dispatch_ptr 0
		.amdhsa_user_sgpr_queue_ptr 0
		.amdhsa_user_sgpr_kernarg_segment_ptr 1
		.amdhsa_user_sgpr_dispatch_id 0
		.amdhsa_user_sgpr_flat_scratch_init 0
		.amdhsa_user_sgpr_private_segment_size 0
		.amdhsa_wavefront_size32 1
		.amdhsa_uses_dynamic_stack 0
		.amdhsa_system_sgpr_private_segment_wavefront_offset 0
		.amdhsa_system_sgpr_workgroup_id_x 1
		.amdhsa_system_sgpr_workgroup_id_y 0
		.amdhsa_system_sgpr_workgroup_id_z 0
		.amdhsa_system_sgpr_workgroup_info 0
		.amdhsa_system_vgpr_workitem_id 0
		.amdhsa_next_free_vgpr 1
		.amdhsa_next_free_sgpr 1
		.amdhsa_reserve_vcc 0
		.amdhsa_reserve_flat_scratch 0
		.amdhsa_float_round_mode_32 0
		.amdhsa_float_round_mode_16_64 0
		.amdhsa_float_denorm_mode_32 3
		.amdhsa_float_denorm_mode_16_64 3
		.amdhsa_dx10_clamp 1
		.amdhsa_ieee_mode 1
		.amdhsa_fp16_overflow 0
		.amdhsa_workgroup_processor_mode 1
		.amdhsa_memory_ordered 1
		.amdhsa_forward_progress 1
		.amdhsa_shared_vgpr_count 0
		.amdhsa_exception_fp_ieee_invalid_op 0
		.amdhsa_exception_fp_denorm_src 0
		.amdhsa_exception_fp_ieee_div_zero 0
		.amdhsa_exception_fp_ieee_overflow 0
		.amdhsa_exception_fp_ieee_underflow 0
		.amdhsa_exception_fp_ieee_inexact 0
		.amdhsa_exception_int_div_zero 0
	.end_amdhsa_kernel
	.section	.text._ZN7rocprim17ROCPRIM_400000_NS6detail17trampoline_kernelINS0_14default_configENS1_20scan_config_selectorIN3c107complexIfEEEEZZNS1_9scan_implILNS1_25lookback_scan_determinismE0ELb0ELb0ES3_PKS7_PS7_S7_ZZZN2at6native31launch_logcumsumexp_cuda_kernelERKNSE_10TensorBaseESI_lENKUlvE_clEvENKUlvE2_clEvEUlS7_S7_E_S7_EEDaPvRmT3_T4_T5_mT6_P12ihipStream_tbENKUlT_T0_E_clISt17integral_constantIbLb0EESY_IbLb1EEEEDaSU_SV_EUlSU_E0_NS1_11comp_targetILNS1_3genE0ELNS1_11target_archE4294967295ELNS1_3gpuE0ELNS1_3repE0EEENS1_30default_config_static_selectorELNS0_4arch9wavefront6targetE0EEEvT1_,"axG",@progbits,_ZN7rocprim17ROCPRIM_400000_NS6detail17trampoline_kernelINS0_14default_configENS1_20scan_config_selectorIN3c107complexIfEEEEZZNS1_9scan_implILNS1_25lookback_scan_determinismE0ELb0ELb0ES3_PKS7_PS7_S7_ZZZN2at6native31launch_logcumsumexp_cuda_kernelERKNSE_10TensorBaseESI_lENKUlvE_clEvENKUlvE2_clEvEUlS7_S7_E_S7_EEDaPvRmT3_T4_T5_mT6_P12ihipStream_tbENKUlT_T0_E_clISt17integral_constantIbLb0EESY_IbLb1EEEEDaSU_SV_EUlSU_E0_NS1_11comp_targetILNS1_3genE0ELNS1_11target_archE4294967295ELNS1_3gpuE0ELNS1_3repE0EEENS1_30default_config_static_selectorELNS0_4arch9wavefront6targetE0EEEvT1_,comdat
.Lfunc_end338:
	.size	_ZN7rocprim17ROCPRIM_400000_NS6detail17trampoline_kernelINS0_14default_configENS1_20scan_config_selectorIN3c107complexIfEEEEZZNS1_9scan_implILNS1_25lookback_scan_determinismE0ELb0ELb0ES3_PKS7_PS7_S7_ZZZN2at6native31launch_logcumsumexp_cuda_kernelERKNSE_10TensorBaseESI_lENKUlvE_clEvENKUlvE2_clEvEUlS7_S7_E_S7_EEDaPvRmT3_T4_T5_mT6_P12ihipStream_tbENKUlT_T0_E_clISt17integral_constantIbLb0EESY_IbLb1EEEEDaSU_SV_EUlSU_E0_NS1_11comp_targetILNS1_3genE0ELNS1_11target_archE4294967295ELNS1_3gpuE0ELNS1_3repE0EEENS1_30default_config_static_selectorELNS0_4arch9wavefront6targetE0EEEvT1_, .Lfunc_end338-_ZN7rocprim17ROCPRIM_400000_NS6detail17trampoline_kernelINS0_14default_configENS1_20scan_config_selectorIN3c107complexIfEEEEZZNS1_9scan_implILNS1_25lookback_scan_determinismE0ELb0ELb0ES3_PKS7_PS7_S7_ZZZN2at6native31launch_logcumsumexp_cuda_kernelERKNSE_10TensorBaseESI_lENKUlvE_clEvENKUlvE2_clEvEUlS7_S7_E_S7_EEDaPvRmT3_T4_T5_mT6_P12ihipStream_tbENKUlT_T0_E_clISt17integral_constantIbLb0EESY_IbLb1EEEEDaSU_SV_EUlSU_E0_NS1_11comp_targetILNS1_3genE0ELNS1_11target_archE4294967295ELNS1_3gpuE0ELNS1_3repE0EEENS1_30default_config_static_selectorELNS0_4arch9wavefront6targetE0EEEvT1_
                                        ; -- End function
	.set _ZN7rocprim17ROCPRIM_400000_NS6detail17trampoline_kernelINS0_14default_configENS1_20scan_config_selectorIN3c107complexIfEEEEZZNS1_9scan_implILNS1_25lookback_scan_determinismE0ELb0ELb0ES3_PKS7_PS7_S7_ZZZN2at6native31launch_logcumsumexp_cuda_kernelERKNSE_10TensorBaseESI_lENKUlvE_clEvENKUlvE2_clEvEUlS7_S7_E_S7_EEDaPvRmT3_T4_T5_mT6_P12ihipStream_tbENKUlT_T0_E_clISt17integral_constantIbLb0EESY_IbLb1EEEEDaSU_SV_EUlSU_E0_NS1_11comp_targetILNS1_3genE0ELNS1_11target_archE4294967295ELNS1_3gpuE0ELNS1_3repE0EEENS1_30default_config_static_selectorELNS0_4arch9wavefront6targetE0EEEvT1_.num_vgpr, 0
	.set _ZN7rocprim17ROCPRIM_400000_NS6detail17trampoline_kernelINS0_14default_configENS1_20scan_config_selectorIN3c107complexIfEEEEZZNS1_9scan_implILNS1_25lookback_scan_determinismE0ELb0ELb0ES3_PKS7_PS7_S7_ZZZN2at6native31launch_logcumsumexp_cuda_kernelERKNSE_10TensorBaseESI_lENKUlvE_clEvENKUlvE2_clEvEUlS7_S7_E_S7_EEDaPvRmT3_T4_T5_mT6_P12ihipStream_tbENKUlT_T0_E_clISt17integral_constantIbLb0EESY_IbLb1EEEEDaSU_SV_EUlSU_E0_NS1_11comp_targetILNS1_3genE0ELNS1_11target_archE4294967295ELNS1_3gpuE0ELNS1_3repE0EEENS1_30default_config_static_selectorELNS0_4arch9wavefront6targetE0EEEvT1_.num_agpr, 0
	.set _ZN7rocprim17ROCPRIM_400000_NS6detail17trampoline_kernelINS0_14default_configENS1_20scan_config_selectorIN3c107complexIfEEEEZZNS1_9scan_implILNS1_25lookback_scan_determinismE0ELb0ELb0ES3_PKS7_PS7_S7_ZZZN2at6native31launch_logcumsumexp_cuda_kernelERKNSE_10TensorBaseESI_lENKUlvE_clEvENKUlvE2_clEvEUlS7_S7_E_S7_EEDaPvRmT3_T4_T5_mT6_P12ihipStream_tbENKUlT_T0_E_clISt17integral_constantIbLb0EESY_IbLb1EEEEDaSU_SV_EUlSU_E0_NS1_11comp_targetILNS1_3genE0ELNS1_11target_archE4294967295ELNS1_3gpuE0ELNS1_3repE0EEENS1_30default_config_static_selectorELNS0_4arch9wavefront6targetE0EEEvT1_.numbered_sgpr, 0
	.set _ZN7rocprim17ROCPRIM_400000_NS6detail17trampoline_kernelINS0_14default_configENS1_20scan_config_selectorIN3c107complexIfEEEEZZNS1_9scan_implILNS1_25lookback_scan_determinismE0ELb0ELb0ES3_PKS7_PS7_S7_ZZZN2at6native31launch_logcumsumexp_cuda_kernelERKNSE_10TensorBaseESI_lENKUlvE_clEvENKUlvE2_clEvEUlS7_S7_E_S7_EEDaPvRmT3_T4_T5_mT6_P12ihipStream_tbENKUlT_T0_E_clISt17integral_constantIbLb0EESY_IbLb1EEEEDaSU_SV_EUlSU_E0_NS1_11comp_targetILNS1_3genE0ELNS1_11target_archE4294967295ELNS1_3gpuE0ELNS1_3repE0EEENS1_30default_config_static_selectorELNS0_4arch9wavefront6targetE0EEEvT1_.num_named_barrier, 0
	.set _ZN7rocprim17ROCPRIM_400000_NS6detail17trampoline_kernelINS0_14default_configENS1_20scan_config_selectorIN3c107complexIfEEEEZZNS1_9scan_implILNS1_25lookback_scan_determinismE0ELb0ELb0ES3_PKS7_PS7_S7_ZZZN2at6native31launch_logcumsumexp_cuda_kernelERKNSE_10TensorBaseESI_lENKUlvE_clEvENKUlvE2_clEvEUlS7_S7_E_S7_EEDaPvRmT3_T4_T5_mT6_P12ihipStream_tbENKUlT_T0_E_clISt17integral_constantIbLb0EESY_IbLb1EEEEDaSU_SV_EUlSU_E0_NS1_11comp_targetILNS1_3genE0ELNS1_11target_archE4294967295ELNS1_3gpuE0ELNS1_3repE0EEENS1_30default_config_static_selectorELNS0_4arch9wavefront6targetE0EEEvT1_.private_seg_size, 0
	.set _ZN7rocprim17ROCPRIM_400000_NS6detail17trampoline_kernelINS0_14default_configENS1_20scan_config_selectorIN3c107complexIfEEEEZZNS1_9scan_implILNS1_25lookback_scan_determinismE0ELb0ELb0ES3_PKS7_PS7_S7_ZZZN2at6native31launch_logcumsumexp_cuda_kernelERKNSE_10TensorBaseESI_lENKUlvE_clEvENKUlvE2_clEvEUlS7_S7_E_S7_EEDaPvRmT3_T4_T5_mT6_P12ihipStream_tbENKUlT_T0_E_clISt17integral_constantIbLb0EESY_IbLb1EEEEDaSU_SV_EUlSU_E0_NS1_11comp_targetILNS1_3genE0ELNS1_11target_archE4294967295ELNS1_3gpuE0ELNS1_3repE0EEENS1_30default_config_static_selectorELNS0_4arch9wavefront6targetE0EEEvT1_.uses_vcc, 0
	.set _ZN7rocprim17ROCPRIM_400000_NS6detail17trampoline_kernelINS0_14default_configENS1_20scan_config_selectorIN3c107complexIfEEEEZZNS1_9scan_implILNS1_25lookback_scan_determinismE0ELb0ELb0ES3_PKS7_PS7_S7_ZZZN2at6native31launch_logcumsumexp_cuda_kernelERKNSE_10TensorBaseESI_lENKUlvE_clEvENKUlvE2_clEvEUlS7_S7_E_S7_EEDaPvRmT3_T4_T5_mT6_P12ihipStream_tbENKUlT_T0_E_clISt17integral_constantIbLb0EESY_IbLb1EEEEDaSU_SV_EUlSU_E0_NS1_11comp_targetILNS1_3genE0ELNS1_11target_archE4294967295ELNS1_3gpuE0ELNS1_3repE0EEENS1_30default_config_static_selectorELNS0_4arch9wavefront6targetE0EEEvT1_.uses_flat_scratch, 0
	.set _ZN7rocprim17ROCPRIM_400000_NS6detail17trampoline_kernelINS0_14default_configENS1_20scan_config_selectorIN3c107complexIfEEEEZZNS1_9scan_implILNS1_25lookback_scan_determinismE0ELb0ELb0ES3_PKS7_PS7_S7_ZZZN2at6native31launch_logcumsumexp_cuda_kernelERKNSE_10TensorBaseESI_lENKUlvE_clEvENKUlvE2_clEvEUlS7_S7_E_S7_EEDaPvRmT3_T4_T5_mT6_P12ihipStream_tbENKUlT_T0_E_clISt17integral_constantIbLb0EESY_IbLb1EEEEDaSU_SV_EUlSU_E0_NS1_11comp_targetILNS1_3genE0ELNS1_11target_archE4294967295ELNS1_3gpuE0ELNS1_3repE0EEENS1_30default_config_static_selectorELNS0_4arch9wavefront6targetE0EEEvT1_.has_dyn_sized_stack, 0
	.set _ZN7rocprim17ROCPRIM_400000_NS6detail17trampoline_kernelINS0_14default_configENS1_20scan_config_selectorIN3c107complexIfEEEEZZNS1_9scan_implILNS1_25lookback_scan_determinismE0ELb0ELb0ES3_PKS7_PS7_S7_ZZZN2at6native31launch_logcumsumexp_cuda_kernelERKNSE_10TensorBaseESI_lENKUlvE_clEvENKUlvE2_clEvEUlS7_S7_E_S7_EEDaPvRmT3_T4_T5_mT6_P12ihipStream_tbENKUlT_T0_E_clISt17integral_constantIbLb0EESY_IbLb1EEEEDaSU_SV_EUlSU_E0_NS1_11comp_targetILNS1_3genE0ELNS1_11target_archE4294967295ELNS1_3gpuE0ELNS1_3repE0EEENS1_30default_config_static_selectorELNS0_4arch9wavefront6targetE0EEEvT1_.has_recursion, 0
	.set _ZN7rocprim17ROCPRIM_400000_NS6detail17trampoline_kernelINS0_14default_configENS1_20scan_config_selectorIN3c107complexIfEEEEZZNS1_9scan_implILNS1_25lookback_scan_determinismE0ELb0ELb0ES3_PKS7_PS7_S7_ZZZN2at6native31launch_logcumsumexp_cuda_kernelERKNSE_10TensorBaseESI_lENKUlvE_clEvENKUlvE2_clEvEUlS7_S7_E_S7_EEDaPvRmT3_T4_T5_mT6_P12ihipStream_tbENKUlT_T0_E_clISt17integral_constantIbLb0EESY_IbLb1EEEEDaSU_SV_EUlSU_E0_NS1_11comp_targetILNS1_3genE0ELNS1_11target_archE4294967295ELNS1_3gpuE0ELNS1_3repE0EEENS1_30default_config_static_selectorELNS0_4arch9wavefront6targetE0EEEvT1_.has_indirect_call, 0
	.section	.AMDGPU.csdata,"",@progbits
; Kernel info:
; codeLenInByte = 0
; TotalNumSgprs: 0
; NumVgprs: 0
; ScratchSize: 0
; MemoryBound: 0
; FloatMode: 240
; IeeeMode: 1
; LDSByteSize: 0 bytes/workgroup (compile time only)
; SGPRBlocks: 0
; VGPRBlocks: 0
; NumSGPRsForWavesPerEU: 1
; NumVGPRsForWavesPerEU: 1
; Occupancy: 16
; WaveLimiterHint : 0
; COMPUTE_PGM_RSRC2:SCRATCH_EN: 0
; COMPUTE_PGM_RSRC2:USER_SGPR: 6
; COMPUTE_PGM_RSRC2:TRAP_HANDLER: 0
; COMPUTE_PGM_RSRC2:TGID_X_EN: 1
; COMPUTE_PGM_RSRC2:TGID_Y_EN: 0
; COMPUTE_PGM_RSRC2:TGID_Z_EN: 0
; COMPUTE_PGM_RSRC2:TIDIG_COMP_CNT: 0
	.section	.text._ZN7rocprim17ROCPRIM_400000_NS6detail17trampoline_kernelINS0_14default_configENS1_20scan_config_selectorIN3c107complexIfEEEEZZNS1_9scan_implILNS1_25lookback_scan_determinismE0ELb0ELb0ES3_PKS7_PS7_S7_ZZZN2at6native31launch_logcumsumexp_cuda_kernelERKNSE_10TensorBaseESI_lENKUlvE_clEvENKUlvE2_clEvEUlS7_S7_E_S7_EEDaPvRmT3_T4_T5_mT6_P12ihipStream_tbENKUlT_T0_E_clISt17integral_constantIbLb0EESY_IbLb1EEEEDaSU_SV_EUlSU_E0_NS1_11comp_targetILNS1_3genE5ELNS1_11target_archE942ELNS1_3gpuE9ELNS1_3repE0EEENS1_30default_config_static_selectorELNS0_4arch9wavefront6targetE0EEEvT1_,"axG",@progbits,_ZN7rocprim17ROCPRIM_400000_NS6detail17trampoline_kernelINS0_14default_configENS1_20scan_config_selectorIN3c107complexIfEEEEZZNS1_9scan_implILNS1_25lookback_scan_determinismE0ELb0ELb0ES3_PKS7_PS7_S7_ZZZN2at6native31launch_logcumsumexp_cuda_kernelERKNSE_10TensorBaseESI_lENKUlvE_clEvENKUlvE2_clEvEUlS7_S7_E_S7_EEDaPvRmT3_T4_T5_mT6_P12ihipStream_tbENKUlT_T0_E_clISt17integral_constantIbLb0EESY_IbLb1EEEEDaSU_SV_EUlSU_E0_NS1_11comp_targetILNS1_3genE5ELNS1_11target_archE942ELNS1_3gpuE9ELNS1_3repE0EEENS1_30default_config_static_selectorELNS0_4arch9wavefront6targetE0EEEvT1_,comdat
	.globl	_ZN7rocprim17ROCPRIM_400000_NS6detail17trampoline_kernelINS0_14default_configENS1_20scan_config_selectorIN3c107complexIfEEEEZZNS1_9scan_implILNS1_25lookback_scan_determinismE0ELb0ELb0ES3_PKS7_PS7_S7_ZZZN2at6native31launch_logcumsumexp_cuda_kernelERKNSE_10TensorBaseESI_lENKUlvE_clEvENKUlvE2_clEvEUlS7_S7_E_S7_EEDaPvRmT3_T4_T5_mT6_P12ihipStream_tbENKUlT_T0_E_clISt17integral_constantIbLb0EESY_IbLb1EEEEDaSU_SV_EUlSU_E0_NS1_11comp_targetILNS1_3genE5ELNS1_11target_archE942ELNS1_3gpuE9ELNS1_3repE0EEENS1_30default_config_static_selectorELNS0_4arch9wavefront6targetE0EEEvT1_ ; -- Begin function _ZN7rocprim17ROCPRIM_400000_NS6detail17trampoline_kernelINS0_14default_configENS1_20scan_config_selectorIN3c107complexIfEEEEZZNS1_9scan_implILNS1_25lookback_scan_determinismE0ELb0ELb0ES3_PKS7_PS7_S7_ZZZN2at6native31launch_logcumsumexp_cuda_kernelERKNSE_10TensorBaseESI_lENKUlvE_clEvENKUlvE2_clEvEUlS7_S7_E_S7_EEDaPvRmT3_T4_T5_mT6_P12ihipStream_tbENKUlT_T0_E_clISt17integral_constantIbLb0EESY_IbLb1EEEEDaSU_SV_EUlSU_E0_NS1_11comp_targetILNS1_3genE5ELNS1_11target_archE942ELNS1_3gpuE9ELNS1_3repE0EEENS1_30default_config_static_selectorELNS0_4arch9wavefront6targetE0EEEvT1_
	.p2align	8
	.type	_ZN7rocprim17ROCPRIM_400000_NS6detail17trampoline_kernelINS0_14default_configENS1_20scan_config_selectorIN3c107complexIfEEEEZZNS1_9scan_implILNS1_25lookback_scan_determinismE0ELb0ELb0ES3_PKS7_PS7_S7_ZZZN2at6native31launch_logcumsumexp_cuda_kernelERKNSE_10TensorBaseESI_lENKUlvE_clEvENKUlvE2_clEvEUlS7_S7_E_S7_EEDaPvRmT3_T4_T5_mT6_P12ihipStream_tbENKUlT_T0_E_clISt17integral_constantIbLb0EESY_IbLb1EEEEDaSU_SV_EUlSU_E0_NS1_11comp_targetILNS1_3genE5ELNS1_11target_archE942ELNS1_3gpuE9ELNS1_3repE0EEENS1_30default_config_static_selectorELNS0_4arch9wavefront6targetE0EEEvT1_,@function
_ZN7rocprim17ROCPRIM_400000_NS6detail17trampoline_kernelINS0_14default_configENS1_20scan_config_selectorIN3c107complexIfEEEEZZNS1_9scan_implILNS1_25lookback_scan_determinismE0ELb0ELb0ES3_PKS7_PS7_S7_ZZZN2at6native31launch_logcumsumexp_cuda_kernelERKNSE_10TensorBaseESI_lENKUlvE_clEvENKUlvE2_clEvEUlS7_S7_E_S7_EEDaPvRmT3_T4_T5_mT6_P12ihipStream_tbENKUlT_T0_E_clISt17integral_constantIbLb0EESY_IbLb1EEEEDaSU_SV_EUlSU_E0_NS1_11comp_targetILNS1_3genE5ELNS1_11target_archE942ELNS1_3gpuE9ELNS1_3repE0EEENS1_30default_config_static_selectorELNS0_4arch9wavefront6targetE0EEEvT1_: ; @_ZN7rocprim17ROCPRIM_400000_NS6detail17trampoline_kernelINS0_14default_configENS1_20scan_config_selectorIN3c107complexIfEEEEZZNS1_9scan_implILNS1_25lookback_scan_determinismE0ELb0ELb0ES3_PKS7_PS7_S7_ZZZN2at6native31launch_logcumsumexp_cuda_kernelERKNSE_10TensorBaseESI_lENKUlvE_clEvENKUlvE2_clEvEUlS7_S7_E_S7_EEDaPvRmT3_T4_T5_mT6_P12ihipStream_tbENKUlT_T0_E_clISt17integral_constantIbLb0EESY_IbLb1EEEEDaSU_SV_EUlSU_E0_NS1_11comp_targetILNS1_3genE5ELNS1_11target_archE942ELNS1_3gpuE9ELNS1_3repE0EEENS1_30default_config_static_selectorELNS0_4arch9wavefront6targetE0EEEvT1_
; %bb.0:
	.section	.rodata,"a",@progbits
	.p2align	6, 0x0
	.amdhsa_kernel _ZN7rocprim17ROCPRIM_400000_NS6detail17trampoline_kernelINS0_14default_configENS1_20scan_config_selectorIN3c107complexIfEEEEZZNS1_9scan_implILNS1_25lookback_scan_determinismE0ELb0ELb0ES3_PKS7_PS7_S7_ZZZN2at6native31launch_logcumsumexp_cuda_kernelERKNSE_10TensorBaseESI_lENKUlvE_clEvENKUlvE2_clEvEUlS7_S7_E_S7_EEDaPvRmT3_T4_T5_mT6_P12ihipStream_tbENKUlT_T0_E_clISt17integral_constantIbLb0EESY_IbLb1EEEEDaSU_SV_EUlSU_E0_NS1_11comp_targetILNS1_3genE5ELNS1_11target_archE942ELNS1_3gpuE9ELNS1_3repE0EEENS1_30default_config_static_selectorELNS0_4arch9wavefront6targetE0EEEvT1_
		.amdhsa_group_segment_fixed_size 0
		.amdhsa_private_segment_fixed_size 0
		.amdhsa_kernarg_size 40
		.amdhsa_user_sgpr_count 6
		.amdhsa_user_sgpr_private_segment_buffer 1
		.amdhsa_user_sgpr_dispatch_ptr 0
		.amdhsa_user_sgpr_queue_ptr 0
		.amdhsa_user_sgpr_kernarg_segment_ptr 1
		.amdhsa_user_sgpr_dispatch_id 0
		.amdhsa_user_sgpr_flat_scratch_init 0
		.amdhsa_user_sgpr_private_segment_size 0
		.amdhsa_wavefront_size32 1
		.amdhsa_uses_dynamic_stack 0
		.amdhsa_system_sgpr_private_segment_wavefront_offset 0
		.amdhsa_system_sgpr_workgroup_id_x 1
		.amdhsa_system_sgpr_workgroup_id_y 0
		.amdhsa_system_sgpr_workgroup_id_z 0
		.amdhsa_system_sgpr_workgroup_info 0
		.amdhsa_system_vgpr_workitem_id 0
		.amdhsa_next_free_vgpr 1
		.amdhsa_next_free_sgpr 1
		.amdhsa_reserve_vcc 0
		.amdhsa_reserve_flat_scratch 0
		.amdhsa_float_round_mode_32 0
		.amdhsa_float_round_mode_16_64 0
		.amdhsa_float_denorm_mode_32 3
		.amdhsa_float_denorm_mode_16_64 3
		.amdhsa_dx10_clamp 1
		.amdhsa_ieee_mode 1
		.amdhsa_fp16_overflow 0
		.amdhsa_workgroup_processor_mode 1
		.amdhsa_memory_ordered 1
		.amdhsa_forward_progress 1
		.amdhsa_shared_vgpr_count 0
		.amdhsa_exception_fp_ieee_invalid_op 0
		.amdhsa_exception_fp_denorm_src 0
		.amdhsa_exception_fp_ieee_div_zero 0
		.amdhsa_exception_fp_ieee_overflow 0
		.amdhsa_exception_fp_ieee_underflow 0
		.amdhsa_exception_fp_ieee_inexact 0
		.amdhsa_exception_int_div_zero 0
	.end_amdhsa_kernel
	.section	.text._ZN7rocprim17ROCPRIM_400000_NS6detail17trampoline_kernelINS0_14default_configENS1_20scan_config_selectorIN3c107complexIfEEEEZZNS1_9scan_implILNS1_25lookback_scan_determinismE0ELb0ELb0ES3_PKS7_PS7_S7_ZZZN2at6native31launch_logcumsumexp_cuda_kernelERKNSE_10TensorBaseESI_lENKUlvE_clEvENKUlvE2_clEvEUlS7_S7_E_S7_EEDaPvRmT3_T4_T5_mT6_P12ihipStream_tbENKUlT_T0_E_clISt17integral_constantIbLb0EESY_IbLb1EEEEDaSU_SV_EUlSU_E0_NS1_11comp_targetILNS1_3genE5ELNS1_11target_archE942ELNS1_3gpuE9ELNS1_3repE0EEENS1_30default_config_static_selectorELNS0_4arch9wavefront6targetE0EEEvT1_,"axG",@progbits,_ZN7rocprim17ROCPRIM_400000_NS6detail17trampoline_kernelINS0_14default_configENS1_20scan_config_selectorIN3c107complexIfEEEEZZNS1_9scan_implILNS1_25lookback_scan_determinismE0ELb0ELb0ES3_PKS7_PS7_S7_ZZZN2at6native31launch_logcumsumexp_cuda_kernelERKNSE_10TensorBaseESI_lENKUlvE_clEvENKUlvE2_clEvEUlS7_S7_E_S7_EEDaPvRmT3_T4_T5_mT6_P12ihipStream_tbENKUlT_T0_E_clISt17integral_constantIbLb0EESY_IbLb1EEEEDaSU_SV_EUlSU_E0_NS1_11comp_targetILNS1_3genE5ELNS1_11target_archE942ELNS1_3gpuE9ELNS1_3repE0EEENS1_30default_config_static_selectorELNS0_4arch9wavefront6targetE0EEEvT1_,comdat
.Lfunc_end339:
	.size	_ZN7rocprim17ROCPRIM_400000_NS6detail17trampoline_kernelINS0_14default_configENS1_20scan_config_selectorIN3c107complexIfEEEEZZNS1_9scan_implILNS1_25lookback_scan_determinismE0ELb0ELb0ES3_PKS7_PS7_S7_ZZZN2at6native31launch_logcumsumexp_cuda_kernelERKNSE_10TensorBaseESI_lENKUlvE_clEvENKUlvE2_clEvEUlS7_S7_E_S7_EEDaPvRmT3_T4_T5_mT6_P12ihipStream_tbENKUlT_T0_E_clISt17integral_constantIbLb0EESY_IbLb1EEEEDaSU_SV_EUlSU_E0_NS1_11comp_targetILNS1_3genE5ELNS1_11target_archE942ELNS1_3gpuE9ELNS1_3repE0EEENS1_30default_config_static_selectorELNS0_4arch9wavefront6targetE0EEEvT1_, .Lfunc_end339-_ZN7rocprim17ROCPRIM_400000_NS6detail17trampoline_kernelINS0_14default_configENS1_20scan_config_selectorIN3c107complexIfEEEEZZNS1_9scan_implILNS1_25lookback_scan_determinismE0ELb0ELb0ES3_PKS7_PS7_S7_ZZZN2at6native31launch_logcumsumexp_cuda_kernelERKNSE_10TensorBaseESI_lENKUlvE_clEvENKUlvE2_clEvEUlS7_S7_E_S7_EEDaPvRmT3_T4_T5_mT6_P12ihipStream_tbENKUlT_T0_E_clISt17integral_constantIbLb0EESY_IbLb1EEEEDaSU_SV_EUlSU_E0_NS1_11comp_targetILNS1_3genE5ELNS1_11target_archE942ELNS1_3gpuE9ELNS1_3repE0EEENS1_30default_config_static_selectorELNS0_4arch9wavefront6targetE0EEEvT1_
                                        ; -- End function
	.set _ZN7rocprim17ROCPRIM_400000_NS6detail17trampoline_kernelINS0_14default_configENS1_20scan_config_selectorIN3c107complexIfEEEEZZNS1_9scan_implILNS1_25lookback_scan_determinismE0ELb0ELb0ES3_PKS7_PS7_S7_ZZZN2at6native31launch_logcumsumexp_cuda_kernelERKNSE_10TensorBaseESI_lENKUlvE_clEvENKUlvE2_clEvEUlS7_S7_E_S7_EEDaPvRmT3_T4_T5_mT6_P12ihipStream_tbENKUlT_T0_E_clISt17integral_constantIbLb0EESY_IbLb1EEEEDaSU_SV_EUlSU_E0_NS1_11comp_targetILNS1_3genE5ELNS1_11target_archE942ELNS1_3gpuE9ELNS1_3repE0EEENS1_30default_config_static_selectorELNS0_4arch9wavefront6targetE0EEEvT1_.num_vgpr, 0
	.set _ZN7rocprim17ROCPRIM_400000_NS6detail17trampoline_kernelINS0_14default_configENS1_20scan_config_selectorIN3c107complexIfEEEEZZNS1_9scan_implILNS1_25lookback_scan_determinismE0ELb0ELb0ES3_PKS7_PS7_S7_ZZZN2at6native31launch_logcumsumexp_cuda_kernelERKNSE_10TensorBaseESI_lENKUlvE_clEvENKUlvE2_clEvEUlS7_S7_E_S7_EEDaPvRmT3_T4_T5_mT6_P12ihipStream_tbENKUlT_T0_E_clISt17integral_constantIbLb0EESY_IbLb1EEEEDaSU_SV_EUlSU_E0_NS1_11comp_targetILNS1_3genE5ELNS1_11target_archE942ELNS1_3gpuE9ELNS1_3repE0EEENS1_30default_config_static_selectorELNS0_4arch9wavefront6targetE0EEEvT1_.num_agpr, 0
	.set _ZN7rocprim17ROCPRIM_400000_NS6detail17trampoline_kernelINS0_14default_configENS1_20scan_config_selectorIN3c107complexIfEEEEZZNS1_9scan_implILNS1_25lookback_scan_determinismE0ELb0ELb0ES3_PKS7_PS7_S7_ZZZN2at6native31launch_logcumsumexp_cuda_kernelERKNSE_10TensorBaseESI_lENKUlvE_clEvENKUlvE2_clEvEUlS7_S7_E_S7_EEDaPvRmT3_T4_T5_mT6_P12ihipStream_tbENKUlT_T0_E_clISt17integral_constantIbLb0EESY_IbLb1EEEEDaSU_SV_EUlSU_E0_NS1_11comp_targetILNS1_3genE5ELNS1_11target_archE942ELNS1_3gpuE9ELNS1_3repE0EEENS1_30default_config_static_selectorELNS0_4arch9wavefront6targetE0EEEvT1_.numbered_sgpr, 0
	.set _ZN7rocprim17ROCPRIM_400000_NS6detail17trampoline_kernelINS0_14default_configENS1_20scan_config_selectorIN3c107complexIfEEEEZZNS1_9scan_implILNS1_25lookback_scan_determinismE0ELb0ELb0ES3_PKS7_PS7_S7_ZZZN2at6native31launch_logcumsumexp_cuda_kernelERKNSE_10TensorBaseESI_lENKUlvE_clEvENKUlvE2_clEvEUlS7_S7_E_S7_EEDaPvRmT3_T4_T5_mT6_P12ihipStream_tbENKUlT_T0_E_clISt17integral_constantIbLb0EESY_IbLb1EEEEDaSU_SV_EUlSU_E0_NS1_11comp_targetILNS1_3genE5ELNS1_11target_archE942ELNS1_3gpuE9ELNS1_3repE0EEENS1_30default_config_static_selectorELNS0_4arch9wavefront6targetE0EEEvT1_.num_named_barrier, 0
	.set _ZN7rocprim17ROCPRIM_400000_NS6detail17trampoline_kernelINS0_14default_configENS1_20scan_config_selectorIN3c107complexIfEEEEZZNS1_9scan_implILNS1_25lookback_scan_determinismE0ELb0ELb0ES3_PKS7_PS7_S7_ZZZN2at6native31launch_logcumsumexp_cuda_kernelERKNSE_10TensorBaseESI_lENKUlvE_clEvENKUlvE2_clEvEUlS7_S7_E_S7_EEDaPvRmT3_T4_T5_mT6_P12ihipStream_tbENKUlT_T0_E_clISt17integral_constantIbLb0EESY_IbLb1EEEEDaSU_SV_EUlSU_E0_NS1_11comp_targetILNS1_3genE5ELNS1_11target_archE942ELNS1_3gpuE9ELNS1_3repE0EEENS1_30default_config_static_selectorELNS0_4arch9wavefront6targetE0EEEvT1_.private_seg_size, 0
	.set _ZN7rocprim17ROCPRIM_400000_NS6detail17trampoline_kernelINS0_14default_configENS1_20scan_config_selectorIN3c107complexIfEEEEZZNS1_9scan_implILNS1_25lookback_scan_determinismE0ELb0ELb0ES3_PKS7_PS7_S7_ZZZN2at6native31launch_logcumsumexp_cuda_kernelERKNSE_10TensorBaseESI_lENKUlvE_clEvENKUlvE2_clEvEUlS7_S7_E_S7_EEDaPvRmT3_T4_T5_mT6_P12ihipStream_tbENKUlT_T0_E_clISt17integral_constantIbLb0EESY_IbLb1EEEEDaSU_SV_EUlSU_E0_NS1_11comp_targetILNS1_3genE5ELNS1_11target_archE942ELNS1_3gpuE9ELNS1_3repE0EEENS1_30default_config_static_selectorELNS0_4arch9wavefront6targetE0EEEvT1_.uses_vcc, 0
	.set _ZN7rocprim17ROCPRIM_400000_NS6detail17trampoline_kernelINS0_14default_configENS1_20scan_config_selectorIN3c107complexIfEEEEZZNS1_9scan_implILNS1_25lookback_scan_determinismE0ELb0ELb0ES3_PKS7_PS7_S7_ZZZN2at6native31launch_logcumsumexp_cuda_kernelERKNSE_10TensorBaseESI_lENKUlvE_clEvENKUlvE2_clEvEUlS7_S7_E_S7_EEDaPvRmT3_T4_T5_mT6_P12ihipStream_tbENKUlT_T0_E_clISt17integral_constantIbLb0EESY_IbLb1EEEEDaSU_SV_EUlSU_E0_NS1_11comp_targetILNS1_3genE5ELNS1_11target_archE942ELNS1_3gpuE9ELNS1_3repE0EEENS1_30default_config_static_selectorELNS0_4arch9wavefront6targetE0EEEvT1_.uses_flat_scratch, 0
	.set _ZN7rocprim17ROCPRIM_400000_NS6detail17trampoline_kernelINS0_14default_configENS1_20scan_config_selectorIN3c107complexIfEEEEZZNS1_9scan_implILNS1_25lookback_scan_determinismE0ELb0ELb0ES3_PKS7_PS7_S7_ZZZN2at6native31launch_logcumsumexp_cuda_kernelERKNSE_10TensorBaseESI_lENKUlvE_clEvENKUlvE2_clEvEUlS7_S7_E_S7_EEDaPvRmT3_T4_T5_mT6_P12ihipStream_tbENKUlT_T0_E_clISt17integral_constantIbLb0EESY_IbLb1EEEEDaSU_SV_EUlSU_E0_NS1_11comp_targetILNS1_3genE5ELNS1_11target_archE942ELNS1_3gpuE9ELNS1_3repE0EEENS1_30default_config_static_selectorELNS0_4arch9wavefront6targetE0EEEvT1_.has_dyn_sized_stack, 0
	.set _ZN7rocprim17ROCPRIM_400000_NS6detail17trampoline_kernelINS0_14default_configENS1_20scan_config_selectorIN3c107complexIfEEEEZZNS1_9scan_implILNS1_25lookback_scan_determinismE0ELb0ELb0ES3_PKS7_PS7_S7_ZZZN2at6native31launch_logcumsumexp_cuda_kernelERKNSE_10TensorBaseESI_lENKUlvE_clEvENKUlvE2_clEvEUlS7_S7_E_S7_EEDaPvRmT3_T4_T5_mT6_P12ihipStream_tbENKUlT_T0_E_clISt17integral_constantIbLb0EESY_IbLb1EEEEDaSU_SV_EUlSU_E0_NS1_11comp_targetILNS1_3genE5ELNS1_11target_archE942ELNS1_3gpuE9ELNS1_3repE0EEENS1_30default_config_static_selectorELNS0_4arch9wavefront6targetE0EEEvT1_.has_recursion, 0
	.set _ZN7rocprim17ROCPRIM_400000_NS6detail17trampoline_kernelINS0_14default_configENS1_20scan_config_selectorIN3c107complexIfEEEEZZNS1_9scan_implILNS1_25lookback_scan_determinismE0ELb0ELb0ES3_PKS7_PS7_S7_ZZZN2at6native31launch_logcumsumexp_cuda_kernelERKNSE_10TensorBaseESI_lENKUlvE_clEvENKUlvE2_clEvEUlS7_S7_E_S7_EEDaPvRmT3_T4_T5_mT6_P12ihipStream_tbENKUlT_T0_E_clISt17integral_constantIbLb0EESY_IbLb1EEEEDaSU_SV_EUlSU_E0_NS1_11comp_targetILNS1_3genE5ELNS1_11target_archE942ELNS1_3gpuE9ELNS1_3repE0EEENS1_30default_config_static_selectorELNS0_4arch9wavefront6targetE0EEEvT1_.has_indirect_call, 0
	.section	.AMDGPU.csdata,"",@progbits
; Kernel info:
; codeLenInByte = 0
; TotalNumSgprs: 0
; NumVgprs: 0
; ScratchSize: 0
; MemoryBound: 0
; FloatMode: 240
; IeeeMode: 1
; LDSByteSize: 0 bytes/workgroup (compile time only)
; SGPRBlocks: 0
; VGPRBlocks: 0
; NumSGPRsForWavesPerEU: 1
; NumVGPRsForWavesPerEU: 1
; Occupancy: 16
; WaveLimiterHint : 0
; COMPUTE_PGM_RSRC2:SCRATCH_EN: 0
; COMPUTE_PGM_RSRC2:USER_SGPR: 6
; COMPUTE_PGM_RSRC2:TRAP_HANDLER: 0
; COMPUTE_PGM_RSRC2:TGID_X_EN: 1
; COMPUTE_PGM_RSRC2:TGID_Y_EN: 0
; COMPUTE_PGM_RSRC2:TGID_Z_EN: 0
; COMPUTE_PGM_RSRC2:TIDIG_COMP_CNT: 0
	.section	.text._ZN7rocprim17ROCPRIM_400000_NS6detail17trampoline_kernelINS0_14default_configENS1_20scan_config_selectorIN3c107complexIfEEEEZZNS1_9scan_implILNS1_25lookback_scan_determinismE0ELb0ELb0ES3_PKS7_PS7_S7_ZZZN2at6native31launch_logcumsumexp_cuda_kernelERKNSE_10TensorBaseESI_lENKUlvE_clEvENKUlvE2_clEvEUlS7_S7_E_S7_EEDaPvRmT3_T4_T5_mT6_P12ihipStream_tbENKUlT_T0_E_clISt17integral_constantIbLb0EESY_IbLb1EEEEDaSU_SV_EUlSU_E0_NS1_11comp_targetILNS1_3genE4ELNS1_11target_archE910ELNS1_3gpuE8ELNS1_3repE0EEENS1_30default_config_static_selectorELNS0_4arch9wavefront6targetE0EEEvT1_,"axG",@progbits,_ZN7rocprim17ROCPRIM_400000_NS6detail17trampoline_kernelINS0_14default_configENS1_20scan_config_selectorIN3c107complexIfEEEEZZNS1_9scan_implILNS1_25lookback_scan_determinismE0ELb0ELb0ES3_PKS7_PS7_S7_ZZZN2at6native31launch_logcumsumexp_cuda_kernelERKNSE_10TensorBaseESI_lENKUlvE_clEvENKUlvE2_clEvEUlS7_S7_E_S7_EEDaPvRmT3_T4_T5_mT6_P12ihipStream_tbENKUlT_T0_E_clISt17integral_constantIbLb0EESY_IbLb1EEEEDaSU_SV_EUlSU_E0_NS1_11comp_targetILNS1_3genE4ELNS1_11target_archE910ELNS1_3gpuE8ELNS1_3repE0EEENS1_30default_config_static_selectorELNS0_4arch9wavefront6targetE0EEEvT1_,comdat
	.globl	_ZN7rocprim17ROCPRIM_400000_NS6detail17trampoline_kernelINS0_14default_configENS1_20scan_config_selectorIN3c107complexIfEEEEZZNS1_9scan_implILNS1_25lookback_scan_determinismE0ELb0ELb0ES3_PKS7_PS7_S7_ZZZN2at6native31launch_logcumsumexp_cuda_kernelERKNSE_10TensorBaseESI_lENKUlvE_clEvENKUlvE2_clEvEUlS7_S7_E_S7_EEDaPvRmT3_T4_T5_mT6_P12ihipStream_tbENKUlT_T0_E_clISt17integral_constantIbLb0EESY_IbLb1EEEEDaSU_SV_EUlSU_E0_NS1_11comp_targetILNS1_3genE4ELNS1_11target_archE910ELNS1_3gpuE8ELNS1_3repE0EEENS1_30default_config_static_selectorELNS0_4arch9wavefront6targetE0EEEvT1_ ; -- Begin function _ZN7rocprim17ROCPRIM_400000_NS6detail17trampoline_kernelINS0_14default_configENS1_20scan_config_selectorIN3c107complexIfEEEEZZNS1_9scan_implILNS1_25lookback_scan_determinismE0ELb0ELb0ES3_PKS7_PS7_S7_ZZZN2at6native31launch_logcumsumexp_cuda_kernelERKNSE_10TensorBaseESI_lENKUlvE_clEvENKUlvE2_clEvEUlS7_S7_E_S7_EEDaPvRmT3_T4_T5_mT6_P12ihipStream_tbENKUlT_T0_E_clISt17integral_constantIbLb0EESY_IbLb1EEEEDaSU_SV_EUlSU_E0_NS1_11comp_targetILNS1_3genE4ELNS1_11target_archE910ELNS1_3gpuE8ELNS1_3repE0EEENS1_30default_config_static_selectorELNS0_4arch9wavefront6targetE0EEEvT1_
	.p2align	8
	.type	_ZN7rocprim17ROCPRIM_400000_NS6detail17trampoline_kernelINS0_14default_configENS1_20scan_config_selectorIN3c107complexIfEEEEZZNS1_9scan_implILNS1_25lookback_scan_determinismE0ELb0ELb0ES3_PKS7_PS7_S7_ZZZN2at6native31launch_logcumsumexp_cuda_kernelERKNSE_10TensorBaseESI_lENKUlvE_clEvENKUlvE2_clEvEUlS7_S7_E_S7_EEDaPvRmT3_T4_T5_mT6_P12ihipStream_tbENKUlT_T0_E_clISt17integral_constantIbLb0EESY_IbLb1EEEEDaSU_SV_EUlSU_E0_NS1_11comp_targetILNS1_3genE4ELNS1_11target_archE910ELNS1_3gpuE8ELNS1_3repE0EEENS1_30default_config_static_selectorELNS0_4arch9wavefront6targetE0EEEvT1_,@function
_ZN7rocprim17ROCPRIM_400000_NS6detail17trampoline_kernelINS0_14default_configENS1_20scan_config_selectorIN3c107complexIfEEEEZZNS1_9scan_implILNS1_25lookback_scan_determinismE0ELb0ELb0ES3_PKS7_PS7_S7_ZZZN2at6native31launch_logcumsumexp_cuda_kernelERKNSE_10TensorBaseESI_lENKUlvE_clEvENKUlvE2_clEvEUlS7_S7_E_S7_EEDaPvRmT3_T4_T5_mT6_P12ihipStream_tbENKUlT_T0_E_clISt17integral_constantIbLb0EESY_IbLb1EEEEDaSU_SV_EUlSU_E0_NS1_11comp_targetILNS1_3genE4ELNS1_11target_archE910ELNS1_3gpuE8ELNS1_3repE0EEENS1_30default_config_static_selectorELNS0_4arch9wavefront6targetE0EEEvT1_: ; @_ZN7rocprim17ROCPRIM_400000_NS6detail17trampoline_kernelINS0_14default_configENS1_20scan_config_selectorIN3c107complexIfEEEEZZNS1_9scan_implILNS1_25lookback_scan_determinismE0ELb0ELb0ES3_PKS7_PS7_S7_ZZZN2at6native31launch_logcumsumexp_cuda_kernelERKNSE_10TensorBaseESI_lENKUlvE_clEvENKUlvE2_clEvEUlS7_S7_E_S7_EEDaPvRmT3_T4_T5_mT6_P12ihipStream_tbENKUlT_T0_E_clISt17integral_constantIbLb0EESY_IbLb1EEEEDaSU_SV_EUlSU_E0_NS1_11comp_targetILNS1_3genE4ELNS1_11target_archE910ELNS1_3gpuE8ELNS1_3repE0EEENS1_30default_config_static_selectorELNS0_4arch9wavefront6targetE0EEEvT1_
; %bb.0:
	.section	.rodata,"a",@progbits
	.p2align	6, 0x0
	.amdhsa_kernel _ZN7rocprim17ROCPRIM_400000_NS6detail17trampoline_kernelINS0_14default_configENS1_20scan_config_selectorIN3c107complexIfEEEEZZNS1_9scan_implILNS1_25lookback_scan_determinismE0ELb0ELb0ES3_PKS7_PS7_S7_ZZZN2at6native31launch_logcumsumexp_cuda_kernelERKNSE_10TensorBaseESI_lENKUlvE_clEvENKUlvE2_clEvEUlS7_S7_E_S7_EEDaPvRmT3_T4_T5_mT6_P12ihipStream_tbENKUlT_T0_E_clISt17integral_constantIbLb0EESY_IbLb1EEEEDaSU_SV_EUlSU_E0_NS1_11comp_targetILNS1_3genE4ELNS1_11target_archE910ELNS1_3gpuE8ELNS1_3repE0EEENS1_30default_config_static_selectorELNS0_4arch9wavefront6targetE0EEEvT1_
		.amdhsa_group_segment_fixed_size 0
		.amdhsa_private_segment_fixed_size 0
		.amdhsa_kernarg_size 40
		.amdhsa_user_sgpr_count 6
		.amdhsa_user_sgpr_private_segment_buffer 1
		.amdhsa_user_sgpr_dispatch_ptr 0
		.amdhsa_user_sgpr_queue_ptr 0
		.amdhsa_user_sgpr_kernarg_segment_ptr 1
		.amdhsa_user_sgpr_dispatch_id 0
		.amdhsa_user_sgpr_flat_scratch_init 0
		.amdhsa_user_sgpr_private_segment_size 0
		.amdhsa_wavefront_size32 1
		.amdhsa_uses_dynamic_stack 0
		.amdhsa_system_sgpr_private_segment_wavefront_offset 0
		.amdhsa_system_sgpr_workgroup_id_x 1
		.amdhsa_system_sgpr_workgroup_id_y 0
		.amdhsa_system_sgpr_workgroup_id_z 0
		.amdhsa_system_sgpr_workgroup_info 0
		.amdhsa_system_vgpr_workitem_id 0
		.amdhsa_next_free_vgpr 1
		.amdhsa_next_free_sgpr 1
		.amdhsa_reserve_vcc 0
		.amdhsa_reserve_flat_scratch 0
		.amdhsa_float_round_mode_32 0
		.amdhsa_float_round_mode_16_64 0
		.amdhsa_float_denorm_mode_32 3
		.amdhsa_float_denorm_mode_16_64 3
		.amdhsa_dx10_clamp 1
		.amdhsa_ieee_mode 1
		.amdhsa_fp16_overflow 0
		.amdhsa_workgroup_processor_mode 1
		.amdhsa_memory_ordered 1
		.amdhsa_forward_progress 1
		.amdhsa_shared_vgpr_count 0
		.amdhsa_exception_fp_ieee_invalid_op 0
		.amdhsa_exception_fp_denorm_src 0
		.amdhsa_exception_fp_ieee_div_zero 0
		.amdhsa_exception_fp_ieee_overflow 0
		.amdhsa_exception_fp_ieee_underflow 0
		.amdhsa_exception_fp_ieee_inexact 0
		.amdhsa_exception_int_div_zero 0
	.end_amdhsa_kernel
	.section	.text._ZN7rocprim17ROCPRIM_400000_NS6detail17trampoline_kernelINS0_14default_configENS1_20scan_config_selectorIN3c107complexIfEEEEZZNS1_9scan_implILNS1_25lookback_scan_determinismE0ELb0ELb0ES3_PKS7_PS7_S7_ZZZN2at6native31launch_logcumsumexp_cuda_kernelERKNSE_10TensorBaseESI_lENKUlvE_clEvENKUlvE2_clEvEUlS7_S7_E_S7_EEDaPvRmT3_T4_T5_mT6_P12ihipStream_tbENKUlT_T0_E_clISt17integral_constantIbLb0EESY_IbLb1EEEEDaSU_SV_EUlSU_E0_NS1_11comp_targetILNS1_3genE4ELNS1_11target_archE910ELNS1_3gpuE8ELNS1_3repE0EEENS1_30default_config_static_selectorELNS0_4arch9wavefront6targetE0EEEvT1_,"axG",@progbits,_ZN7rocprim17ROCPRIM_400000_NS6detail17trampoline_kernelINS0_14default_configENS1_20scan_config_selectorIN3c107complexIfEEEEZZNS1_9scan_implILNS1_25lookback_scan_determinismE0ELb0ELb0ES3_PKS7_PS7_S7_ZZZN2at6native31launch_logcumsumexp_cuda_kernelERKNSE_10TensorBaseESI_lENKUlvE_clEvENKUlvE2_clEvEUlS7_S7_E_S7_EEDaPvRmT3_T4_T5_mT6_P12ihipStream_tbENKUlT_T0_E_clISt17integral_constantIbLb0EESY_IbLb1EEEEDaSU_SV_EUlSU_E0_NS1_11comp_targetILNS1_3genE4ELNS1_11target_archE910ELNS1_3gpuE8ELNS1_3repE0EEENS1_30default_config_static_selectorELNS0_4arch9wavefront6targetE0EEEvT1_,comdat
.Lfunc_end340:
	.size	_ZN7rocprim17ROCPRIM_400000_NS6detail17trampoline_kernelINS0_14default_configENS1_20scan_config_selectorIN3c107complexIfEEEEZZNS1_9scan_implILNS1_25lookback_scan_determinismE0ELb0ELb0ES3_PKS7_PS7_S7_ZZZN2at6native31launch_logcumsumexp_cuda_kernelERKNSE_10TensorBaseESI_lENKUlvE_clEvENKUlvE2_clEvEUlS7_S7_E_S7_EEDaPvRmT3_T4_T5_mT6_P12ihipStream_tbENKUlT_T0_E_clISt17integral_constantIbLb0EESY_IbLb1EEEEDaSU_SV_EUlSU_E0_NS1_11comp_targetILNS1_3genE4ELNS1_11target_archE910ELNS1_3gpuE8ELNS1_3repE0EEENS1_30default_config_static_selectorELNS0_4arch9wavefront6targetE0EEEvT1_, .Lfunc_end340-_ZN7rocprim17ROCPRIM_400000_NS6detail17trampoline_kernelINS0_14default_configENS1_20scan_config_selectorIN3c107complexIfEEEEZZNS1_9scan_implILNS1_25lookback_scan_determinismE0ELb0ELb0ES3_PKS7_PS7_S7_ZZZN2at6native31launch_logcumsumexp_cuda_kernelERKNSE_10TensorBaseESI_lENKUlvE_clEvENKUlvE2_clEvEUlS7_S7_E_S7_EEDaPvRmT3_T4_T5_mT6_P12ihipStream_tbENKUlT_T0_E_clISt17integral_constantIbLb0EESY_IbLb1EEEEDaSU_SV_EUlSU_E0_NS1_11comp_targetILNS1_3genE4ELNS1_11target_archE910ELNS1_3gpuE8ELNS1_3repE0EEENS1_30default_config_static_selectorELNS0_4arch9wavefront6targetE0EEEvT1_
                                        ; -- End function
	.set _ZN7rocprim17ROCPRIM_400000_NS6detail17trampoline_kernelINS0_14default_configENS1_20scan_config_selectorIN3c107complexIfEEEEZZNS1_9scan_implILNS1_25lookback_scan_determinismE0ELb0ELb0ES3_PKS7_PS7_S7_ZZZN2at6native31launch_logcumsumexp_cuda_kernelERKNSE_10TensorBaseESI_lENKUlvE_clEvENKUlvE2_clEvEUlS7_S7_E_S7_EEDaPvRmT3_T4_T5_mT6_P12ihipStream_tbENKUlT_T0_E_clISt17integral_constantIbLb0EESY_IbLb1EEEEDaSU_SV_EUlSU_E0_NS1_11comp_targetILNS1_3genE4ELNS1_11target_archE910ELNS1_3gpuE8ELNS1_3repE0EEENS1_30default_config_static_selectorELNS0_4arch9wavefront6targetE0EEEvT1_.num_vgpr, 0
	.set _ZN7rocprim17ROCPRIM_400000_NS6detail17trampoline_kernelINS0_14default_configENS1_20scan_config_selectorIN3c107complexIfEEEEZZNS1_9scan_implILNS1_25lookback_scan_determinismE0ELb0ELb0ES3_PKS7_PS7_S7_ZZZN2at6native31launch_logcumsumexp_cuda_kernelERKNSE_10TensorBaseESI_lENKUlvE_clEvENKUlvE2_clEvEUlS7_S7_E_S7_EEDaPvRmT3_T4_T5_mT6_P12ihipStream_tbENKUlT_T0_E_clISt17integral_constantIbLb0EESY_IbLb1EEEEDaSU_SV_EUlSU_E0_NS1_11comp_targetILNS1_3genE4ELNS1_11target_archE910ELNS1_3gpuE8ELNS1_3repE0EEENS1_30default_config_static_selectorELNS0_4arch9wavefront6targetE0EEEvT1_.num_agpr, 0
	.set _ZN7rocprim17ROCPRIM_400000_NS6detail17trampoline_kernelINS0_14default_configENS1_20scan_config_selectorIN3c107complexIfEEEEZZNS1_9scan_implILNS1_25lookback_scan_determinismE0ELb0ELb0ES3_PKS7_PS7_S7_ZZZN2at6native31launch_logcumsumexp_cuda_kernelERKNSE_10TensorBaseESI_lENKUlvE_clEvENKUlvE2_clEvEUlS7_S7_E_S7_EEDaPvRmT3_T4_T5_mT6_P12ihipStream_tbENKUlT_T0_E_clISt17integral_constantIbLb0EESY_IbLb1EEEEDaSU_SV_EUlSU_E0_NS1_11comp_targetILNS1_3genE4ELNS1_11target_archE910ELNS1_3gpuE8ELNS1_3repE0EEENS1_30default_config_static_selectorELNS0_4arch9wavefront6targetE0EEEvT1_.numbered_sgpr, 0
	.set _ZN7rocprim17ROCPRIM_400000_NS6detail17trampoline_kernelINS0_14default_configENS1_20scan_config_selectorIN3c107complexIfEEEEZZNS1_9scan_implILNS1_25lookback_scan_determinismE0ELb0ELb0ES3_PKS7_PS7_S7_ZZZN2at6native31launch_logcumsumexp_cuda_kernelERKNSE_10TensorBaseESI_lENKUlvE_clEvENKUlvE2_clEvEUlS7_S7_E_S7_EEDaPvRmT3_T4_T5_mT6_P12ihipStream_tbENKUlT_T0_E_clISt17integral_constantIbLb0EESY_IbLb1EEEEDaSU_SV_EUlSU_E0_NS1_11comp_targetILNS1_3genE4ELNS1_11target_archE910ELNS1_3gpuE8ELNS1_3repE0EEENS1_30default_config_static_selectorELNS0_4arch9wavefront6targetE0EEEvT1_.num_named_barrier, 0
	.set _ZN7rocprim17ROCPRIM_400000_NS6detail17trampoline_kernelINS0_14default_configENS1_20scan_config_selectorIN3c107complexIfEEEEZZNS1_9scan_implILNS1_25lookback_scan_determinismE0ELb0ELb0ES3_PKS7_PS7_S7_ZZZN2at6native31launch_logcumsumexp_cuda_kernelERKNSE_10TensorBaseESI_lENKUlvE_clEvENKUlvE2_clEvEUlS7_S7_E_S7_EEDaPvRmT3_T4_T5_mT6_P12ihipStream_tbENKUlT_T0_E_clISt17integral_constantIbLb0EESY_IbLb1EEEEDaSU_SV_EUlSU_E0_NS1_11comp_targetILNS1_3genE4ELNS1_11target_archE910ELNS1_3gpuE8ELNS1_3repE0EEENS1_30default_config_static_selectorELNS0_4arch9wavefront6targetE0EEEvT1_.private_seg_size, 0
	.set _ZN7rocprim17ROCPRIM_400000_NS6detail17trampoline_kernelINS0_14default_configENS1_20scan_config_selectorIN3c107complexIfEEEEZZNS1_9scan_implILNS1_25lookback_scan_determinismE0ELb0ELb0ES3_PKS7_PS7_S7_ZZZN2at6native31launch_logcumsumexp_cuda_kernelERKNSE_10TensorBaseESI_lENKUlvE_clEvENKUlvE2_clEvEUlS7_S7_E_S7_EEDaPvRmT3_T4_T5_mT6_P12ihipStream_tbENKUlT_T0_E_clISt17integral_constantIbLb0EESY_IbLb1EEEEDaSU_SV_EUlSU_E0_NS1_11comp_targetILNS1_3genE4ELNS1_11target_archE910ELNS1_3gpuE8ELNS1_3repE0EEENS1_30default_config_static_selectorELNS0_4arch9wavefront6targetE0EEEvT1_.uses_vcc, 0
	.set _ZN7rocprim17ROCPRIM_400000_NS6detail17trampoline_kernelINS0_14default_configENS1_20scan_config_selectorIN3c107complexIfEEEEZZNS1_9scan_implILNS1_25lookback_scan_determinismE0ELb0ELb0ES3_PKS7_PS7_S7_ZZZN2at6native31launch_logcumsumexp_cuda_kernelERKNSE_10TensorBaseESI_lENKUlvE_clEvENKUlvE2_clEvEUlS7_S7_E_S7_EEDaPvRmT3_T4_T5_mT6_P12ihipStream_tbENKUlT_T0_E_clISt17integral_constantIbLb0EESY_IbLb1EEEEDaSU_SV_EUlSU_E0_NS1_11comp_targetILNS1_3genE4ELNS1_11target_archE910ELNS1_3gpuE8ELNS1_3repE0EEENS1_30default_config_static_selectorELNS0_4arch9wavefront6targetE0EEEvT1_.uses_flat_scratch, 0
	.set _ZN7rocprim17ROCPRIM_400000_NS6detail17trampoline_kernelINS0_14default_configENS1_20scan_config_selectorIN3c107complexIfEEEEZZNS1_9scan_implILNS1_25lookback_scan_determinismE0ELb0ELb0ES3_PKS7_PS7_S7_ZZZN2at6native31launch_logcumsumexp_cuda_kernelERKNSE_10TensorBaseESI_lENKUlvE_clEvENKUlvE2_clEvEUlS7_S7_E_S7_EEDaPvRmT3_T4_T5_mT6_P12ihipStream_tbENKUlT_T0_E_clISt17integral_constantIbLb0EESY_IbLb1EEEEDaSU_SV_EUlSU_E0_NS1_11comp_targetILNS1_3genE4ELNS1_11target_archE910ELNS1_3gpuE8ELNS1_3repE0EEENS1_30default_config_static_selectorELNS0_4arch9wavefront6targetE0EEEvT1_.has_dyn_sized_stack, 0
	.set _ZN7rocprim17ROCPRIM_400000_NS6detail17trampoline_kernelINS0_14default_configENS1_20scan_config_selectorIN3c107complexIfEEEEZZNS1_9scan_implILNS1_25lookback_scan_determinismE0ELb0ELb0ES3_PKS7_PS7_S7_ZZZN2at6native31launch_logcumsumexp_cuda_kernelERKNSE_10TensorBaseESI_lENKUlvE_clEvENKUlvE2_clEvEUlS7_S7_E_S7_EEDaPvRmT3_T4_T5_mT6_P12ihipStream_tbENKUlT_T0_E_clISt17integral_constantIbLb0EESY_IbLb1EEEEDaSU_SV_EUlSU_E0_NS1_11comp_targetILNS1_3genE4ELNS1_11target_archE910ELNS1_3gpuE8ELNS1_3repE0EEENS1_30default_config_static_selectorELNS0_4arch9wavefront6targetE0EEEvT1_.has_recursion, 0
	.set _ZN7rocprim17ROCPRIM_400000_NS6detail17trampoline_kernelINS0_14default_configENS1_20scan_config_selectorIN3c107complexIfEEEEZZNS1_9scan_implILNS1_25lookback_scan_determinismE0ELb0ELb0ES3_PKS7_PS7_S7_ZZZN2at6native31launch_logcumsumexp_cuda_kernelERKNSE_10TensorBaseESI_lENKUlvE_clEvENKUlvE2_clEvEUlS7_S7_E_S7_EEDaPvRmT3_T4_T5_mT6_P12ihipStream_tbENKUlT_T0_E_clISt17integral_constantIbLb0EESY_IbLb1EEEEDaSU_SV_EUlSU_E0_NS1_11comp_targetILNS1_3genE4ELNS1_11target_archE910ELNS1_3gpuE8ELNS1_3repE0EEENS1_30default_config_static_selectorELNS0_4arch9wavefront6targetE0EEEvT1_.has_indirect_call, 0
	.section	.AMDGPU.csdata,"",@progbits
; Kernel info:
; codeLenInByte = 0
; TotalNumSgprs: 0
; NumVgprs: 0
; ScratchSize: 0
; MemoryBound: 0
; FloatMode: 240
; IeeeMode: 1
; LDSByteSize: 0 bytes/workgroup (compile time only)
; SGPRBlocks: 0
; VGPRBlocks: 0
; NumSGPRsForWavesPerEU: 1
; NumVGPRsForWavesPerEU: 1
; Occupancy: 16
; WaveLimiterHint : 0
; COMPUTE_PGM_RSRC2:SCRATCH_EN: 0
; COMPUTE_PGM_RSRC2:USER_SGPR: 6
; COMPUTE_PGM_RSRC2:TRAP_HANDLER: 0
; COMPUTE_PGM_RSRC2:TGID_X_EN: 1
; COMPUTE_PGM_RSRC2:TGID_Y_EN: 0
; COMPUTE_PGM_RSRC2:TGID_Z_EN: 0
; COMPUTE_PGM_RSRC2:TIDIG_COMP_CNT: 0
	.section	.text._ZN7rocprim17ROCPRIM_400000_NS6detail17trampoline_kernelINS0_14default_configENS1_20scan_config_selectorIN3c107complexIfEEEEZZNS1_9scan_implILNS1_25lookback_scan_determinismE0ELb0ELb0ES3_PKS7_PS7_S7_ZZZN2at6native31launch_logcumsumexp_cuda_kernelERKNSE_10TensorBaseESI_lENKUlvE_clEvENKUlvE2_clEvEUlS7_S7_E_S7_EEDaPvRmT3_T4_T5_mT6_P12ihipStream_tbENKUlT_T0_E_clISt17integral_constantIbLb0EESY_IbLb1EEEEDaSU_SV_EUlSU_E0_NS1_11comp_targetILNS1_3genE3ELNS1_11target_archE908ELNS1_3gpuE7ELNS1_3repE0EEENS1_30default_config_static_selectorELNS0_4arch9wavefront6targetE0EEEvT1_,"axG",@progbits,_ZN7rocprim17ROCPRIM_400000_NS6detail17trampoline_kernelINS0_14default_configENS1_20scan_config_selectorIN3c107complexIfEEEEZZNS1_9scan_implILNS1_25lookback_scan_determinismE0ELb0ELb0ES3_PKS7_PS7_S7_ZZZN2at6native31launch_logcumsumexp_cuda_kernelERKNSE_10TensorBaseESI_lENKUlvE_clEvENKUlvE2_clEvEUlS7_S7_E_S7_EEDaPvRmT3_T4_T5_mT6_P12ihipStream_tbENKUlT_T0_E_clISt17integral_constantIbLb0EESY_IbLb1EEEEDaSU_SV_EUlSU_E0_NS1_11comp_targetILNS1_3genE3ELNS1_11target_archE908ELNS1_3gpuE7ELNS1_3repE0EEENS1_30default_config_static_selectorELNS0_4arch9wavefront6targetE0EEEvT1_,comdat
	.globl	_ZN7rocprim17ROCPRIM_400000_NS6detail17trampoline_kernelINS0_14default_configENS1_20scan_config_selectorIN3c107complexIfEEEEZZNS1_9scan_implILNS1_25lookback_scan_determinismE0ELb0ELb0ES3_PKS7_PS7_S7_ZZZN2at6native31launch_logcumsumexp_cuda_kernelERKNSE_10TensorBaseESI_lENKUlvE_clEvENKUlvE2_clEvEUlS7_S7_E_S7_EEDaPvRmT3_T4_T5_mT6_P12ihipStream_tbENKUlT_T0_E_clISt17integral_constantIbLb0EESY_IbLb1EEEEDaSU_SV_EUlSU_E0_NS1_11comp_targetILNS1_3genE3ELNS1_11target_archE908ELNS1_3gpuE7ELNS1_3repE0EEENS1_30default_config_static_selectorELNS0_4arch9wavefront6targetE0EEEvT1_ ; -- Begin function _ZN7rocprim17ROCPRIM_400000_NS6detail17trampoline_kernelINS0_14default_configENS1_20scan_config_selectorIN3c107complexIfEEEEZZNS1_9scan_implILNS1_25lookback_scan_determinismE0ELb0ELb0ES3_PKS7_PS7_S7_ZZZN2at6native31launch_logcumsumexp_cuda_kernelERKNSE_10TensorBaseESI_lENKUlvE_clEvENKUlvE2_clEvEUlS7_S7_E_S7_EEDaPvRmT3_T4_T5_mT6_P12ihipStream_tbENKUlT_T0_E_clISt17integral_constantIbLb0EESY_IbLb1EEEEDaSU_SV_EUlSU_E0_NS1_11comp_targetILNS1_3genE3ELNS1_11target_archE908ELNS1_3gpuE7ELNS1_3repE0EEENS1_30default_config_static_selectorELNS0_4arch9wavefront6targetE0EEEvT1_
	.p2align	8
	.type	_ZN7rocprim17ROCPRIM_400000_NS6detail17trampoline_kernelINS0_14default_configENS1_20scan_config_selectorIN3c107complexIfEEEEZZNS1_9scan_implILNS1_25lookback_scan_determinismE0ELb0ELb0ES3_PKS7_PS7_S7_ZZZN2at6native31launch_logcumsumexp_cuda_kernelERKNSE_10TensorBaseESI_lENKUlvE_clEvENKUlvE2_clEvEUlS7_S7_E_S7_EEDaPvRmT3_T4_T5_mT6_P12ihipStream_tbENKUlT_T0_E_clISt17integral_constantIbLb0EESY_IbLb1EEEEDaSU_SV_EUlSU_E0_NS1_11comp_targetILNS1_3genE3ELNS1_11target_archE908ELNS1_3gpuE7ELNS1_3repE0EEENS1_30default_config_static_selectorELNS0_4arch9wavefront6targetE0EEEvT1_,@function
_ZN7rocprim17ROCPRIM_400000_NS6detail17trampoline_kernelINS0_14default_configENS1_20scan_config_selectorIN3c107complexIfEEEEZZNS1_9scan_implILNS1_25lookback_scan_determinismE0ELb0ELb0ES3_PKS7_PS7_S7_ZZZN2at6native31launch_logcumsumexp_cuda_kernelERKNSE_10TensorBaseESI_lENKUlvE_clEvENKUlvE2_clEvEUlS7_S7_E_S7_EEDaPvRmT3_T4_T5_mT6_P12ihipStream_tbENKUlT_T0_E_clISt17integral_constantIbLb0EESY_IbLb1EEEEDaSU_SV_EUlSU_E0_NS1_11comp_targetILNS1_3genE3ELNS1_11target_archE908ELNS1_3gpuE7ELNS1_3repE0EEENS1_30default_config_static_selectorELNS0_4arch9wavefront6targetE0EEEvT1_: ; @_ZN7rocprim17ROCPRIM_400000_NS6detail17trampoline_kernelINS0_14default_configENS1_20scan_config_selectorIN3c107complexIfEEEEZZNS1_9scan_implILNS1_25lookback_scan_determinismE0ELb0ELb0ES3_PKS7_PS7_S7_ZZZN2at6native31launch_logcumsumexp_cuda_kernelERKNSE_10TensorBaseESI_lENKUlvE_clEvENKUlvE2_clEvEUlS7_S7_E_S7_EEDaPvRmT3_T4_T5_mT6_P12ihipStream_tbENKUlT_T0_E_clISt17integral_constantIbLb0EESY_IbLb1EEEEDaSU_SV_EUlSU_E0_NS1_11comp_targetILNS1_3genE3ELNS1_11target_archE908ELNS1_3gpuE7ELNS1_3repE0EEENS1_30default_config_static_selectorELNS0_4arch9wavefront6targetE0EEEvT1_
; %bb.0:
	.section	.rodata,"a",@progbits
	.p2align	6, 0x0
	.amdhsa_kernel _ZN7rocprim17ROCPRIM_400000_NS6detail17trampoline_kernelINS0_14default_configENS1_20scan_config_selectorIN3c107complexIfEEEEZZNS1_9scan_implILNS1_25lookback_scan_determinismE0ELb0ELb0ES3_PKS7_PS7_S7_ZZZN2at6native31launch_logcumsumexp_cuda_kernelERKNSE_10TensorBaseESI_lENKUlvE_clEvENKUlvE2_clEvEUlS7_S7_E_S7_EEDaPvRmT3_T4_T5_mT6_P12ihipStream_tbENKUlT_T0_E_clISt17integral_constantIbLb0EESY_IbLb1EEEEDaSU_SV_EUlSU_E0_NS1_11comp_targetILNS1_3genE3ELNS1_11target_archE908ELNS1_3gpuE7ELNS1_3repE0EEENS1_30default_config_static_selectorELNS0_4arch9wavefront6targetE0EEEvT1_
		.amdhsa_group_segment_fixed_size 0
		.amdhsa_private_segment_fixed_size 0
		.amdhsa_kernarg_size 40
		.amdhsa_user_sgpr_count 6
		.amdhsa_user_sgpr_private_segment_buffer 1
		.amdhsa_user_sgpr_dispatch_ptr 0
		.amdhsa_user_sgpr_queue_ptr 0
		.amdhsa_user_sgpr_kernarg_segment_ptr 1
		.amdhsa_user_sgpr_dispatch_id 0
		.amdhsa_user_sgpr_flat_scratch_init 0
		.amdhsa_user_sgpr_private_segment_size 0
		.amdhsa_wavefront_size32 1
		.amdhsa_uses_dynamic_stack 0
		.amdhsa_system_sgpr_private_segment_wavefront_offset 0
		.amdhsa_system_sgpr_workgroup_id_x 1
		.amdhsa_system_sgpr_workgroup_id_y 0
		.amdhsa_system_sgpr_workgroup_id_z 0
		.amdhsa_system_sgpr_workgroup_info 0
		.amdhsa_system_vgpr_workitem_id 0
		.amdhsa_next_free_vgpr 1
		.amdhsa_next_free_sgpr 1
		.amdhsa_reserve_vcc 0
		.amdhsa_reserve_flat_scratch 0
		.amdhsa_float_round_mode_32 0
		.amdhsa_float_round_mode_16_64 0
		.amdhsa_float_denorm_mode_32 3
		.amdhsa_float_denorm_mode_16_64 3
		.amdhsa_dx10_clamp 1
		.amdhsa_ieee_mode 1
		.amdhsa_fp16_overflow 0
		.amdhsa_workgroup_processor_mode 1
		.amdhsa_memory_ordered 1
		.amdhsa_forward_progress 1
		.amdhsa_shared_vgpr_count 0
		.amdhsa_exception_fp_ieee_invalid_op 0
		.amdhsa_exception_fp_denorm_src 0
		.amdhsa_exception_fp_ieee_div_zero 0
		.amdhsa_exception_fp_ieee_overflow 0
		.amdhsa_exception_fp_ieee_underflow 0
		.amdhsa_exception_fp_ieee_inexact 0
		.amdhsa_exception_int_div_zero 0
	.end_amdhsa_kernel
	.section	.text._ZN7rocprim17ROCPRIM_400000_NS6detail17trampoline_kernelINS0_14default_configENS1_20scan_config_selectorIN3c107complexIfEEEEZZNS1_9scan_implILNS1_25lookback_scan_determinismE0ELb0ELb0ES3_PKS7_PS7_S7_ZZZN2at6native31launch_logcumsumexp_cuda_kernelERKNSE_10TensorBaseESI_lENKUlvE_clEvENKUlvE2_clEvEUlS7_S7_E_S7_EEDaPvRmT3_T4_T5_mT6_P12ihipStream_tbENKUlT_T0_E_clISt17integral_constantIbLb0EESY_IbLb1EEEEDaSU_SV_EUlSU_E0_NS1_11comp_targetILNS1_3genE3ELNS1_11target_archE908ELNS1_3gpuE7ELNS1_3repE0EEENS1_30default_config_static_selectorELNS0_4arch9wavefront6targetE0EEEvT1_,"axG",@progbits,_ZN7rocprim17ROCPRIM_400000_NS6detail17trampoline_kernelINS0_14default_configENS1_20scan_config_selectorIN3c107complexIfEEEEZZNS1_9scan_implILNS1_25lookback_scan_determinismE0ELb0ELb0ES3_PKS7_PS7_S7_ZZZN2at6native31launch_logcumsumexp_cuda_kernelERKNSE_10TensorBaseESI_lENKUlvE_clEvENKUlvE2_clEvEUlS7_S7_E_S7_EEDaPvRmT3_T4_T5_mT6_P12ihipStream_tbENKUlT_T0_E_clISt17integral_constantIbLb0EESY_IbLb1EEEEDaSU_SV_EUlSU_E0_NS1_11comp_targetILNS1_3genE3ELNS1_11target_archE908ELNS1_3gpuE7ELNS1_3repE0EEENS1_30default_config_static_selectorELNS0_4arch9wavefront6targetE0EEEvT1_,comdat
.Lfunc_end341:
	.size	_ZN7rocprim17ROCPRIM_400000_NS6detail17trampoline_kernelINS0_14default_configENS1_20scan_config_selectorIN3c107complexIfEEEEZZNS1_9scan_implILNS1_25lookback_scan_determinismE0ELb0ELb0ES3_PKS7_PS7_S7_ZZZN2at6native31launch_logcumsumexp_cuda_kernelERKNSE_10TensorBaseESI_lENKUlvE_clEvENKUlvE2_clEvEUlS7_S7_E_S7_EEDaPvRmT3_T4_T5_mT6_P12ihipStream_tbENKUlT_T0_E_clISt17integral_constantIbLb0EESY_IbLb1EEEEDaSU_SV_EUlSU_E0_NS1_11comp_targetILNS1_3genE3ELNS1_11target_archE908ELNS1_3gpuE7ELNS1_3repE0EEENS1_30default_config_static_selectorELNS0_4arch9wavefront6targetE0EEEvT1_, .Lfunc_end341-_ZN7rocprim17ROCPRIM_400000_NS6detail17trampoline_kernelINS0_14default_configENS1_20scan_config_selectorIN3c107complexIfEEEEZZNS1_9scan_implILNS1_25lookback_scan_determinismE0ELb0ELb0ES3_PKS7_PS7_S7_ZZZN2at6native31launch_logcumsumexp_cuda_kernelERKNSE_10TensorBaseESI_lENKUlvE_clEvENKUlvE2_clEvEUlS7_S7_E_S7_EEDaPvRmT3_T4_T5_mT6_P12ihipStream_tbENKUlT_T0_E_clISt17integral_constantIbLb0EESY_IbLb1EEEEDaSU_SV_EUlSU_E0_NS1_11comp_targetILNS1_3genE3ELNS1_11target_archE908ELNS1_3gpuE7ELNS1_3repE0EEENS1_30default_config_static_selectorELNS0_4arch9wavefront6targetE0EEEvT1_
                                        ; -- End function
	.set _ZN7rocprim17ROCPRIM_400000_NS6detail17trampoline_kernelINS0_14default_configENS1_20scan_config_selectorIN3c107complexIfEEEEZZNS1_9scan_implILNS1_25lookback_scan_determinismE0ELb0ELb0ES3_PKS7_PS7_S7_ZZZN2at6native31launch_logcumsumexp_cuda_kernelERKNSE_10TensorBaseESI_lENKUlvE_clEvENKUlvE2_clEvEUlS7_S7_E_S7_EEDaPvRmT3_T4_T5_mT6_P12ihipStream_tbENKUlT_T0_E_clISt17integral_constantIbLb0EESY_IbLb1EEEEDaSU_SV_EUlSU_E0_NS1_11comp_targetILNS1_3genE3ELNS1_11target_archE908ELNS1_3gpuE7ELNS1_3repE0EEENS1_30default_config_static_selectorELNS0_4arch9wavefront6targetE0EEEvT1_.num_vgpr, 0
	.set _ZN7rocprim17ROCPRIM_400000_NS6detail17trampoline_kernelINS0_14default_configENS1_20scan_config_selectorIN3c107complexIfEEEEZZNS1_9scan_implILNS1_25lookback_scan_determinismE0ELb0ELb0ES3_PKS7_PS7_S7_ZZZN2at6native31launch_logcumsumexp_cuda_kernelERKNSE_10TensorBaseESI_lENKUlvE_clEvENKUlvE2_clEvEUlS7_S7_E_S7_EEDaPvRmT3_T4_T5_mT6_P12ihipStream_tbENKUlT_T0_E_clISt17integral_constantIbLb0EESY_IbLb1EEEEDaSU_SV_EUlSU_E0_NS1_11comp_targetILNS1_3genE3ELNS1_11target_archE908ELNS1_3gpuE7ELNS1_3repE0EEENS1_30default_config_static_selectorELNS0_4arch9wavefront6targetE0EEEvT1_.num_agpr, 0
	.set _ZN7rocprim17ROCPRIM_400000_NS6detail17trampoline_kernelINS0_14default_configENS1_20scan_config_selectorIN3c107complexIfEEEEZZNS1_9scan_implILNS1_25lookback_scan_determinismE0ELb0ELb0ES3_PKS7_PS7_S7_ZZZN2at6native31launch_logcumsumexp_cuda_kernelERKNSE_10TensorBaseESI_lENKUlvE_clEvENKUlvE2_clEvEUlS7_S7_E_S7_EEDaPvRmT3_T4_T5_mT6_P12ihipStream_tbENKUlT_T0_E_clISt17integral_constantIbLb0EESY_IbLb1EEEEDaSU_SV_EUlSU_E0_NS1_11comp_targetILNS1_3genE3ELNS1_11target_archE908ELNS1_3gpuE7ELNS1_3repE0EEENS1_30default_config_static_selectorELNS0_4arch9wavefront6targetE0EEEvT1_.numbered_sgpr, 0
	.set _ZN7rocprim17ROCPRIM_400000_NS6detail17trampoline_kernelINS0_14default_configENS1_20scan_config_selectorIN3c107complexIfEEEEZZNS1_9scan_implILNS1_25lookback_scan_determinismE0ELb0ELb0ES3_PKS7_PS7_S7_ZZZN2at6native31launch_logcumsumexp_cuda_kernelERKNSE_10TensorBaseESI_lENKUlvE_clEvENKUlvE2_clEvEUlS7_S7_E_S7_EEDaPvRmT3_T4_T5_mT6_P12ihipStream_tbENKUlT_T0_E_clISt17integral_constantIbLb0EESY_IbLb1EEEEDaSU_SV_EUlSU_E0_NS1_11comp_targetILNS1_3genE3ELNS1_11target_archE908ELNS1_3gpuE7ELNS1_3repE0EEENS1_30default_config_static_selectorELNS0_4arch9wavefront6targetE0EEEvT1_.num_named_barrier, 0
	.set _ZN7rocprim17ROCPRIM_400000_NS6detail17trampoline_kernelINS0_14default_configENS1_20scan_config_selectorIN3c107complexIfEEEEZZNS1_9scan_implILNS1_25lookback_scan_determinismE0ELb0ELb0ES3_PKS7_PS7_S7_ZZZN2at6native31launch_logcumsumexp_cuda_kernelERKNSE_10TensorBaseESI_lENKUlvE_clEvENKUlvE2_clEvEUlS7_S7_E_S7_EEDaPvRmT3_T4_T5_mT6_P12ihipStream_tbENKUlT_T0_E_clISt17integral_constantIbLb0EESY_IbLb1EEEEDaSU_SV_EUlSU_E0_NS1_11comp_targetILNS1_3genE3ELNS1_11target_archE908ELNS1_3gpuE7ELNS1_3repE0EEENS1_30default_config_static_selectorELNS0_4arch9wavefront6targetE0EEEvT1_.private_seg_size, 0
	.set _ZN7rocprim17ROCPRIM_400000_NS6detail17trampoline_kernelINS0_14default_configENS1_20scan_config_selectorIN3c107complexIfEEEEZZNS1_9scan_implILNS1_25lookback_scan_determinismE0ELb0ELb0ES3_PKS7_PS7_S7_ZZZN2at6native31launch_logcumsumexp_cuda_kernelERKNSE_10TensorBaseESI_lENKUlvE_clEvENKUlvE2_clEvEUlS7_S7_E_S7_EEDaPvRmT3_T4_T5_mT6_P12ihipStream_tbENKUlT_T0_E_clISt17integral_constantIbLb0EESY_IbLb1EEEEDaSU_SV_EUlSU_E0_NS1_11comp_targetILNS1_3genE3ELNS1_11target_archE908ELNS1_3gpuE7ELNS1_3repE0EEENS1_30default_config_static_selectorELNS0_4arch9wavefront6targetE0EEEvT1_.uses_vcc, 0
	.set _ZN7rocprim17ROCPRIM_400000_NS6detail17trampoline_kernelINS0_14default_configENS1_20scan_config_selectorIN3c107complexIfEEEEZZNS1_9scan_implILNS1_25lookback_scan_determinismE0ELb0ELb0ES3_PKS7_PS7_S7_ZZZN2at6native31launch_logcumsumexp_cuda_kernelERKNSE_10TensorBaseESI_lENKUlvE_clEvENKUlvE2_clEvEUlS7_S7_E_S7_EEDaPvRmT3_T4_T5_mT6_P12ihipStream_tbENKUlT_T0_E_clISt17integral_constantIbLb0EESY_IbLb1EEEEDaSU_SV_EUlSU_E0_NS1_11comp_targetILNS1_3genE3ELNS1_11target_archE908ELNS1_3gpuE7ELNS1_3repE0EEENS1_30default_config_static_selectorELNS0_4arch9wavefront6targetE0EEEvT1_.uses_flat_scratch, 0
	.set _ZN7rocprim17ROCPRIM_400000_NS6detail17trampoline_kernelINS0_14default_configENS1_20scan_config_selectorIN3c107complexIfEEEEZZNS1_9scan_implILNS1_25lookback_scan_determinismE0ELb0ELb0ES3_PKS7_PS7_S7_ZZZN2at6native31launch_logcumsumexp_cuda_kernelERKNSE_10TensorBaseESI_lENKUlvE_clEvENKUlvE2_clEvEUlS7_S7_E_S7_EEDaPvRmT3_T4_T5_mT6_P12ihipStream_tbENKUlT_T0_E_clISt17integral_constantIbLb0EESY_IbLb1EEEEDaSU_SV_EUlSU_E0_NS1_11comp_targetILNS1_3genE3ELNS1_11target_archE908ELNS1_3gpuE7ELNS1_3repE0EEENS1_30default_config_static_selectorELNS0_4arch9wavefront6targetE0EEEvT1_.has_dyn_sized_stack, 0
	.set _ZN7rocprim17ROCPRIM_400000_NS6detail17trampoline_kernelINS0_14default_configENS1_20scan_config_selectorIN3c107complexIfEEEEZZNS1_9scan_implILNS1_25lookback_scan_determinismE0ELb0ELb0ES3_PKS7_PS7_S7_ZZZN2at6native31launch_logcumsumexp_cuda_kernelERKNSE_10TensorBaseESI_lENKUlvE_clEvENKUlvE2_clEvEUlS7_S7_E_S7_EEDaPvRmT3_T4_T5_mT6_P12ihipStream_tbENKUlT_T0_E_clISt17integral_constantIbLb0EESY_IbLb1EEEEDaSU_SV_EUlSU_E0_NS1_11comp_targetILNS1_3genE3ELNS1_11target_archE908ELNS1_3gpuE7ELNS1_3repE0EEENS1_30default_config_static_selectorELNS0_4arch9wavefront6targetE0EEEvT1_.has_recursion, 0
	.set _ZN7rocprim17ROCPRIM_400000_NS6detail17trampoline_kernelINS0_14default_configENS1_20scan_config_selectorIN3c107complexIfEEEEZZNS1_9scan_implILNS1_25lookback_scan_determinismE0ELb0ELb0ES3_PKS7_PS7_S7_ZZZN2at6native31launch_logcumsumexp_cuda_kernelERKNSE_10TensorBaseESI_lENKUlvE_clEvENKUlvE2_clEvEUlS7_S7_E_S7_EEDaPvRmT3_T4_T5_mT6_P12ihipStream_tbENKUlT_T0_E_clISt17integral_constantIbLb0EESY_IbLb1EEEEDaSU_SV_EUlSU_E0_NS1_11comp_targetILNS1_3genE3ELNS1_11target_archE908ELNS1_3gpuE7ELNS1_3repE0EEENS1_30default_config_static_selectorELNS0_4arch9wavefront6targetE0EEEvT1_.has_indirect_call, 0
	.section	.AMDGPU.csdata,"",@progbits
; Kernel info:
; codeLenInByte = 0
; TotalNumSgprs: 0
; NumVgprs: 0
; ScratchSize: 0
; MemoryBound: 0
; FloatMode: 240
; IeeeMode: 1
; LDSByteSize: 0 bytes/workgroup (compile time only)
; SGPRBlocks: 0
; VGPRBlocks: 0
; NumSGPRsForWavesPerEU: 1
; NumVGPRsForWavesPerEU: 1
; Occupancy: 16
; WaveLimiterHint : 0
; COMPUTE_PGM_RSRC2:SCRATCH_EN: 0
; COMPUTE_PGM_RSRC2:USER_SGPR: 6
; COMPUTE_PGM_RSRC2:TRAP_HANDLER: 0
; COMPUTE_PGM_RSRC2:TGID_X_EN: 1
; COMPUTE_PGM_RSRC2:TGID_Y_EN: 0
; COMPUTE_PGM_RSRC2:TGID_Z_EN: 0
; COMPUTE_PGM_RSRC2:TIDIG_COMP_CNT: 0
	.section	.text._ZN7rocprim17ROCPRIM_400000_NS6detail17trampoline_kernelINS0_14default_configENS1_20scan_config_selectorIN3c107complexIfEEEEZZNS1_9scan_implILNS1_25lookback_scan_determinismE0ELb0ELb0ES3_PKS7_PS7_S7_ZZZN2at6native31launch_logcumsumexp_cuda_kernelERKNSE_10TensorBaseESI_lENKUlvE_clEvENKUlvE2_clEvEUlS7_S7_E_S7_EEDaPvRmT3_T4_T5_mT6_P12ihipStream_tbENKUlT_T0_E_clISt17integral_constantIbLb0EESY_IbLb1EEEEDaSU_SV_EUlSU_E0_NS1_11comp_targetILNS1_3genE2ELNS1_11target_archE906ELNS1_3gpuE6ELNS1_3repE0EEENS1_30default_config_static_selectorELNS0_4arch9wavefront6targetE0EEEvT1_,"axG",@progbits,_ZN7rocprim17ROCPRIM_400000_NS6detail17trampoline_kernelINS0_14default_configENS1_20scan_config_selectorIN3c107complexIfEEEEZZNS1_9scan_implILNS1_25lookback_scan_determinismE0ELb0ELb0ES3_PKS7_PS7_S7_ZZZN2at6native31launch_logcumsumexp_cuda_kernelERKNSE_10TensorBaseESI_lENKUlvE_clEvENKUlvE2_clEvEUlS7_S7_E_S7_EEDaPvRmT3_T4_T5_mT6_P12ihipStream_tbENKUlT_T0_E_clISt17integral_constantIbLb0EESY_IbLb1EEEEDaSU_SV_EUlSU_E0_NS1_11comp_targetILNS1_3genE2ELNS1_11target_archE906ELNS1_3gpuE6ELNS1_3repE0EEENS1_30default_config_static_selectorELNS0_4arch9wavefront6targetE0EEEvT1_,comdat
	.globl	_ZN7rocprim17ROCPRIM_400000_NS6detail17trampoline_kernelINS0_14default_configENS1_20scan_config_selectorIN3c107complexIfEEEEZZNS1_9scan_implILNS1_25lookback_scan_determinismE0ELb0ELb0ES3_PKS7_PS7_S7_ZZZN2at6native31launch_logcumsumexp_cuda_kernelERKNSE_10TensorBaseESI_lENKUlvE_clEvENKUlvE2_clEvEUlS7_S7_E_S7_EEDaPvRmT3_T4_T5_mT6_P12ihipStream_tbENKUlT_T0_E_clISt17integral_constantIbLb0EESY_IbLb1EEEEDaSU_SV_EUlSU_E0_NS1_11comp_targetILNS1_3genE2ELNS1_11target_archE906ELNS1_3gpuE6ELNS1_3repE0EEENS1_30default_config_static_selectorELNS0_4arch9wavefront6targetE0EEEvT1_ ; -- Begin function _ZN7rocprim17ROCPRIM_400000_NS6detail17trampoline_kernelINS0_14default_configENS1_20scan_config_selectorIN3c107complexIfEEEEZZNS1_9scan_implILNS1_25lookback_scan_determinismE0ELb0ELb0ES3_PKS7_PS7_S7_ZZZN2at6native31launch_logcumsumexp_cuda_kernelERKNSE_10TensorBaseESI_lENKUlvE_clEvENKUlvE2_clEvEUlS7_S7_E_S7_EEDaPvRmT3_T4_T5_mT6_P12ihipStream_tbENKUlT_T0_E_clISt17integral_constantIbLb0EESY_IbLb1EEEEDaSU_SV_EUlSU_E0_NS1_11comp_targetILNS1_3genE2ELNS1_11target_archE906ELNS1_3gpuE6ELNS1_3repE0EEENS1_30default_config_static_selectorELNS0_4arch9wavefront6targetE0EEEvT1_
	.p2align	8
	.type	_ZN7rocprim17ROCPRIM_400000_NS6detail17trampoline_kernelINS0_14default_configENS1_20scan_config_selectorIN3c107complexIfEEEEZZNS1_9scan_implILNS1_25lookback_scan_determinismE0ELb0ELb0ES3_PKS7_PS7_S7_ZZZN2at6native31launch_logcumsumexp_cuda_kernelERKNSE_10TensorBaseESI_lENKUlvE_clEvENKUlvE2_clEvEUlS7_S7_E_S7_EEDaPvRmT3_T4_T5_mT6_P12ihipStream_tbENKUlT_T0_E_clISt17integral_constantIbLb0EESY_IbLb1EEEEDaSU_SV_EUlSU_E0_NS1_11comp_targetILNS1_3genE2ELNS1_11target_archE906ELNS1_3gpuE6ELNS1_3repE0EEENS1_30default_config_static_selectorELNS0_4arch9wavefront6targetE0EEEvT1_,@function
_ZN7rocprim17ROCPRIM_400000_NS6detail17trampoline_kernelINS0_14default_configENS1_20scan_config_selectorIN3c107complexIfEEEEZZNS1_9scan_implILNS1_25lookback_scan_determinismE0ELb0ELb0ES3_PKS7_PS7_S7_ZZZN2at6native31launch_logcumsumexp_cuda_kernelERKNSE_10TensorBaseESI_lENKUlvE_clEvENKUlvE2_clEvEUlS7_S7_E_S7_EEDaPvRmT3_T4_T5_mT6_P12ihipStream_tbENKUlT_T0_E_clISt17integral_constantIbLb0EESY_IbLb1EEEEDaSU_SV_EUlSU_E0_NS1_11comp_targetILNS1_3genE2ELNS1_11target_archE906ELNS1_3gpuE6ELNS1_3repE0EEENS1_30default_config_static_selectorELNS0_4arch9wavefront6targetE0EEEvT1_: ; @_ZN7rocprim17ROCPRIM_400000_NS6detail17trampoline_kernelINS0_14default_configENS1_20scan_config_selectorIN3c107complexIfEEEEZZNS1_9scan_implILNS1_25lookback_scan_determinismE0ELb0ELb0ES3_PKS7_PS7_S7_ZZZN2at6native31launch_logcumsumexp_cuda_kernelERKNSE_10TensorBaseESI_lENKUlvE_clEvENKUlvE2_clEvEUlS7_S7_E_S7_EEDaPvRmT3_T4_T5_mT6_P12ihipStream_tbENKUlT_T0_E_clISt17integral_constantIbLb0EESY_IbLb1EEEEDaSU_SV_EUlSU_E0_NS1_11comp_targetILNS1_3genE2ELNS1_11target_archE906ELNS1_3gpuE6ELNS1_3repE0EEENS1_30default_config_static_selectorELNS0_4arch9wavefront6targetE0EEEvT1_
; %bb.0:
	.section	.rodata,"a",@progbits
	.p2align	6, 0x0
	.amdhsa_kernel _ZN7rocprim17ROCPRIM_400000_NS6detail17trampoline_kernelINS0_14default_configENS1_20scan_config_selectorIN3c107complexIfEEEEZZNS1_9scan_implILNS1_25lookback_scan_determinismE0ELb0ELb0ES3_PKS7_PS7_S7_ZZZN2at6native31launch_logcumsumexp_cuda_kernelERKNSE_10TensorBaseESI_lENKUlvE_clEvENKUlvE2_clEvEUlS7_S7_E_S7_EEDaPvRmT3_T4_T5_mT6_P12ihipStream_tbENKUlT_T0_E_clISt17integral_constantIbLb0EESY_IbLb1EEEEDaSU_SV_EUlSU_E0_NS1_11comp_targetILNS1_3genE2ELNS1_11target_archE906ELNS1_3gpuE6ELNS1_3repE0EEENS1_30default_config_static_selectorELNS0_4arch9wavefront6targetE0EEEvT1_
		.amdhsa_group_segment_fixed_size 0
		.amdhsa_private_segment_fixed_size 0
		.amdhsa_kernarg_size 40
		.amdhsa_user_sgpr_count 6
		.amdhsa_user_sgpr_private_segment_buffer 1
		.amdhsa_user_sgpr_dispatch_ptr 0
		.amdhsa_user_sgpr_queue_ptr 0
		.amdhsa_user_sgpr_kernarg_segment_ptr 1
		.amdhsa_user_sgpr_dispatch_id 0
		.amdhsa_user_sgpr_flat_scratch_init 0
		.amdhsa_user_sgpr_private_segment_size 0
		.amdhsa_wavefront_size32 1
		.amdhsa_uses_dynamic_stack 0
		.amdhsa_system_sgpr_private_segment_wavefront_offset 0
		.amdhsa_system_sgpr_workgroup_id_x 1
		.amdhsa_system_sgpr_workgroup_id_y 0
		.amdhsa_system_sgpr_workgroup_id_z 0
		.amdhsa_system_sgpr_workgroup_info 0
		.amdhsa_system_vgpr_workitem_id 0
		.amdhsa_next_free_vgpr 1
		.amdhsa_next_free_sgpr 1
		.amdhsa_reserve_vcc 0
		.amdhsa_reserve_flat_scratch 0
		.amdhsa_float_round_mode_32 0
		.amdhsa_float_round_mode_16_64 0
		.amdhsa_float_denorm_mode_32 3
		.amdhsa_float_denorm_mode_16_64 3
		.amdhsa_dx10_clamp 1
		.amdhsa_ieee_mode 1
		.amdhsa_fp16_overflow 0
		.amdhsa_workgroup_processor_mode 1
		.amdhsa_memory_ordered 1
		.amdhsa_forward_progress 1
		.amdhsa_shared_vgpr_count 0
		.amdhsa_exception_fp_ieee_invalid_op 0
		.amdhsa_exception_fp_denorm_src 0
		.amdhsa_exception_fp_ieee_div_zero 0
		.amdhsa_exception_fp_ieee_overflow 0
		.amdhsa_exception_fp_ieee_underflow 0
		.amdhsa_exception_fp_ieee_inexact 0
		.amdhsa_exception_int_div_zero 0
	.end_amdhsa_kernel
	.section	.text._ZN7rocprim17ROCPRIM_400000_NS6detail17trampoline_kernelINS0_14default_configENS1_20scan_config_selectorIN3c107complexIfEEEEZZNS1_9scan_implILNS1_25lookback_scan_determinismE0ELb0ELb0ES3_PKS7_PS7_S7_ZZZN2at6native31launch_logcumsumexp_cuda_kernelERKNSE_10TensorBaseESI_lENKUlvE_clEvENKUlvE2_clEvEUlS7_S7_E_S7_EEDaPvRmT3_T4_T5_mT6_P12ihipStream_tbENKUlT_T0_E_clISt17integral_constantIbLb0EESY_IbLb1EEEEDaSU_SV_EUlSU_E0_NS1_11comp_targetILNS1_3genE2ELNS1_11target_archE906ELNS1_3gpuE6ELNS1_3repE0EEENS1_30default_config_static_selectorELNS0_4arch9wavefront6targetE0EEEvT1_,"axG",@progbits,_ZN7rocprim17ROCPRIM_400000_NS6detail17trampoline_kernelINS0_14default_configENS1_20scan_config_selectorIN3c107complexIfEEEEZZNS1_9scan_implILNS1_25lookback_scan_determinismE0ELb0ELb0ES3_PKS7_PS7_S7_ZZZN2at6native31launch_logcumsumexp_cuda_kernelERKNSE_10TensorBaseESI_lENKUlvE_clEvENKUlvE2_clEvEUlS7_S7_E_S7_EEDaPvRmT3_T4_T5_mT6_P12ihipStream_tbENKUlT_T0_E_clISt17integral_constantIbLb0EESY_IbLb1EEEEDaSU_SV_EUlSU_E0_NS1_11comp_targetILNS1_3genE2ELNS1_11target_archE906ELNS1_3gpuE6ELNS1_3repE0EEENS1_30default_config_static_selectorELNS0_4arch9wavefront6targetE0EEEvT1_,comdat
.Lfunc_end342:
	.size	_ZN7rocprim17ROCPRIM_400000_NS6detail17trampoline_kernelINS0_14default_configENS1_20scan_config_selectorIN3c107complexIfEEEEZZNS1_9scan_implILNS1_25lookback_scan_determinismE0ELb0ELb0ES3_PKS7_PS7_S7_ZZZN2at6native31launch_logcumsumexp_cuda_kernelERKNSE_10TensorBaseESI_lENKUlvE_clEvENKUlvE2_clEvEUlS7_S7_E_S7_EEDaPvRmT3_T4_T5_mT6_P12ihipStream_tbENKUlT_T0_E_clISt17integral_constantIbLb0EESY_IbLb1EEEEDaSU_SV_EUlSU_E0_NS1_11comp_targetILNS1_3genE2ELNS1_11target_archE906ELNS1_3gpuE6ELNS1_3repE0EEENS1_30default_config_static_selectorELNS0_4arch9wavefront6targetE0EEEvT1_, .Lfunc_end342-_ZN7rocprim17ROCPRIM_400000_NS6detail17trampoline_kernelINS0_14default_configENS1_20scan_config_selectorIN3c107complexIfEEEEZZNS1_9scan_implILNS1_25lookback_scan_determinismE0ELb0ELb0ES3_PKS7_PS7_S7_ZZZN2at6native31launch_logcumsumexp_cuda_kernelERKNSE_10TensorBaseESI_lENKUlvE_clEvENKUlvE2_clEvEUlS7_S7_E_S7_EEDaPvRmT3_T4_T5_mT6_P12ihipStream_tbENKUlT_T0_E_clISt17integral_constantIbLb0EESY_IbLb1EEEEDaSU_SV_EUlSU_E0_NS1_11comp_targetILNS1_3genE2ELNS1_11target_archE906ELNS1_3gpuE6ELNS1_3repE0EEENS1_30default_config_static_selectorELNS0_4arch9wavefront6targetE0EEEvT1_
                                        ; -- End function
	.set _ZN7rocprim17ROCPRIM_400000_NS6detail17trampoline_kernelINS0_14default_configENS1_20scan_config_selectorIN3c107complexIfEEEEZZNS1_9scan_implILNS1_25lookback_scan_determinismE0ELb0ELb0ES3_PKS7_PS7_S7_ZZZN2at6native31launch_logcumsumexp_cuda_kernelERKNSE_10TensorBaseESI_lENKUlvE_clEvENKUlvE2_clEvEUlS7_S7_E_S7_EEDaPvRmT3_T4_T5_mT6_P12ihipStream_tbENKUlT_T0_E_clISt17integral_constantIbLb0EESY_IbLb1EEEEDaSU_SV_EUlSU_E0_NS1_11comp_targetILNS1_3genE2ELNS1_11target_archE906ELNS1_3gpuE6ELNS1_3repE0EEENS1_30default_config_static_selectorELNS0_4arch9wavefront6targetE0EEEvT1_.num_vgpr, 0
	.set _ZN7rocprim17ROCPRIM_400000_NS6detail17trampoline_kernelINS0_14default_configENS1_20scan_config_selectorIN3c107complexIfEEEEZZNS1_9scan_implILNS1_25lookback_scan_determinismE0ELb0ELb0ES3_PKS7_PS7_S7_ZZZN2at6native31launch_logcumsumexp_cuda_kernelERKNSE_10TensorBaseESI_lENKUlvE_clEvENKUlvE2_clEvEUlS7_S7_E_S7_EEDaPvRmT3_T4_T5_mT6_P12ihipStream_tbENKUlT_T0_E_clISt17integral_constantIbLb0EESY_IbLb1EEEEDaSU_SV_EUlSU_E0_NS1_11comp_targetILNS1_3genE2ELNS1_11target_archE906ELNS1_3gpuE6ELNS1_3repE0EEENS1_30default_config_static_selectorELNS0_4arch9wavefront6targetE0EEEvT1_.num_agpr, 0
	.set _ZN7rocprim17ROCPRIM_400000_NS6detail17trampoline_kernelINS0_14default_configENS1_20scan_config_selectorIN3c107complexIfEEEEZZNS1_9scan_implILNS1_25lookback_scan_determinismE0ELb0ELb0ES3_PKS7_PS7_S7_ZZZN2at6native31launch_logcumsumexp_cuda_kernelERKNSE_10TensorBaseESI_lENKUlvE_clEvENKUlvE2_clEvEUlS7_S7_E_S7_EEDaPvRmT3_T4_T5_mT6_P12ihipStream_tbENKUlT_T0_E_clISt17integral_constantIbLb0EESY_IbLb1EEEEDaSU_SV_EUlSU_E0_NS1_11comp_targetILNS1_3genE2ELNS1_11target_archE906ELNS1_3gpuE6ELNS1_3repE0EEENS1_30default_config_static_selectorELNS0_4arch9wavefront6targetE0EEEvT1_.numbered_sgpr, 0
	.set _ZN7rocprim17ROCPRIM_400000_NS6detail17trampoline_kernelINS0_14default_configENS1_20scan_config_selectorIN3c107complexIfEEEEZZNS1_9scan_implILNS1_25lookback_scan_determinismE0ELb0ELb0ES3_PKS7_PS7_S7_ZZZN2at6native31launch_logcumsumexp_cuda_kernelERKNSE_10TensorBaseESI_lENKUlvE_clEvENKUlvE2_clEvEUlS7_S7_E_S7_EEDaPvRmT3_T4_T5_mT6_P12ihipStream_tbENKUlT_T0_E_clISt17integral_constantIbLb0EESY_IbLb1EEEEDaSU_SV_EUlSU_E0_NS1_11comp_targetILNS1_3genE2ELNS1_11target_archE906ELNS1_3gpuE6ELNS1_3repE0EEENS1_30default_config_static_selectorELNS0_4arch9wavefront6targetE0EEEvT1_.num_named_barrier, 0
	.set _ZN7rocprim17ROCPRIM_400000_NS6detail17trampoline_kernelINS0_14default_configENS1_20scan_config_selectorIN3c107complexIfEEEEZZNS1_9scan_implILNS1_25lookback_scan_determinismE0ELb0ELb0ES3_PKS7_PS7_S7_ZZZN2at6native31launch_logcumsumexp_cuda_kernelERKNSE_10TensorBaseESI_lENKUlvE_clEvENKUlvE2_clEvEUlS7_S7_E_S7_EEDaPvRmT3_T4_T5_mT6_P12ihipStream_tbENKUlT_T0_E_clISt17integral_constantIbLb0EESY_IbLb1EEEEDaSU_SV_EUlSU_E0_NS1_11comp_targetILNS1_3genE2ELNS1_11target_archE906ELNS1_3gpuE6ELNS1_3repE0EEENS1_30default_config_static_selectorELNS0_4arch9wavefront6targetE0EEEvT1_.private_seg_size, 0
	.set _ZN7rocprim17ROCPRIM_400000_NS6detail17trampoline_kernelINS0_14default_configENS1_20scan_config_selectorIN3c107complexIfEEEEZZNS1_9scan_implILNS1_25lookback_scan_determinismE0ELb0ELb0ES3_PKS7_PS7_S7_ZZZN2at6native31launch_logcumsumexp_cuda_kernelERKNSE_10TensorBaseESI_lENKUlvE_clEvENKUlvE2_clEvEUlS7_S7_E_S7_EEDaPvRmT3_T4_T5_mT6_P12ihipStream_tbENKUlT_T0_E_clISt17integral_constantIbLb0EESY_IbLb1EEEEDaSU_SV_EUlSU_E0_NS1_11comp_targetILNS1_3genE2ELNS1_11target_archE906ELNS1_3gpuE6ELNS1_3repE0EEENS1_30default_config_static_selectorELNS0_4arch9wavefront6targetE0EEEvT1_.uses_vcc, 0
	.set _ZN7rocprim17ROCPRIM_400000_NS6detail17trampoline_kernelINS0_14default_configENS1_20scan_config_selectorIN3c107complexIfEEEEZZNS1_9scan_implILNS1_25lookback_scan_determinismE0ELb0ELb0ES3_PKS7_PS7_S7_ZZZN2at6native31launch_logcumsumexp_cuda_kernelERKNSE_10TensorBaseESI_lENKUlvE_clEvENKUlvE2_clEvEUlS7_S7_E_S7_EEDaPvRmT3_T4_T5_mT6_P12ihipStream_tbENKUlT_T0_E_clISt17integral_constantIbLb0EESY_IbLb1EEEEDaSU_SV_EUlSU_E0_NS1_11comp_targetILNS1_3genE2ELNS1_11target_archE906ELNS1_3gpuE6ELNS1_3repE0EEENS1_30default_config_static_selectorELNS0_4arch9wavefront6targetE0EEEvT1_.uses_flat_scratch, 0
	.set _ZN7rocprim17ROCPRIM_400000_NS6detail17trampoline_kernelINS0_14default_configENS1_20scan_config_selectorIN3c107complexIfEEEEZZNS1_9scan_implILNS1_25lookback_scan_determinismE0ELb0ELb0ES3_PKS7_PS7_S7_ZZZN2at6native31launch_logcumsumexp_cuda_kernelERKNSE_10TensorBaseESI_lENKUlvE_clEvENKUlvE2_clEvEUlS7_S7_E_S7_EEDaPvRmT3_T4_T5_mT6_P12ihipStream_tbENKUlT_T0_E_clISt17integral_constantIbLb0EESY_IbLb1EEEEDaSU_SV_EUlSU_E0_NS1_11comp_targetILNS1_3genE2ELNS1_11target_archE906ELNS1_3gpuE6ELNS1_3repE0EEENS1_30default_config_static_selectorELNS0_4arch9wavefront6targetE0EEEvT1_.has_dyn_sized_stack, 0
	.set _ZN7rocprim17ROCPRIM_400000_NS6detail17trampoline_kernelINS0_14default_configENS1_20scan_config_selectorIN3c107complexIfEEEEZZNS1_9scan_implILNS1_25lookback_scan_determinismE0ELb0ELb0ES3_PKS7_PS7_S7_ZZZN2at6native31launch_logcumsumexp_cuda_kernelERKNSE_10TensorBaseESI_lENKUlvE_clEvENKUlvE2_clEvEUlS7_S7_E_S7_EEDaPvRmT3_T4_T5_mT6_P12ihipStream_tbENKUlT_T0_E_clISt17integral_constantIbLb0EESY_IbLb1EEEEDaSU_SV_EUlSU_E0_NS1_11comp_targetILNS1_3genE2ELNS1_11target_archE906ELNS1_3gpuE6ELNS1_3repE0EEENS1_30default_config_static_selectorELNS0_4arch9wavefront6targetE0EEEvT1_.has_recursion, 0
	.set _ZN7rocprim17ROCPRIM_400000_NS6detail17trampoline_kernelINS0_14default_configENS1_20scan_config_selectorIN3c107complexIfEEEEZZNS1_9scan_implILNS1_25lookback_scan_determinismE0ELb0ELb0ES3_PKS7_PS7_S7_ZZZN2at6native31launch_logcumsumexp_cuda_kernelERKNSE_10TensorBaseESI_lENKUlvE_clEvENKUlvE2_clEvEUlS7_S7_E_S7_EEDaPvRmT3_T4_T5_mT6_P12ihipStream_tbENKUlT_T0_E_clISt17integral_constantIbLb0EESY_IbLb1EEEEDaSU_SV_EUlSU_E0_NS1_11comp_targetILNS1_3genE2ELNS1_11target_archE906ELNS1_3gpuE6ELNS1_3repE0EEENS1_30default_config_static_selectorELNS0_4arch9wavefront6targetE0EEEvT1_.has_indirect_call, 0
	.section	.AMDGPU.csdata,"",@progbits
; Kernel info:
; codeLenInByte = 0
; TotalNumSgprs: 0
; NumVgprs: 0
; ScratchSize: 0
; MemoryBound: 0
; FloatMode: 240
; IeeeMode: 1
; LDSByteSize: 0 bytes/workgroup (compile time only)
; SGPRBlocks: 0
; VGPRBlocks: 0
; NumSGPRsForWavesPerEU: 1
; NumVGPRsForWavesPerEU: 1
; Occupancy: 16
; WaveLimiterHint : 0
; COMPUTE_PGM_RSRC2:SCRATCH_EN: 0
; COMPUTE_PGM_RSRC2:USER_SGPR: 6
; COMPUTE_PGM_RSRC2:TRAP_HANDLER: 0
; COMPUTE_PGM_RSRC2:TGID_X_EN: 1
; COMPUTE_PGM_RSRC2:TGID_Y_EN: 0
; COMPUTE_PGM_RSRC2:TGID_Z_EN: 0
; COMPUTE_PGM_RSRC2:TIDIG_COMP_CNT: 0
	.section	.text._ZN7rocprim17ROCPRIM_400000_NS6detail17trampoline_kernelINS0_14default_configENS1_20scan_config_selectorIN3c107complexIfEEEEZZNS1_9scan_implILNS1_25lookback_scan_determinismE0ELb0ELb0ES3_PKS7_PS7_S7_ZZZN2at6native31launch_logcumsumexp_cuda_kernelERKNSE_10TensorBaseESI_lENKUlvE_clEvENKUlvE2_clEvEUlS7_S7_E_S7_EEDaPvRmT3_T4_T5_mT6_P12ihipStream_tbENKUlT_T0_E_clISt17integral_constantIbLb0EESY_IbLb1EEEEDaSU_SV_EUlSU_E0_NS1_11comp_targetILNS1_3genE10ELNS1_11target_archE1201ELNS1_3gpuE5ELNS1_3repE0EEENS1_30default_config_static_selectorELNS0_4arch9wavefront6targetE0EEEvT1_,"axG",@progbits,_ZN7rocprim17ROCPRIM_400000_NS6detail17trampoline_kernelINS0_14default_configENS1_20scan_config_selectorIN3c107complexIfEEEEZZNS1_9scan_implILNS1_25lookback_scan_determinismE0ELb0ELb0ES3_PKS7_PS7_S7_ZZZN2at6native31launch_logcumsumexp_cuda_kernelERKNSE_10TensorBaseESI_lENKUlvE_clEvENKUlvE2_clEvEUlS7_S7_E_S7_EEDaPvRmT3_T4_T5_mT6_P12ihipStream_tbENKUlT_T0_E_clISt17integral_constantIbLb0EESY_IbLb1EEEEDaSU_SV_EUlSU_E0_NS1_11comp_targetILNS1_3genE10ELNS1_11target_archE1201ELNS1_3gpuE5ELNS1_3repE0EEENS1_30default_config_static_selectorELNS0_4arch9wavefront6targetE0EEEvT1_,comdat
	.globl	_ZN7rocprim17ROCPRIM_400000_NS6detail17trampoline_kernelINS0_14default_configENS1_20scan_config_selectorIN3c107complexIfEEEEZZNS1_9scan_implILNS1_25lookback_scan_determinismE0ELb0ELb0ES3_PKS7_PS7_S7_ZZZN2at6native31launch_logcumsumexp_cuda_kernelERKNSE_10TensorBaseESI_lENKUlvE_clEvENKUlvE2_clEvEUlS7_S7_E_S7_EEDaPvRmT3_T4_T5_mT6_P12ihipStream_tbENKUlT_T0_E_clISt17integral_constantIbLb0EESY_IbLb1EEEEDaSU_SV_EUlSU_E0_NS1_11comp_targetILNS1_3genE10ELNS1_11target_archE1201ELNS1_3gpuE5ELNS1_3repE0EEENS1_30default_config_static_selectorELNS0_4arch9wavefront6targetE0EEEvT1_ ; -- Begin function _ZN7rocprim17ROCPRIM_400000_NS6detail17trampoline_kernelINS0_14default_configENS1_20scan_config_selectorIN3c107complexIfEEEEZZNS1_9scan_implILNS1_25lookback_scan_determinismE0ELb0ELb0ES3_PKS7_PS7_S7_ZZZN2at6native31launch_logcumsumexp_cuda_kernelERKNSE_10TensorBaseESI_lENKUlvE_clEvENKUlvE2_clEvEUlS7_S7_E_S7_EEDaPvRmT3_T4_T5_mT6_P12ihipStream_tbENKUlT_T0_E_clISt17integral_constantIbLb0EESY_IbLb1EEEEDaSU_SV_EUlSU_E0_NS1_11comp_targetILNS1_3genE10ELNS1_11target_archE1201ELNS1_3gpuE5ELNS1_3repE0EEENS1_30default_config_static_selectorELNS0_4arch9wavefront6targetE0EEEvT1_
	.p2align	8
	.type	_ZN7rocprim17ROCPRIM_400000_NS6detail17trampoline_kernelINS0_14default_configENS1_20scan_config_selectorIN3c107complexIfEEEEZZNS1_9scan_implILNS1_25lookback_scan_determinismE0ELb0ELb0ES3_PKS7_PS7_S7_ZZZN2at6native31launch_logcumsumexp_cuda_kernelERKNSE_10TensorBaseESI_lENKUlvE_clEvENKUlvE2_clEvEUlS7_S7_E_S7_EEDaPvRmT3_T4_T5_mT6_P12ihipStream_tbENKUlT_T0_E_clISt17integral_constantIbLb0EESY_IbLb1EEEEDaSU_SV_EUlSU_E0_NS1_11comp_targetILNS1_3genE10ELNS1_11target_archE1201ELNS1_3gpuE5ELNS1_3repE0EEENS1_30default_config_static_selectorELNS0_4arch9wavefront6targetE0EEEvT1_,@function
_ZN7rocprim17ROCPRIM_400000_NS6detail17trampoline_kernelINS0_14default_configENS1_20scan_config_selectorIN3c107complexIfEEEEZZNS1_9scan_implILNS1_25lookback_scan_determinismE0ELb0ELb0ES3_PKS7_PS7_S7_ZZZN2at6native31launch_logcumsumexp_cuda_kernelERKNSE_10TensorBaseESI_lENKUlvE_clEvENKUlvE2_clEvEUlS7_S7_E_S7_EEDaPvRmT3_T4_T5_mT6_P12ihipStream_tbENKUlT_T0_E_clISt17integral_constantIbLb0EESY_IbLb1EEEEDaSU_SV_EUlSU_E0_NS1_11comp_targetILNS1_3genE10ELNS1_11target_archE1201ELNS1_3gpuE5ELNS1_3repE0EEENS1_30default_config_static_selectorELNS0_4arch9wavefront6targetE0EEEvT1_: ; @_ZN7rocprim17ROCPRIM_400000_NS6detail17trampoline_kernelINS0_14default_configENS1_20scan_config_selectorIN3c107complexIfEEEEZZNS1_9scan_implILNS1_25lookback_scan_determinismE0ELb0ELb0ES3_PKS7_PS7_S7_ZZZN2at6native31launch_logcumsumexp_cuda_kernelERKNSE_10TensorBaseESI_lENKUlvE_clEvENKUlvE2_clEvEUlS7_S7_E_S7_EEDaPvRmT3_T4_T5_mT6_P12ihipStream_tbENKUlT_T0_E_clISt17integral_constantIbLb0EESY_IbLb1EEEEDaSU_SV_EUlSU_E0_NS1_11comp_targetILNS1_3genE10ELNS1_11target_archE1201ELNS1_3gpuE5ELNS1_3repE0EEENS1_30default_config_static_selectorELNS0_4arch9wavefront6targetE0EEEvT1_
; %bb.0:
	.section	.rodata,"a",@progbits
	.p2align	6, 0x0
	.amdhsa_kernel _ZN7rocprim17ROCPRIM_400000_NS6detail17trampoline_kernelINS0_14default_configENS1_20scan_config_selectorIN3c107complexIfEEEEZZNS1_9scan_implILNS1_25lookback_scan_determinismE0ELb0ELb0ES3_PKS7_PS7_S7_ZZZN2at6native31launch_logcumsumexp_cuda_kernelERKNSE_10TensorBaseESI_lENKUlvE_clEvENKUlvE2_clEvEUlS7_S7_E_S7_EEDaPvRmT3_T4_T5_mT6_P12ihipStream_tbENKUlT_T0_E_clISt17integral_constantIbLb0EESY_IbLb1EEEEDaSU_SV_EUlSU_E0_NS1_11comp_targetILNS1_3genE10ELNS1_11target_archE1201ELNS1_3gpuE5ELNS1_3repE0EEENS1_30default_config_static_selectorELNS0_4arch9wavefront6targetE0EEEvT1_
		.amdhsa_group_segment_fixed_size 0
		.amdhsa_private_segment_fixed_size 0
		.amdhsa_kernarg_size 40
		.amdhsa_user_sgpr_count 6
		.amdhsa_user_sgpr_private_segment_buffer 1
		.amdhsa_user_sgpr_dispatch_ptr 0
		.amdhsa_user_sgpr_queue_ptr 0
		.amdhsa_user_sgpr_kernarg_segment_ptr 1
		.amdhsa_user_sgpr_dispatch_id 0
		.amdhsa_user_sgpr_flat_scratch_init 0
		.amdhsa_user_sgpr_private_segment_size 0
		.amdhsa_wavefront_size32 1
		.amdhsa_uses_dynamic_stack 0
		.amdhsa_system_sgpr_private_segment_wavefront_offset 0
		.amdhsa_system_sgpr_workgroup_id_x 1
		.amdhsa_system_sgpr_workgroup_id_y 0
		.amdhsa_system_sgpr_workgroup_id_z 0
		.amdhsa_system_sgpr_workgroup_info 0
		.amdhsa_system_vgpr_workitem_id 0
		.amdhsa_next_free_vgpr 1
		.amdhsa_next_free_sgpr 1
		.amdhsa_reserve_vcc 0
		.amdhsa_reserve_flat_scratch 0
		.amdhsa_float_round_mode_32 0
		.amdhsa_float_round_mode_16_64 0
		.amdhsa_float_denorm_mode_32 3
		.amdhsa_float_denorm_mode_16_64 3
		.amdhsa_dx10_clamp 1
		.amdhsa_ieee_mode 1
		.amdhsa_fp16_overflow 0
		.amdhsa_workgroup_processor_mode 1
		.amdhsa_memory_ordered 1
		.amdhsa_forward_progress 1
		.amdhsa_shared_vgpr_count 0
		.amdhsa_exception_fp_ieee_invalid_op 0
		.amdhsa_exception_fp_denorm_src 0
		.amdhsa_exception_fp_ieee_div_zero 0
		.amdhsa_exception_fp_ieee_overflow 0
		.amdhsa_exception_fp_ieee_underflow 0
		.amdhsa_exception_fp_ieee_inexact 0
		.amdhsa_exception_int_div_zero 0
	.end_amdhsa_kernel
	.section	.text._ZN7rocprim17ROCPRIM_400000_NS6detail17trampoline_kernelINS0_14default_configENS1_20scan_config_selectorIN3c107complexIfEEEEZZNS1_9scan_implILNS1_25lookback_scan_determinismE0ELb0ELb0ES3_PKS7_PS7_S7_ZZZN2at6native31launch_logcumsumexp_cuda_kernelERKNSE_10TensorBaseESI_lENKUlvE_clEvENKUlvE2_clEvEUlS7_S7_E_S7_EEDaPvRmT3_T4_T5_mT6_P12ihipStream_tbENKUlT_T0_E_clISt17integral_constantIbLb0EESY_IbLb1EEEEDaSU_SV_EUlSU_E0_NS1_11comp_targetILNS1_3genE10ELNS1_11target_archE1201ELNS1_3gpuE5ELNS1_3repE0EEENS1_30default_config_static_selectorELNS0_4arch9wavefront6targetE0EEEvT1_,"axG",@progbits,_ZN7rocprim17ROCPRIM_400000_NS6detail17trampoline_kernelINS0_14default_configENS1_20scan_config_selectorIN3c107complexIfEEEEZZNS1_9scan_implILNS1_25lookback_scan_determinismE0ELb0ELb0ES3_PKS7_PS7_S7_ZZZN2at6native31launch_logcumsumexp_cuda_kernelERKNSE_10TensorBaseESI_lENKUlvE_clEvENKUlvE2_clEvEUlS7_S7_E_S7_EEDaPvRmT3_T4_T5_mT6_P12ihipStream_tbENKUlT_T0_E_clISt17integral_constantIbLb0EESY_IbLb1EEEEDaSU_SV_EUlSU_E0_NS1_11comp_targetILNS1_3genE10ELNS1_11target_archE1201ELNS1_3gpuE5ELNS1_3repE0EEENS1_30default_config_static_selectorELNS0_4arch9wavefront6targetE0EEEvT1_,comdat
.Lfunc_end343:
	.size	_ZN7rocprim17ROCPRIM_400000_NS6detail17trampoline_kernelINS0_14default_configENS1_20scan_config_selectorIN3c107complexIfEEEEZZNS1_9scan_implILNS1_25lookback_scan_determinismE0ELb0ELb0ES3_PKS7_PS7_S7_ZZZN2at6native31launch_logcumsumexp_cuda_kernelERKNSE_10TensorBaseESI_lENKUlvE_clEvENKUlvE2_clEvEUlS7_S7_E_S7_EEDaPvRmT3_T4_T5_mT6_P12ihipStream_tbENKUlT_T0_E_clISt17integral_constantIbLb0EESY_IbLb1EEEEDaSU_SV_EUlSU_E0_NS1_11comp_targetILNS1_3genE10ELNS1_11target_archE1201ELNS1_3gpuE5ELNS1_3repE0EEENS1_30default_config_static_selectorELNS0_4arch9wavefront6targetE0EEEvT1_, .Lfunc_end343-_ZN7rocprim17ROCPRIM_400000_NS6detail17trampoline_kernelINS0_14default_configENS1_20scan_config_selectorIN3c107complexIfEEEEZZNS1_9scan_implILNS1_25lookback_scan_determinismE0ELb0ELb0ES3_PKS7_PS7_S7_ZZZN2at6native31launch_logcumsumexp_cuda_kernelERKNSE_10TensorBaseESI_lENKUlvE_clEvENKUlvE2_clEvEUlS7_S7_E_S7_EEDaPvRmT3_T4_T5_mT6_P12ihipStream_tbENKUlT_T0_E_clISt17integral_constantIbLb0EESY_IbLb1EEEEDaSU_SV_EUlSU_E0_NS1_11comp_targetILNS1_3genE10ELNS1_11target_archE1201ELNS1_3gpuE5ELNS1_3repE0EEENS1_30default_config_static_selectorELNS0_4arch9wavefront6targetE0EEEvT1_
                                        ; -- End function
	.set _ZN7rocprim17ROCPRIM_400000_NS6detail17trampoline_kernelINS0_14default_configENS1_20scan_config_selectorIN3c107complexIfEEEEZZNS1_9scan_implILNS1_25lookback_scan_determinismE0ELb0ELb0ES3_PKS7_PS7_S7_ZZZN2at6native31launch_logcumsumexp_cuda_kernelERKNSE_10TensorBaseESI_lENKUlvE_clEvENKUlvE2_clEvEUlS7_S7_E_S7_EEDaPvRmT3_T4_T5_mT6_P12ihipStream_tbENKUlT_T0_E_clISt17integral_constantIbLb0EESY_IbLb1EEEEDaSU_SV_EUlSU_E0_NS1_11comp_targetILNS1_3genE10ELNS1_11target_archE1201ELNS1_3gpuE5ELNS1_3repE0EEENS1_30default_config_static_selectorELNS0_4arch9wavefront6targetE0EEEvT1_.num_vgpr, 0
	.set _ZN7rocprim17ROCPRIM_400000_NS6detail17trampoline_kernelINS0_14default_configENS1_20scan_config_selectorIN3c107complexIfEEEEZZNS1_9scan_implILNS1_25lookback_scan_determinismE0ELb0ELb0ES3_PKS7_PS7_S7_ZZZN2at6native31launch_logcumsumexp_cuda_kernelERKNSE_10TensorBaseESI_lENKUlvE_clEvENKUlvE2_clEvEUlS7_S7_E_S7_EEDaPvRmT3_T4_T5_mT6_P12ihipStream_tbENKUlT_T0_E_clISt17integral_constantIbLb0EESY_IbLb1EEEEDaSU_SV_EUlSU_E0_NS1_11comp_targetILNS1_3genE10ELNS1_11target_archE1201ELNS1_3gpuE5ELNS1_3repE0EEENS1_30default_config_static_selectorELNS0_4arch9wavefront6targetE0EEEvT1_.num_agpr, 0
	.set _ZN7rocprim17ROCPRIM_400000_NS6detail17trampoline_kernelINS0_14default_configENS1_20scan_config_selectorIN3c107complexIfEEEEZZNS1_9scan_implILNS1_25lookback_scan_determinismE0ELb0ELb0ES3_PKS7_PS7_S7_ZZZN2at6native31launch_logcumsumexp_cuda_kernelERKNSE_10TensorBaseESI_lENKUlvE_clEvENKUlvE2_clEvEUlS7_S7_E_S7_EEDaPvRmT3_T4_T5_mT6_P12ihipStream_tbENKUlT_T0_E_clISt17integral_constantIbLb0EESY_IbLb1EEEEDaSU_SV_EUlSU_E0_NS1_11comp_targetILNS1_3genE10ELNS1_11target_archE1201ELNS1_3gpuE5ELNS1_3repE0EEENS1_30default_config_static_selectorELNS0_4arch9wavefront6targetE0EEEvT1_.numbered_sgpr, 0
	.set _ZN7rocprim17ROCPRIM_400000_NS6detail17trampoline_kernelINS0_14default_configENS1_20scan_config_selectorIN3c107complexIfEEEEZZNS1_9scan_implILNS1_25lookback_scan_determinismE0ELb0ELb0ES3_PKS7_PS7_S7_ZZZN2at6native31launch_logcumsumexp_cuda_kernelERKNSE_10TensorBaseESI_lENKUlvE_clEvENKUlvE2_clEvEUlS7_S7_E_S7_EEDaPvRmT3_T4_T5_mT6_P12ihipStream_tbENKUlT_T0_E_clISt17integral_constantIbLb0EESY_IbLb1EEEEDaSU_SV_EUlSU_E0_NS1_11comp_targetILNS1_3genE10ELNS1_11target_archE1201ELNS1_3gpuE5ELNS1_3repE0EEENS1_30default_config_static_selectorELNS0_4arch9wavefront6targetE0EEEvT1_.num_named_barrier, 0
	.set _ZN7rocprim17ROCPRIM_400000_NS6detail17trampoline_kernelINS0_14default_configENS1_20scan_config_selectorIN3c107complexIfEEEEZZNS1_9scan_implILNS1_25lookback_scan_determinismE0ELb0ELb0ES3_PKS7_PS7_S7_ZZZN2at6native31launch_logcumsumexp_cuda_kernelERKNSE_10TensorBaseESI_lENKUlvE_clEvENKUlvE2_clEvEUlS7_S7_E_S7_EEDaPvRmT3_T4_T5_mT6_P12ihipStream_tbENKUlT_T0_E_clISt17integral_constantIbLb0EESY_IbLb1EEEEDaSU_SV_EUlSU_E0_NS1_11comp_targetILNS1_3genE10ELNS1_11target_archE1201ELNS1_3gpuE5ELNS1_3repE0EEENS1_30default_config_static_selectorELNS0_4arch9wavefront6targetE0EEEvT1_.private_seg_size, 0
	.set _ZN7rocprim17ROCPRIM_400000_NS6detail17trampoline_kernelINS0_14default_configENS1_20scan_config_selectorIN3c107complexIfEEEEZZNS1_9scan_implILNS1_25lookback_scan_determinismE0ELb0ELb0ES3_PKS7_PS7_S7_ZZZN2at6native31launch_logcumsumexp_cuda_kernelERKNSE_10TensorBaseESI_lENKUlvE_clEvENKUlvE2_clEvEUlS7_S7_E_S7_EEDaPvRmT3_T4_T5_mT6_P12ihipStream_tbENKUlT_T0_E_clISt17integral_constantIbLb0EESY_IbLb1EEEEDaSU_SV_EUlSU_E0_NS1_11comp_targetILNS1_3genE10ELNS1_11target_archE1201ELNS1_3gpuE5ELNS1_3repE0EEENS1_30default_config_static_selectorELNS0_4arch9wavefront6targetE0EEEvT1_.uses_vcc, 0
	.set _ZN7rocprim17ROCPRIM_400000_NS6detail17trampoline_kernelINS0_14default_configENS1_20scan_config_selectorIN3c107complexIfEEEEZZNS1_9scan_implILNS1_25lookback_scan_determinismE0ELb0ELb0ES3_PKS7_PS7_S7_ZZZN2at6native31launch_logcumsumexp_cuda_kernelERKNSE_10TensorBaseESI_lENKUlvE_clEvENKUlvE2_clEvEUlS7_S7_E_S7_EEDaPvRmT3_T4_T5_mT6_P12ihipStream_tbENKUlT_T0_E_clISt17integral_constantIbLb0EESY_IbLb1EEEEDaSU_SV_EUlSU_E0_NS1_11comp_targetILNS1_3genE10ELNS1_11target_archE1201ELNS1_3gpuE5ELNS1_3repE0EEENS1_30default_config_static_selectorELNS0_4arch9wavefront6targetE0EEEvT1_.uses_flat_scratch, 0
	.set _ZN7rocprim17ROCPRIM_400000_NS6detail17trampoline_kernelINS0_14default_configENS1_20scan_config_selectorIN3c107complexIfEEEEZZNS1_9scan_implILNS1_25lookback_scan_determinismE0ELb0ELb0ES3_PKS7_PS7_S7_ZZZN2at6native31launch_logcumsumexp_cuda_kernelERKNSE_10TensorBaseESI_lENKUlvE_clEvENKUlvE2_clEvEUlS7_S7_E_S7_EEDaPvRmT3_T4_T5_mT6_P12ihipStream_tbENKUlT_T0_E_clISt17integral_constantIbLb0EESY_IbLb1EEEEDaSU_SV_EUlSU_E0_NS1_11comp_targetILNS1_3genE10ELNS1_11target_archE1201ELNS1_3gpuE5ELNS1_3repE0EEENS1_30default_config_static_selectorELNS0_4arch9wavefront6targetE0EEEvT1_.has_dyn_sized_stack, 0
	.set _ZN7rocprim17ROCPRIM_400000_NS6detail17trampoline_kernelINS0_14default_configENS1_20scan_config_selectorIN3c107complexIfEEEEZZNS1_9scan_implILNS1_25lookback_scan_determinismE0ELb0ELb0ES3_PKS7_PS7_S7_ZZZN2at6native31launch_logcumsumexp_cuda_kernelERKNSE_10TensorBaseESI_lENKUlvE_clEvENKUlvE2_clEvEUlS7_S7_E_S7_EEDaPvRmT3_T4_T5_mT6_P12ihipStream_tbENKUlT_T0_E_clISt17integral_constantIbLb0EESY_IbLb1EEEEDaSU_SV_EUlSU_E0_NS1_11comp_targetILNS1_3genE10ELNS1_11target_archE1201ELNS1_3gpuE5ELNS1_3repE0EEENS1_30default_config_static_selectorELNS0_4arch9wavefront6targetE0EEEvT1_.has_recursion, 0
	.set _ZN7rocprim17ROCPRIM_400000_NS6detail17trampoline_kernelINS0_14default_configENS1_20scan_config_selectorIN3c107complexIfEEEEZZNS1_9scan_implILNS1_25lookback_scan_determinismE0ELb0ELb0ES3_PKS7_PS7_S7_ZZZN2at6native31launch_logcumsumexp_cuda_kernelERKNSE_10TensorBaseESI_lENKUlvE_clEvENKUlvE2_clEvEUlS7_S7_E_S7_EEDaPvRmT3_T4_T5_mT6_P12ihipStream_tbENKUlT_T0_E_clISt17integral_constantIbLb0EESY_IbLb1EEEEDaSU_SV_EUlSU_E0_NS1_11comp_targetILNS1_3genE10ELNS1_11target_archE1201ELNS1_3gpuE5ELNS1_3repE0EEENS1_30default_config_static_selectorELNS0_4arch9wavefront6targetE0EEEvT1_.has_indirect_call, 0
	.section	.AMDGPU.csdata,"",@progbits
; Kernel info:
; codeLenInByte = 0
; TotalNumSgprs: 0
; NumVgprs: 0
; ScratchSize: 0
; MemoryBound: 0
; FloatMode: 240
; IeeeMode: 1
; LDSByteSize: 0 bytes/workgroup (compile time only)
; SGPRBlocks: 0
; VGPRBlocks: 0
; NumSGPRsForWavesPerEU: 1
; NumVGPRsForWavesPerEU: 1
; Occupancy: 16
; WaveLimiterHint : 0
; COMPUTE_PGM_RSRC2:SCRATCH_EN: 0
; COMPUTE_PGM_RSRC2:USER_SGPR: 6
; COMPUTE_PGM_RSRC2:TRAP_HANDLER: 0
; COMPUTE_PGM_RSRC2:TGID_X_EN: 1
; COMPUTE_PGM_RSRC2:TGID_Y_EN: 0
; COMPUTE_PGM_RSRC2:TGID_Z_EN: 0
; COMPUTE_PGM_RSRC2:TIDIG_COMP_CNT: 0
	.section	.text._ZN7rocprim17ROCPRIM_400000_NS6detail17trampoline_kernelINS0_14default_configENS1_20scan_config_selectorIN3c107complexIfEEEEZZNS1_9scan_implILNS1_25lookback_scan_determinismE0ELb0ELb0ES3_PKS7_PS7_S7_ZZZN2at6native31launch_logcumsumexp_cuda_kernelERKNSE_10TensorBaseESI_lENKUlvE_clEvENKUlvE2_clEvEUlS7_S7_E_S7_EEDaPvRmT3_T4_T5_mT6_P12ihipStream_tbENKUlT_T0_E_clISt17integral_constantIbLb0EESY_IbLb1EEEEDaSU_SV_EUlSU_E0_NS1_11comp_targetILNS1_3genE10ELNS1_11target_archE1200ELNS1_3gpuE4ELNS1_3repE0EEENS1_30default_config_static_selectorELNS0_4arch9wavefront6targetE0EEEvT1_,"axG",@progbits,_ZN7rocprim17ROCPRIM_400000_NS6detail17trampoline_kernelINS0_14default_configENS1_20scan_config_selectorIN3c107complexIfEEEEZZNS1_9scan_implILNS1_25lookback_scan_determinismE0ELb0ELb0ES3_PKS7_PS7_S7_ZZZN2at6native31launch_logcumsumexp_cuda_kernelERKNSE_10TensorBaseESI_lENKUlvE_clEvENKUlvE2_clEvEUlS7_S7_E_S7_EEDaPvRmT3_T4_T5_mT6_P12ihipStream_tbENKUlT_T0_E_clISt17integral_constantIbLb0EESY_IbLb1EEEEDaSU_SV_EUlSU_E0_NS1_11comp_targetILNS1_3genE10ELNS1_11target_archE1200ELNS1_3gpuE4ELNS1_3repE0EEENS1_30default_config_static_selectorELNS0_4arch9wavefront6targetE0EEEvT1_,comdat
	.globl	_ZN7rocprim17ROCPRIM_400000_NS6detail17trampoline_kernelINS0_14default_configENS1_20scan_config_selectorIN3c107complexIfEEEEZZNS1_9scan_implILNS1_25lookback_scan_determinismE0ELb0ELb0ES3_PKS7_PS7_S7_ZZZN2at6native31launch_logcumsumexp_cuda_kernelERKNSE_10TensorBaseESI_lENKUlvE_clEvENKUlvE2_clEvEUlS7_S7_E_S7_EEDaPvRmT3_T4_T5_mT6_P12ihipStream_tbENKUlT_T0_E_clISt17integral_constantIbLb0EESY_IbLb1EEEEDaSU_SV_EUlSU_E0_NS1_11comp_targetILNS1_3genE10ELNS1_11target_archE1200ELNS1_3gpuE4ELNS1_3repE0EEENS1_30default_config_static_selectorELNS0_4arch9wavefront6targetE0EEEvT1_ ; -- Begin function _ZN7rocprim17ROCPRIM_400000_NS6detail17trampoline_kernelINS0_14default_configENS1_20scan_config_selectorIN3c107complexIfEEEEZZNS1_9scan_implILNS1_25lookback_scan_determinismE0ELb0ELb0ES3_PKS7_PS7_S7_ZZZN2at6native31launch_logcumsumexp_cuda_kernelERKNSE_10TensorBaseESI_lENKUlvE_clEvENKUlvE2_clEvEUlS7_S7_E_S7_EEDaPvRmT3_T4_T5_mT6_P12ihipStream_tbENKUlT_T0_E_clISt17integral_constantIbLb0EESY_IbLb1EEEEDaSU_SV_EUlSU_E0_NS1_11comp_targetILNS1_3genE10ELNS1_11target_archE1200ELNS1_3gpuE4ELNS1_3repE0EEENS1_30default_config_static_selectorELNS0_4arch9wavefront6targetE0EEEvT1_
	.p2align	8
	.type	_ZN7rocprim17ROCPRIM_400000_NS6detail17trampoline_kernelINS0_14default_configENS1_20scan_config_selectorIN3c107complexIfEEEEZZNS1_9scan_implILNS1_25lookback_scan_determinismE0ELb0ELb0ES3_PKS7_PS7_S7_ZZZN2at6native31launch_logcumsumexp_cuda_kernelERKNSE_10TensorBaseESI_lENKUlvE_clEvENKUlvE2_clEvEUlS7_S7_E_S7_EEDaPvRmT3_T4_T5_mT6_P12ihipStream_tbENKUlT_T0_E_clISt17integral_constantIbLb0EESY_IbLb1EEEEDaSU_SV_EUlSU_E0_NS1_11comp_targetILNS1_3genE10ELNS1_11target_archE1200ELNS1_3gpuE4ELNS1_3repE0EEENS1_30default_config_static_selectorELNS0_4arch9wavefront6targetE0EEEvT1_,@function
_ZN7rocprim17ROCPRIM_400000_NS6detail17trampoline_kernelINS0_14default_configENS1_20scan_config_selectorIN3c107complexIfEEEEZZNS1_9scan_implILNS1_25lookback_scan_determinismE0ELb0ELb0ES3_PKS7_PS7_S7_ZZZN2at6native31launch_logcumsumexp_cuda_kernelERKNSE_10TensorBaseESI_lENKUlvE_clEvENKUlvE2_clEvEUlS7_S7_E_S7_EEDaPvRmT3_T4_T5_mT6_P12ihipStream_tbENKUlT_T0_E_clISt17integral_constantIbLb0EESY_IbLb1EEEEDaSU_SV_EUlSU_E0_NS1_11comp_targetILNS1_3genE10ELNS1_11target_archE1200ELNS1_3gpuE4ELNS1_3repE0EEENS1_30default_config_static_selectorELNS0_4arch9wavefront6targetE0EEEvT1_: ; @_ZN7rocprim17ROCPRIM_400000_NS6detail17trampoline_kernelINS0_14default_configENS1_20scan_config_selectorIN3c107complexIfEEEEZZNS1_9scan_implILNS1_25lookback_scan_determinismE0ELb0ELb0ES3_PKS7_PS7_S7_ZZZN2at6native31launch_logcumsumexp_cuda_kernelERKNSE_10TensorBaseESI_lENKUlvE_clEvENKUlvE2_clEvEUlS7_S7_E_S7_EEDaPvRmT3_T4_T5_mT6_P12ihipStream_tbENKUlT_T0_E_clISt17integral_constantIbLb0EESY_IbLb1EEEEDaSU_SV_EUlSU_E0_NS1_11comp_targetILNS1_3genE10ELNS1_11target_archE1200ELNS1_3gpuE4ELNS1_3repE0EEENS1_30default_config_static_selectorELNS0_4arch9wavefront6targetE0EEEvT1_
; %bb.0:
	.section	.rodata,"a",@progbits
	.p2align	6, 0x0
	.amdhsa_kernel _ZN7rocprim17ROCPRIM_400000_NS6detail17trampoline_kernelINS0_14default_configENS1_20scan_config_selectorIN3c107complexIfEEEEZZNS1_9scan_implILNS1_25lookback_scan_determinismE0ELb0ELb0ES3_PKS7_PS7_S7_ZZZN2at6native31launch_logcumsumexp_cuda_kernelERKNSE_10TensorBaseESI_lENKUlvE_clEvENKUlvE2_clEvEUlS7_S7_E_S7_EEDaPvRmT3_T4_T5_mT6_P12ihipStream_tbENKUlT_T0_E_clISt17integral_constantIbLb0EESY_IbLb1EEEEDaSU_SV_EUlSU_E0_NS1_11comp_targetILNS1_3genE10ELNS1_11target_archE1200ELNS1_3gpuE4ELNS1_3repE0EEENS1_30default_config_static_selectorELNS0_4arch9wavefront6targetE0EEEvT1_
		.amdhsa_group_segment_fixed_size 0
		.amdhsa_private_segment_fixed_size 0
		.amdhsa_kernarg_size 40
		.amdhsa_user_sgpr_count 6
		.amdhsa_user_sgpr_private_segment_buffer 1
		.amdhsa_user_sgpr_dispatch_ptr 0
		.amdhsa_user_sgpr_queue_ptr 0
		.amdhsa_user_sgpr_kernarg_segment_ptr 1
		.amdhsa_user_sgpr_dispatch_id 0
		.amdhsa_user_sgpr_flat_scratch_init 0
		.amdhsa_user_sgpr_private_segment_size 0
		.amdhsa_wavefront_size32 1
		.amdhsa_uses_dynamic_stack 0
		.amdhsa_system_sgpr_private_segment_wavefront_offset 0
		.amdhsa_system_sgpr_workgroup_id_x 1
		.amdhsa_system_sgpr_workgroup_id_y 0
		.amdhsa_system_sgpr_workgroup_id_z 0
		.amdhsa_system_sgpr_workgroup_info 0
		.amdhsa_system_vgpr_workitem_id 0
		.amdhsa_next_free_vgpr 1
		.amdhsa_next_free_sgpr 1
		.amdhsa_reserve_vcc 0
		.amdhsa_reserve_flat_scratch 0
		.amdhsa_float_round_mode_32 0
		.amdhsa_float_round_mode_16_64 0
		.amdhsa_float_denorm_mode_32 3
		.amdhsa_float_denorm_mode_16_64 3
		.amdhsa_dx10_clamp 1
		.amdhsa_ieee_mode 1
		.amdhsa_fp16_overflow 0
		.amdhsa_workgroup_processor_mode 1
		.amdhsa_memory_ordered 1
		.amdhsa_forward_progress 1
		.amdhsa_shared_vgpr_count 0
		.amdhsa_exception_fp_ieee_invalid_op 0
		.amdhsa_exception_fp_denorm_src 0
		.amdhsa_exception_fp_ieee_div_zero 0
		.amdhsa_exception_fp_ieee_overflow 0
		.amdhsa_exception_fp_ieee_underflow 0
		.amdhsa_exception_fp_ieee_inexact 0
		.amdhsa_exception_int_div_zero 0
	.end_amdhsa_kernel
	.section	.text._ZN7rocprim17ROCPRIM_400000_NS6detail17trampoline_kernelINS0_14default_configENS1_20scan_config_selectorIN3c107complexIfEEEEZZNS1_9scan_implILNS1_25lookback_scan_determinismE0ELb0ELb0ES3_PKS7_PS7_S7_ZZZN2at6native31launch_logcumsumexp_cuda_kernelERKNSE_10TensorBaseESI_lENKUlvE_clEvENKUlvE2_clEvEUlS7_S7_E_S7_EEDaPvRmT3_T4_T5_mT6_P12ihipStream_tbENKUlT_T0_E_clISt17integral_constantIbLb0EESY_IbLb1EEEEDaSU_SV_EUlSU_E0_NS1_11comp_targetILNS1_3genE10ELNS1_11target_archE1200ELNS1_3gpuE4ELNS1_3repE0EEENS1_30default_config_static_selectorELNS0_4arch9wavefront6targetE0EEEvT1_,"axG",@progbits,_ZN7rocprim17ROCPRIM_400000_NS6detail17trampoline_kernelINS0_14default_configENS1_20scan_config_selectorIN3c107complexIfEEEEZZNS1_9scan_implILNS1_25lookback_scan_determinismE0ELb0ELb0ES3_PKS7_PS7_S7_ZZZN2at6native31launch_logcumsumexp_cuda_kernelERKNSE_10TensorBaseESI_lENKUlvE_clEvENKUlvE2_clEvEUlS7_S7_E_S7_EEDaPvRmT3_T4_T5_mT6_P12ihipStream_tbENKUlT_T0_E_clISt17integral_constantIbLb0EESY_IbLb1EEEEDaSU_SV_EUlSU_E0_NS1_11comp_targetILNS1_3genE10ELNS1_11target_archE1200ELNS1_3gpuE4ELNS1_3repE0EEENS1_30default_config_static_selectorELNS0_4arch9wavefront6targetE0EEEvT1_,comdat
.Lfunc_end344:
	.size	_ZN7rocprim17ROCPRIM_400000_NS6detail17trampoline_kernelINS0_14default_configENS1_20scan_config_selectorIN3c107complexIfEEEEZZNS1_9scan_implILNS1_25lookback_scan_determinismE0ELb0ELb0ES3_PKS7_PS7_S7_ZZZN2at6native31launch_logcumsumexp_cuda_kernelERKNSE_10TensorBaseESI_lENKUlvE_clEvENKUlvE2_clEvEUlS7_S7_E_S7_EEDaPvRmT3_T4_T5_mT6_P12ihipStream_tbENKUlT_T0_E_clISt17integral_constantIbLb0EESY_IbLb1EEEEDaSU_SV_EUlSU_E0_NS1_11comp_targetILNS1_3genE10ELNS1_11target_archE1200ELNS1_3gpuE4ELNS1_3repE0EEENS1_30default_config_static_selectorELNS0_4arch9wavefront6targetE0EEEvT1_, .Lfunc_end344-_ZN7rocprim17ROCPRIM_400000_NS6detail17trampoline_kernelINS0_14default_configENS1_20scan_config_selectorIN3c107complexIfEEEEZZNS1_9scan_implILNS1_25lookback_scan_determinismE0ELb0ELb0ES3_PKS7_PS7_S7_ZZZN2at6native31launch_logcumsumexp_cuda_kernelERKNSE_10TensorBaseESI_lENKUlvE_clEvENKUlvE2_clEvEUlS7_S7_E_S7_EEDaPvRmT3_T4_T5_mT6_P12ihipStream_tbENKUlT_T0_E_clISt17integral_constantIbLb0EESY_IbLb1EEEEDaSU_SV_EUlSU_E0_NS1_11comp_targetILNS1_3genE10ELNS1_11target_archE1200ELNS1_3gpuE4ELNS1_3repE0EEENS1_30default_config_static_selectorELNS0_4arch9wavefront6targetE0EEEvT1_
                                        ; -- End function
	.set _ZN7rocprim17ROCPRIM_400000_NS6detail17trampoline_kernelINS0_14default_configENS1_20scan_config_selectorIN3c107complexIfEEEEZZNS1_9scan_implILNS1_25lookback_scan_determinismE0ELb0ELb0ES3_PKS7_PS7_S7_ZZZN2at6native31launch_logcumsumexp_cuda_kernelERKNSE_10TensorBaseESI_lENKUlvE_clEvENKUlvE2_clEvEUlS7_S7_E_S7_EEDaPvRmT3_T4_T5_mT6_P12ihipStream_tbENKUlT_T0_E_clISt17integral_constantIbLb0EESY_IbLb1EEEEDaSU_SV_EUlSU_E0_NS1_11comp_targetILNS1_3genE10ELNS1_11target_archE1200ELNS1_3gpuE4ELNS1_3repE0EEENS1_30default_config_static_selectorELNS0_4arch9wavefront6targetE0EEEvT1_.num_vgpr, 0
	.set _ZN7rocprim17ROCPRIM_400000_NS6detail17trampoline_kernelINS0_14default_configENS1_20scan_config_selectorIN3c107complexIfEEEEZZNS1_9scan_implILNS1_25lookback_scan_determinismE0ELb0ELb0ES3_PKS7_PS7_S7_ZZZN2at6native31launch_logcumsumexp_cuda_kernelERKNSE_10TensorBaseESI_lENKUlvE_clEvENKUlvE2_clEvEUlS7_S7_E_S7_EEDaPvRmT3_T4_T5_mT6_P12ihipStream_tbENKUlT_T0_E_clISt17integral_constantIbLb0EESY_IbLb1EEEEDaSU_SV_EUlSU_E0_NS1_11comp_targetILNS1_3genE10ELNS1_11target_archE1200ELNS1_3gpuE4ELNS1_3repE0EEENS1_30default_config_static_selectorELNS0_4arch9wavefront6targetE0EEEvT1_.num_agpr, 0
	.set _ZN7rocprim17ROCPRIM_400000_NS6detail17trampoline_kernelINS0_14default_configENS1_20scan_config_selectorIN3c107complexIfEEEEZZNS1_9scan_implILNS1_25lookback_scan_determinismE0ELb0ELb0ES3_PKS7_PS7_S7_ZZZN2at6native31launch_logcumsumexp_cuda_kernelERKNSE_10TensorBaseESI_lENKUlvE_clEvENKUlvE2_clEvEUlS7_S7_E_S7_EEDaPvRmT3_T4_T5_mT6_P12ihipStream_tbENKUlT_T0_E_clISt17integral_constantIbLb0EESY_IbLb1EEEEDaSU_SV_EUlSU_E0_NS1_11comp_targetILNS1_3genE10ELNS1_11target_archE1200ELNS1_3gpuE4ELNS1_3repE0EEENS1_30default_config_static_selectorELNS0_4arch9wavefront6targetE0EEEvT1_.numbered_sgpr, 0
	.set _ZN7rocprim17ROCPRIM_400000_NS6detail17trampoline_kernelINS0_14default_configENS1_20scan_config_selectorIN3c107complexIfEEEEZZNS1_9scan_implILNS1_25lookback_scan_determinismE0ELb0ELb0ES3_PKS7_PS7_S7_ZZZN2at6native31launch_logcumsumexp_cuda_kernelERKNSE_10TensorBaseESI_lENKUlvE_clEvENKUlvE2_clEvEUlS7_S7_E_S7_EEDaPvRmT3_T4_T5_mT6_P12ihipStream_tbENKUlT_T0_E_clISt17integral_constantIbLb0EESY_IbLb1EEEEDaSU_SV_EUlSU_E0_NS1_11comp_targetILNS1_3genE10ELNS1_11target_archE1200ELNS1_3gpuE4ELNS1_3repE0EEENS1_30default_config_static_selectorELNS0_4arch9wavefront6targetE0EEEvT1_.num_named_barrier, 0
	.set _ZN7rocprim17ROCPRIM_400000_NS6detail17trampoline_kernelINS0_14default_configENS1_20scan_config_selectorIN3c107complexIfEEEEZZNS1_9scan_implILNS1_25lookback_scan_determinismE0ELb0ELb0ES3_PKS7_PS7_S7_ZZZN2at6native31launch_logcumsumexp_cuda_kernelERKNSE_10TensorBaseESI_lENKUlvE_clEvENKUlvE2_clEvEUlS7_S7_E_S7_EEDaPvRmT3_T4_T5_mT6_P12ihipStream_tbENKUlT_T0_E_clISt17integral_constantIbLb0EESY_IbLb1EEEEDaSU_SV_EUlSU_E0_NS1_11comp_targetILNS1_3genE10ELNS1_11target_archE1200ELNS1_3gpuE4ELNS1_3repE0EEENS1_30default_config_static_selectorELNS0_4arch9wavefront6targetE0EEEvT1_.private_seg_size, 0
	.set _ZN7rocprim17ROCPRIM_400000_NS6detail17trampoline_kernelINS0_14default_configENS1_20scan_config_selectorIN3c107complexIfEEEEZZNS1_9scan_implILNS1_25lookback_scan_determinismE0ELb0ELb0ES3_PKS7_PS7_S7_ZZZN2at6native31launch_logcumsumexp_cuda_kernelERKNSE_10TensorBaseESI_lENKUlvE_clEvENKUlvE2_clEvEUlS7_S7_E_S7_EEDaPvRmT3_T4_T5_mT6_P12ihipStream_tbENKUlT_T0_E_clISt17integral_constantIbLb0EESY_IbLb1EEEEDaSU_SV_EUlSU_E0_NS1_11comp_targetILNS1_3genE10ELNS1_11target_archE1200ELNS1_3gpuE4ELNS1_3repE0EEENS1_30default_config_static_selectorELNS0_4arch9wavefront6targetE0EEEvT1_.uses_vcc, 0
	.set _ZN7rocprim17ROCPRIM_400000_NS6detail17trampoline_kernelINS0_14default_configENS1_20scan_config_selectorIN3c107complexIfEEEEZZNS1_9scan_implILNS1_25lookback_scan_determinismE0ELb0ELb0ES3_PKS7_PS7_S7_ZZZN2at6native31launch_logcumsumexp_cuda_kernelERKNSE_10TensorBaseESI_lENKUlvE_clEvENKUlvE2_clEvEUlS7_S7_E_S7_EEDaPvRmT3_T4_T5_mT6_P12ihipStream_tbENKUlT_T0_E_clISt17integral_constantIbLb0EESY_IbLb1EEEEDaSU_SV_EUlSU_E0_NS1_11comp_targetILNS1_3genE10ELNS1_11target_archE1200ELNS1_3gpuE4ELNS1_3repE0EEENS1_30default_config_static_selectorELNS0_4arch9wavefront6targetE0EEEvT1_.uses_flat_scratch, 0
	.set _ZN7rocprim17ROCPRIM_400000_NS6detail17trampoline_kernelINS0_14default_configENS1_20scan_config_selectorIN3c107complexIfEEEEZZNS1_9scan_implILNS1_25lookback_scan_determinismE0ELb0ELb0ES3_PKS7_PS7_S7_ZZZN2at6native31launch_logcumsumexp_cuda_kernelERKNSE_10TensorBaseESI_lENKUlvE_clEvENKUlvE2_clEvEUlS7_S7_E_S7_EEDaPvRmT3_T4_T5_mT6_P12ihipStream_tbENKUlT_T0_E_clISt17integral_constantIbLb0EESY_IbLb1EEEEDaSU_SV_EUlSU_E0_NS1_11comp_targetILNS1_3genE10ELNS1_11target_archE1200ELNS1_3gpuE4ELNS1_3repE0EEENS1_30default_config_static_selectorELNS0_4arch9wavefront6targetE0EEEvT1_.has_dyn_sized_stack, 0
	.set _ZN7rocprim17ROCPRIM_400000_NS6detail17trampoline_kernelINS0_14default_configENS1_20scan_config_selectorIN3c107complexIfEEEEZZNS1_9scan_implILNS1_25lookback_scan_determinismE0ELb0ELb0ES3_PKS7_PS7_S7_ZZZN2at6native31launch_logcumsumexp_cuda_kernelERKNSE_10TensorBaseESI_lENKUlvE_clEvENKUlvE2_clEvEUlS7_S7_E_S7_EEDaPvRmT3_T4_T5_mT6_P12ihipStream_tbENKUlT_T0_E_clISt17integral_constantIbLb0EESY_IbLb1EEEEDaSU_SV_EUlSU_E0_NS1_11comp_targetILNS1_3genE10ELNS1_11target_archE1200ELNS1_3gpuE4ELNS1_3repE0EEENS1_30default_config_static_selectorELNS0_4arch9wavefront6targetE0EEEvT1_.has_recursion, 0
	.set _ZN7rocprim17ROCPRIM_400000_NS6detail17trampoline_kernelINS0_14default_configENS1_20scan_config_selectorIN3c107complexIfEEEEZZNS1_9scan_implILNS1_25lookback_scan_determinismE0ELb0ELb0ES3_PKS7_PS7_S7_ZZZN2at6native31launch_logcumsumexp_cuda_kernelERKNSE_10TensorBaseESI_lENKUlvE_clEvENKUlvE2_clEvEUlS7_S7_E_S7_EEDaPvRmT3_T4_T5_mT6_P12ihipStream_tbENKUlT_T0_E_clISt17integral_constantIbLb0EESY_IbLb1EEEEDaSU_SV_EUlSU_E0_NS1_11comp_targetILNS1_3genE10ELNS1_11target_archE1200ELNS1_3gpuE4ELNS1_3repE0EEENS1_30default_config_static_selectorELNS0_4arch9wavefront6targetE0EEEvT1_.has_indirect_call, 0
	.section	.AMDGPU.csdata,"",@progbits
; Kernel info:
; codeLenInByte = 0
; TotalNumSgprs: 0
; NumVgprs: 0
; ScratchSize: 0
; MemoryBound: 0
; FloatMode: 240
; IeeeMode: 1
; LDSByteSize: 0 bytes/workgroup (compile time only)
; SGPRBlocks: 0
; VGPRBlocks: 0
; NumSGPRsForWavesPerEU: 1
; NumVGPRsForWavesPerEU: 1
; Occupancy: 16
; WaveLimiterHint : 0
; COMPUTE_PGM_RSRC2:SCRATCH_EN: 0
; COMPUTE_PGM_RSRC2:USER_SGPR: 6
; COMPUTE_PGM_RSRC2:TRAP_HANDLER: 0
; COMPUTE_PGM_RSRC2:TGID_X_EN: 1
; COMPUTE_PGM_RSRC2:TGID_Y_EN: 0
; COMPUTE_PGM_RSRC2:TGID_Z_EN: 0
; COMPUTE_PGM_RSRC2:TIDIG_COMP_CNT: 0
	.section	.text._ZN7rocprim17ROCPRIM_400000_NS6detail17trampoline_kernelINS0_14default_configENS1_20scan_config_selectorIN3c107complexIfEEEEZZNS1_9scan_implILNS1_25lookback_scan_determinismE0ELb0ELb0ES3_PKS7_PS7_S7_ZZZN2at6native31launch_logcumsumexp_cuda_kernelERKNSE_10TensorBaseESI_lENKUlvE_clEvENKUlvE2_clEvEUlS7_S7_E_S7_EEDaPvRmT3_T4_T5_mT6_P12ihipStream_tbENKUlT_T0_E_clISt17integral_constantIbLb0EESY_IbLb1EEEEDaSU_SV_EUlSU_E0_NS1_11comp_targetILNS1_3genE9ELNS1_11target_archE1100ELNS1_3gpuE3ELNS1_3repE0EEENS1_30default_config_static_selectorELNS0_4arch9wavefront6targetE0EEEvT1_,"axG",@progbits,_ZN7rocprim17ROCPRIM_400000_NS6detail17trampoline_kernelINS0_14default_configENS1_20scan_config_selectorIN3c107complexIfEEEEZZNS1_9scan_implILNS1_25lookback_scan_determinismE0ELb0ELb0ES3_PKS7_PS7_S7_ZZZN2at6native31launch_logcumsumexp_cuda_kernelERKNSE_10TensorBaseESI_lENKUlvE_clEvENKUlvE2_clEvEUlS7_S7_E_S7_EEDaPvRmT3_T4_T5_mT6_P12ihipStream_tbENKUlT_T0_E_clISt17integral_constantIbLb0EESY_IbLb1EEEEDaSU_SV_EUlSU_E0_NS1_11comp_targetILNS1_3genE9ELNS1_11target_archE1100ELNS1_3gpuE3ELNS1_3repE0EEENS1_30default_config_static_selectorELNS0_4arch9wavefront6targetE0EEEvT1_,comdat
	.globl	_ZN7rocprim17ROCPRIM_400000_NS6detail17trampoline_kernelINS0_14default_configENS1_20scan_config_selectorIN3c107complexIfEEEEZZNS1_9scan_implILNS1_25lookback_scan_determinismE0ELb0ELb0ES3_PKS7_PS7_S7_ZZZN2at6native31launch_logcumsumexp_cuda_kernelERKNSE_10TensorBaseESI_lENKUlvE_clEvENKUlvE2_clEvEUlS7_S7_E_S7_EEDaPvRmT3_T4_T5_mT6_P12ihipStream_tbENKUlT_T0_E_clISt17integral_constantIbLb0EESY_IbLb1EEEEDaSU_SV_EUlSU_E0_NS1_11comp_targetILNS1_3genE9ELNS1_11target_archE1100ELNS1_3gpuE3ELNS1_3repE0EEENS1_30default_config_static_selectorELNS0_4arch9wavefront6targetE0EEEvT1_ ; -- Begin function _ZN7rocprim17ROCPRIM_400000_NS6detail17trampoline_kernelINS0_14default_configENS1_20scan_config_selectorIN3c107complexIfEEEEZZNS1_9scan_implILNS1_25lookback_scan_determinismE0ELb0ELb0ES3_PKS7_PS7_S7_ZZZN2at6native31launch_logcumsumexp_cuda_kernelERKNSE_10TensorBaseESI_lENKUlvE_clEvENKUlvE2_clEvEUlS7_S7_E_S7_EEDaPvRmT3_T4_T5_mT6_P12ihipStream_tbENKUlT_T0_E_clISt17integral_constantIbLb0EESY_IbLb1EEEEDaSU_SV_EUlSU_E0_NS1_11comp_targetILNS1_3genE9ELNS1_11target_archE1100ELNS1_3gpuE3ELNS1_3repE0EEENS1_30default_config_static_selectorELNS0_4arch9wavefront6targetE0EEEvT1_
	.p2align	8
	.type	_ZN7rocprim17ROCPRIM_400000_NS6detail17trampoline_kernelINS0_14default_configENS1_20scan_config_selectorIN3c107complexIfEEEEZZNS1_9scan_implILNS1_25lookback_scan_determinismE0ELb0ELb0ES3_PKS7_PS7_S7_ZZZN2at6native31launch_logcumsumexp_cuda_kernelERKNSE_10TensorBaseESI_lENKUlvE_clEvENKUlvE2_clEvEUlS7_S7_E_S7_EEDaPvRmT3_T4_T5_mT6_P12ihipStream_tbENKUlT_T0_E_clISt17integral_constantIbLb0EESY_IbLb1EEEEDaSU_SV_EUlSU_E0_NS1_11comp_targetILNS1_3genE9ELNS1_11target_archE1100ELNS1_3gpuE3ELNS1_3repE0EEENS1_30default_config_static_selectorELNS0_4arch9wavefront6targetE0EEEvT1_,@function
_ZN7rocprim17ROCPRIM_400000_NS6detail17trampoline_kernelINS0_14default_configENS1_20scan_config_selectorIN3c107complexIfEEEEZZNS1_9scan_implILNS1_25lookback_scan_determinismE0ELb0ELb0ES3_PKS7_PS7_S7_ZZZN2at6native31launch_logcumsumexp_cuda_kernelERKNSE_10TensorBaseESI_lENKUlvE_clEvENKUlvE2_clEvEUlS7_S7_E_S7_EEDaPvRmT3_T4_T5_mT6_P12ihipStream_tbENKUlT_T0_E_clISt17integral_constantIbLb0EESY_IbLb1EEEEDaSU_SV_EUlSU_E0_NS1_11comp_targetILNS1_3genE9ELNS1_11target_archE1100ELNS1_3gpuE3ELNS1_3repE0EEENS1_30default_config_static_selectorELNS0_4arch9wavefront6targetE0EEEvT1_: ; @_ZN7rocprim17ROCPRIM_400000_NS6detail17trampoline_kernelINS0_14default_configENS1_20scan_config_selectorIN3c107complexIfEEEEZZNS1_9scan_implILNS1_25lookback_scan_determinismE0ELb0ELb0ES3_PKS7_PS7_S7_ZZZN2at6native31launch_logcumsumexp_cuda_kernelERKNSE_10TensorBaseESI_lENKUlvE_clEvENKUlvE2_clEvEUlS7_S7_E_S7_EEDaPvRmT3_T4_T5_mT6_P12ihipStream_tbENKUlT_T0_E_clISt17integral_constantIbLb0EESY_IbLb1EEEEDaSU_SV_EUlSU_E0_NS1_11comp_targetILNS1_3genE9ELNS1_11target_archE1100ELNS1_3gpuE3ELNS1_3repE0EEENS1_30default_config_static_selectorELNS0_4arch9wavefront6targetE0EEEvT1_
; %bb.0:
	.section	.rodata,"a",@progbits
	.p2align	6, 0x0
	.amdhsa_kernel _ZN7rocprim17ROCPRIM_400000_NS6detail17trampoline_kernelINS0_14default_configENS1_20scan_config_selectorIN3c107complexIfEEEEZZNS1_9scan_implILNS1_25lookback_scan_determinismE0ELb0ELb0ES3_PKS7_PS7_S7_ZZZN2at6native31launch_logcumsumexp_cuda_kernelERKNSE_10TensorBaseESI_lENKUlvE_clEvENKUlvE2_clEvEUlS7_S7_E_S7_EEDaPvRmT3_T4_T5_mT6_P12ihipStream_tbENKUlT_T0_E_clISt17integral_constantIbLb0EESY_IbLb1EEEEDaSU_SV_EUlSU_E0_NS1_11comp_targetILNS1_3genE9ELNS1_11target_archE1100ELNS1_3gpuE3ELNS1_3repE0EEENS1_30default_config_static_selectorELNS0_4arch9wavefront6targetE0EEEvT1_
		.amdhsa_group_segment_fixed_size 0
		.amdhsa_private_segment_fixed_size 0
		.amdhsa_kernarg_size 40
		.amdhsa_user_sgpr_count 6
		.amdhsa_user_sgpr_private_segment_buffer 1
		.amdhsa_user_sgpr_dispatch_ptr 0
		.amdhsa_user_sgpr_queue_ptr 0
		.amdhsa_user_sgpr_kernarg_segment_ptr 1
		.amdhsa_user_sgpr_dispatch_id 0
		.amdhsa_user_sgpr_flat_scratch_init 0
		.amdhsa_user_sgpr_private_segment_size 0
		.amdhsa_wavefront_size32 1
		.amdhsa_uses_dynamic_stack 0
		.amdhsa_system_sgpr_private_segment_wavefront_offset 0
		.amdhsa_system_sgpr_workgroup_id_x 1
		.amdhsa_system_sgpr_workgroup_id_y 0
		.amdhsa_system_sgpr_workgroup_id_z 0
		.amdhsa_system_sgpr_workgroup_info 0
		.amdhsa_system_vgpr_workitem_id 0
		.amdhsa_next_free_vgpr 1
		.amdhsa_next_free_sgpr 1
		.amdhsa_reserve_vcc 0
		.amdhsa_reserve_flat_scratch 0
		.amdhsa_float_round_mode_32 0
		.amdhsa_float_round_mode_16_64 0
		.amdhsa_float_denorm_mode_32 3
		.amdhsa_float_denorm_mode_16_64 3
		.amdhsa_dx10_clamp 1
		.amdhsa_ieee_mode 1
		.amdhsa_fp16_overflow 0
		.amdhsa_workgroup_processor_mode 1
		.amdhsa_memory_ordered 1
		.amdhsa_forward_progress 1
		.amdhsa_shared_vgpr_count 0
		.amdhsa_exception_fp_ieee_invalid_op 0
		.amdhsa_exception_fp_denorm_src 0
		.amdhsa_exception_fp_ieee_div_zero 0
		.amdhsa_exception_fp_ieee_overflow 0
		.amdhsa_exception_fp_ieee_underflow 0
		.amdhsa_exception_fp_ieee_inexact 0
		.amdhsa_exception_int_div_zero 0
	.end_amdhsa_kernel
	.section	.text._ZN7rocprim17ROCPRIM_400000_NS6detail17trampoline_kernelINS0_14default_configENS1_20scan_config_selectorIN3c107complexIfEEEEZZNS1_9scan_implILNS1_25lookback_scan_determinismE0ELb0ELb0ES3_PKS7_PS7_S7_ZZZN2at6native31launch_logcumsumexp_cuda_kernelERKNSE_10TensorBaseESI_lENKUlvE_clEvENKUlvE2_clEvEUlS7_S7_E_S7_EEDaPvRmT3_T4_T5_mT6_P12ihipStream_tbENKUlT_T0_E_clISt17integral_constantIbLb0EESY_IbLb1EEEEDaSU_SV_EUlSU_E0_NS1_11comp_targetILNS1_3genE9ELNS1_11target_archE1100ELNS1_3gpuE3ELNS1_3repE0EEENS1_30default_config_static_selectorELNS0_4arch9wavefront6targetE0EEEvT1_,"axG",@progbits,_ZN7rocprim17ROCPRIM_400000_NS6detail17trampoline_kernelINS0_14default_configENS1_20scan_config_selectorIN3c107complexIfEEEEZZNS1_9scan_implILNS1_25lookback_scan_determinismE0ELb0ELb0ES3_PKS7_PS7_S7_ZZZN2at6native31launch_logcumsumexp_cuda_kernelERKNSE_10TensorBaseESI_lENKUlvE_clEvENKUlvE2_clEvEUlS7_S7_E_S7_EEDaPvRmT3_T4_T5_mT6_P12ihipStream_tbENKUlT_T0_E_clISt17integral_constantIbLb0EESY_IbLb1EEEEDaSU_SV_EUlSU_E0_NS1_11comp_targetILNS1_3genE9ELNS1_11target_archE1100ELNS1_3gpuE3ELNS1_3repE0EEENS1_30default_config_static_selectorELNS0_4arch9wavefront6targetE0EEEvT1_,comdat
.Lfunc_end345:
	.size	_ZN7rocprim17ROCPRIM_400000_NS6detail17trampoline_kernelINS0_14default_configENS1_20scan_config_selectorIN3c107complexIfEEEEZZNS1_9scan_implILNS1_25lookback_scan_determinismE0ELb0ELb0ES3_PKS7_PS7_S7_ZZZN2at6native31launch_logcumsumexp_cuda_kernelERKNSE_10TensorBaseESI_lENKUlvE_clEvENKUlvE2_clEvEUlS7_S7_E_S7_EEDaPvRmT3_T4_T5_mT6_P12ihipStream_tbENKUlT_T0_E_clISt17integral_constantIbLb0EESY_IbLb1EEEEDaSU_SV_EUlSU_E0_NS1_11comp_targetILNS1_3genE9ELNS1_11target_archE1100ELNS1_3gpuE3ELNS1_3repE0EEENS1_30default_config_static_selectorELNS0_4arch9wavefront6targetE0EEEvT1_, .Lfunc_end345-_ZN7rocprim17ROCPRIM_400000_NS6detail17trampoline_kernelINS0_14default_configENS1_20scan_config_selectorIN3c107complexIfEEEEZZNS1_9scan_implILNS1_25lookback_scan_determinismE0ELb0ELb0ES3_PKS7_PS7_S7_ZZZN2at6native31launch_logcumsumexp_cuda_kernelERKNSE_10TensorBaseESI_lENKUlvE_clEvENKUlvE2_clEvEUlS7_S7_E_S7_EEDaPvRmT3_T4_T5_mT6_P12ihipStream_tbENKUlT_T0_E_clISt17integral_constantIbLb0EESY_IbLb1EEEEDaSU_SV_EUlSU_E0_NS1_11comp_targetILNS1_3genE9ELNS1_11target_archE1100ELNS1_3gpuE3ELNS1_3repE0EEENS1_30default_config_static_selectorELNS0_4arch9wavefront6targetE0EEEvT1_
                                        ; -- End function
	.set _ZN7rocprim17ROCPRIM_400000_NS6detail17trampoline_kernelINS0_14default_configENS1_20scan_config_selectorIN3c107complexIfEEEEZZNS1_9scan_implILNS1_25lookback_scan_determinismE0ELb0ELb0ES3_PKS7_PS7_S7_ZZZN2at6native31launch_logcumsumexp_cuda_kernelERKNSE_10TensorBaseESI_lENKUlvE_clEvENKUlvE2_clEvEUlS7_S7_E_S7_EEDaPvRmT3_T4_T5_mT6_P12ihipStream_tbENKUlT_T0_E_clISt17integral_constantIbLb0EESY_IbLb1EEEEDaSU_SV_EUlSU_E0_NS1_11comp_targetILNS1_3genE9ELNS1_11target_archE1100ELNS1_3gpuE3ELNS1_3repE0EEENS1_30default_config_static_selectorELNS0_4arch9wavefront6targetE0EEEvT1_.num_vgpr, 0
	.set _ZN7rocprim17ROCPRIM_400000_NS6detail17trampoline_kernelINS0_14default_configENS1_20scan_config_selectorIN3c107complexIfEEEEZZNS1_9scan_implILNS1_25lookback_scan_determinismE0ELb0ELb0ES3_PKS7_PS7_S7_ZZZN2at6native31launch_logcumsumexp_cuda_kernelERKNSE_10TensorBaseESI_lENKUlvE_clEvENKUlvE2_clEvEUlS7_S7_E_S7_EEDaPvRmT3_T4_T5_mT6_P12ihipStream_tbENKUlT_T0_E_clISt17integral_constantIbLb0EESY_IbLb1EEEEDaSU_SV_EUlSU_E0_NS1_11comp_targetILNS1_3genE9ELNS1_11target_archE1100ELNS1_3gpuE3ELNS1_3repE0EEENS1_30default_config_static_selectorELNS0_4arch9wavefront6targetE0EEEvT1_.num_agpr, 0
	.set _ZN7rocprim17ROCPRIM_400000_NS6detail17trampoline_kernelINS0_14default_configENS1_20scan_config_selectorIN3c107complexIfEEEEZZNS1_9scan_implILNS1_25lookback_scan_determinismE0ELb0ELb0ES3_PKS7_PS7_S7_ZZZN2at6native31launch_logcumsumexp_cuda_kernelERKNSE_10TensorBaseESI_lENKUlvE_clEvENKUlvE2_clEvEUlS7_S7_E_S7_EEDaPvRmT3_T4_T5_mT6_P12ihipStream_tbENKUlT_T0_E_clISt17integral_constantIbLb0EESY_IbLb1EEEEDaSU_SV_EUlSU_E0_NS1_11comp_targetILNS1_3genE9ELNS1_11target_archE1100ELNS1_3gpuE3ELNS1_3repE0EEENS1_30default_config_static_selectorELNS0_4arch9wavefront6targetE0EEEvT1_.numbered_sgpr, 0
	.set _ZN7rocprim17ROCPRIM_400000_NS6detail17trampoline_kernelINS0_14default_configENS1_20scan_config_selectorIN3c107complexIfEEEEZZNS1_9scan_implILNS1_25lookback_scan_determinismE0ELb0ELb0ES3_PKS7_PS7_S7_ZZZN2at6native31launch_logcumsumexp_cuda_kernelERKNSE_10TensorBaseESI_lENKUlvE_clEvENKUlvE2_clEvEUlS7_S7_E_S7_EEDaPvRmT3_T4_T5_mT6_P12ihipStream_tbENKUlT_T0_E_clISt17integral_constantIbLb0EESY_IbLb1EEEEDaSU_SV_EUlSU_E0_NS1_11comp_targetILNS1_3genE9ELNS1_11target_archE1100ELNS1_3gpuE3ELNS1_3repE0EEENS1_30default_config_static_selectorELNS0_4arch9wavefront6targetE0EEEvT1_.num_named_barrier, 0
	.set _ZN7rocprim17ROCPRIM_400000_NS6detail17trampoline_kernelINS0_14default_configENS1_20scan_config_selectorIN3c107complexIfEEEEZZNS1_9scan_implILNS1_25lookback_scan_determinismE0ELb0ELb0ES3_PKS7_PS7_S7_ZZZN2at6native31launch_logcumsumexp_cuda_kernelERKNSE_10TensorBaseESI_lENKUlvE_clEvENKUlvE2_clEvEUlS7_S7_E_S7_EEDaPvRmT3_T4_T5_mT6_P12ihipStream_tbENKUlT_T0_E_clISt17integral_constantIbLb0EESY_IbLb1EEEEDaSU_SV_EUlSU_E0_NS1_11comp_targetILNS1_3genE9ELNS1_11target_archE1100ELNS1_3gpuE3ELNS1_3repE0EEENS1_30default_config_static_selectorELNS0_4arch9wavefront6targetE0EEEvT1_.private_seg_size, 0
	.set _ZN7rocprim17ROCPRIM_400000_NS6detail17trampoline_kernelINS0_14default_configENS1_20scan_config_selectorIN3c107complexIfEEEEZZNS1_9scan_implILNS1_25lookback_scan_determinismE0ELb0ELb0ES3_PKS7_PS7_S7_ZZZN2at6native31launch_logcumsumexp_cuda_kernelERKNSE_10TensorBaseESI_lENKUlvE_clEvENKUlvE2_clEvEUlS7_S7_E_S7_EEDaPvRmT3_T4_T5_mT6_P12ihipStream_tbENKUlT_T0_E_clISt17integral_constantIbLb0EESY_IbLb1EEEEDaSU_SV_EUlSU_E0_NS1_11comp_targetILNS1_3genE9ELNS1_11target_archE1100ELNS1_3gpuE3ELNS1_3repE0EEENS1_30default_config_static_selectorELNS0_4arch9wavefront6targetE0EEEvT1_.uses_vcc, 0
	.set _ZN7rocprim17ROCPRIM_400000_NS6detail17trampoline_kernelINS0_14default_configENS1_20scan_config_selectorIN3c107complexIfEEEEZZNS1_9scan_implILNS1_25lookback_scan_determinismE0ELb0ELb0ES3_PKS7_PS7_S7_ZZZN2at6native31launch_logcumsumexp_cuda_kernelERKNSE_10TensorBaseESI_lENKUlvE_clEvENKUlvE2_clEvEUlS7_S7_E_S7_EEDaPvRmT3_T4_T5_mT6_P12ihipStream_tbENKUlT_T0_E_clISt17integral_constantIbLb0EESY_IbLb1EEEEDaSU_SV_EUlSU_E0_NS1_11comp_targetILNS1_3genE9ELNS1_11target_archE1100ELNS1_3gpuE3ELNS1_3repE0EEENS1_30default_config_static_selectorELNS0_4arch9wavefront6targetE0EEEvT1_.uses_flat_scratch, 0
	.set _ZN7rocprim17ROCPRIM_400000_NS6detail17trampoline_kernelINS0_14default_configENS1_20scan_config_selectorIN3c107complexIfEEEEZZNS1_9scan_implILNS1_25lookback_scan_determinismE0ELb0ELb0ES3_PKS7_PS7_S7_ZZZN2at6native31launch_logcumsumexp_cuda_kernelERKNSE_10TensorBaseESI_lENKUlvE_clEvENKUlvE2_clEvEUlS7_S7_E_S7_EEDaPvRmT3_T4_T5_mT6_P12ihipStream_tbENKUlT_T0_E_clISt17integral_constantIbLb0EESY_IbLb1EEEEDaSU_SV_EUlSU_E0_NS1_11comp_targetILNS1_3genE9ELNS1_11target_archE1100ELNS1_3gpuE3ELNS1_3repE0EEENS1_30default_config_static_selectorELNS0_4arch9wavefront6targetE0EEEvT1_.has_dyn_sized_stack, 0
	.set _ZN7rocprim17ROCPRIM_400000_NS6detail17trampoline_kernelINS0_14default_configENS1_20scan_config_selectorIN3c107complexIfEEEEZZNS1_9scan_implILNS1_25lookback_scan_determinismE0ELb0ELb0ES3_PKS7_PS7_S7_ZZZN2at6native31launch_logcumsumexp_cuda_kernelERKNSE_10TensorBaseESI_lENKUlvE_clEvENKUlvE2_clEvEUlS7_S7_E_S7_EEDaPvRmT3_T4_T5_mT6_P12ihipStream_tbENKUlT_T0_E_clISt17integral_constantIbLb0EESY_IbLb1EEEEDaSU_SV_EUlSU_E0_NS1_11comp_targetILNS1_3genE9ELNS1_11target_archE1100ELNS1_3gpuE3ELNS1_3repE0EEENS1_30default_config_static_selectorELNS0_4arch9wavefront6targetE0EEEvT1_.has_recursion, 0
	.set _ZN7rocprim17ROCPRIM_400000_NS6detail17trampoline_kernelINS0_14default_configENS1_20scan_config_selectorIN3c107complexIfEEEEZZNS1_9scan_implILNS1_25lookback_scan_determinismE0ELb0ELb0ES3_PKS7_PS7_S7_ZZZN2at6native31launch_logcumsumexp_cuda_kernelERKNSE_10TensorBaseESI_lENKUlvE_clEvENKUlvE2_clEvEUlS7_S7_E_S7_EEDaPvRmT3_T4_T5_mT6_P12ihipStream_tbENKUlT_T0_E_clISt17integral_constantIbLb0EESY_IbLb1EEEEDaSU_SV_EUlSU_E0_NS1_11comp_targetILNS1_3genE9ELNS1_11target_archE1100ELNS1_3gpuE3ELNS1_3repE0EEENS1_30default_config_static_selectorELNS0_4arch9wavefront6targetE0EEEvT1_.has_indirect_call, 0
	.section	.AMDGPU.csdata,"",@progbits
; Kernel info:
; codeLenInByte = 0
; TotalNumSgprs: 0
; NumVgprs: 0
; ScratchSize: 0
; MemoryBound: 0
; FloatMode: 240
; IeeeMode: 1
; LDSByteSize: 0 bytes/workgroup (compile time only)
; SGPRBlocks: 0
; VGPRBlocks: 0
; NumSGPRsForWavesPerEU: 1
; NumVGPRsForWavesPerEU: 1
; Occupancy: 16
; WaveLimiterHint : 0
; COMPUTE_PGM_RSRC2:SCRATCH_EN: 0
; COMPUTE_PGM_RSRC2:USER_SGPR: 6
; COMPUTE_PGM_RSRC2:TRAP_HANDLER: 0
; COMPUTE_PGM_RSRC2:TGID_X_EN: 1
; COMPUTE_PGM_RSRC2:TGID_Y_EN: 0
; COMPUTE_PGM_RSRC2:TGID_Z_EN: 0
; COMPUTE_PGM_RSRC2:TIDIG_COMP_CNT: 0
	.section	.text._ZN7rocprim17ROCPRIM_400000_NS6detail17trampoline_kernelINS0_14default_configENS1_20scan_config_selectorIN3c107complexIfEEEEZZNS1_9scan_implILNS1_25lookback_scan_determinismE0ELb0ELb0ES3_PKS7_PS7_S7_ZZZN2at6native31launch_logcumsumexp_cuda_kernelERKNSE_10TensorBaseESI_lENKUlvE_clEvENKUlvE2_clEvEUlS7_S7_E_S7_EEDaPvRmT3_T4_T5_mT6_P12ihipStream_tbENKUlT_T0_E_clISt17integral_constantIbLb0EESY_IbLb1EEEEDaSU_SV_EUlSU_E0_NS1_11comp_targetILNS1_3genE8ELNS1_11target_archE1030ELNS1_3gpuE2ELNS1_3repE0EEENS1_30default_config_static_selectorELNS0_4arch9wavefront6targetE0EEEvT1_,"axG",@progbits,_ZN7rocprim17ROCPRIM_400000_NS6detail17trampoline_kernelINS0_14default_configENS1_20scan_config_selectorIN3c107complexIfEEEEZZNS1_9scan_implILNS1_25lookback_scan_determinismE0ELb0ELb0ES3_PKS7_PS7_S7_ZZZN2at6native31launch_logcumsumexp_cuda_kernelERKNSE_10TensorBaseESI_lENKUlvE_clEvENKUlvE2_clEvEUlS7_S7_E_S7_EEDaPvRmT3_T4_T5_mT6_P12ihipStream_tbENKUlT_T0_E_clISt17integral_constantIbLb0EESY_IbLb1EEEEDaSU_SV_EUlSU_E0_NS1_11comp_targetILNS1_3genE8ELNS1_11target_archE1030ELNS1_3gpuE2ELNS1_3repE0EEENS1_30default_config_static_selectorELNS0_4arch9wavefront6targetE0EEEvT1_,comdat
	.globl	_ZN7rocprim17ROCPRIM_400000_NS6detail17trampoline_kernelINS0_14default_configENS1_20scan_config_selectorIN3c107complexIfEEEEZZNS1_9scan_implILNS1_25lookback_scan_determinismE0ELb0ELb0ES3_PKS7_PS7_S7_ZZZN2at6native31launch_logcumsumexp_cuda_kernelERKNSE_10TensorBaseESI_lENKUlvE_clEvENKUlvE2_clEvEUlS7_S7_E_S7_EEDaPvRmT3_T4_T5_mT6_P12ihipStream_tbENKUlT_T0_E_clISt17integral_constantIbLb0EESY_IbLb1EEEEDaSU_SV_EUlSU_E0_NS1_11comp_targetILNS1_3genE8ELNS1_11target_archE1030ELNS1_3gpuE2ELNS1_3repE0EEENS1_30default_config_static_selectorELNS0_4arch9wavefront6targetE0EEEvT1_ ; -- Begin function _ZN7rocprim17ROCPRIM_400000_NS6detail17trampoline_kernelINS0_14default_configENS1_20scan_config_selectorIN3c107complexIfEEEEZZNS1_9scan_implILNS1_25lookback_scan_determinismE0ELb0ELb0ES3_PKS7_PS7_S7_ZZZN2at6native31launch_logcumsumexp_cuda_kernelERKNSE_10TensorBaseESI_lENKUlvE_clEvENKUlvE2_clEvEUlS7_S7_E_S7_EEDaPvRmT3_T4_T5_mT6_P12ihipStream_tbENKUlT_T0_E_clISt17integral_constantIbLb0EESY_IbLb1EEEEDaSU_SV_EUlSU_E0_NS1_11comp_targetILNS1_3genE8ELNS1_11target_archE1030ELNS1_3gpuE2ELNS1_3repE0EEENS1_30default_config_static_selectorELNS0_4arch9wavefront6targetE0EEEvT1_
	.p2align	8
	.type	_ZN7rocprim17ROCPRIM_400000_NS6detail17trampoline_kernelINS0_14default_configENS1_20scan_config_selectorIN3c107complexIfEEEEZZNS1_9scan_implILNS1_25lookback_scan_determinismE0ELb0ELb0ES3_PKS7_PS7_S7_ZZZN2at6native31launch_logcumsumexp_cuda_kernelERKNSE_10TensorBaseESI_lENKUlvE_clEvENKUlvE2_clEvEUlS7_S7_E_S7_EEDaPvRmT3_T4_T5_mT6_P12ihipStream_tbENKUlT_T0_E_clISt17integral_constantIbLb0EESY_IbLb1EEEEDaSU_SV_EUlSU_E0_NS1_11comp_targetILNS1_3genE8ELNS1_11target_archE1030ELNS1_3gpuE2ELNS1_3repE0EEENS1_30default_config_static_selectorELNS0_4arch9wavefront6targetE0EEEvT1_,@function
_ZN7rocprim17ROCPRIM_400000_NS6detail17trampoline_kernelINS0_14default_configENS1_20scan_config_selectorIN3c107complexIfEEEEZZNS1_9scan_implILNS1_25lookback_scan_determinismE0ELb0ELb0ES3_PKS7_PS7_S7_ZZZN2at6native31launch_logcumsumexp_cuda_kernelERKNSE_10TensorBaseESI_lENKUlvE_clEvENKUlvE2_clEvEUlS7_S7_E_S7_EEDaPvRmT3_T4_T5_mT6_P12ihipStream_tbENKUlT_T0_E_clISt17integral_constantIbLb0EESY_IbLb1EEEEDaSU_SV_EUlSU_E0_NS1_11comp_targetILNS1_3genE8ELNS1_11target_archE1030ELNS1_3gpuE2ELNS1_3repE0EEENS1_30default_config_static_selectorELNS0_4arch9wavefront6targetE0EEEvT1_: ; @_ZN7rocprim17ROCPRIM_400000_NS6detail17trampoline_kernelINS0_14default_configENS1_20scan_config_selectorIN3c107complexIfEEEEZZNS1_9scan_implILNS1_25lookback_scan_determinismE0ELb0ELb0ES3_PKS7_PS7_S7_ZZZN2at6native31launch_logcumsumexp_cuda_kernelERKNSE_10TensorBaseESI_lENKUlvE_clEvENKUlvE2_clEvEUlS7_S7_E_S7_EEDaPvRmT3_T4_T5_mT6_P12ihipStream_tbENKUlT_T0_E_clISt17integral_constantIbLb0EESY_IbLb1EEEEDaSU_SV_EUlSU_E0_NS1_11comp_targetILNS1_3genE8ELNS1_11target_archE1030ELNS1_3gpuE2ELNS1_3repE0EEENS1_30default_config_static_selectorELNS0_4arch9wavefront6targetE0EEEvT1_
; %bb.0:
	s_load_dwordx4 s[8:11], s[4:5], 0x0
	s_add_u32 s0, s0, s7
	v_mov_b32_e32 v36, v0
	s_addc_u32 s1, s1, 0
	s_mov_b32 s32, 0
	v_lshlrev_b32_e32 v43, 3, v36
	s_waitcnt lgkmcnt(0)
	s_load_dwordx2 s[6:7], s[8:9], 0x0
	v_cmp_gt_u32_e64 s11, s10, v36
	s_waitcnt lgkmcnt(0)
	v_mov_b32_e32 v1, s7
	v_mov_b32_e32 v0, s6
	s_and_saveexec_b32 s12, s11
	s_cbranch_execz .LBB346_2
; %bb.1:
	global_load_dwordx2 v[0:1], v43, s[8:9]
.LBB346_2:
	s_or_b32 exec_lo, exec_lo, s12
	v_or_b32_e32 v8, 0x100, v36
	v_mov_b32_e32 v3, s7
	v_mov_b32_e32 v2, s6
	v_cmp_gt_u32_e64 s12, s10, v8
	s_and_saveexec_b32 s13, s12
	s_cbranch_execz .LBB346_4
; %bb.3:
	v_lshlrev_b32_e32 v2, 3, v8
	global_load_dwordx2 v[2:3], v2, s[8:9]
.LBB346_4:
	s_or_b32 exec_lo, exec_lo, s13
	v_or_b32_e32 v9, 0x200, v36
	v_mov_b32_e32 v5, s7
	v_mov_b32_e32 v4, s6
	v_cmp_gt_u32_e64 s13, s10, v9
	s_and_saveexec_b32 s14, s13
	s_cbranch_execz .LBB346_6
; %bb.5:
	v_lshlrev_b32_e32 v4, 3, v9
	global_load_dwordx2 v[4:5], v4, s[8:9]
.LBB346_6:
	;; [unrolled: 11-line block ×3, first 2 shown]
	s_or_b32 exec_lo, exec_lo, s6
	v_lshrrev_b32_e32 v8, 2, v8
	v_lshrrev_b32_e32 v11, 2, v36
	;; [unrolled: 1-line block ×4, first 2 shown]
	v_and_b32_e32 v12, 0xf8, v36
	v_and_b32_e32 v8, 0x78, v8
	;; [unrolled: 1-line block ×5, first 2 shown]
	s_load_dwordx2 s[16:17], s[4:5], 0x20
	v_add_nc_u32_e32 v45, v8, v43
	v_lshlrev_b32_e32 v8, 5, v36
	v_add_nc_u32_e32 v44, v11, v43
	v_add_nc_u32_e32 v47, v10, v43
	;; [unrolled: 1-line block ×3, first 2 shown]
	s_waitcnt vmcnt(0)
	ds_write_b64 v44, v[0:1]
	ds_write_b64 v45, v[2:3] offset:2048
	ds_write_b64 v46, v[4:5] offset:4096
	v_add_nc_u32_e32 v48, v12, v8
	ds_write_b64 v47, v[6:7] offset:6144
	s_waitcnt lgkmcnt(0)
	s_barrier
	buffer_gl0_inv
	ds_read2_b64 v[22:25], v48 offset1:1
	ds_read2_b64 v[26:29], v48 offset0:2 offset1:3
	s_getpc_b64 s[18:19]
	s_add_u32 s18, s18, _ZZZZN2at6native31launch_logcumsumexp_cuda_kernelERKNS_10TensorBaseES3_lENKUlvE_clEvENKUlvE2_clEvENKUlN3c107complexIfEES8_E_clES8_S8_@rel32@lo+4
	s_addc_u32 s19, s19, _ZZZZN2at6native31launch_logcumsumexp_cuda_kernelERKNS_10TensorBaseES3_lENKUlvE_clEvENKUlvE2_clEvENKUlN3c107complexIfEES8_E_clES8_S8_@rel32@hi+12
	s_waitcnt lgkmcnt(0)
	s_barrier
	buffer_gl0_inv
	v_mov_b32_e32 v0, v22
	v_mov_b32_e32 v1, v23
	v_mov_b32_e32 v2, v24
	v_mov_b32_e32 v3, v25
	s_swappc_b64 s[30:31], s[18:19]
	v_mov_b32_e32 v2, v26
	v_mov_b32_e32 v3, v27
	v_mov_b32_e32 v37, v0
	v_mov_b32_e32 v38, v1
	s_swappc_b64 s[30:31], s[18:19]
	;; [unrolled: 5-line block ×3, first 2 shown]
	v_mov_b32_e32 v32, v0
	v_mov_b32_e32 v33, v1
	s_mov_b32 s15, exec_lo
	ds_write_b64 v44, v[32:33]
	s_waitcnt lgkmcnt(0)
	s_waitcnt_vscnt null, 0x0
	s_barrier
	buffer_gl0_inv
	v_cmpx_gt_u32_e32 32, v36
	s_cbranch_execz .LBB346_20
; %bb.9:
	v_lshlrev_b32_e32 v0, 1, v36
	v_lshlrev_b32_e32 v1, 6, v36
	v_and_b32_e32 v0, 0x1f8, v0
	v_add_nc_u32_e32 v49, v0, v1
	ds_read_b64 v[34:35], v49
	ds_read2_b64 v[39:42], v49 offset0:1 offset1:2
	s_waitcnt lgkmcnt(1)
	v_mov_b32_e32 v0, v34
	v_mov_b32_e32 v1, v35
	s_waitcnt lgkmcnt(0)
	v_mov_b32_e32 v2, v39
	v_mov_b32_e32 v3, v40
	s_swappc_b64 s[30:31], s[18:19]
	v_mov_b32_e32 v2, v41
	v_mov_b32_e32 v3, v42
	s_swappc_b64 s[30:31], s[18:19]
	ds_read2_b64 v[39:42], v49 offset0:3 offset1:4
	s_waitcnt lgkmcnt(0)
	v_mov_b32_e32 v2, v39
	v_mov_b32_e32 v3, v40
	s_swappc_b64 s[30:31], s[18:19]
	v_mov_b32_e32 v2, v41
	v_mov_b32_e32 v3, v42
	s_swappc_b64 s[30:31], s[18:19]
	ds_read2_b64 v[39:42], v49 offset0:5 offset1:6
	s_waitcnt lgkmcnt(0)
	v_mov_b32_e32 v2, v39
	v_mov_b32_e32 v3, v40
	s_swappc_b64 s[30:31], s[18:19]
	v_mov_b32_e32 v2, v41
	v_mov_b32_e32 v3, v42
	s_swappc_b64 s[30:31], s[18:19]
	ds_read_b64 v[2:3], v49 offset:56
	s_swappc_b64 s[30:31], s[18:19]
	v_mov_b32_e32 v2, v0
	v_mov_b32_e32 v3, v1
	v_mbcnt_lo_u32_b32 v39, -1, 0
	s_mov_b32 s18, exec_lo
	v_mov_b32_dpp v0, v2 row_shr:1 row_mask:0xf bank_mask:0xf
	v_mov_b32_dpp v1, v3 row_shr:1 row_mask:0xf bank_mask:0xf
	v_and_b32_e32 v40, 15, v39
	v_cmpx_ne_u32_e32 0, v40
	s_cbranch_execz .LBB346_11
; %bb.10:
	s_getpc_b64 s[4:5]
	s_add_u32 s4, s4, _ZZZZN2at6native31launch_logcumsumexp_cuda_kernelERKNS_10TensorBaseES3_lENKUlvE_clEvENKUlvE2_clEvENKUlN3c107complexIfEES8_E_clES8_S8_@rel32@lo+4
	s_addc_u32 s5, s5, _ZZZZN2at6native31launch_logcumsumexp_cuda_kernelERKNS_10TensorBaseES3_lENKUlvE_clEvENKUlvE2_clEvENKUlN3c107complexIfEES8_E_clES8_S8_@rel32@hi+12
	s_swappc_b64 s[30:31], s[4:5]
	v_mov_b32_e32 v2, v0
	v_mov_b32_e32 v3, v1
.LBB346_11:
	s_or_b32 exec_lo, exec_lo, s18
	v_mov_b32_dpp v0, v2 row_shr:2 row_mask:0xf bank_mask:0xf
	v_mov_b32_dpp v1, v3 row_shr:2 row_mask:0xf bank_mask:0xf
	s_mov_b32 s18, exec_lo
	v_cmpx_lt_u32_e32 1, v40
	s_cbranch_execz .LBB346_13
; %bb.12:
	s_getpc_b64 s[4:5]
	s_add_u32 s4, s4, _ZZZZN2at6native31launch_logcumsumexp_cuda_kernelERKNS_10TensorBaseES3_lENKUlvE_clEvENKUlvE2_clEvENKUlN3c107complexIfEES8_E_clES8_S8_@rel32@lo+4
	s_addc_u32 s5, s5, _ZZZZN2at6native31launch_logcumsumexp_cuda_kernelERKNS_10TensorBaseES3_lENKUlvE_clEvENKUlvE2_clEvENKUlN3c107complexIfEES8_E_clES8_S8_@rel32@hi+12
	s_swappc_b64 s[30:31], s[4:5]
	v_mov_b32_e32 v2, v0
	v_mov_b32_e32 v3, v1
.LBB346_13:
	s_or_b32 exec_lo, exec_lo, s18
	v_mov_b32_dpp v0, v2 row_shr:4 row_mask:0xf bank_mask:0xf
	v_mov_b32_dpp v1, v3 row_shr:4 row_mask:0xf bank_mask:0xf
	s_mov_b32 s18, exec_lo
	v_cmpx_lt_u32_e32 3, v40
	s_cbranch_execz .LBB346_15
; %bb.14:
	s_getpc_b64 s[4:5]
	s_add_u32 s4, s4, _ZZZZN2at6native31launch_logcumsumexp_cuda_kernelERKNS_10TensorBaseES3_lENKUlvE_clEvENKUlvE2_clEvENKUlN3c107complexIfEES8_E_clES8_S8_@rel32@lo+4
	s_addc_u32 s5, s5, _ZZZZN2at6native31launch_logcumsumexp_cuda_kernelERKNS_10TensorBaseES3_lENKUlvE_clEvENKUlvE2_clEvENKUlN3c107complexIfEES8_E_clES8_S8_@rel32@hi+12
	s_swappc_b64 s[30:31], s[4:5]
	v_mov_b32_e32 v2, v0
	v_mov_b32_e32 v3, v1
.LBB346_15:
	s_or_b32 exec_lo, exec_lo, s18
	v_mov_b32_dpp v0, v2 row_shr:8 row_mask:0xf bank_mask:0xf
	v_mov_b32_dpp v1, v3 row_shr:8 row_mask:0xf bank_mask:0xf
	s_mov_b32 s18, exec_lo
	v_cmpx_lt_u32_e32 7, v40
	s_cbranch_execz .LBB346_17
; %bb.16:
	s_getpc_b64 s[4:5]
	s_add_u32 s4, s4, _ZZZZN2at6native31launch_logcumsumexp_cuda_kernelERKNS_10TensorBaseES3_lENKUlvE_clEvENKUlvE2_clEvENKUlN3c107complexIfEES8_E_clES8_S8_@rel32@lo+4
	s_addc_u32 s5, s5, _ZZZZN2at6native31launch_logcumsumexp_cuda_kernelERKNS_10TensorBaseES3_lENKUlvE_clEvENKUlvE2_clEvENKUlN3c107complexIfEES8_E_clES8_S8_@rel32@hi+12
	s_swappc_b64 s[30:31], s[4:5]
	v_mov_b32_e32 v2, v0
	v_mov_b32_e32 v3, v1
.LBB346_17:
	s_or_b32 exec_lo, exec_lo, s18
	ds_swizzle_b32 v0, v2 offset:swizzle(BROADCAST,32,15)
	ds_swizzle_b32 v1, v3 offset:swizzle(BROADCAST,32,15)
	v_and_b32_e32 v4, 16, v39
	s_mov_b32 s18, exec_lo
	v_cmpx_ne_u32_e32 0, v4
	s_cbranch_execz .LBB346_19
; %bb.18:
	s_getpc_b64 s[4:5]
	s_add_u32 s4, s4, _ZZZZN2at6native31launch_logcumsumexp_cuda_kernelERKNS_10TensorBaseES3_lENKUlvE_clEvENKUlvE2_clEvENKUlN3c107complexIfEES8_E_clES8_S8_@rel32@lo+4
	s_addc_u32 s5, s5, _ZZZZN2at6native31launch_logcumsumexp_cuda_kernelERKNS_10TensorBaseES3_lENKUlvE_clEvENKUlvE2_clEvENKUlN3c107complexIfEES8_E_clES8_S8_@rel32@hi+12
	s_swappc_b64 s[30:31], s[4:5]
	v_mov_b32_e32 v2, v0
	v_mov_b32_e32 v3, v1
.LBB346_19:
	s_or_b32 exec_lo, exec_lo, s18
	s_waitcnt lgkmcnt(1)
	v_add_nc_u32_e32 v0, -1, v39
	s_getpc_b64 s[18:19]
	s_add_u32 s18, s18, _ZZZZN2at6native31launch_logcumsumexp_cuda_kernelERKNS_10TensorBaseES3_lENKUlvE_clEvENKUlvE2_clEvENKUlN3c107complexIfEES8_E_clES8_S8_@rel32@lo+4
	s_addc_u32 s19, s19, _ZZZZN2at6native31launch_logcumsumexp_cuda_kernelERKNS_10TensorBaseES3_lENKUlvE_clEvENKUlvE2_clEvENKUlN3c107complexIfEES8_E_clES8_S8_@rel32@hi+12
	v_cmp_gt_i32_e32 vcc_lo, 0, v0
	v_cndmask_b32_e32 v0, v0, v39, vcc_lo
	s_waitcnt lgkmcnt(0)
	v_lshlrev_b32_e32 v1, 2, v0
	ds_bpermute_b32 v0, v1, v2
	ds_bpermute_b32 v1, v1, v3
	v_mov_b32_e32 v2, v34
	v_mov_b32_e32 v3, v35
	s_swappc_b64 s[30:31], s[18:19]
	v_cmp_eq_u32_e32 vcc_lo, 0, v36
	; wave barrier
	v_cndmask_b32_e32 v0, v0, v32, vcc_lo
	v_cndmask_b32_e32 v1, v1, v33, vcc_lo
	ds_write_b64 v49, v[0:1]
	; wave barrier
	ds_read2_b64 v[39:42], v49 offset0:1 offset1:2
	s_waitcnt lgkmcnt(0)
	v_mov_b32_e32 v2, v39
	v_mov_b32_e32 v3, v40
	s_swappc_b64 s[30:31], s[18:19]
	v_mov_b32_e32 v2, v41
	v_mov_b32_e32 v3, v42
	;; [unrolled: 1-line block ×4, first 2 shown]
	s_swappc_b64 s[30:31], s[18:19]
	ds_read2_b64 v[39:42], v49 offset0:3 offset1:4
	ds_write2_b64 v49, v[34:35], v[0:1] offset0:1 offset1:2
	s_waitcnt lgkmcnt(1)
	v_mov_b32_e32 v2, v39
	v_mov_b32_e32 v3, v40
	s_swappc_b64 s[30:31], s[18:19]
	v_mov_b32_e32 v2, v41
	v_mov_b32_e32 v3, v42
	;; [unrolled: 1-line block ×4, first 2 shown]
	s_swappc_b64 s[30:31], s[18:19]
	ds_read2_b64 v[39:42], v49 offset0:5 offset1:6
	ds_write2_b64 v49, v[34:35], v[0:1] offset0:3 offset1:4
	s_waitcnt lgkmcnt(1)
	v_mov_b32_e32 v2, v39
	v_mov_b32_e32 v3, v40
	s_swappc_b64 s[30:31], s[18:19]
	v_mov_b32_e32 v2, v41
	v_mov_b32_e32 v3, v42
	v_mov_b32_e32 v34, v0
	v_mov_b32_e32 v35, v1
	s_swappc_b64 s[30:31], s[18:19]
	ds_read_b64 v[2:3], v49 offset:56
	ds_write2_b64 v49, v[34:35], v[0:1] offset0:5 offset1:6
	s_swappc_b64 s[30:31], s[18:19]
	ds_write_b64 v49, v[0:1] offset:56
.LBB346_20:
	s_or_b32 exec_lo, exec_lo, s15
	s_mov_b32 s15, exec_lo
	s_waitcnt lgkmcnt(0)
	s_waitcnt_vscnt null, 0x0
	s_barrier
	buffer_gl0_inv
	v_cmpx_ne_u32_e32 0, v36
	s_cbranch_execz .LBB346_22
; %bb.21:
	v_add_nc_u32_e32 v0, -1, v36
	v_mov_b32_e32 v2, v22
	v_mov_b32_e32 v3, v23
	s_getpc_b64 s[18:19]
	s_add_u32 s18, s18, _ZZZZN2at6native31launch_logcumsumexp_cuda_kernelERKNS_10TensorBaseES3_lENKUlvE_clEvENKUlvE2_clEvENKUlN3c107complexIfEES8_E_clES8_S8_@rel32@lo+4
	s_addc_u32 s19, s19, _ZZZZN2at6native31launch_logcumsumexp_cuda_kernelERKNS_10TensorBaseES3_lENKUlvE_clEvENKUlvE2_clEvENKUlN3c107complexIfEES8_E_clES8_S8_@rel32@hi+12
	v_lshrrev_b32_e32 v1, 2, v0
	v_and_b32_e32 v1, 0x3ffffff8, v1
	v_lshl_add_u32 v0, v0, 3, v1
	ds_read_b64 v[0:1], v0
	s_swappc_b64 s[30:31], s[18:19]
	v_mov_b32_e32 v2, v24
	v_mov_b32_e32 v3, v25
	;; [unrolled: 1-line block ×4, first 2 shown]
	;;#ASMSTART
	;;#ASMEND
	s_swappc_b64 s[30:31], s[18:19]
	v_mov_b32_e32 v2, v26
	v_mov_b32_e32 v3, v27
	;; [unrolled: 1-line block ×4, first 2 shown]
	s_swappc_b64 s[30:31], s[18:19]
	v_mov_b32_e32 v2, v28
	v_mov_b32_e32 v3, v29
	;; [unrolled: 1-line block ×4, first 2 shown]
	s_swappc_b64 s[30:31], s[18:19]
	v_mov_b32_e32 v32, v0
	v_mov_b32_e32 v33, v1
.LBB346_22:
	s_or_b32 exec_lo, exec_lo, s15
	v_mov_b32_e32 v0, v37
	v_mov_b32_e32 v1, v38
	s_waitcnt_vscnt null, 0x0
	s_barrier
	buffer_gl0_inv
	ds_write2_b64 v48, v[22:23], v[0:1] offset1:1
	ds_write2_b64 v48, v[30:31], v[32:33] offset0:2 offset1:3
	s_waitcnt lgkmcnt(0)
	s_barrier
	buffer_gl0_inv
	ds_read_b64 v[6:7], v45 offset:2048
	ds_read_b64 v[4:5], v46 offset:4096
	;; [unrolled: 1-line block ×3, first 2 shown]
	v_add_co_u32 v2, s4, s16, v43
	v_add_co_ci_u32_e64 v3, null, s17, 0, s4
	s_and_saveexec_b32 s4, s11
	s_cbranch_execnz .LBB346_27
; %bb.23:
	s_or_b32 exec_lo, exec_lo, s4
	s_and_saveexec_b32 s4, s12
	s_cbranch_execnz .LBB346_28
.LBB346_24:
	s_or_b32 exec_lo, exec_lo, s4
	s_and_saveexec_b32 s4, s13
	s_cbranch_execnz .LBB346_29
.LBB346_25:
	s_or_b32 exec_lo, exec_lo, s4
	s_and_saveexec_b32 s4, s14
	s_cbranch_execnz .LBB346_30
.LBB346_26:
	s_endpgm
.LBB346_27:
	ds_read_b64 v[8:9], v44
	s_waitcnt lgkmcnt(0)
	global_store_dwordx2 v[2:3], v[8:9], off
	s_or_b32 exec_lo, exec_lo, s4
	s_and_saveexec_b32 s4, s12
	s_cbranch_execz .LBB346_24
.LBB346_28:
	v_add_co_u32 v8, vcc_lo, 0x800, v2
	v_add_co_ci_u32_e64 v9, null, 0, v3, vcc_lo
	s_waitcnt lgkmcnt(2)
	global_store_dwordx2 v[8:9], v[6:7], off
	s_or_b32 exec_lo, exec_lo, s4
	s_and_saveexec_b32 s4, s13
	s_cbranch_execz .LBB346_25
.LBB346_29:
	s_waitcnt lgkmcnt(2)
	v_add_co_u32 v6, vcc_lo, 0x1000, v2
	v_add_co_ci_u32_e64 v7, null, 0, v3, vcc_lo
	s_waitcnt lgkmcnt(1)
	global_store_dwordx2 v[6:7], v[4:5], off
	s_or_b32 exec_lo, exec_lo, s4
	s_and_saveexec_b32 s4, s14
	s_cbranch_execz .LBB346_26
.LBB346_30:
	v_add_co_u32 v2, vcc_lo, 0x1800, v2
	v_add_co_ci_u32_e64 v3, null, 0, v3, vcc_lo
	s_waitcnt lgkmcnt(0)
	global_store_dwordx2 v[2:3], v[0:1], off
	s_endpgm
	.section	.rodata,"a",@progbits
	.p2align	6, 0x0
	.amdhsa_kernel _ZN7rocprim17ROCPRIM_400000_NS6detail17trampoline_kernelINS0_14default_configENS1_20scan_config_selectorIN3c107complexIfEEEEZZNS1_9scan_implILNS1_25lookback_scan_determinismE0ELb0ELb0ES3_PKS7_PS7_S7_ZZZN2at6native31launch_logcumsumexp_cuda_kernelERKNSE_10TensorBaseESI_lENKUlvE_clEvENKUlvE2_clEvEUlS7_S7_E_S7_EEDaPvRmT3_T4_T5_mT6_P12ihipStream_tbENKUlT_T0_E_clISt17integral_constantIbLb0EESY_IbLb1EEEEDaSU_SV_EUlSU_E0_NS1_11comp_targetILNS1_3genE8ELNS1_11target_archE1030ELNS1_3gpuE2ELNS1_3repE0EEENS1_30default_config_static_selectorELNS0_4arch9wavefront6targetE0EEEvT1_
		.amdhsa_group_segment_fixed_size 8448
		.amdhsa_private_segment_fixed_size 0
		.amdhsa_kernarg_size 40
		.amdhsa_user_sgpr_count 6
		.amdhsa_user_sgpr_private_segment_buffer 1
		.amdhsa_user_sgpr_dispatch_ptr 0
		.amdhsa_user_sgpr_queue_ptr 0
		.amdhsa_user_sgpr_kernarg_segment_ptr 1
		.amdhsa_user_sgpr_dispatch_id 0
		.amdhsa_user_sgpr_flat_scratch_init 0
		.amdhsa_user_sgpr_private_segment_size 0
		.amdhsa_wavefront_size32 1
		.amdhsa_uses_dynamic_stack 0
		.amdhsa_system_sgpr_private_segment_wavefront_offset 0
		.amdhsa_system_sgpr_workgroup_id_x 1
		.amdhsa_system_sgpr_workgroup_id_y 0
		.amdhsa_system_sgpr_workgroup_id_z 0
		.amdhsa_system_sgpr_workgroup_info 0
		.amdhsa_system_vgpr_workitem_id 0
		.amdhsa_next_free_vgpr 50
		.amdhsa_next_free_sgpr 33
		.amdhsa_reserve_vcc 1
		.amdhsa_reserve_flat_scratch 0
		.amdhsa_float_round_mode_32 0
		.amdhsa_float_round_mode_16_64 0
		.amdhsa_float_denorm_mode_32 3
		.amdhsa_float_denorm_mode_16_64 3
		.amdhsa_dx10_clamp 1
		.amdhsa_ieee_mode 1
		.amdhsa_fp16_overflow 0
		.amdhsa_workgroup_processor_mode 1
		.amdhsa_memory_ordered 1
		.amdhsa_forward_progress 1
		.amdhsa_shared_vgpr_count 0
		.amdhsa_exception_fp_ieee_invalid_op 0
		.amdhsa_exception_fp_denorm_src 0
		.amdhsa_exception_fp_ieee_div_zero 0
		.amdhsa_exception_fp_ieee_overflow 0
		.amdhsa_exception_fp_ieee_underflow 0
		.amdhsa_exception_fp_ieee_inexact 0
		.amdhsa_exception_int_div_zero 0
	.end_amdhsa_kernel
	.section	.text._ZN7rocprim17ROCPRIM_400000_NS6detail17trampoline_kernelINS0_14default_configENS1_20scan_config_selectorIN3c107complexIfEEEEZZNS1_9scan_implILNS1_25lookback_scan_determinismE0ELb0ELb0ES3_PKS7_PS7_S7_ZZZN2at6native31launch_logcumsumexp_cuda_kernelERKNSE_10TensorBaseESI_lENKUlvE_clEvENKUlvE2_clEvEUlS7_S7_E_S7_EEDaPvRmT3_T4_T5_mT6_P12ihipStream_tbENKUlT_T0_E_clISt17integral_constantIbLb0EESY_IbLb1EEEEDaSU_SV_EUlSU_E0_NS1_11comp_targetILNS1_3genE8ELNS1_11target_archE1030ELNS1_3gpuE2ELNS1_3repE0EEENS1_30default_config_static_selectorELNS0_4arch9wavefront6targetE0EEEvT1_,"axG",@progbits,_ZN7rocprim17ROCPRIM_400000_NS6detail17trampoline_kernelINS0_14default_configENS1_20scan_config_selectorIN3c107complexIfEEEEZZNS1_9scan_implILNS1_25lookback_scan_determinismE0ELb0ELb0ES3_PKS7_PS7_S7_ZZZN2at6native31launch_logcumsumexp_cuda_kernelERKNSE_10TensorBaseESI_lENKUlvE_clEvENKUlvE2_clEvEUlS7_S7_E_S7_EEDaPvRmT3_T4_T5_mT6_P12ihipStream_tbENKUlT_T0_E_clISt17integral_constantIbLb0EESY_IbLb1EEEEDaSU_SV_EUlSU_E0_NS1_11comp_targetILNS1_3genE8ELNS1_11target_archE1030ELNS1_3gpuE2ELNS1_3repE0EEENS1_30default_config_static_selectorELNS0_4arch9wavefront6targetE0EEEvT1_,comdat
.Lfunc_end346:
	.size	_ZN7rocprim17ROCPRIM_400000_NS6detail17trampoline_kernelINS0_14default_configENS1_20scan_config_selectorIN3c107complexIfEEEEZZNS1_9scan_implILNS1_25lookback_scan_determinismE0ELb0ELb0ES3_PKS7_PS7_S7_ZZZN2at6native31launch_logcumsumexp_cuda_kernelERKNSE_10TensorBaseESI_lENKUlvE_clEvENKUlvE2_clEvEUlS7_S7_E_S7_EEDaPvRmT3_T4_T5_mT6_P12ihipStream_tbENKUlT_T0_E_clISt17integral_constantIbLb0EESY_IbLb1EEEEDaSU_SV_EUlSU_E0_NS1_11comp_targetILNS1_3genE8ELNS1_11target_archE1030ELNS1_3gpuE2ELNS1_3repE0EEENS1_30default_config_static_selectorELNS0_4arch9wavefront6targetE0EEEvT1_, .Lfunc_end346-_ZN7rocprim17ROCPRIM_400000_NS6detail17trampoline_kernelINS0_14default_configENS1_20scan_config_selectorIN3c107complexIfEEEEZZNS1_9scan_implILNS1_25lookback_scan_determinismE0ELb0ELb0ES3_PKS7_PS7_S7_ZZZN2at6native31launch_logcumsumexp_cuda_kernelERKNSE_10TensorBaseESI_lENKUlvE_clEvENKUlvE2_clEvEUlS7_S7_E_S7_EEDaPvRmT3_T4_T5_mT6_P12ihipStream_tbENKUlT_T0_E_clISt17integral_constantIbLb0EESY_IbLb1EEEEDaSU_SV_EUlSU_E0_NS1_11comp_targetILNS1_3genE8ELNS1_11target_archE1030ELNS1_3gpuE2ELNS1_3repE0EEENS1_30default_config_static_selectorELNS0_4arch9wavefront6targetE0EEEvT1_
                                        ; -- End function
	.set _ZN7rocprim17ROCPRIM_400000_NS6detail17trampoline_kernelINS0_14default_configENS1_20scan_config_selectorIN3c107complexIfEEEEZZNS1_9scan_implILNS1_25lookback_scan_determinismE0ELb0ELb0ES3_PKS7_PS7_S7_ZZZN2at6native31launch_logcumsumexp_cuda_kernelERKNSE_10TensorBaseESI_lENKUlvE_clEvENKUlvE2_clEvEUlS7_S7_E_S7_EEDaPvRmT3_T4_T5_mT6_P12ihipStream_tbENKUlT_T0_E_clISt17integral_constantIbLb0EESY_IbLb1EEEEDaSU_SV_EUlSU_E0_NS1_11comp_targetILNS1_3genE8ELNS1_11target_archE1030ELNS1_3gpuE2ELNS1_3repE0EEENS1_30default_config_static_selectorELNS0_4arch9wavefront6targetE0EEEvT1_.num_vgpr, max(50, .L_ZZZZN2at6native31launch_logcumsumexp_cuda_kernelERKNS_10TensorBaseES3_lENKUlvE_clEvENKUlvE2_clEvENKUlN3c107complexIfEES8_E_clES8_S8_.num_vgpr)
	.set _ZN7rocprim17ROCPRIM_400000_NS6detail17trampoline_kernelINS0_14default_configENS1_20scan_config_selectorIN3c107complexIfEEEEZZNS1_9scan_implILNS1_25lookback_scan_determinismE0ELb0ELb0ES3_PKS7_PS7_S7_ZZZN2at6native31launch_logcumsumexp_cuda_kernelERKNSE_10TensorBaseESI_lENKUlvE_clEvENKUlvE2_clEvEUlS7_S7_E_S7_EEDaPvRmT3_T4_T5_mT6_P12ihipStream_tbENKUlT_T0_E_clISt17integral_constantIbLb0EESY_IbLb1EEEEDaSU_SV_EUlSU_E0_NS1_11comp_targetILNS1_3genE8ELNS1_11target_archE1030ELNS1_3gpuE2ELNS1_3repE0EEENS1_30default_config_static_selectorELNS0_4arch9wavefront6targetE0EEEvT1_.num_agpr, max(0, .L_ZZZZN2at6native31launch_logcumsumexp_cuda_kernelERKNS_10TensorBaseES3_lENKUlvE_clEvENKUlvE2_clEvENKUlN3c107complexIfEES8_E_clES8_S8_.num_agpr)
	.set _ZN7rocprim17ROCPRIM_400000_NS6detail17trampoline_kernelINS0_14default_configENS1_20scan_config_selectorIN3c107complexIfEEEEZZNS1_9scan_implILNS1_25lookback_scan_determinismE0ELb0ELb0ES3_PKS7_PS7_S7_ZZZN2at6native31launch_logcumsumexp_cuda_kernelERKNSE_10TensorBaseESI_lENKUlvE_clEvENKUlvE2_clEvEUlS7_S7_E_S7_EEDaPvRmT3_T4_T5_mT6_P12ihipStream_tbENKUlT_T0_E_clISt17integral_constantIbLb0EESY_IbLb1EEEEDaSU_SV_EUlSU_E0_NS1_11comp_targetILNS1_3genE8ELNS1_11target_archE1030ELNS1_3gpuE2ELNS1_3repE0EEENS1_30default_config_static_selectorELNS0_4arch9wavefront6targetE0EEEvT1_.numbered_sgpr, max(33, .L_ZZZZN2at6native31launch_logcumsumexp_cuda_kernelERKNS_10TensorBaseES3_lENKUlvE_clEvENKUlvE2_clEvENKUlN3c107complexIfEES8_E_clES8_S8_.numbered_sgpr)
	.set _ZN7rocprim17ROCPRIM_400000_NS6detail17trampoline_kernelINS0_14default_configENS1_20scan_config_selectorIN3c107complexIfEEEEZZNS1_9scan_implILNS1_25lookback_scan_determinismE0ELb0ELb0ES3_PKS7_PS7_S7_ZZZN2at6native31launch_logcumsumexp_cuda_kernelERKNSE_10TensorBaseESI_lENKUlvE_clEvENKUlvE2_clEvEUlS7_S7_E_S7_EEDaPvRmT3_T4_T5_mT6_P12ihipStream_tbENKUlT_T0_E_clISt17integral_constantIbLb0EESY_IbLb1EEEEDaSU_SV_EUlSU_E0_NS1_11comp_targetILNS1_3genE8ELNS1_11target_archE1030ELNS1_3gpuE2ELNS1_3repE0EEENS1_30default_config_static_selectorELNS0_4arch9wavefront6targetE0EEEvT1_.num_named_barrier, max(0, .L_ZZZZN2at6native31launch_logcumsumexp_cuda_kernelERKNS_10TensorBaseES3_lENKUlvE_clEvENKUlvE2_clEvENKUlN3c107complexIfEES8_E_clES8_S8_.num_named_barrier)
	.set _ZN7rocprim17ROCPRIM_400000_NS6detail17trampoline_kernelINS0_14default_configENS1_20scan_config_selectorIN3c107complexIfEEEEZZNS1_9scan_implILNS1_25lookback_scan_determinismE0ELb0ELb0ES3_PKS7_PS7_S7_ZZZN2at6native31launch_logcumsumexp_cuda_kernelERKNSE_10TensorBaseESI_lENKUlvE_clEvENKUlvE2_clEvEUlS7_S7_E_S7_EEDaPvRmT3_T4_T5_mT6_P12ihipStream_tbENKUlT_T0_E_clISt17integral_constantIbLb0EESY_IbLb1EEEEDaSU_SV_EUlSU_E0_NS1_11comp_targetILNS1_3genE8ELNS1_11target_archE1030ELNS1_3gpuE2ELNS1_3repE0EEENS1_30default_config_static_selectorELNS0_4arch9wavefront6targetE0EEEvT1_.private_seg_size, 0+max(.L_ZZZZN2at6native31launch_logcumsumexp_cuda_kernelERKNS_10TensorBaseES3_lENKUlvE_clEvENKUlvE2_clEvENKUlN3c107complexIfEES8_E_clES8_S8_.private_seg_size)
	.set _ZN7rocprim17ROCPRIM_400000_NS6detail17trampoline_kernelINS0_14default_configENS1_20scan_config_selectorIN3c107complexIfEEEEZZNS1_9scan_implILNS1_25lookback_scan_determinismE0ELb0ELb0ES3_PKS7_PS7_S7_ZZZN2at6native31launch_logcumsumexp_cuda_kernelERKNSE_10TensorBaseESI_lENKUlvE_clEvENKUlvE2_clEvEUlS7_S7_E_S7_EEDaPvRmT3_T4_T5_mT6_P12ihipStream_tbENKUlT_T0_E_clISt17integral_constantIbLb0EESY_IbLb1EEEEDaSU_SV_EUlSU_E0_NS1_11comp_targetILNS1_3genE8ELNS1_11target_archE1030ELNS1_3gpuE2ELNS1_3repE0EEENS1_30default_config_static_selectorELNS0_4arch9wavefront6targetE0EEEvT1_.uses_vcc, or(1, .L_ZZZZN2at6native31launch_logcumsumexp_cuda_kernelERKNS_10TensorBaseES3_lENKUlvE_clEvENKUlvE2_clEvENKUlN3c107complexIfEES8_E_clES8_S8_.uses_vcc)
	.set _ZN7rocprim17ROCPRIM_400000_NS6detail17trampoline_kernelINS0_14default_configENS1_20scan_config_selectorIN3c107complexIfEEEEZZNS1_9scan_implILNS1_25lookback_scan_determinismE0ELb0ELb0ES3_PKS7_PS7_S7_ZZZN2at6native31launch_logcumsumexp_cuda_kernelERKNSE_10TensorBaseESI_lENKUlvE_clEvENKUlvE2_clEvEUlS7_S7_E_S7_EEDaPvRmT3_T4_T5_mT6_P12ihipStream_tbENKUlT_T0_E_clISt17integral_constantIbLb0EESY_IbLb1EEEEDaSU_SV_EUlSU_E0_NS1_11comp_targetILNS1_3genE8ELNS1_11target_archE1030ELNS1_3gpuE2ELNS1_3repE0EEENS1_30default_config_static_selectorELNS0_4arch9wavefront6targetE0EEEvT1_.uses_flat_scratch, or(0, .L_ZZZZN2at6native31launch_logcumsumexp_cuda_kernelERKNS_10TensorBaseES3_lENKUlvE_clEvENKUlvE2_clEvENKUlN3c107complexIfEES8_E_clES8_S8_.uses_flat_scratch)
	.set _ZN7rocprim17ROCPRIM_400000_NS6detail17trampoline_kernelINS0_14default_configENS1_20scan_config_selectorIN3c107complexIfEEEEZZNS1_9scan_implILNS1_25lookback_scan_determinismE0ELb0ELb0ES3_PKS7_PS7_S7_ZZZN2at6native31launch_logcumsumexp_cuda_kernelERKNSE_10TensorBaseESI_lENKUlvE_clEvENKUlvE2_clEvEUlS7_S7_E_S7_EEDaPvRmT3_T4_T5_mT6_P12ihipStream_tbENKUlT_T0_E_clISt17integral_constantIbLb0EESY_IbLb1EEEEDaSU_SV_EUlSU_E0_NS1_11comp_targetILNS1_3genE8ELNS1_11target_archE1030ELNS1_3gpuE2ELNS1_3repE0EEENS1_30default_config_static_selectorELNS0_4arch9wavefront6targetE0EEEvT1_.has_dyn_sized_stack, or(0, .L_ZZZZN2at6native31launch_logcumsumexp_cuda_kernelERKNS_10TensorBaseES3_lENKUlvE_clEvENKUlvE2_clEvENKUlN3c107complexIfEES8_E_clES8_S8_.has_dyn_sized_stack)
	.set _ZN7rocprim17ROCPRIM_400000_NS6detail17trampoline_kernelINS0_14default_configENS1_20scan_config_selectorIN3c107complexIfEEEEZZNS1_9scan_implILNS1_25lookback_scan_determinismE0ELb0ELb0ES3_PKS7_PS7_S7_ZZZN2at6native31launch_logcumsumexp_cuda_kernelERKNSE_10TensorBaseESI_lENKUlvE_clEvENKUlvE2_clEvEUlS7_S7_E_S7_EEDaPvRmT3_T4_T5_mT6_P12ihipStream_tbENKUlT_T0_E_clISt17integral_constantIbLb0EESY_IbLb1EEEEDaSU_SV_EUlSU_E0_NS1_11comp_targetILNS1_3genE8ELNS1_11target_archE1030ELNS1_3gpuE2ELNS1_3repE0EEENS1_30default_config_static_selectorELNS0_4arch9wavefront6targetE0EEEvT1_.has_recursion, or(0, .L_ZZZZN2at6native31launch_logcumsumexp_cuda_kernelERKNS_10TensorBaseES3_lENKUlvE_clEvENKUlvE2_clEvENKUlN3c107complexIfEES8_E_clES8_S8_.has_recursion)
	.set _ZN7rocprim17ROCPRIM_400000_NS6detail17trampoline_kernelINS0_14default_configENS1_20scan_config_selectorIN3c107complexIfEEEEZZNS1_9scan_implILNS1_25lookback_scan_determinismE0ELb0ELb0ES3_PKS7_PS7_S7_ZZZN2at6native31launch_logcumsumexp_cuda_kernelERKNSE_10TensorBaseESI_lENKUlvE_clEvENKUlvE2_clEvEUlS7_S7_E_S7_EEDaPvRmT3_T4_T5_mT6_P12ihipStream_tbENKUlT_T0_E_clISt17integral_constantIbLb0EESY_IbLb1EEEEDaSU_SV_EUlSU_E0_NS1_11comp_targetILNS1_3genE8ELNS1_11target_archE1030ELNS1_3gpuE2ELNS1_3repE0EEENS1_30default_config_static_selectorELNS0_4arch9wavefront6targetE0EEEvT1_.has_indirect_call, or(0, .L_ZZZZN2at6native31launch_logcumsumexp_cuda_kernelERKNS_10TensorBaseES3_lENKUlvE_clEvENKUlvE2_clEvENKUlN3c107complexIfEES8_E_clES8_S8_.has_indirect_call)
	.section	.AMDGPU.csdata,"",@progbits
; Kernel info:
; codeLenInByte = 1768
; TotalNumSgprs: 35
; NumVgprs: 50
; ScratchSize: 0
; MemoryBound: 0
; FloatMode: 240
; IeeeMode: 1
; LDSByteSize: 8448 bytes/workgroup (compile time only)
; SGPRBlocks: 0
; VGPRBlocks: 6
; NumSGPRsForWavesPerEU: 35
; NumVGPRsForWavesPerEU: 50
; Occupancy: 16
; WaveLimiterHint : 0
; COMPUTE_PGM_RSRC2:SCRATCH_EN: 0
; COMPUTE_PGM_RSRC2:USER_SGPR: 6
; COMPUTE_PGM_RSRC2:TRAP_HANDLER: 0
; COMPUTE_PGM_RSRC2:TGID_X_EN: 1
; COMPUTE_PGM_RSRC2:TGID_Y_EN: 0
; COMPUTE_PGM_RSRC2:TGID_Z_EN: 0
; COMPUTE_PGM_RSRC2:TIDIG_COMP_CNT: 0
	.section	.text._ZN2at6native32tensor_kernel_scan_innermost_dimIN3c107complexIfEEZZZNS0_31launch_logcumsumexp_cuda_kernelERKNS_10TensorBaseES7_lENKUlvE_clEvENKUlvE2_clEvEUlS4_S4_E_EEvPT_PKSB_jjjSB_T0_,"axG",@progbits,_ZN2at6native32tensor_kernel_scan_innermost_dimIN3c107complexIfEEZZZNS0_31launch_logcumsumexp_cuda_kernelERKNS_10TensorBaseES7_lENKUlvE_clEvENKUlvE2_clEvEUlS4_S4_E_EEvPT_PKSB_jjjSB_T0_,comdat
	.globl	_ZN2at6native32tensor_kernel_scan_innermost_dimIN3c107complexIfEEZZZNS0_31launch_logcumsumexp_cuda_kernelERKNS_10TensorBaseES7_lENKUlvE_clEvENKUlvE2_clEvEUlS4_S4_E_EEvPT_PKSB_jjjSB_T0_ ; -- Begin function _ZN2at6native32tensor_kernel_scan_innermost_dimIN3c107complexIfEEZZZNS0_31launch_logcumsumexp_cuda_kernelERKNS_10TensorBaseES7_lENKUlvE_clEvENKUlvE2_clEvEUlS4_S4_E_EEvPT_PKSB_jjjSB_T0_
	.p2align	8
	.type	_ZN2at6native32tensor_kernel_scan_innermost_dimIN3c107complexIfEEZZZNS0_31launch_logcumsumexp_cuda_kernelERKNS_10TensorBaseES7_lENKUlvE_clEvENKUlvE2_clEvEUlS4_S4_E_EEvPT_PKSB_jjjSB_T0_,@function
_ZN2at6native32tensor_kernel_scan_innermost_dimIN3c107complexIfEEZZZNS0_31launch_logcumsumexp_cuda_kernelERKNS_10TensorBaseES7_lENKUlvE_clEvENKUlvE2_clEvEUlS4_S4_E_EEvPT_PKSB_jjjSB_T0_: ; @_ZN2at6native32tensor_kernel_scan_innermost_dimIN3c107complexIfEEZZZNS0_31launch_logcumsumexp_cuda_kernelERKNS_10TensorBaseES7_lENKUlvE_clEvENKUlvE2_clEvEUlS4_S4_E_EEvPT_PKSB_jjjSB_T0_
; %bb.0:
	s_clause 0x1
	s_load_dwordx8 s[8:15], s[4:5], 0x0
	s_load_dwordx2 s[16:17], s[4:5], 0x20
	v_mov_b32_e32 v2, v1
	s_waitcnt lgkmcnt(0)
	s_lshl_b32 s15, 2, s14
	s_mul_hi_u32 s0, s12, s13
	v_mul_lo_u32 v1, s15, v2
	s_cmp_lg_u32 s0, 0
	s_mov_b32 s0, -1
	v_lshl_add_u32 v13, v1, 3, 0
	s_cbranch_scc1 .LBB347_126
; %bb.1:
	s_load_dword s2, s[4:5], 0x3c
	s_add_u32 s0, s4, 48
	s_addc_u32 s1, s5, 0
	s_waitcnt lgkmcnt(0)
	s_lshr_b32 s2, s2, 16
	s_mul_i32 s18, s6, s2
	s_cmp_ge_u32 s18, s12
	s_cbranch_scc1 .LBB347_125
; %bb.2:
	s_load_dword s26, s[0:1], 0x0
	s_lshl_b32 s19, 1, s14
	v_lshl_add_u32 v1, v0, 3, v13
	s_cmp_lg_u32 s13, 0
	v_cmp_eq_u32_e64 s0, 0, v0
	s_cselect_b32 s24, -1, 0
	s_lshl_b32 s1, s15, 3
	v_mov_b32_e32 v4, 0
	v_mov_b32_e32 v14, 0x4016cbe4
	v_lshl_add_u32 v15, s19, 3, v1
	v_add3_u32 v16, v13, s1, -8
	s_mov_b32 s20, 0x7fffff
	s_mov_b32 s21, 0x37d75334
	;; [unrolled: 1-line block ×4, first 2 shown]
	s_add_i32 s25, s14, 1
	s_mov_b32 s27, 0x3b2d2a58
	s_waitcnt lgkmcnt(0)
	s_mul_i32 s26, s26, s2
	s_branch .LBB347_4
.LBB347_3:                              ;   in Loop: Header=BB347_4 Depth=1
	s_add_i32 s18, s18, s26
	s_cmp_ge_u32 s18, s12
	s_cbranch_scc1 .LBB347_125
.LBB347_4:                              ; =>This Loop Header: Depth=1
                                        ;     Child Loop BB347_7 Depth 2
                                        ;       Child Loop BB347_73 Depth 3
	s_andn2_b32 vcc_lo, exec_lo, s24
	s_cbranch_vccnz .LBB347_3
; %bb.5:                                ;   in Loop: Header=BB347_4 Depth=1
	v_add_nc_u32_e32 v7, s18, v2
	v_mov_b32_e32 v10, s17
	v_mov_b32_e32 v9, s16
	s_mov_b32 s28, 0
	v_mul_lo_u32 v3, v7, s13
	v_cmp_le_u32_e64 s1, s12, v7
	v_cmp_gt_u32_e32 vcc_lo, s12, v7
	v_lshlrev_b64 v[5:6], 3, v[3:4]
	v_add_co_u32 v17, s2, s10, v5
	v_add_co_ci_u32_e64 v18, null, s11, v6, s2
	v_add_co_u32 v19, s2, s8, v5
	v_add_co_ci_u32_e64 v20, null, s9, v6, s2
	s_branch .LBB347_7
.LBB347_6:                              ;   in Loop: Header=BB347_7 Depth=2
	s_or_b32 exec_lo, exec_lo, s3
	ds_read_b64 v[9:10], v16
	s_add_i32 s28, s28, s15
	s_waitcnt lgkmcnt(0)
	s_waitcnt_vscnt null, 0x0
	s_cmp_ge_u32 s28, s13
	s_barrier
	buffer_gl0_inv
	s_cbranch_scc1 .LBB347_3
.LBB347_7:                              ;   Parent Loop BB347_4 Depth=1
                                        ; =>  This Loop Header: Depth=2
                                        ;       Child Loop BB347_73 Depth 3
	v_add_nc_u32_e32 v7, s28, v0
	v_add_nc_u32_e32 v5, s19, v7
	s_and_saveexec_b32 s29, vcc_lo
	s_cbranch_execz .LBB347_66
; %bb.8:                                ;   in Loop: Header=BB347_7 Depth=2
	v_cmp_le_u32_e64 s2, s13, v7
	s_and_saveexec_b32 s3, s2
	s_xor_b32 s2, exec_lo, s3
; %bb.9:                                ;   in Loop: Header=BB347_7 Depth=2
	v_mov_b32_e32 v11, s16
	v_mov_b32_e32 v12, s17
	ds_write_b64 v1, v[11:12]
; %bb.10:                               ;   in Loop: Header=BB347_7 Depth=2
	s_andn2_saveexec_b32 s3, s2
	s_cbranch_execz .LBB347_12
; %bb.11:                               ;   in Loop: Header=BB347_7 Depth=2
	v_mov_b32_e32 v8, v4
	v_lshlrev_b64 v[11:12], 3, v[7:8]
	v_add_co_u32 v11, s2, v17, v11
	v_add_co_ci_u32_e64 v12, null, v18, v12, s2
	global_load_dwordx2 v[11:12], v[11:12], off
	s_waitcnt vmcnt(0)
	ds_write_b64 v1, v[11:12]
.LBB347_12:                             ;   in Loop: Header=BB347_7 Depth=2
	s_or_b32 exec_lo, exec_lo, s3
	v_cmp_le_u32_e64 s2, s13, v5
	s_and_saveexec_b32 s3, s2
	s_xor_b32 s2, exec_lo, s3
	s_cbranch_execz .LBB347_15
; %bb.13:                               ;   in Loop: Header=BB347_7 Depth=2
	v_mov_b32_e32 v11, s16
	v_mov_b32_e32 v12, s17
	ds_write_b64 v15, v[11:12]
	s_andn2_saveexec_b32 s3, s2
	s_cbranch_execnz .LBB347_16
.LBB347_14:                             ;   in Loop: Header=BB347_7 Depth=2
	s_or_b32 exec_lo, exec_lo, s3
	s_and_b32 exec_lo, exec_lo, s0
	s_cbranch_execnz .LBB347_17
	s_branch .LBB347_66
.LBB347_15:                             ;   in Loop: Header=BB347_7 Depth=2
	s_andn2_saveexec_b32 s3, s2
	s_cbranch_execz .LBB347_14
.LBB347_16:                             ;   in Loop: Header=BB347_7 Depth=2
	v_mov_b32_e32 v6, v4
	v_lshlrev_b64 v[11:12], 3, v[5:6]
	v_add_co_u32 v11, s2, v17, v11
	v_add_co_ci_u32_e64 v12, null, v18, v12, s2
	global_load_dwordx2 v[11:12], v[11:12], off
	s_waitcnt vmcnt(0)
	ds_write_b64 v15, v[11:12]
	s_or_b32 exec_lo, exec_lo, s3
	s_and_b32 exec_lo, exec_lo, s0
	s_cbranch_execz .LBB347_66
.LBB347_17:                             ;   in Loop: Header=BB347_7 Depth=2
	ds_read_b64 v[11:12], v13
	v_cmp_o_f32_e64 s2, v9, v10
	v_mov_b32_e32 v6, v10
	v_mov_b32_e32 v21, v9
	;; [unrolled: 1-line block ×3, first 2 shown]
	s_and_saveexec_b32 s30, s2
	s_cbranch_execz .LBB347_19
; %bb.18:                               ;   in Loop: Header=BB347_7 Depth=2
	s_waitcnt lgkmcnt(0)
	v_cmp_u_f32_e64 s3, v11, v12
	v_cmp_lt_f32_e64 s7, v11, v9
	s_or_b32 s3, s7, s3
	v_cndmask_b32_e64 v6, v10, v12, s3
	v_cndmask_b32_e64 v21, v9, v11, s3
	v_mov_b32_e32 v8, v6
.LBB347_19:                             ;   in Loop: Header=BB347_7 Depth=2
	s_or_b32 exec_lo, exec_lo, s30
	s_and_saveexec_b32 s7, s2
	s_cbranch_execz .LBB347_21
; %bb.20:                               ;   in Loop: Header=BB347_7 Depth=2
	s_waitcnt lgkmcnt(0)
	v_cmp_u_f32_e64 s2, v11, v12
	v_cmp_ge_f32_e64 s3, v11, v9
	s_or_b32 s2, s3, s2
	v_cndmask_b32_e64 v10, v10, v12, s2
	v_cndmask_b32_e64 v9, v9, v11, s2
.LBB347_21:                             ;   in Loop: Header=BB347_7 Depth=2
	s_or_b32 exec_lo, exec_lo, s7
	s_waitcnt lgkmcnt(0)
	v_mov_b32_e32 v11, 0x7fc00000
	v_mov_b32_e32 v12, 0x7fc00000
	s_mov_b32 s30, exec_lo
	v_cmpx_o_f32_e32 v21, v6
	s_cbranch_execz .LBB347_65
; %bb.22:                               ;   in Loop: Header=BB347_7 Depth=2
	v_cmp_class_f32_e64 s3, v21, 0x1f8
	v_cmp_neq_f32_e64 s2, v9, v21
	s_or_b32 s2, s3, s2
	s_and_saveexec_b32 s3, s2
	s_xor_b32 s31, exec_lo, s3
	s_cbranch_execz .LBB347_38
; %bb.23:                               ;   in Loop: Header=BB347_7 Depth=2
	v_sub_f32_e32 v6, v6, v10
                                        ; implicit-def: $vgpr12
                                        ; implicit-def: $vgpr11
	v_and_b32_e32 v8, 0x7fffffff, v6
	v_cmp_ngt_f32_e64 s33, 0x48000000, |v6|
	v_lshrrev_b32_e32 v3, 23, v8
	v_and_or_b32 v22, v8, s20, 0x800000
	v_add_nc_u32_e32 v23, 0xffffff88, v3
	s_and_saveexec_b32 s2, s33
	s_xor_b32 s34, exec_lo, s2
	s_cbranch_execz .LBB347_25
; %bb.24:                               ;   in Loop: Header=BB347_7 Depth=2
	v_mad_u64_u32 v[11:12], null, 0xfe5163ab, v22, 0
	v_cmp_lt_u32_e64 s2, 63, v23
	v_mov_b32_e32 v3, v12
	v_cndmask_b32_e64 v12, 0, 0xffffffc0, s2
	v_mad_u64_u32 v[24:25], null, 0x3c439041, v22, v[3:4]
	v_add_nc_u32_e32 v12, v12, v23
	v_cmp_lt_u32_e64 s3, 31, v12
	v_mov_b32_e32 v3, v25
	v_cndmask_b32_e64 v30, 0, 0xffffffe0, s3
	v_mad_u64_u32 v[25:26], null, 0xdb629599, v22, v[3:4]
	v_add_nc_u32_e32 v12, v30, v12
	v_mov_b32_e32 v3, v26
	v_cmp_lt_u32_e64 s7, 31, v12
	v_cndmask_b32_e64 v11, v25, v11, s2
	v_mad_u64_u32 v[26:27], null, 0xf534ddc0, v22, v[3:4]
	v_mov_b32_e32 v3, v27
	v_mad_u64_u32 v[27:28], null, 0xfc2757d1, v22, v[3:4]
	v_mov_b32_e32 v3, v28
	;; [unrolled: 2-line block ×3, first 2 shown]
	v_cndmask_b32_e64 v31, v28, v26, s2
	v_mad_u64_u32 v[29:30], null, 0xa2f9836e, v22, v[3:4]
	v_cndmask_b32_e64 v3, 0, 0xffffffe0, s7
	v_add_nc_u32_e32 v3, v3, v12
	v_cndmask_b32_e64 v29, v29, v27, s2
	v_cndmask_b32_e64 v28, v30, v28, s2
	;; [unrolled: 1-line block ×4, first 2 shown]
	v_cmp_eq_u32_e64 s2, 0, v3
	v_cndmask_b32_e64 v24, v29, v31, s3
	v_cndmask_b32_e64 v26, v28, v29, s3
	;; [unrolled: 1-line block ×3, first 2 shown]
	v_sub_nc_u32_e32 v29, 32, v3
	v_cndmask_b32_e64 v27, v27, v12, s3
	v_cndmask_b32_e64 v11, v12, v11, s3
	;; [unrolled: 1-line block ×6, first 2 shown]
	v_alignbit_b32 v30, v26, v24, v29
	v_alignbit_b32 v25, v24, v28, v29
	;; [unrolled: 1-line block ×3, first 2 shown]
	v_cndmask_b32_e64 v3, v30, v26, s2
	v_cndmask_b32_e64 v12, v25, v24, s2
	;; [unrolled: 1-line block ×3, first 2 shown]
	v_bfe_u32 v24, v3, 29, 1
	v_alignbit_b32 v25, v3, v12, 30
	v_alignbit_b32 v12, v12, v27, 30
	;; [unrolled: 1-line block ×3, first 2 shown]
	v_sub_nc_u32_e32 v26, 0, v24
	v_xor_b32_e32 v25, v25, v26
	v_xor_b32_e32 v12, v12, v26
	;; [unrolled: 1-line block ×3, first 2 shown]
	v_lshrrev_b32_e32 v26, 29, v3
	v_lshrrev_b32_e32 v3, 30, v3
	v_ffbh_u32_e32 v28, v25
	v_min_u32_e32 v28, 32, v28
	v_sub_nc_u32_e32 v27, 31, v28
	v_lshlrev_b32_e32 v29, 23, v28
	v_alignbit_b32 v25, v25, v12, v27
	v_alignbit_b32 v11, v12, v11, v27
	v_lshlrev_b32_e32 v12, 31, v26
	v_alignbit_b32 v26, v25, v11, 9
	v_or_b32_e32 v27, 0.5, v12
	v_lshrrev_b32_e32 v25, 9, v25
	v_or_b32_e32 v12, 0x33000000, v12
	v_ffbh_u32_e32 v30, v26
	v_sub_nc_u32_e32 v27, v27, v29
	v_min_u32_e32 v29, 32, v30
	v_or_b32_e32 v25, v25, v27
	v_not_b32_e32 v27, v29
	v_mul_f32_e32 v30, 0x3fc90fda, v25
	v_add_lshl_u32 v28, v29, v28, 23
	v_alignbit_b32 v11, v26, v11, v27
	v_fma_f32 v26, 0x3fc90fda, v25, -v30
	v_sub_nc_u32_e32 v12, v12, v28
	v_lshrrev_b32_e32 v11, 9, v11
	v_fmac_f32_e32 v26, 0x33a22168, v25
	v_or_b32_e32 v11, v12, v11
	v_add_nc_u32_e32 v12, v24, v3
	v_fmac_f32_e32 v26, 0x3fc90fda, v11
	v_add_f32_e32 v11, v30, v26
.LBB347_25:                             ;   in Loop: Header=BB347_7 Depth=2
	s_or_saveexec_b32 s2, s34
	v_mul_f32_e64 v3, 0x3f22f983, |v6|
	v_rndne_f32_e32 v25, v3
	s_xor_b32 exec_lo, exec_lo, s2
; %bb.26:                               ;   in Loop: Header=BB347_7 Depth=2
	v_fma_f32 v11, 0xbfc90fda, v25, |v6|
	v_cvt_i32_f32_e32 v12, v25
	v_fmac_f32_e32 v11, 0xb3a22168, v25
	v_fmac_f32_e32 v11, 0xa7c234c4, v25
; %bb.27:                               ;   in Loop: Header=BB347_7 Depth=2
	s_or_b32 exec_lo, exec_lo, s2
                                        ; implicit-def: $vgpr24
                                        ; implicit-def: $vgpr3
	s_and_saveexec_b32 s2, s33
	s_xor_b32 s33, exec_lo, s2
	s_cbranch_execz .LBB347_29
; %bb.28:                               ;   in Loop: Header=BB347_7 Depth=2
	v_mad_u64_u32 v[24:25], null, 0xfe5163ab, v22, 0
	v_cmp_lt_u32_e64 s2, 63, v23
	v_cndmask_b32_e64 v30, 0, 0xffffffc0, s2
	v_mov_b32_e32 v3, v25
	v_add_nc_u32_e32 v23, v30, v23
	v_mad_u64_u32 v[25:26], null, 0x3c439041, v22, v[3:4]
	v_cmp_lt_u32_e64 s3, 31, v23
	v_mov_b32_e32 v3, v26
	v_cndmask_b32_e64 v31, 0, 0xffffffe0, s3
	v_mad_u64_u32 v[26:27], null, 0xdb629599, v22, v[3:4]
	v_mov_b32_e32 v3, v27
	v_cndmask_b32_e64 v24, v26, v24, s2
	v_mad_u64_u32 v[27:28], null, 0xf534ddc0, v22, v[3:4]
	;; [unrolled: 3-line block ×3, first 2 shown]
	v_mov_b32_e32 v3, v29
	v_mad_u64_u32 v[29:30], null, 0x4e441529, v22, v[3:4]
	v_mov_b32_e32 v3, v30
	v_add_nc_u32_e32 v30, v31, v23
	v_cndmask_b32_e64 v31, v29, v27, s2
	v_mad_u64_u32 v[22:23], null, 0xa2f9836e, v22, v[3:4]
	v_cmp_lt_u32_e64 s7, 31, v30
	v_cndmask_b32_e64 v3, 0, 0xffffffe0, s7
	v_cndmask_b32_e64 v22, v22, v28, s2
	;; [unrolled: 1-line block ×4, first 2 shown]
	v_add_nc_u32_e32 v3, v3, v30
	v_cndmask_b32_e64 v27, v22, v31, s3
	v_cndmask_b32_e64 v22, v23, v22, s3
	;; [unrolled: 1-line block ×4, first 2 shown]
	v_sub_nc_u32_e32 v29, 32, v3
	v_cmp_eq_u32_e64 s2, 0, v3
	v_cndmask_b32_e64 v22, v22, v27, s7
	v_cndmask_b32_e64 v27, v27, v23, s7
	;; [unrolled: 1-line block ×3, first 2 shown]
	v_alignbit_b32 v30, v22, v27, v29
	v_alignbit_b32 v26, v27, v23, v29
	v_cndmask_b32_e64 v3, v30, v22, s2
	v_cndmask_b32_e64 v22, v25, v24, s3
	;; [unrolled: 1-line block ×3, first 2 shown]
	v_bfe_u32 v25, v3, 29, 1
	v_cndmask_b32_e64 v22, v28, v22, s7
	v_alignbit_b32 v26, v3, v24, 30
	v_sub_nc_u32_e32 v27, 0, v25
	v_alignbit_b32 v28, v23, v22, v29
	v_xor_b32_e32 v26, v26, v27
	v_cndmask_b32_e64 v23, v28, v23, s2
	v_ffbh_u32_e32 v28, v26
	v_alignbit_b32 v24, v24, v23, 30
	v_alignbit_b32 v22, v23, v22, 30
	v_min_u32_e32 v28, 32, v28
	v_xor_b32_e32 v23, v24, v27
	v_xor_b32_e32 v22, v22, v27
	v_lshrrev_b32_e32 v27, 29, v3
	v_sub_nc_u32_e32 v24, 31, v28
	v_lshlrev_b32_e32 v29, 23, v28
	v_alignbit_b32 v26, v26, v23, v24
	v_alignbit_b32 v22, v23, v22, v24
	v_lshlrev_b32_e32 v23, 31, v27
	v_alignbit_b32 v24, v26, v22, 9
	v_or_b32_e32 v27, 0.5, v23
	v_lshrrev_b32_e32 v26, 9, v26
	v_or_b32_e32 v23, 0x33000000, v23
	v_ffbh_u32_e32 v30, v24
	v_sub_nc_u32_e32 v27, v27, v29
	v_min_u32_e32 v29, 32, v30
	v_or_b32_e32 v26, v26, v27
	v_not_b32_e32 v27, v29
	v_mul_f32_e32 v30, 0x3fc90fda, v26
	v_add_lshl_u32 v28, v29, v28, 23
	v_alignbit_b32 v22, v24, v22, v27
	v_fma_f32 v24, 0x3fc90fda, v26, -v30
	v_sub_nc_u32_e32 v23, v23, v28
	v_lshrrev_b32_e32 v22, 9, v22
	v_fmac_f32_e32 v24, 0x33a22168, v26
	v_or_b32_e32 v22, v23, v22
	v_fmac_f32_e32 v24, 0x3fc90fda, v22
	v_lshrrev_b32_e32 v22, 30, v3
	v_add_f32_e32 v3, v30, v24
	v_add_nc_u32_e32 v24, v25, v22
                                        ; implicit-def: $vgpr25
	s_andn2_saveexec_b32 s2, s33
	s_cbranch_execnz .LBB347_30
	s_branch .LBB347_31
.LBB347_29:                             ;   in Loop: Header=BB347_7 Depth=2
	s_andn2_saveexec_b32 s2, s33
.LBB347_30:                             ;   in Loop: Header=BB347_7 Depth=2
	v_fma_f32 v3, 0xbfc90fda, v25, |v6|
	v_cvt_i32_f32_e32 v24, v25
	v_fmac_f32_e32 v3, 0xb3a22168, v25
	v_fmac_f32_e32 v3, 0xa7c234c4, v25
.LBB347_31:                             ;   in Loop: Header=BB347_7 Depth=2
	s_or_b32 exec_lo, exec_lo, s2
	v_sub_f32_e32 v21, v21, v9
	v_mul_f32_e32 v25, v11, v11
	v_mul_f32_e32 v26, v3, v3
	v_lshlrev_b32_e32 v22, 30, v12
	v_and_b32_e32 v12, 1, v12
	v_mul_f32_e32 v23, 0x3fb8aa3b, v21
	v_fmaak_f32 v30, s21, v25, 0xbab64f3b
	v_fmaak_f32 v31, s22, v25, 0x3c0881c4
	;; [unrolled: 1-line block ×4, first 2 shown]
	v_fma_f32 v28, 0x3fb8aa3b, v21, -v23
	v_rndne_f32_e32 v29, v23
	v_and_b32_e32 v27, 1, v24
	v_cmp_eq_u32_e64 s2, 0, v12
	v_lshlrev_b32_e32 v24, 30, v24
	v_fmac_f32_e32 v28, 0x32a5705f, v21
	v_sub_f32_e32 v23, v23, v29
	v_cvt_i32_f32_e32 v29, v29
	v_xor_b32_e32 v8, v8, v6
	v_and_b32_e32 v22, 0x80000000, v22
	v_and_b32_e32 v24, 0x80000000, v24
	v_add_f32_e32 v23, v23, v28
	v_fmaak_f32 v28, v25, v30, 0x3d2aabf7
	v_fmaak_f32 v30, v25, v31, 0xbe2aaa9d
	;; [unrolled: 1-line block ×4, first 2 shown]
	v_exp_f32_e32 v23, v23
	v_fmaak_f32 v28, v25, v28, 0xbf000004
	v_mul_f32_e32 v30, v25, v30
	v_mul_f32_e32 v31, v26, v31
	v_fmaak_f32 v32, v26, v32, 0xbf000004
	v_cmp_nlt_f32_e64 s3, 0x42b17218, v21
	v_fma_f32 v25, v25, v28, 1.0
	v_fmac_f32_e32 v11, v11, v30
	v_fmac_f32_e32 v3, v3, v31
	v_fma_f32 v26, v26, v32, 1.0
	v_ldexp_f32 v23, v23, v29
	v_cndmask_b32_e64 v11, -v11, v25, s2
	v_cmp_eq_u32_e64 s2, 0, v27
	v_xor_b32_e32 v11, v22, v11
	v_cndmask_b32_e64 v3, v26, v3, s2
	v_cmp_ngt_f32_e64 s2, 0xc2ce8ed0, v21
	v_xor3_b32 v3, v8, v24, v3
	v_cndmask_b32_e64 v12, 0, v23, s2
	v_cmp_class_f32_e64 s2, v6, 0x1f8
	v_cndmask_b32_e64 v6, 0x7f800000, v12, s3
	v_cndmask_b32_e64 v8, 0x7fc00000, v11, s2
	;; [unrolled: 1-line block ×3, first 2 shown]
	v_mul_f32_e32 v12, v6, v8
	v_mul_f32_e32 v3, v6, v3
	v_fma_f32 v6, v6, v8, 1.0
	v_max_f32_e64 v11, |v12|, |v3|
	v_max_f32_e64 v8, |v6|, |v3|
	v_cvt_f64_f32_e32 v[21:22], v11
	v_cmp_eq_f32_e64 s2, 0x7f800000, v11
	v_frexp_exp_i32_f64_e32 v21, v[21:22]
	v_sub_nc_u32_e32 v22, 0, v21
	v_ldexp_f32 v23, |v3|, v22
	v_ldexp_f32 v22, |v12|, v22
	v_mul_f32_e32 v23, v23, v23
	v_fmac_f32_e32 v23, v22, v22
	v_sqrt_f32_e32 v22, v23
	v_ldexp_f32 v21, v22, v21
	v_cmp_ngt_f32_e64 s3, 0.5, v21
	s_or_b32 s2, s2, s3
	s_and_saveexec_b32 s3, s2
	s_xor_b32 s7, exec_lo, s3
	s_cbranch_execz .LBB347_33
; %bb.32:                               ;   in Loop: Header=BB347_7 Depth=2
	v_cvt_f64_f32_e32 v[11:12], v8
	v_cmp_neq_f32_e64 s2, 0x7f800000, v8
	v_frexp_exp_i32_f64_e32 v11, v[11:12]
	v_sub_nc_u32_e32 v12, 0, v11
	v_ldexp_f32 v21, |v3|, v12
	v_ldexp_f32 v12, |v6|, v12
	v_mul_f32_e32 v21, v21, v21
	v_fmac_f32_e32 v21, v12, v12
	v_sqrt_f32_e32 v12, v21
	v_ldexp_f32 v11, v12, v11
	v_cndmask_b32_e64 v11, 0x7f800000, v11, s2
	v_cmp_gt_f32_e64 s2, 0x800000, v11
	v_cndmask_b32_e64 v12, 0, 32, s2
	v_ldexp_f32 v11, v11, v12
	v_log_f32_e32 v11, v11
	v_mul_f32_e32 v12, 0x3f317217, v11
	v_cmp_gt_f32_e64 s3, 0x7f800000, |v11|
	v_fma_f32 v12, 0x3f317217, v11, -v12
	v_fmac_f32_e32 v12, 0x3377d1cf, v11
	v_fmac_f32_e32 v12, 0x3f317217, v11
	v_cndmask_b32_e64 v11, v11, v12, s3
	v_cndmask_b32_e64 v12, 0, 0x41b17218, s2
	v_sub_f32_e32 v12, v11, v12
.LBB347_33:                             ;   in Loop: Header=BB347_7 Depth=2
	s_andn2_saveexec_b32 s3, s7
	s_cbranch_execz .LBB347_37
; %bb.34:                               ;   in Loop: Header=BB347_7 Depth=2
	v_add_f32_e32 v21, 2.0, v12
	v_mul_f32_e32 v11, v3, v3
	s_mov_b32 s7, exec_lo
	v_fmac_f32_e32 v11, v12, v21
	v_cmpx_neq_f32_e32 0, v11
	s_cbranch_execz .LBB347_36
; %bb.35:                               ;   in Loop: Header=BB347_7 Depth=2
	v_add_f32_e32 v12, 1.0, v11
	v_cvt_f64_f32_e32 v[21:22], v12
	v_frexp_exp_i32_f64_e32 v21, v[21:22]
	v_frexp_mant_f32_e32 v22, v12
	v_cmp_gt_f32_e64 s2, 0x3f2aaaab, v22
	v_add_f32_e32 v22, -1.0, v12
	v_sub_f32_e32 v24, v22, v12
	v_sub_f32_e32 v22, v11, v22
	v_add_f32_e32 v24, 1.0, v24
	v_add_f32_e32 v22, v22, v24
	v_subrev_co_ci_u32_e64 v21, null, 0, v21, s2
	v_cmp_neq_f32_e64 s2, 0x7f800000, v11
	v_sub_nc_u32_e32 v23, 0, v21
	v_cvt_f32_i32_e32 v21, v21
	v_ldexp_f32 v12, v12, v23
	v_ldexp_f32 v22, v22, v23
	v_add_f32_e32 v25, 1.0, v12
	v_add_f32_e32 v23, -1.0, v12
	v_add_f32_e32 v24, -1.0, v25
	v_add_f32_e32 v26, 1.0, v23
	v_sub_f32_e32 v24, v12, v24
	v_sub_f32_e32 v12, v12, v26
	v_add_f32_e32 v24, v22, v24
	v_add_f32_e32 v12, v22, v12
	;; [unrolled: 1-line block ×4, first 2 shown]
	v_rcp_f32_e32 v22, v26
	v_sub_f32_e32 v25, v26, v25
	v_sub_f32_e32 v23, v27, v23
	v_sub_f32_e32 v24, v24, v25
	v_sub_f32_e32 v12, v12, v23
	v_mul_f32_e32 v28, v27, v22
	v_mul_f32_e32 v29, v26, v28
	v_fma_f32 v25, v28, v26, -v29
	v_fmac_f32_e32 v25, v28, v24
	v_add_f32_e32 v30, v29, v25
	v_sub_f32_e32 v31, v27, v30
	v_sub_f32_e32 v23, v30, v29
	;; [unrolled: 1-line block ×5, first 2 shown]
	v_add_f32_e32 v12, v12, v27
	v_add_f32_e32 v12, v23, v12
	;; [unrolled: 1-line block ×3, first 2 shown]
	v_mul_f32_e32 v25, v22, v23
	v_sub_f32_e32 v30, v31, v23
	v_mul_f32_e32 v27, v26, v25
	v_add_f32_e32 v12, v12, v30
	v_fma_f32 v26, v25, v26, -v27
	v_fmac_f32_e32 v26, v25, v24
	v_add_f32_e32 v24, v27, v26
	v_sub_f32_e32 v29, v23, v24
	v_sub_f32_e32 v27, v24, v27
	;; [unrolled: 1-line block ×5, first 2 shown]
	v_add_f32_e32 v12, v12, v23
	v_add_f32_e32 v23, v28, v25
	;; [unrolled: 1-line block ×3, first 2 shown]
	v_sub_f32_e32 v24, v23, v28
	v_add_f32_e32 v12, v29, v12
	v_sub_f32_e32 v24, v25, v24
	v_mul_f32_e32 v12, v22, v12
	v_add_f32_e32 v12, v24, v12
	v_add_f32_e32 v22, v23, v12
	v_mul_f32_e32 v24, v22, v22
	v_fmaak_f32 v25, s23, v24, 0x3ecc95a3
	v_mul_f32_e32 v26, v22, v24
	v_fmaak_f32 v24, v24, v25, 0x3f2aaada
	v_ldexp_f32 v25, v22, 1
	v_sub_f32_e32 v22, v22, v23
	v_mul_f32_e32 v24, v26, v24
	v_mul_f32_e32 v26, 0x3f317218, v21
	v_sub_f32_e32 v12, v12, v22
	v_add_f32_e32 v23, v25, v24
	v_ldexp_f32 v12, v12, 1
	v_sub_f32_e32 v22, v23, v25
	v_fma_f32 v25, 0x3f317218, v21, -v26
	v_sub_f32_e32 v22, v24, v22
	v_fmac_f32_e32 v25, 0xb102e308, v21
	v_add_f32_e32 v12, v12, v22
	v_add_f32_e32 v21, v26, v25
	;; [unrolled: 1-line block ×3, first 2 shown]
	v_sub_f32_e32 v26, v21, v26
	v_add_f32_e32 v24, v21, v22
	v_sub_f32_e32 v23, v22, v23
	v_sub_f32_e32 v25, v25, v26
	;; [unrolled: 1-line block ×6, first 2 shown]
	v_add_f32_e32 v23, v25, v12
	v_sub_f32_e32 v21, v21, v28
	v_add_f32_e32 v21, v22, v21
	v_sub_f32_e32 v22, v23, v25
	;; [unrolled: 2-line block ×3, first 2 shown]
	v_sub_f32_e32 v12, v12, v22
	v_add_f32_e32 v26, v24, v21
	v_sub_f32_e32 v23, v25, v23
	v_sub_f32_e32 v22, v26, v24
	v_add_f32_e32 v12, v12, v23
	v_sub_f32_e32 v21, v21, v22
	v_add_f32_e32 v12, v12, v21
	v_add_f32_e32 v12, v26, v12
	v_cndmask_b32_e64 v12, 0x7f800000, v12, s2
	v_cmp_ngt_f32_e64 s2, -1.0, v11
	v_cndmask_b32_e64 v12, 0x7fc00000, v12, s2
	v_cmp_neq_f32_e64 s2, -1.0, v11
	v_cndmask_b32_e64 v12, 0xff800000, v12, s2
	v_cmp_gt_f32_e64 s2, 0x33800000, |v11|
	v_cndmask_b32_e64 v11, v12, v11, s2
	v_mul_f32_e32 v12, 0.5, v11
.LBB347_36:                             ;   in Loop: Header=BB347_7 Depth=2
	s_or_b32 exec_lo, exec_lo, s7
.LBB347_37:                             ;   in Loop: Header=BB347_7 Depth=2
	s_or_b32 exec_lo, exec_lo, s3
	v_max_f32_e64 v11, |v3|, |v3|
	v_max_f32_e64 v21, |v6|, |v6|
	v_frexp_mant_f32_e32 v22, v8
	v_frexp_exp_i32_f32_e32 v8, v8
	v_cmp_gt_f32_e64 s2, |v3|, |v6|
	v_cmp_gt_i32_e64 s3, 0, v6
	v_min_f32_e32 v11, v21, v11
	v_rcp_f32_e32 v21, v22
	v_cmp_class_f32_e64 s7, v6, 0x204
	v_frexp_mant_f32_e32 v22, v11
	v_frexp_exp_i32_f32_e32 v11, v11
	v_mul_f32_e32 v21, v22, v21
	v_sub_nc_u32_e32 v8, v11, v8
	v_cndmask_b32_e64 v22, 0, 0x40490fdb, s3
	v_cmp_class_f32_e64 s3, v3, 0x204
	v_ldexp_f32 v8, v21, v8
	v_mul_f32_e32 v11, v8, v8
	v_fmaak_f32 v21, s27, v11, 0xbc7a590c
	v_fmaak_f32 v21, v11, v21, 0x3d29fb3f
	;; [unrolled: 1-line block ×7, first 2 shown]
	v_mul_f32_e32 v11, v11, v21
	v_fmac_f32_e32 v8, v8, v11
	v_sub_f32_e32 v11, 0x3fc90fdb, v8
	v_cndmask_b32_e64 v8, v8, v11, s2
	v_cmp_gt_f32_e64 s2, 0, v6
	v_sub_f32_e32 v11, 0x40490fdb, v8
	v_cndmask_b32_e64 v21, 0x3f490fdb, v14, s2
	v_cndmask_b32_e64 v8, v8, v11, s2
	v_cmp_eq_f32_e64 s2, 0, v3
	v_cndmask_b32_e64 v8, v8, v22, s2
	s_and_b32 s2, s7, s3
	v_cndmask_b32_e64 v8, v8, v21, s2
	v_cmp_o_f32_e64 s2, v6, v3
	v_add_f32_e32 v21, v9, v12
	v_cndmask_b32_e64 v6, 0x7fc00000, v8, s2
                                        ; implicit-def: $vgpr8
	v_bfi_b32 v3, 0x7fffffff, v6, v3
	v_add_f32_e32 v6, v10, v3
                                        ; implicit-def: $vgpr10
.LBB347_38:                             ;   in Loop: Header=BB347_7 Depth=2
	s_andn2_saveexec_b32 s31, s31
	s_cbranch_execz .LBB347_64
; %bb.39:                               ;   in Loop: Header=BB347_7 Depth=2
	s_mov_b32 s33, exec_lo
	v_cmpx_ngt_f32_e32 0, v21
	s_cbranch_execz .LBB347_63
; %bb.40:                               ;   in Loop: Header=BB347_7 Depth=2
	v_and_b32_e32 v9, 0x7fffffff, v6
	v_cmp_ngt_f32_e64 s34, 0x48000000, |v6|
                                        ; implicit-def: $vgpr12
                                        ; implicit-def: $vgpr11
	v_lshrrev_b32_e32 v3, 23, v9
	v_and_or_b32 v22, v9, s20, 0x800000
	v_add_nc_u32_e32 v24, 0xffffff88, v3
	s_and_saveexec_b32 s2, s34
	s_xor_b32 s35, exec_lo, s2
	s_cbranch_execz .LBB347_42
; %bb.41:                               ;   in Loop: Header=BB347_7 Depth=2
	v_mad_u64_u32 v[11:12], null, 0xfe5163ab, v22, 0
	v_cmp_lt_u32_e64 s2, 63, v24
	v_mov_b32_e32 v3, v12
	v_cndmask_b32_e64 v12, 0, 0xffffffc0, s2
	v_mad_u64_u32 v[25:26], null, 0x3c439041, v22, v[3:4]
	v_add_nc_u32_e32 v12, v12, v24
	v_cmp_lt_u32_e64 s3, 31, v12
	v_mov_b32_e32 v3, v26
	v_cndmask_b32_e64 v21, 0, 0xffffffe0, s3
	v_mad_u64_u32 v[26:27], null, 0xdb629599, v22, v[3:4]
	v_add_nc_u32_e32 v12, v21, v12
	v_mov_b32_e32 v3, v27
	v_cmp_lt_u32_e64 s7, 31, v12
	v_cndmask_b32_e64 v11, v26, v11, s2
	v_mad_u64_u32 v[27:28], null, 0xf534ddc0, v22, v[3:4]
	v_mov_b32_e32 v3, v28
	v_mad_u64_u32 v[28:29], null, 0xfc2757d1, v22, v[3:4]
	v_mov_b32_e32 v3, v29
	;; [unrolled: 2-line block ×3, first 2 shown]
	v_cndmask_b32_e64 v21, v29, v27, s2
	v_mad_u64_u32 v[30:31], null, 0xa2f9836e, v22, v[3:4]
	v_cndmask_b32_e64 v3, 0, 0xffffffe0, s7
	v_add_nc_u32_e32 v3, v3, v12
	v_cndmask_b32_e64 v23, v30, v28, s2
	v_cndmask_b32_e64 v29, v31, v29, s2
	;; [unrolled: 1-line block ×4, first 2 shown]
	v_sub_nc_u32_e32 v27, 32, v3
	v_cndmask_b32_e64 v25, v23, v21, s3
	v_cndmask_b32_e64 v23, v29, v23, s3
	v_cndmask_b32_e64 v21, v21, v28, s3
	v_cndmask_b32_e64 v28, v28, v12, s3
	v_cmp_eq_u32_e64 s2, 0, v3
	v_cndmask_b32_e64 v11, v12, v11, s3
	v_cndmask_b32_e64 v23, v23, v25, s7
	;; [unrolled: 1-line block ×5, first 2 shown]
	v_alignbit_b32 v29, v23, v25, v27
	v_alignbit_b32 v26, v25, v21, v27
	;; [unrolled: 1-line block ×3, first 2 shown]
	v_cndmask_b32_e64 v3, v29, v23, s2
	v_cndmask_b32_e64 v12, v26, v25, s2
	;; [unrolled: 1-line block ×3, first 2 shown]
	v_bfe_u32 v23, v3, 29, 1
	v_alignbit_b32 v25, v3, v12, 30
	v_alignbit_b32 v12, v12, v21, 30
	;; [unrolled: 1-line block ×3, first 2 shown]
	v_sub_nc_u32_e32 v26, 0, v23
	v_xor_b32_e32 v25, v25, v26
	v_xor_b32_e32 v12, v12, v26
	;; [unrolled: 1-line block ×3, first 2 shown]
	v_lshrrev_b32_e32 v26, 29, v3
	v_lshrrev_b32_e32 v3, 30, v3
	v_ffbh_u32_e32 v27, v25
	v_min_u32_e32 v27, 32, v27
	v_sub_nc_u32_e32 v21, 31, v27
	v_lshlrev_b32_e32 v28, 23, v27
	v_alignbit_b32 v25, v25, v12, v21
	v_alignbit_b32 v11, v12, v11, v21
	v_lshlrev_b32_e32 v12, 31, v26
	v_alignbit_b32 v21, v25, v11, 9
	v_or_b32_e32 v26, 0.5, v12
	v_lshrrev_b32_e32 v25, 9, v25
	v_or_b32_e32 v12, 0x33000000, v12
	v_ffbh_u32_e32 v29, v21
	v_sub_nc_u32_e32 v26, v26, v28
	v_min_u32_e32 v28, 32, v29
	v_or_b32_e32 v25, v25, v26
	v_not_b32_e32 v26, v28
	v_mul_f32_e32 v29, 0x3fc90fda, v25
	v_add_lshl_u32 v27, v28, v27, 23
	v_alignbit_b32 v11, v21, v11, v26
	v_fma_f32 v21, 0x3fc90fda, v25, -v29
	v_sub_nc_u32_e32 v12, v12, v27
	v_lshrrev_b32_e32 v11, 9, v11
	v_fmac_f32_e32 v21, 0x33a22168, v25
	v_or_b32_e32 v11, v12, v11
	v_add_nc_u32_e32 v12, v23, v3
	v_fmac_f32_e32 v21, 0x3fc90fda, v11
	v_add_f32_e32 v11, v29, v21
.LBB347_42:                             ;   in Loop: Header=BB347_7 Depth=2
	s_or_saveexec_b32 s2, s35
	v_mul_f32_e64 v3, 0x3f22f983, |v6|
	v_rndne_f32_e32 v3, v3
	s_xor_b32 exec_lo, exec_lo, s2
; %bb.43:                               ;   in Loop: Header=BB347_7 Depth=2
	v_fma_f32 v11, 0xbfc90fda, v3, |v6|
	v_cvt_i32_f32_e32 v12, v3
	v_fmac_f32_e32 v11, 0xb3a22168, v3
	v_fmac_f32_e32 v11, 0xa7c234c4, v3
; %bb.44:                               ;   in Loop: Header=BB347_7 Depth=2
	s_or_b32 exec_lo, exec_lo, s2
                                        ; implicit-def: $vgpr23
                                        ; implicit-def: $vgpr21
	s_and_saveexec_b32 s2, s34
	s_xor_b32 s34, exec_lo, s2
	s_cbranch_execz .LBB347_46
; %bb.45:                               ;   in Loop: Header=BB347_7 Depth=2
	v_mad_u64_u32 v[25:26], null, 0xfe5163ab, v22, 0
	v_cmp_lt_u32_e64 s2, 63, v24
	v_cndmask_b32_e64 v21, 0, 0xffffffc0, s2
	v_mov_b32_e32 v3, v26
	v_add_nc_u32_e32 v21, v21, v24
	v_mad_u64_u32 v[26:27], null, 0x3c439041, v22, v[3:4]
	v_cmp_lt_u32_e64 s3, 31, v21
	v_mov_b32_e32 v3, v27
	v_mad_u64_u32 v[27:28], null, 0xdb629599, v22, v[3:4]
	v_mov_b32_e32 v3, v28
	v_cndmask_b32_e64 v25, v27, v25, s2
	v_mad_u64_u32 v[28:29], null, 0xf534ddc0, v22, v[3:4]
	v_mov_b32_e32 v3, v29
	v_mad_u64_u32 v[29:30], null, 0xfc2757d1, v22, v[3:4]
	v_mov_b32_e32 v3, v30
	v_cndmask_b32_e64 v30, 0, 0xffffffe0, s3
	v_mad_u64_u32 v[23:24], null, 0x4e441529, v22, v[3:4]
	v_mov_b32_e32 v3, v24
	v_add_nc_u32_e32 v24, v30, v21
	v_cndmask_b32_e64 v30, v23, v28, s2
	v_mad_u64_u32 v[21:22], null, 0xa2f9836e, v22, v[3:4]
	v_cmp_lt_u32_e64 s7, 31, v24
	v_cndmask_b32_e64 v3, 0, 0xffffffe0, s7
	v_cndmask_b32_e64 v21, v21, v29, s2
	;; [unrolled: 1-line block ×4, first 2 shown]
	v_add_nc_u32_e32 v3, v3, v24
	v_cndmask_b32_e64 v24, v28, v26, s2
	v_cndmask_b32_e64 v26, v21, v30, s3
	;; [unrolled: 1-line block ×4, first 2 shown]
	v_sub_nc_u32_e32 v28, 32, v3
	v_cndmask_b32_e64 v23, v23, v24, s3
	v_cmp_eq_u32_e64 s2, 0, v3
	v_cndmask_b32_e64 v21, v21, v26, s7
	v_cndmask_b32_e64 v26, v26, v22, s7
	;; [unrolled: 1-line block ×3, first 2 shown]
	v_alignbit_b32 v29, v21, v26, v28
	v_alignbit_b32 v27, v26, v22, v28
	v_cndmask_b32_e64 v3, v29, v21, s2
	v_cndmask_b32_e64 v21, v24, v25, s3
	;; [unrolled: 1-line block ×3, first 2 shown]
	v_bfe_u32 v25, v3, 29, 1
	v_cndmask_b32_e64 v21, v23, v21, s7
	v_alignbit_b32 v23, v3, v24, 30
	v_sub_nc_u32_e32 v26, 0, v25
	v_alignbit_b32 v27, v22, v21, v28
	v_xor_b32_e32 v23, v23, v26
	v_cndmask_b32_e64 v22, v27, v22, s2
	v_ffbh_u32_e32 v27, v23
	v_alignbit_b32 v24, v24, v22, 30
	v_alignbit_b32 v21, v22, v21, 30
	v_min_u32_e32 v27, 32, v27
	v_xor_b32_e32 v22, v24, v26
	v_xor_b32_e32 v21, v21, v26
	v_lshrrev_b32_e32 v26, 29, v3
	v_lshrrev_b32_e32 v3, 30, v3
	v_sub_nc_u32_e32 v24, 31, v27
	v_lshlrev_b32_e32 v28, 23, v27
	v_alignbit_b32 v23, v23, v22, v24
	v_alignbit_b32 v21, v22, v21, v24
	v_lshlrev_b32_e32 v22, 31, v26
	v_alignbit_b32 v24, v23, v21, 9
	v_or_b32_e32 v26, 0.5, v22
	v_lshrrev_b32_e32 v23, 9, v23
	v_or_b32_e32 v22, 0x33000000, v22
	v_ffbh_u32_e32 v29, v24
	v_sub_nc_u32_e32 v26, v26, v28
	v_min_u32_e32 v28, 32, v29
	v_or_b32_e32 v23, v23, v26
	v_not_b32_e32 v26, v28
	v_mul_f32_e32 v29, 0x3fc90fda, v23
	v_add_lshl_u32 v27, v28, v27, 23
	v_alignbit_b32 v21, v24, v21, v26
	v_fma_f32 v24, 0x3fc90fda, v23, -v29
	v_sub_nc_u32_e32 v22, v22, v27
	v_lshrrev_b32_e32 v21, 9, v21
	v_fmac_f32_e32 v24, 0x33a22168, v23
	v_add_nc_u32_e32 v23, v25, v3
                                        ; implicit-def: $vgpr3
	v_or_b32_e32 v21, v22, v21
	v_fmac_f32_e32 v24, 0x3fc90fda, v21
	v_add_f32_e32 v21, v29, v24
	s_andn2_saveexec_b32 s2, s34
	s_cbranch_execnz .LBB347_47
	s_branch .LBB347_48
.LBB347_46:                             ;   in Loop: Header=BB347_7 Depth=2
	s_andn2_saveexec_b32 s2, s34
.LBB347_47:                             ;   in Loop: Header=BB347_7 Depth=2
	v_fma_f32 v21, 0xbfc90fda, v3, |v6|
	v_cvt_i32_f32_e32 v23, v3
	v_fmac_f32_e32 v21, 0xb3a22168, v3
	v_fmac_f32_e32 v21, 0xa7c234c4, v3
.LBB347_48:                             ;   in Loop: Header=BB347_7 Depth=2
	s_or_b32 exec_lo, exec_lo, s2
	v_and_b32_e32 v22, 0x7fffffff, v10
	v_cmp_ngt_f32_e64 s34, 0x48000000, |v10|
                                        ; implicit-def: $vgpr25
                                        ; implicit-def: $vgpr24
	v_lshrrev_b32_e32 v3, 23, v22
	v_and_or_b32 v26, v22, s20, 0x800000
	v_add_nc_u32_e32 v27, 0xffffff88, v3
	s_and_saveexec_b32 s2, s34
	s_xor_b32 s35, exec_lo, s2
	s_cbranch_execz .LBB347_50
; %bb.49:                               ;   in Loop: Header=BB347_7 Depth=2
	v_mad_u64_u32 v[24:25], null, 0xfe5163ab, v26, 0
	v_cmp_lt_u32_e64 s2, 63, v27
	v_mov_b32_e32 v3, v25
	v_cndmask_b32_e64 v25, 0, 0xffffffc0, s2
	v_mad_u64_u32 v[28:29], null, 0x3c439041, v26, v[3:4]
	v_add_nc_u32_e32 v25, v25, v27
	v_cmp_lt_u32_e64 s3, 31, v25
	v_mov_b32_e32 v3, v29
	v_cndmask_b32_e64 v34, 0, 0xffffffe0, s3
	v_mad_u64_u32 v[29:30], null, 0xdb629599, v26, v[3:4]
	v_add_nc_u32_e32 v25, v34, v25
	v_mov_b32_e32 v3, v30
	v_cmp_lt_u32_e64 s7, 31, v25
	v_cndmask_b32_e64 v24, v29, v24, s2
	v_mad_u64_u32 v[30:31], null, 0xf534ddc0, v26, v[3:4]
	v_mov_b32_e32 v3, v31
	v_mad_u64_u32 v[31:32], null, 0xfc2757d1, v26, v[3:4]
	v_mov_b32_e32 v3, v32
	;; [unrolled: 2-line block ×3, first 2 shown]
	v_cndmask_b32_e64 v35, v32, v30, s2
	v_mad_u64_u32 v[33:34], null, 0xa2f9836e, v26, v[3:4]
	v_cndmask_b32_e64 v3, 0, 0xffffffe0, s7
	v_add_nc_u32_e32 v3, v3, v25
	v_cndmask_b32_e64 v33, v33, v31, s2
	v_cndmask_b32_e64 v32, v34, v32, s2
	;; [unrolled: 1-line block ×4, first 2 shown]
	v_cmp_eq_u32_e64 s2, 0, v3
	v_cndmask_b32_e64 v28, v33, v35, s3
	v_cndmask_b32_e64 v30, v32, v33, s3
	;; [unrolled: 1-line block ×3, first 2 shown]
	v_sub_nc_u32_e32 v33, 32, v3
	v_cndmask_b32_e64 v31, v31, v25, s3
	v_cndmask_b32_e64 v24, v25, v24, s3
	;; [unrolled: 1-line block ×6, first 2 shown]
	v_alignbit_b32 v34, v30, v28, v33
	v_alignbit_b32 v29, v28, v32, v33
	;; [unrolled: 1-line block ×3, first 2 shown]
	v_cndmask_b32_e64 v3, v34, v30, s2
	v_cndmask_b32_e64 v25, v29, v28, s2
	;; [unrolled: 1-line block ×3, first 2 shown]
	v_bfe_u32 v28, v3, 29, 1
	v_alignbit_b32 v29, v3, v25, 30
	v_alignbit_b32 v25, v25, v31, 30
	;; [unrolled: 1-line block ×3, first 2 shown]
	v_sub_nc_u32_e32 v30, 0, v28
	v_xor_b32_e32 v29, v29, v30
	v_xor_b32_e32 v25, v25, v30
	;; [unrolled: 1-line block ×3, first 2 shown]
	v_lshrrev_b32_e32 v30, 29, v3
	v_lshrrev_b32_e32 v3, 30, v3
	v_ffbh_u32_e32 v32, v29
	v_min_u32_e32 v32, 32, v32
	v_sub_nc_u32_e32 v31, 31, v32
	v_lshlrev_b32_e32 v33, 23, v32
	v_alignbit_b32 v29, v29, v25, v31
	v_alignbit_b32 v24, v25, v24, v31
	v_lshlrev_b32_e32 v25, 31, v30
	v_alignbit_b32 v30, v29, v24, 9
	v_or_b32_e32 v31, 0.5, v25
	v_lshrrev_b32_e32 v29, 9, v29
	v_or_b32_e32 v25, 0x33000000, v25
	v_ffbh_u32_e32 v34, v30
	v_sub_nc_u32_e32 v31, v31, v33
	v_min_u32_e32 v33, 32, v34
	v_or_b32_e32 v29, v29, v31
	v_not_b32_e32 v31, v33
	v_mul_f32_e32 v34, 0x3fc90fda, v29
	v_add_lshl_u32 v32, v33, v32, 23
	v_alignbit_b32 v24, v30, v24, v31
	v_fma_f32 v30, 0x3fc90fda, v29, -v34
	v_sub_nc_u32_e32 v25, v25, v32
	v_lshrrev_b32_e32 v24, 9, v24
	v_fmac_f32_e32 v30, 0x33a22168, v29
	v_or_b32_e32 v24, v25, v24
	v_add_nc_u32_e32 v25, v28, v3
	v_fmac_f32_e32 v30, 0x3fc90fda, v24
	v_add_f32_e32 v24, v34, v30
.LBB347_50:                             ;   in Loop: Header=BB347_7 Depth=2
	s_or_saveexec_b32 s2, s35
	v_mul_f32_e64 v3, 0x3f22f983, |v10|
	v_rndne_f32_e32 v29, v3
	s_xor_b32 exec_lo, exec_lo, s2
; %bb.51:                               ;   in Loop: Header=BB347_7 Depth=2
	v_fma_f32 v24, 0xbfc90fda, v29, |v10|
	v_cvt_i32_f32_e32 v25, v29
	v_fmac_f32_e32 v24, 0xb3a22168, v29
	v_fmac_f32_e32 v24, 0xa7c234c4, v29
; %bb.52:                               ;   in Loop: Header=BB347_7 Depth=2
	s_or_b32 exec_lo, exec_lo, s2
                                        ; implicit-def: $vgpr28
                                        ; implicit-def: $vgpr3
	s_and_saveexec_b32 s2, s34
	s_xor_b32 s34, exec_lo, s2
	s_cbranch_execz .LBB347_54
; %bb.53:                               ;   in Loop: Header=BB347_7 Depth=2
	v_mad_u64_u32 v[28:29], null, 0xfe5163ab, v26, 0
	v_cmp_lt_u32_e64 s2, 63, v27
	v_cndmask_b32_e64 v34, 0, 0xffffffc0, s2
	v_mov_b32_e32 v3, v29
	v_add_nc_u32_e32 v27, v34, v27
	v_mad_u64_u32 v[29:30], null, 0x3c439041, v26, v[3:4]
	v_cmp_lt_u32_e64 s3, 31, v27
	v_mov_b32_e32 v3, v30
	v_cndmask_b32_e64 v35, 0, 0xffffffe0, s3
	v_mad_u64_u32 v[30:31], null, 0xdb629599, v26, v[3:4]
	v_mov_b32_e32 v3, v31
	v_cndmask_b32_e64 v28, v30, v28, s2
	v_mad_u64_u32 v[31:32], null, 0xf534ddc0, v26, v[3:4]
	;; [unrolled: 3-line block ×3, first 2 shown]
	v_mov_b32_e32 v3, v33
	v_mad_u64_u32 v[33:34], null, 0x4e441529, v26, v[3:4]
	v_mov_b32_e32 v3, v34
	v_add_nc_u32_e32 v34, v35, v27
	v_cndmask_b32_e64 v35, v33, v31, s2
	v_mad_u64_u32 v[26:27], null, 0xa2f9836e, v26, v[3:4]
	v_cmp_lt_u32_e64 s7, 31, v34
	v_cndmask_b32_e64 v3, 0, 0xffffffe0, s7
	v_cndmask_b32_e64 v26, v26, v32, s2
	;; [unrolled: 1-line block ×4, first 2 shown]
	v_add_nc_u32_e32 v3, v3, v34
	v_cndmask_b32_e64 v31, v26, v35, s3
	v_cndmask_b32_e64 v26, v27, v26, s3
	;; [unrolled: 1-line block ×4, first 2 shown]
	v_sub_nc_u32_e32 v33, 32, v3
	v_cmp_eq_u32_e64 s2, 0, v3
	v_cndmask_b32_e64 v26, v26, v31, s7
	v_cndmask_b32_e64 v31, v31, v27, s7
	;; [unrolled: 1-line block ×3, first 2 shown]
	v_alignbit_b32 v34, v26, v31, v33
	v_alignbit_b32 v30, v31, v27, v33
	v_cndmask_b32_e64 v3, v34, v26, s2
	v_cndmask_b32_e64 v26, v29, v28, s3
	;; [unrolled: 1-line block ×3, first 2 shown]
	v_bfe_u32 v29, v3, 29, 1
	v_cndmask_b32_e64 v26, v32, v26, s7
	v_alignbit_b32 v30, v3, v28, 30
	v_sub_nc_u32_e32 v31, 0, v29
	v_alignbit_b32 v32, v27, v26, v33
	v_xor_b32_e32 v30, v30, v31
	v_cndmask_b32_e64 v27, v32, v27, s2
	v_ffbh_u32_e32 v32, v30
	v_alignbit_b32 v28, v28, v27, 30
	v_alignbit_b32 v26, v27, v26, 30
	v_min_u32_e32 v32, 32, v32
	v_xor_b32_e32 v27, v28, v31
	v_xor_b32_e32 v26, v26, v31
	v_lshrrev_b32_e32 v31, 29, v3
	v_sub_nc_u32_e32 v28, 31, v32
	v_lshlrev_b32_e32 v33, 23, v32
	v_alignbit_b32 v30, v30, v27, v28
	v_alignbit_b32 v26, v27, v26, v28
	v_lshlrev_b32_e32 v27, 31, v31
	v_alignbit_b32 v28, v30, v26, 9
	v_or_b32_e32 v31, 0.5, v27
	v_lshrrev_b32_e32 v30, 9, v30
	v_or_b32_e32 v27, 0x33000000, v27
	v_ffbh_u32_e32 v34, v28
	v_sub_nc_u32_e32 v31, v31, v33
	v_min_u32_e32 v33, 32, v34
	v_or_b32_e32 v30, v30, v31
	v_not_b32_e32 v31, v33
	v_mul_f32_e32 v34, 0x3fc90fda, v30
	v_add_lshl_u32 v32, v33, v32, 23
	v_alignbit_b32 v26, v28, v26, v31
	v_fma_f32 v28, 0x3fc90fda, v30, -v34
	v_sub_nc_u32_e32 v27, v27, v32
	v_lshrrev_b32_e32 v26, 9, v26
	v_fmac_f32_e32 v28, 0x33a22168, v30
	v_or_b32_e32 v26, v27, v26
	v_fmac_f32_e32 v28, 0x3fc90fda, v26
	v_lshrrev_b32_e32 v26, 30, v3
	v_add_f32_e32 v3, v34, v28
	v_add_nc_u32_e32 v28, v29, v26
                                        ; implicit-def: $vgpr29
	s_andn2_saveexec_b32 s2, s34
	s_cbranch_execnz .LBB347_55
	s_branch .LBB347_56
.LBB347_54:                             ;   in Loop: Header=BB347_7 Depth=2
	s_andn2_saveexec_b32 s2, s34
.LBB347_55:                             ;   in Loop: Header=BB347_7 Depth=2
	v_fma_f32 v3, 0xbfc90fda, v29, |v10|
	v_cvt_i32_f32_e32 v28, v29
	v_fmac_f32_e32 v3, 0xb3a22168, v29
	v_fmac_f32_e32 v3, 0xa7c234c4, v29
.LBB347_56:                             ;   in Loop: Header=BB347_7 Depth=2
	s_or_b32 exec_lo, exec_lo, s2
	v_mul_f32_e32 v26, v11, v11
	v_mul_f32_e32 v29, v21, v21
	v_xor_b32_e32 v8, v9, v8
	v_lshlrev_b32_e32 v27, 30, v12
	v_and_b32_e32 v12, 1, v12
	v_fmaak_f32 v30, s22, v26, 0x3c0881c4
	v_fmaak_f32 v31, s21, v26, 0xbab64f3b
	;; [unrolled: 1-line block ×4, first 2 shown]
	v_and_b32_e32 v33, 1, v23
	v_fmaak_f32 v30, v26, v30, 0xbe2aaa9d
	v_fmaak_f32 v31, v26, v31, 0x3d2aabf7
	;; [unrolled: 1-line block ×4, first 2 shown]
	v_cmp_eq_u32_e64 s2, 0, v12
	v_mul_f32_e32 v30, v26, v30
	v_fmaak_f32 v31, v26, v31, 0xbf000004
	v_mul_f32_e32 v9, v29, v9
	v_fmaak_f32 v32, v29, v32, 0xbf000004
	v_lshlrev_b32_e32 v23, 30, v23
	v_fmac_f32_e32 v11, v11, v30
	v_fma_f32 v26, v26, v31, 1.0
	v_and_b32_e32 v27, 0x80000000, v27
	v_fmac_f32_e32 v21, v21, v9
	v_fma_f32 v9, v29, v32, 1.0
	v_mul_f32_e32 v12, v24, v24
	v_cndmask_b32_e64 v11, v26, v11, s2
	v_cmp_eq_u32_e64 s2, 0, v33
	v_mul_f32_e32 v26, v3, v3
	v_lshlrev_b32_e32 v30, 30, v25
	v_and_b32_e32 v25, 1, v25
	v_xor3_b32 v8, v8, v27, v11
	v_cndmask_b32_e64 v9, -v21, v9, s2
	v_and_b32_e32 v11, 0x80000000, v23
	v_fmaak_f32 v21, s22, v12, 0x3c0881c4
	v_fmaak_f32 v23, s21, v12, 0xbab64f3b
	;; [unrolled: 1-line block ×4, first 2 shown]
	v_cmp_eq_u32_e64 s2, 0, v25
	v_fmaak_f32 v21, v12, v21, 0xbe2aaa9d
	v_fmaak_f32 v23, v12, v23, 0x3d2aabf7
	;; [unrolled: 1-line block ×4, first 2 shown]
	v_cmp_class_f32_e64 s3, v10, 0x1f8
	v_mul_f32_e32 v21, v12, v21
	v_fmaak_f32 v23, v12, v23, 0xbf000004
	v_mul_f32_e32 v27, v26, v27
	v_fmaak_f32 v29, v26, v29, 0xbf000004
	v_and_b32_e32 v30, 0x80000000, v30
	v_fmac_f32_e32 v24, v24, v21
	v_fma_f32 v12, v12, v23, 1.0
	v_and_b32_e32 v23, 1, v28
	v_fmac_f32_e32 v3, v3, v27
	v_fma_f32 v21, v26, v29, 1.0
	v_lshlrev_b32_e32 v26, 30, v28
	v_cndmask_b32_e64 v12, v12, v24, s2
	v_cmp_eq_u32_e64 s2, 0, v23
	v_xor_b32_e32 v22, v22, v10
	v_cndmask_b32_e64 v3, -v3, v21, s2
	v_and_b32_e32 v21, 0x80000000, v26
	v_cmp_class_f32_e64 s2, v6, 0x1f8
	v_xor_b32_e32 v6, v11, v9
	v_xor3_b32 v9, v22, v30, v12
	v_xor_b32_e32 v3, v21, v3
	v_cndmask_b32_e64 v8, 0x7fc00000, v8, s2
	v_cndmask_b32_e64 v6, 0x7fc00000, v6, s2
	;; [unrolled: 1-line block ×4, first 2 shown]
	v_mul_f32_e32 v10, 0x7f800000, v6
	v_cmp_neq_f32_e64 s2, 0, v6
	v_mul_f32_e32 v12, 0x7f800000, v9
	v_mul_f32_e32 v11, 0x7f800000, v3
	v_cndmask_b32_e64 v6, 0, v10, s2
	v_cmp_neq_f32_e64 s2, 0, v3
	v_mul_f32_e32 v10, 0x7f800000, v8
	v_cndmask_b32_e64 v3, 0, v11, s2
	v_cmp_neq_f32_e64 s2, 0, v8
	v_add_f32_e32 v6, v6, v3
	v_cndmask_b32_e64 v8, 0, v10, s2
	v_cmp_neq_f32_e64 s2, 0, v9
	v_add_f32_e32 v21, -1.0, v6
	v_cndmask_b32_e64 v9, 0, v12, s2
	v_add_f32_e32 v3, v8, v9
	v_max_f32_e64 v10, |v21|, |v3|
	v_cvt_f64_f32_e32 v[8:9], v10
	v_cmp_eq_f32_e64 s2, 0x7f800000, v10
	v_frexp_exp_i32_f64_e32 v6, v[8:9]
	v_sub_nc_u32_e32 v8, 0, v6
	v_ldexp_f32 v9, |v3|, v8
	v_ldexp_f32 v8, |v21|, v8
	v_mul_f32_e32 v9, v9, v9
	v_fmac_f32_e32 v9, v8, v8
	v_sqrt_f32_e32 v8, v9
	v_ldexp_f32 v8, v8, v6
	v_add_f32_e32 v6, 1.0, v21
	v_cmp_ngt_f32_e64 s3, 0.5, v8
	v_max_f32_e64 v8, |v6|, |v3|
	s_or_b32 s2, s2, s3
	s_and_saveexec_b32 s3, s2
	s_xor_b32 s7, exec_lo, s3
	s_cbranch_execz .LBB347_58
; %bb.57:                               ;   in Loop: Header=BB347_7 Depth=2
	v_cvt_f64_f32_e32 v[9:10], v8
	v_cmp_neq_f32_e64 s2, 0x7f800000, v8
	v_frexp_exp_i32_f64_e32 v9, v[9:10]
	v_sub_nc_u32_e32 v10, 0, v9
	v_ldexp_f32 v11, |v3|, v10
	v_ldexp_f32 v10, |v6|, v10
	v_mul_f32_e32 v11, v11, v11
	v_fmac_f32_e32 v11, v10, v10
	v_sqrt_f32_e32 v10, v11
	v_ldexp_f32 v9, v10, v9
	v_cndmask_b32_e64 v9, 0x7f800000, v9, s2
	v_cmp_gt_f32_e64 s2, 0x800000, v9
	v_cndmask_b32_e64 v10, 0, 32, s2
	v_ldexp_f32 v9, v9, v10
	v_log_f32_e32 v9, v9
	v_mul_f32_e32 v10, 0x3f317217, v9
	v_cmp_gt_f32_e64 s3, 0x7f800000, |v9|
	v_fma_f32 v10, 0x3f317217, v9, -v10
	v_fmac_f32_e32 v10, 0x3377d1cf, v9
	v_fmac_f32_e32 v10, 0x3f317217, v9
	v_cndmask_b32_e64 v9, v9, v10, s3
	v_cndmask_b32_e64 v10, 0, 0x41b17218, s2
	v_sub_f32_e32 v21, v9, v10
.LBB347_58:                             ;   in Loop: Header=BB347_7 Depth=2
	s_andn2_saveexec_b32 s3, s7
	s_cbranch_execz .LBB347_62
; %bb.59:                               ;   in Loop: Header=BB347_7 Depth=2
	v_add_f32_e32 v9, 2.0, v21
	s_mov_b32 s7, exec_lo
	v_mul_f32_e32 v9, v21, v9
	v_fmac_f32_e32 v9, v3, v3
	v_cmpx_neq_f32_e32 0, v9
	s_cbranch_execz .LBB347_61
; %bb.60:                               ;   in Loop: Header=BB347_7 Depth=2
	v_add_f32_e32 v12, 1.0, v9
	v_cvt_f64_f32_e32 v[10:11], v12
	v_frexp_exp_i32_f64_e32 v10, v[10:11]
	v_frexp_mant_f32_e32 v11, v12
	v_cmp_gt_f32_e64 s2, 0x3f2aaaab, v11
	v_add_f32_e32 v11, -1.0, v12
	v_sub_f32_e32 v22, v11, v12
	v_sub_f32_e32 v11, v9, v11
	v_add_f32_e32 v22, 1.0, v22
	v_add_f32_e32 v11, v11, v22
	v_subrev_co_ci_u32_e64 v10, null, 0, v10, s2
	v_cmp_neq_f32_e64 s2, 0x7f800000, v9
	v_sub_nc_u32_e32 v21, 0, v10
	v_cvt_f32_i32_e32 v10, v10
	v_ldexp_f32 v12, v12, v21
	v_ldexp_f32 v11, v11, v21
	v_add_f32_e32 v23, 1.0, v12
	v_add_f32_e32 v21, -1.0, v12
	v_add_f32_e32 v22, -1.0, v23
	v_add_f32_e32 v24, 1.0, v21
	v_sub_f32_e32 v22, v12, v22
	v_sub_f32_e32 v12, v12, v24
	v_add_f32_e32 v22, v11, v22
	v_add_f32_e32 v11, v11, v12
	;; [unrolled: 1-line block ×4, first 2 shown]
	v_rcp_f32_e32 v12, v24
	v_sub_f32_e32 v23, v24, v23
	v_sub_f32_e32 v21, v25, v21
	;; [unrolled: 1-line block ×4, first 2 shown]
	v_mul_f32_e32 v26, v25, v12
	v_mul_f32_e32 v27, v24, v26
	v_fma_f32 v23, v26, v24, -v27
	v_fmac_f32_e32 v23, v26, v22
	v_add_f32_e32 v28, v27, v23
	v_sub_f32_e32 v29, v25, v28
	v_sub_f32_e32 v21, v28, v27
	;; [unrolled: 1-line block ×5, first 2 shown]
	v_add_f32_e32 v11, v11, v25
	v_add_f32_e32 v11, v21, v11
	v_add_f32_e32 v21, v29, v11
	v_mul_f32_e32 v23, v12, v21
	v_sub_f32_e32 v28, v29, v21
	v_mul_f32_e32 v25, v24, v23
	v_add_f32_e32 v11, v11, v28
	v_fma_f32 v24, v23, v24, -v25
	v_fmac_f32_e32 v24, v23, v22
	v_add_f32_e32 v22, v25, v24
	v_sub_f32_e32 v27, v21, v22
	v_sub_f32_e32 v25, v22, v25
	;; [unrolled: 1-line block ×5, first 2 shown]
	v_add_f32_e32 v11, v11, v21
	v_add_f32_e32 v21, v26, v23
	v_add_f32_e32 v11, v22, v11
	v_sub_f32_e32 v22, v21, v26
	v_add_f32_e32 v11, v27, v11
	v_sub_f32_e32 v22, v23, v22
	v_mul_f32_e32 v11, v12, v11
	v_add_f32_e32 v11, v22, v11
	v_add_f32_e32 v12, v21, v11
	v_mul_f32_e32 v22, v12, v12
	v_fmaak_f32 v23, s23, v22, 0x3ecc95a3
	v_mul_f32_e32 v24, v12, v22
	v_fmaak_f32 v22, v22, v23, 0x3f2aaada
	v_ldexp_f32 v23, v12, 1
	v_sub_f32_e32 v12, v12, v21
	v_mul_f32_e32 v22, v24, v22
	v_mul_f32_e32 v24, 0x3f317218, v10
	v_sub_f32_e32 v11, v11, v12
	v_add_f32_e32 v21, v23, v22
	v_ldexp_f32 v11, v11, 1
	v_sub_f32_e32 v12, v21, v23
	v_fma_f32 v23, 0x3f317218, v10, -v24
	v_sub_f32_e32 v12, v22, v12
	v_fmac_f32_e32 v23, 0xb102e308, v10
	v_add_f32_e32 v10, v11, v12
	v_add_f32_e32 v11, v24, v23
	;; [unrolled: 1-line block ×3, first 2 shown]
	v_sub_f32_e32 v24, v11, v24
	v_add_f32_e32 v22, v11, v12
	v_sub_f32_e32 v21, v12, v21
	v_sub_f32_e32 v23, v23, v24
	;; [unrolled: 1-line block ×6, first 2 shown]
	v_add_f32_e32 v21, v23, v10
	v_sub_f32_e32 v11, v11, v26
	v_add_f32_e32 v11, v12, v11
	v_sub_f32_e32 v12, v21, v23
	;; [unrolled: 2-line block ×3, first 2 shown]
	v_sub_f32_e32 v10, v10, v12
	v_add_f32_e32 v24, v22, v11
	v_sub_f32_e32 v21, v23, v21
	v_sub_f32_e32 v12, v24, v22
	v_add_f32_e32 v10, v10, v21
	v_sub_f32_e32 v11, v11, v12
	v_add_f32_e32 v10, v10, v11
	v_add_f32_e32 v10, v24, v10
	v_cndmask_b32_e64 v10, 0x7f800000, v10, s2
	v_cmp_ngt_f32_e64 s2, -1.0, v9
	v_cndmask_b32_e64 v10, 0x7fc00000, v10, s2
	v_cmp_neq_f32_e64 s2, -1.0, v9
	v_cndmask_b32_e64 v10, 0xff800000, v10, s2
	v_cmp_gt_f32_e64 s2, 0x33800000, |v9|
	v_cndmask_b32_e64 v9, v10, v9, s2
	v_mul_f32_e32 v21, 0.5, v9
.LBB347_61:                             ;   in Loop: Header=BB347_7 Depth=2
	s_or_b32 exec_lo, exec_lo, s7
.LBB347_62:                             ;   in Loop: Header=BB347_7 Depth=2
	s_or_b32 exec_lo, exec_lo, s3
	v_max_f32_e64 v9, |v3|, |v3|
	v_max_f32_e64 v10, |v6|, |v6|
	v_frexp_mant_f32_e32 v11, v8
	v_frexp_exp_i32_f32_e32 v8, v8
	v_cmp_gt_f32_e64 s2, |v3|, |v6|
	v_cmp_gt_i32_e64 s3, 0, v6
	v_min_f32_e32 v9, v10, v9
	v_rcp_f32_e32 v10, v11
	v_cmp_class_f32_e64 s7, v6, 0x204
	v_frexp_mant_f32_e32 v11, v9
	v_frexp_exp_i32_f32_e32 v9, v9
	v_mul_f32_e32 v10, v11, v10
	v_sub_nc_u32_e32 v8, v9, v8
	v_cndmask_b32_e64 v11, 0, 0x40490fdb, s3
	v_cmp_class_f32_e64 s3, v3, 0x204
	v_ldexp_f32 v8, v10, v8
	v_mul_f32_e32 v9, v8, v8
	v_fmaak_f32 v10, s27, v9, 0xbc7a590c
	v_fmaak_f32 v10, v9, v10, 0x3d29fb3f
	;; [unrolled: 1-line block ×7, first 2 shown]
	v_mul_f32_e32 v9, v9, v10
	v_fmac_f32_e32 v8, v8, v9
	v_sub_f32_e32 v9, 0x3fc90fdb, v8
	v_cndmask_b32_e64 v8, v8, v9, s2
	v_cmp_gt_f32_e64 s2, 0, v6
	v_sub_f32_e32 v9, 0x40490fdb, v8
	v_cndmask_b32_e64 v10, 0x3f490fdb, v14, s2
	v_cndmask_b32_e64 v8, v8, v9, s2
	v_cmp_eq_f32_e64 s2, 0, v3
	v_cndmask_b32_e64 v8, v8, v11, s2
	s_and_b32 s2, s3, s7
	v_cndmask_b32_e64 v8, v8, v10, s2
	v_cmp_o_f32_e64 s2, v6, v3
	v_cndmask_b32_e64 v6, 0x7fc00000, v8, s2
	v_bfi_b32 v6, 0x7fffffff, v6, v3
.LBB347_63:                             ;   in Loop: Header=BB347_7 Depth=2
	s_or_b32 exec_lo, exec_lo, s33
.LBB347_64:                             ;   in Loop: Header=BB347_7 Depth=2
	s_or_b32 exec_lo, exec_lo, s31
	v_mov_b32_e32 v11, v21
	v_mov_b32_e32 v12, v6
.LBB347_65:                             ;   in Loop: Header=BB347_7 Depth=2
	s_or_b32 exec_lo, exec_lo, s30
	ds_write_b64 v13, v[11:12]
.LBB347_66:                             ;   in Loop: Header=BB347_7 Depth=2
	s_or_b32 exec_lo, exec_lo, s29
	v_mov_b32_e32 v3, 0
	s_mov_b32 s29, 0
	s_waitcnt lgkmcnt(0)
	s_barrier
	buffer_gl0_inv
	s_branch .LBB347_73
.LBB347_67:                             ;   in Loop: Header=BB347_73 Depth=3
	s_or_b32 exec_lo, exec_lo, s7
.LBB347_68:                             ;   in Loop: Header=BB347_73 Depth=3
	s_or_b32 exec_lo, exec_lo, s3
	v_max_f32_e64 v10, |v3|, |v3|
	v_max_f32_e64 v11, |v8|, |v8|
	v_frexp_mant_f32_e32 v21, v9
	v_frexp_exp_i32_f32_e32 v9, v9
	v_cmp_gt_f32_e64 s2, |v3|, |v8|
	v_cmp_gt_i32_e64 s3, 0, v8
	v_min_f32_e32 v10, v11, v10
	v_rcp_f32_e32 v11, v21
	v_cmp_class_f32_e64 s7, v8, 0x204
	v_frexp_mant_f32_e32 v21, v10
	v_frexp_exp_i32_f32_e32 v10, v10
	v_mul_f32_e32 v11, v21, v11
	v_sub_nc_u32_e32 v9, v10, v9
	v_cndmask_b32_e64 v21, 0, 0x40490fdb, s3
	v_cmp_class_f32_e64 s3, v3, 0x204
	v_ldexp_f32 v9, v11, v9
	v_mul_f32_e32 v10, v9, v9
	v_fmaak_f32 v11, s27, v10, 0xbc7a590c
	v_fmaak_f32 v11, v10, v11, 0x3d29fb3f
	;; [unrolled: 1-line block ×7, first 2 shown]
	v_mul_f32_e32 v10, v10, v11
	v_fmac_f32_e32 v9, v9, v10
	v_sub_f32_e32 v10, 0x3fc90fdb, v9
	v_cndmask_b32_e64 v9, v9, v10, s2
	v_cmp_gt_f32_e64 s2, 0, v8
	v_sub_f32_e32 v10, 0x40490fdb, v9
	v_cndmask_b32_e64 v11, 0x3f490fdb, v14, s2
	v_cndmask_b32_e64 v9, v9, v10, s2
	v_cmp_eq_f32_e64 s2, 0, v3
	v_cndmask_b32_e64 v9, v9, v21, s2
	s_and_b32 s2, s3, s7
	v_cndmask_b32_e64 v9, v9, v11, s2
	v_cmp_o_f32_e64 s2, v8, v3
	v_cndmask_b32_e64 v8, 0x7fc00000, v9, s2
	v_bfi_b32 v21, 0x7fffffff, v8, v3
.LBB347_69:                             ;   in Loop: Header=BB347_73 Depth=3
	s_or_b32 exec_lo, exec_lo, s34
.LBB347_70:                             ;   in Loop: Header=BB347_73 Depth=3
	s_or_b32 exec_lo, exec_lo, s33
	v_mov_b32_e32 v10, v23
	v_mov_b32_e32 v11, v21
.LBB347_71:                             ;   in Loop: Header=BB347_73 Depth=3
	s_or_b32 exec_lo, exec_lo, s31
	ds_write_b64 v12, v[10:11]
.LBB347_72:                             ;   in Loop: Header=BB347_73 Depth=3
	s_or_b32 exec_lo, exec_lo, s30
	v_cmp_eq_u32_e64 s2, s25, v6
	v_mov_b32_e32 v3, v6
	s_waitcnt lgkmcnt(0)
	s_barrier
	buffer_gl0_inv
	s_or_b32 s29, s2, s29
	s_andn2_b32 exec_lo, exec_lo, s29
	s_cbranch_execz .LBB347_120
.LBB347_73:                             ;   Parent Loop BB347_4 Depth=1
                                        ;     Parent Loop BB347_7 Depth=2
                                        ; =>    This Inner Loop Header: Depth=3
	v_add_nc_u32_e32 v6, 1, v3
	s_and_saveexec_b32 s2, s1
	s_xor_b32 s2, exec_lo, s2
; %bb.74:                               ;   in Loop: Header=BB347_73 Depth=3
	v_add_nc_u32_e32 v6, 1, v3
                                        ; implicit-def: $vgpr3
; %bb.75:                               ;   in Loop: Header=BB347_73 Depth=3
	s_andn2_saveexec_b32 s30, s2
	s_cbranch_execz .LBB347_72
; %bb.76:                               ;   in Loop: Header=BB347_73 Depth=3
	v_lshlrev_b32_e64 v8, v3, 1
	v_lshrrev_b32_e32 v9, v3, v0
	v_bfm_b32 v3, v3, 0
	v_lshl_or_b32 v8, v9, v6, v8
	v_and_b32_e32 v3, v3, v0
	v_lshl_add_u32 v10, v8, 3, v13
	v_add_nc_u32_e32 v8, -8, v10
	v_lshl_add_u32 v12, v3, 3, v10
	ds_read_b64 v[8:9], v8
	ds_read_b64 v[10:11], v12
	s_waitcnt lgkmcnt(1)
	v_cmp_o_f32_e64 s2, v8, v9
	v_mov_b32_e32 v21, v9
	v_mov_b32_e32 v23, v8
	;; [unrolled: 1-line block ×3, first 2 shown]
	s_and_saveexec_b32 s31, s2
	s_cbranch_execz .LBB347_78
; %bb.77:                               ;   in Loop: Header=BB347_73 Depth=3
	s_waitcnt lgkmcnt(0)
	v_cmp_u_f32_e64 s3, v10, v11
	v_cmp_lt_f32_e64 s7, v10, v8
	s_or_b32 s3, s3, s7
	v_cndmask_b32_e64 v21, v9, v11, s3
	v_cndmask_b32_e64 v23, v8, v10, s3
	v_mov_b32_e32 v22, v21
.LBB347_78:                             ;   in Loop: Header=BB347_73 Depth=3
	s_or_b32 exec_lo, exec_lo, s31
	s_and_saveexec_b32 s7, s2
	s_cbranch_execz .LBB347_80
; %bb.79:                               ;   in Loop: Header=BB347_73 Depth=3
	s_waitcnt lgkmcnt(0)
	v_cmp_u_f32_e64 s2, v10, v11
	v_cmp_ge_f32_e64 s3, v10, v8
	s_or_b32 s2, s2, s3
	v_cndmask_b32_e64 v9, v9, v11, s2
	v_cndmask_b32_e64 v8, v8, v10, s2
.LBB347_80:                             ;   in Loop: Header=BB347_73 Depth=3
	s_or_b32 exec_lo, exec_lo, s7
	s_waitcnt lgkmcnt(0)
	v_mov_b32_e32 v10, 0x7fc00000
	v_mov_b32_e32 v11, 0x7fc00000
	s_mov_b32 s31, exec_lo
	v_cmpx_o_f32_e32 v23, v21
	s_cbranch_execz .LBB347_71
; %bb.81:                               ;   in Loop: Header=BB347_73 Depth=3
	v_cmp_class_f32_e64 s3, v23, 0x1f8
	v_cmp_neq_f32_e64 s2, v8, v23
	s_or_b32 s2, s3, s2
	s_and_saveexec_b32 s3, s2
	s_xor_b32 s33, exec_lo, s3
	s_cbranch_execz .LBB347_97
; %bb.82:                               ;   in Loop: Header=BB347_73 Depth=3
	v_sub_f32_e32 v10, v21, v9
                                        ; implicit-def: $vgpr22
                                        ; implicit-def: $vgpr21
	v_and_b32_e32 v11, 0x7fffffff, v10
	v_cmp_ngt_f32_e64 s34, 0x48000000, |v10|
	v_lshrrev_b32_e32 v3, 23, v11
	v_and_or_b32 v24, v11, s20, 0x800000
	v_add_nc_u32_e32 v25, 0xffffff88, v3
	s_and_saveexec_b32 s2, s34
	s_xor_b32 s35, exec_lo, s2
	s_cbranch_execz .LBB347_84
; %bb.83:                               ;   in Loop: Header=BB347_73 Depth=3
	v_mad_u64_u32 v[21:22], null, 0xfe5163ab, v24, 0
	v_cmp_lt_u32_e64 s2, 63, v25
	v_mov_b32_e32 v3, v22
	v_cndmask_b32_e64 v22, 0, 0xffffffc0, s2
	v_mad_u64_u32 v[26:27], null, 0x3c439041, v24, v[3:4]
	v_add_nc_u32_e32 v22, v22, v25
	v_cmp_lt_u32_e64 s3, 31, v22
	v_mov_b32_e32 v3, v27
	v_cndmask_b32_e64 v32, 0, 0xffffffe0, s3
	v_mad_u64_u32 v[27:28], null, 0xdb629599, v24, v[3:4]
	v_add_nc_u32_e32 v22, v32, v22
	v_mov_b32_e32 v3, v28
	v_cmp_lt_u32_e64 s7, 31, v22
	v_cndmask_b32_e64 v21, v27, v21, s2
	v_mad_u64_u32 v[28:29], null, 0xf534ddc0, v24, v[3:4]
	v_mov_b32_e32 v3, v29
	v_mad_u64_u32 v[29:30], null, 0xfc2757d1, v24, v[3:4]
	v_mov_b32_e32 v3, v30
	;; [unrolled: 2-line block ×3, first 2 shown]
	v_cndmask_b32_e64 v33, v30, v28, s2
	v_mad_u64_u32 v[31:32], null, 0xa2f9836e, v24, v[3:4]
	v_cndmask_b32_e64 v3, 0, 0xffffffe0, s7
	v_add_nc_u32_e32 v3, v3, v22
	v_cndmask_b32_e64 v31, v31, v29, s2
	v_cndmask_b32_e64 v30, v32, v30, s2
	;; [unrolled: 1-line block ×4, first 2 shown]
	v_cmp_eq_u32_e64 s2, 0, v3
	v_cndmask_b32_e64 v26, v31, v33, s3
	v_cndmask_b32_e64 v28, v30, v31, s3
	;; [unrolled: 1-line block ×3, first 2 shown]
	v_sub_nc_u32_e32 v31, 32, v3
	v_cndmask_b32_e64 v29, v29, v22, s3
	v_cndmask_b32_e64 v21, v22, v21, s3
	;; [unrolled: 1-line block ×6, first 2 shown]
	v_alignbit_b32 v32, v28, v26, v31
	v_alignbit_b32 v27, v26, v30, v31
	;; [unrolled: 1-line block ×3, first 2 shown]
	v_cndmask_b32_e64 v3, v32, v28, s2
	v_cndmask_b32_e64 v22, v27, v26, s2
	;; [unrolled: 1-line block ×3, first 2 shown]
	v_bfe_u32 v26, v3, 29, 1
	v_alignbit_b32 v27, v3, v22, 30
	v_alignbit_b32 v22, v22, v29, 30
	;; [unrolled: 1-line block ×3, first 2 shown]
	v_sub_nc_u32_e32 v28, 0, v26
	v_xor_b32_e32 v27, v27, v28
	v_xor_b32_e32 v22, v22, v28
	;; [unrolled: 1-line block ×3, first 2 shown]
	v_lshrrev_b32_e32 v28, 29, v3
	v_lshrrev_b32_e32 v3, 30, v3
	v_ffbh_u32_e32 v30, v27
	v_min_u32_e32 v30, 32, v30
	v_sub_nc_u32_e32 v29, 31, v30
	v_lshlrev_b32_e32 v31, 23, v30
	v_alignbit_b32 v27, v27, v22, v29
	v_alignbit_b32 v21, v22, v21, v29
	v_lshlrev_b32_e32 v22, 31, v28
	v_alignbit_b32 v28, v27, v21, 9
	v_or_b32_e32 v29, 0.5, v22
	v_lshrrev_b32_e32 v27, 9, v27
	v_or_b32_e32 v22, 0x33000000, v22
	v_ffbh_u32_e32 v32, v28
	v_sub_nc_u32_e32 v29, v29, v31
	v_min_u32_e32 v31, 32, v32
	v_or_b32_e32 v27, v27, v29
	v_not_b32_e32 v29, v31
	v_mul_f32_e32 v32, 0x3fc90fda, v27
	v_add_lshl_u32 v30, v31, v30, 23
	v_alignbit_b32 v21, v28, v21, v29
	v_fma_f32 v28, 0x3fc90fda, v27, -v32
	v_sub_nc_u32_e32 v22, v22, v30
	v_lshrrev_b32_e32 v21, 9, v21
	v_fmac_f32_e32 v28, 0x33a22168, v27
	v_or_b32_e32 v21, v22, v21
	v_add_nc_u32_e32 v22, v26, v3
	v_fmac_f32_e32 v28, 0x3fc90fda, v21
	v_add_f32_e32 v21, v32, v28
.LBB347_84:                             ;   in Loop: Header=BB347_73 Depth=3
	s_or_saveexec_b32 s2, s35
	v_mul_f32_e64 v3, 0x3f22f983, |v10|
	v_rndne_f32_e32 v27, v3
	s_xor_b32 exec_lo, exec_lo, s2
; %bb.85:                               ;   in Loop: Header=BB347_73 Depth=3
	v_fma_f32 v21, 0xbfc90fda, v27, |v10|
	v_cvt_i32_f32_e32 v22, v27
	v_fmac_f32_e32 v21, 0xb3a22168, v27
	v_fmac_f32_e32 v21, 0xa7c234c4, v27
; %bb.86:                               ;   in Loop: Header=BB347_73 Depth=3
	s_or_b32 exec_lo, exec_lo, s2
                                        ; implicit-def: $vgpr26
                                        ; implicit-def: $vgpr3
	s_and_saveexec_b32 s2, s34
	s_xor_b32 s34, exec_lo, s2
	s_cbranch_execz .LBB347_88
; %bb.87:                               ;   in Loop: Header=BB347_73 Depth=3
	v_mad_u64_u32 v[26:27], null, 0xfe5163ab, v24, 0
	v_cmp_lt_u32_e64 s2, 63, v25
	v_cndmask_b32_e64 v32, 0, 0xffffffc0, s2
	v_mov_b32_e32 v3, v27
	v_add_nc_u32_e32 v25, v32, v25
	v_mad_u64_u32 v[27:28], null, 0x3c439041, v24, v[3:4]
	v_cmp_lt_u32_e64 s3, 31, v25
	v_mov_b32_e32 v3, v28
	v_cndmask_b32_e64 v33, 0, 0xffffffe0, s3
	v_mad_u64_u32 v[28:29], null, 0xdb629599, v24, v[3:4]
	v_mov_b32_e32 v3, v29
	v_cndmask_b32_e64 v26, v28, v26, s2
	v_mad_u64_u32 v[29:30], null, 0xf534ddc0, v24, v[3:4]
	;; [unrolled: 3-line block ×3, first 2 shown]
	v_mov_b32_e32 v3, v31
	v_mad_u64_u32 v[31:32], null, 0x4e441529, v24, v[3:4]
	v_mov_b32_e32 v3, v32
	v_add_nc_u32_e32 v32, v33, v25
	v_cndmask_b32_e64 v33, v31, v29, s2
	v_mad_u64_u32 v[24:25], null, 0xa2f9836e, v24, v[3:4]
	v_cmp_lt_u32_e64 s7, 31, v32
	v_cndmask_b32_e64 v3, 0, 0xffffffe0, s7
	v_cndmask_b32_e64 v24, v24, v30, s2
	;; [unrolled: 1-line block ×4, first 2 shown]
	v_add_nc_u32_e32 v3, v3, v32
	v_cndmask_b32_e64 v29, v24, v33, s3
	v_cndmask_b32_e64 v24, v25, v24, s3
	v_cndmask_b32_e64 v25, v33, v30, s3
	v_cndmask_b32_e64 v30, v30, v27, s3
	v_sub_nc_u32_e32 v31, 32, v3
	v_cmp_eq_u32_e64 s2, 0, v3
	v_cndmask_b32_e64 v24, v24, v29, s7
	v_cndmask_b32_e64 v29, v29, v25, s7
	;; [unrolled: 1-line block ×3, first 2 shown]
	v_alignbit_b32 v32, v24, v29, v31
	v_alignbit_b32 v28, v29, v25, v31
	v_cndmask_b32_e64 v3, v32, v24, s2
	v_cndmask_b32_e64 v24, v27, v26, s3
	;; [unrolled: 1-line block ×3, first 2 shown]
	v_bfe_u32 v27, v3, 29, 1
	v_cndmask_b32_e64 v24, v30, v24, s7
	v_alignbit_b32 v28, v3, v26, 30
	v_sub_nc_u32_e32 v29, 0, v27
	v_alignbit_b32 v30, v25, v24, v31
	v_xor_b32_e32 v28, v28, v29
	v_cndmask_b32_e64 v25, v30, v25, s2
	v_ffbh_u32_e32 v30, v28
	v_alignbit_b32 v26, v26, v25, 30
	v_alignbit_b32 v24, v25, v24, 30
	v_min_u32_e32 v30, 32, v30
	v_xor_b32_e32 v25, v26, v29
	v_xor_b32_e32 v24, v24, v29
	v_lshrrev_b32_e32 v29, 29, v3
	v_sub_nc_u32_e32 v26, 31, v30
	v_lshlrev_b32_e32 v31, 23, v30
	v_alignbit_b32 v28, v28, v25, v26
	v_alignbit_b32 v24, v25, v24, v26
	v_lshlrev_b32_e32 v25, 31, v29
	v_alignbit_b32 v26, v28, v24, 9
	v_or_b32_e32 v29, 0.5, v25
	v_lshrrev_b32_e32 v28, 9, v28
	v_or_b32_e32 v25, 0x33000000, v25
	v_ffbh_u32_e32 v32, v26
	v_sub_nc_u32_e32 v29, v29, v31
	v_min_u32_e32 v31, 32, v32
	v_or_b32_e32 v28, v28, v29
	v_not_b32_e32 v29, v31
	v_mul_f32_e32 v32, 0x3fc90fda, v28
	v_add_lshl_u32 v30, v31, v30, 23
	v_alignbit_b32 v24, v26, v24, v29
	v_fma_f32 v26, 0x3fc90fda, v28, -v32
	v_sub_nc_u32_e32 v25, v25, v30
	v_lshrrev_b32_e32 v24, 9, v24
	v_fmac_f32_e32 v26, 0x33a22168, v28
	v_or_b32_e32 v24, v25, v24
	v_fmac_f32_e32 v26, 0x3fc90fda, v24
	v_lshrrev_b32_e32 v24, 30, v3
	v_add_f32_e32 v3, v32, v26
	v_add_nc_u32_e32 v26, v27, v24
                                        ; implicit-def: $vgpr27
	s_andn2_saveexec_b32 s2, s34
	s_cbranch_execnz .LBB347_89
	s_branch .LBB347_90
.LBB347_88:                             ;   in Loop: Header=BB347_73 Depth=3
	s_andn2_saveexec_b32 s2, s34
.LBB347_89:                             ;   in Loop: Header=BB347_73 Depth=3
	v_fma_f32 v3, 0xbfc90fda, v27, |v10|
	v_cvt_i32_f32_e32 v26, v27
	v_fmac_f32_e32 v3, 0xb3a22168, v27
	v_fmac_f32_e32 v3, 0xa7c234c4, v27
.LBB347_90:                             ;   in Loop: Header=BB347_73 Depth=3
	s_or_b32 exec_lo, exec_lo, s2
	v_sub_f32_e32 v23, v23, v8
	v_mul_f32_e32 v27, v21, v21
	v_mul_f32_e32 v28, v3, v3
	v_lshlrev_b32_e32 v24, 30, v22
	v_and_b32_e32 v22, 1, v22
	v_mul_f32_e32 v25, 0x3fb8aa3b, v23
	v_fmaak_f32 v32, s21, v27, 0xbab64f3b
	v_fmaak_f32 v33, s22, v27, 0x3c0881c4
	;; [unrolled: 1-line block ×4, first 2 shown]
	v_fma_f32 v30, 0x3fb8aa3b, v23, -v25
	v_rndne_f32_e32 v31, v25
	v_and_b32_e32 v29, 1, v26
	v_cmp_eq_u32_e64 s2, 0, v22
	v_lshlrev_b32_e32 v26, 30, v26
	v_fmac_f32_e32 v30, 0x32a5705f, v23
	v_sub_f32_e32 v25, v25, v31
	v_cvt_i32_f32_e32 v31, v31
	v_xor_b32_e32 v11, v11, v10
	v_and_b32_e32 v24, 0x80000000, v24
	v_and_b32_e32 v26, 0x80000000, v26
	v_add_f32_e32 v25, v25, v30
	v_fmaak_f32 v30, v27, v32, 0x3d2aabf7
	v_fmaak_f32 v32, v27, v33, 0xbe2aaa9d
	;; [unrolled: 1-line block ×4, first 2 shown]
	v_exp_f32_e32 v25, v25
	v_fmaak_f32 v30, v27, v30, 0xbf000004
	v_mul_f32_e32 v32, v27, v32
	v_mul_f32_e32 v33, v28, v33
	v_fmaak_f32 v34, v28, v34, 0xbf000004
	v_cmp_nlt_f32_e64 s3, 0x42b17218, v23
	v_fma_f32 v27, v27, v30, 1.0
	v_fmac_f32_e32 v21, v21, v32
	v_fmac_f32_e32 v3, v3, v33
	v_fma_f32 v28, v28, v34, 1.0
	v_ldexp_f32 v25, v25, v31
	v_cndmask_b32_e64 v21, -v21, v27, s2
	v_cmp_eq_u32_e64 s2, 0, v29
	v_xor_b32_e32 v21, v24, v21
	v_cndmask_b32_e64 v3, v28, v3, s2
	v_cmp_ngt_f32_e64 s2, 0xc2ce8ed0, v23
	v_xor3_b32 v3, v11, v26, v3
	v_cndmask_b32_e64 v22, 0, v25, s2
	v_cmp_class_f32_e64 s2, v10, 0x1f8
	v_cndmask_b32_e64 v23, 0x7f800000, v22, s3
	v_cndmask_b32_e64 v21, 0x7fc00000, v21, s2
	;; [unrolled: 1-line block ×3, first 2 shown]
	v_mul_f32_e32 v22, v23, v21
	v_mul_f32_e32 v3, v23, v3
	v_max_f32_e64 v24, |v22|, |v3|
	v_cvt_f64_f32_e32 v[10:11], v24
	v_cmp_eq_f32_e64 s2, 0x7f800000, v24
	v_frexp_exp_i32_f64_e32 v10, v[10:11]
	v_sub_nc_u32_e32 v11, 0, v10
	v_ldexp_f32 v25, |v3|, v11
	v_ldexp_f32 v11, |v22|, v11
	v_mul_f32_e32 v25, v25, v25
	v_fmac_f32_e32 v25, v11, v11
	v_sqrt_f32_e32 v11, v25
	v_ldexp_f32 v11, v11, v10
	v_fma_f32 v10, v23, v21, 1.0
	v_cmp_ngt_f32_e64 s3, 0.5, v11
	v_max_f32_e64 v11, |v10|, |v3|
	s_or_b32 s2, s2, s3
	s_and_saveexec_b32 s3, s2
	s_xor_b32 s7, exec_lo, s3
	s_cbranch_execz .LBB347_92
; %bb.91:                               ;   in Loop: Header=BB347_73 Depth=3
	v_cvt_f64_f32_e32 v[21:22], v11
	v_cmp_neq_f32_e64 s2, 0x7f800000, v11
	v_frexp_exp_i32_f64_e32 v21, v[21:22]
	v_sub_nc_u32_e32 v22, 0, v21
	v_ldexp_f32 v23, |v3|, v22
	v_ldexp_f32 v22, |v10|, v22
	v_mul_f32_e32 v23, v23, v23
	v_fmac_f32_e32 v23, v22, v22
	v_sqrt_f32_e32 v22, v23
	v_ldexp_f32 v21, v22, v21
	v_cndmask_b32_e64 v21, 0x7f800000, v21, s2
	v_cmp_gt_f32_e64 s2, 0x800000, v21
	v_cndmask_b32_e64 v22, 0, 32, s2
	v_ldexp_f32 v21, v21, v22
	v_log_f32_e32 v21, v21
	v_mul_f32_e32 v22, 0x3f317217, v21
	v_cmp_gt_f32_e64 s3, 0x7f800000, |v21|
	v_fma_f32 v22, 0x3f317217, v21, -v22
	v_fmac_f32_e32 v22, 0x3377d1cf, v21
	v_fmac_f32_e32 v22, 0x3f317217, v21
	v_cndmask_b32_e64 v21, v21, v22, s3
	v_cndmask_b32_e64 v22, 0, 0x41b17218, s2
	v_sub_f32_e32 v22, v21, v22
.LBB347_92:                             ;   in Loop: Header=BB347_73 Depth=3
	s_andn2_saveexec_b32 s3, s7
	s_cbranch_execz .LBB347_96
; %bb.93:                               ;   in Loop: Header=BB347_73 Depth=3
	v_add_f32_e32 v23, 2.0, v22
	v_mul_f32_e32 v21, v3, v3
	s_mov_b32 s7, exec_lo
	v_fmac_f32_e32 v21, v22, v23
	v_cmpx_neq_f32_e32 0, v21
	s_cbranch_execz .LBB347_95
; %bb.94:                               ;   in Loop: Header=BB347_73 Depth=3
	v_add_f32_e32 v24, 1.0, v21
	v_cvt_f64_f32_e32 v[22:23], v24
	v_frexp_exp_i32_f64_e32 v22, v[22:23]
	v_frexp_mant_f32_e32 v23, v24
	v_cmp_gt_f32_e64 s2, 0x3f2aaaab, v23
	v_add_f32_e32 v23, -1.0, v24
	v_sub_f32_e32 v26, v23, v24
	v_sub_f32_e32 v23, v21, v23
	v_add_f32_e32 v26, 1.0, v26
	v_add_f32_e32 v23, v23, v26
	v_subrev_co_ci_u32_e64 v22, null, 0, v22, s2
	v_cmp_neq_f32_e64 s2, 0x7f800000, v21
	v_sub_nc_u32_e32 v25, 0, v22
	v_cvt_f32_i32_e32 v22, v22
	v_ldexp_f32 v24, v24, v25
	v_ldexp_f32 v23, v23, v25
	v_add_f32_e32 v27, 1.0, v24
	v_add_f32_e32 v25, -1.0, v24
	v_add_f32_e32 v26, -1.0, v27
	v_add_f32_e32 v28, 1.0, v25
	v_sub_f32_e32 v26, v24, v26
	v_sub_f32_e32 v24, v24, v28
	v_add_f32_e32 v26, v23, v26
	v_add_f32_e32 v23, v23, v24
	;; [unrolled: 1-line block ×4, first 2 shown]
	v_rcp_f32_e32 v24, v28
	v_sub_f32_e32 v27, v28, v27
	v_sub_f32_e32 v25, v29, v25
	;; [unrolled: 1-line block ×4, first 2 shown]
	v_mul_f32_e32 v30, v29, v24
	v_mul_f32_e32 v31, v28, v30
	v_fma_f32 v27, v30, v28, -v31
	v_fmac_f32_e32 v27, v30, v26
	v_add_f32_e32 v32, v31, v27
	v_sub_f32_e32 v33, v29, v32
	v_sub_f32_e32 v25, v32, v31
	;; [unrolled: 1-line block ×5, first 2 shown]
	v_add_f32_e32 v23, v23, v29
	v_add_f32_e32 v23, v25, v23
	;; [unrolled: 1-line block ×3, first 2 shown]
	v_mul_f32_e32 v27, v24, v25
	v_sub_f32_e32 v32, v33, v25
	v_mul_f32_e32 v29, v28, v27
	v_add_f32_e32 v23, v23, v32
	v_fma_f32 v28, v27, v28, -v29
	v_fmac_f32_e32 v28, v27, v26
	v_add_f32_e32 v26, v29, v28
	v_sub_f32_e32 v31, v25, v26
	v_sub_f32_e32 v29, v26, v29
	;; [unrolled: 1-line block ×5, first 2 shown]
	v_add_f32_e32 v23, v23, v25
	v_add_f32_e32 v25, v30, v27
	;; [unrolled: 1-line block ×3, first 2 shown]
	v_sub_f32_e32 v26, v25, v30
	v_add_f32_e32 v23, v31, v23
	v_sub_f32_e32 v26, v27, v26
	v_mul_f32_e32 v23, v24, v23
	v_add_f32_e32 v23, v26, v23
	v_add_f32_e32 v24, v25, v23
	v_mul_f32_e32 v26, v24, v24
	v_fmaak_f32 v27, s23, v26, 0x3ecc95a3
	v_mul_f32_e32 v28, v24, v26
	v_fmaak_f32 v26, v26, v27, 0x3f2aaada
	v_ldexp_f32 v27, v24, 1
	v_sub_f32_e32 v24, v24, v25
	v_mul_f32_e32 v26, v28, v26
	v_mul_f32_e32 v28, 0x3f317218, v22
	v_sub_f32_e32 v23, v23, v24
	v_add_f32_e32 v25, v27, v26
	v_ldexp_f32 v23, v23, 1
	v_sub_f32_e32 v24, v25, v27
	v_fma_f32 v27, 0x3f317218, v22, -v28
	v_sub_f32_e32 v24, v26, v24
	v_fmac_f32_e32 v27, 0xb102e308, v22
	v_add_f32_e32 v22, v23, v24
	v_add_f32_e32 v23, v28, v27
	v_add_f32_e32 v24, v25, v22
	v_sub_f32_e32 v28, v23, v28
	v_add_f32_e32 v26, v23, v24
	v_sub_f32_e32 v25, v24, v25
	v_sub_f32_e32 v27, v27, v28
	;; [unrolled: 1-line block ×6, first 2 shown]
	v_add_f32_e32 v25, v27, v22
	v_sub_f32_e32 v23, v23, v30
	v_add_f32_e32 v23, v24, v23
	v_sub_f32_e32 v24, v25, v27
	v_add_f32_e32 v23, v25, v23
	v_sub_f32_e32 v25, v25, v24
	v_sub_f32_e32 v22, v22, v24
	v_add_f32_e32 v28, v26, v23
	v_sub_f32_e32 v25, v27, v25
	v_sub_f32_e32 v24, v28, v26
	v_add_f32_e32 v22, v22, v25
	v_sub_f32_e32 v23, v23, v24
	v_add_f32_e32 v22, v22, v23
	v_add_f32_e32 v22, v28, v22
	v_cndmask_b32_e64 v22, 0x7f800000, v22, s2
	v_cmp_ngt_f32_e64 s2, -1.0, v21
	v_cndmask_b32_e64 v22, 0x7fc00000, v22, s2
	v_cmp_neq_f32_e64 s2, -1.0, v21
	v_cndmask_b32_e64 v22, 0xff800000, v22, s2
	v_cmp_gt_f32_e64 s2, 0x33800000, |v21|
	v_cndmask_b32_e64 v21, v22, v21, s2
	v_mul_f32_e32 v22, 0.5, v21
.LBB347_95:                             ;   in Loop: Header=BB347_73 Depth=3
	s_or_b32 exec_lo, exec_lo, s7
.LBB347_96:                             ;   in Loop: Header=BB347_73 Depth=3
	s_or_b32 exec_lo, exec_lo, s3
	v_max_f32_e64 v21, |v3|, |v3|
	v_max_f32_e64 v23, |v10|, |v10|
	v_frexp_mant_f32_e32 v24, v11
	v_frexp_exp_i32_f32_e32 v11, v11
	v_cmp_gt_f32_e64 s2, |v3|, |v10|
	v_cmp_gt_i32_e64 s3, 0, v10
	v_min_f32_e32 v21, v23, v21
	v_rcp_f32_e32 v23, v24
	v_cmp_class_f32_e64 s7, v10, 0x204
	v_frexp_mant_f32_e32 v24, v21
	v_frexp_exp_i32_f32_e32 v21, v21
	v_mul_f32_e32 v23, v24, v23
	v_sub_nc_u32_e32 v11, v21, v11
	v_cndmask_b32_e64 v24, 0, 0x40490fdb, s3
	v_cmp_class_f32_e64 s3, v3, 0x204
	v_ldexp_f32 v11, v23, v11
	v_mul_f32_e32 v21, v11, v11
	v_fmaak_f32 v23, s27, v21, 0xbc7a590c
	v_fmaak_f32 v23, v21, v23, 0x3d29fb3f
	;; [unrolled: 1-line block ×7, first 2 shown]
	v_mul_f32_e32 v21, v21, v23
	v_fmac_f32_e32 v11, v11, v21
	v_sub_f32_e32 v21, 0x3fc90fdb, v11
	v_cndmask_b32_e64 v11, v11, v21, s2
	v_cmp_gt_f32_e64 s2, 0, v10
	v_sub_f32_e32 v21, 0x40490fdb, v11
	v_cndmask_b32_e64 v23, 0x3f490fdb, v14, s2
	v_cndmask_b32_e64 v11, v11, v21, s2
	v_cmp_eq_f32_e64 s2, 0, v3
	v_cndmask_b32_e64 v11, v11, v24, s2
	s_and_b32 s2, s7, s3
	v_cndmask_b32_e64 v11, v11, v23, s2
	v_cmp_o_f32_e64 s2, v10, v3
	v_add_f32_e32 v23, v8, v22
                                        ; implicit-def: $vgpr22
	v_cndmask_b32_e64 v10, 0x7fc00000, v11, s2
	v_bfi_b32 v3, 0x7fffffff, v10, v3
	v_add_f32_e32 v21, v9, v3
                                        ; implicit-def: $vgpr9
.LBB347_97:                             ;   in Loop: Header=BB347_73 Depth=3
	s_andn2_saveexec_b32 s33, s33
	s_cbranch_execz .LBB347_70
; %bb.98:                               ;   in Loop: Header=BB347_73 Depth=3
	s_mov_b32 s34, exec_lo
	v_cmpx_ngt_f32_e32 0, v23
	s_cbranch_execz .LBB347_69
; %bb.99:                               ;   in Loop: Header=BB347_73 Depth=3
	v_and_b32_e32 v8, 0x7fffffff, v21
	v_cmp_ngt_f32_e64 s35, 0x48000000, |v21|
                                        ; implicit-def: $vgpr11
                                        ; implicit-def: $vgpr10
	v_lshrrev_b32_e32 v3, 23, v8
	v_and_or_b32 v24, v8, s20, 0x800000
	v_add_nc_u32_e32 v26, 0xffffff88, v3
	s_and_saveexec_b32 s2, s35
	s_xor_b32 s36, exec_lo, s2
	s_cbranch_execz .LBB347_101
; %bb.100:                              ;   in Loop: Header=BB347_73 Depth=3
	v_mad_u64_u32 v[10:11], null, 0xfe5163ab, v24, 0
	v_cmp_lt_u32_e64 s2, 63, v26
	v_mov_b32_e32 v3, v11
	v_cndmask_b32_e64 v11, 0, 0xffffffc0, s2
	v_mad_u64_u32 v[27:28], null, 0x3c439041, v24, v[3:4]
	v_add_nc_u32_e32 v11, v11, v26
	v_cmp_lt_u32_e64 s3, 31, v11
	v_mov_b32_e32 v3, v28
	v_cndmask_b32_e64 v23, 0, 0xffffffe0, s3
	v_mad_u64_u32 v[28:29], null, 0xdb629599, v24, v[3:4]
	v_add_nc_u32_e32 v11, v23, v11
	v_mov_b32_e32 v3, v29
	v_cmp_lt_u32_e64 s7, 31, v11
	v_cndmask_b32_e64 v10, v28, v10, s2
	v_mad_u64_u32 v[29:30], null, 0xf534ddc0, v24, v[3:4]
	v_mov_b32_e32 v3, v30
	v_mad_u64_u32 v[30:31], null, 0xfc2757d1, v24, v[3:4]
	v_mov_b32_e32 v3, v31
	;; [unrolled: 2-line block ×3, first 2 shown]
	v_cndmask_b32_e64 v23, v31, v29, s2
	v_mad_u64_u32 v[32:33], null, 0xa2f9836e, v24, v[3:4]
	v_cndmask_b32_e64 v3, 0, 0xffffffe0, s7
	v_add_nc_u32_e32 v3, v3, v11
	v_cndmask_b32_e64 v25, v32, v30, s2
	v_cndmask_b32_e64 v31, v33, v31, s2
	;; [unrolled: 1-line block ×4, first 2 shown]
	v_sub_nc_u32_e32 v29, 32, v3
	v_cndmask_b32_e64 v27, v25, v23, s3
	v_cndmask_b32_e64 v25, v31, v25, s3
	;; [unrolled: 1-line block ×4, first 2 shown]
	v_cmp_eq_u32_e64 s2, 0, v3
	v_cndmask_b32_e64 v10, v11, v10, s3
	v_cndmask_b32_e64 v25, v25, v27, s7
	;; [unrolled: 1-line block ×5, first 2 shown]
	v_alignbit_b32 v31, v25, v27, v29
	v_alignbit_b32 v28, v27, v23, v29
	;; [unrolled: 1-line block ×3, first 2 shown]
	v_cndmask_b32_e64 v3, v31, v25, s2
	v_cndmask_b32_e64 v11, v28, v27, s2
	;; [unrolled: 1-line block ×3, first 2 shown]
	v_bfe_u32 v25, v3, 29, 1
	v_alignbit_b32 v27, v3, v11, 30
	v_alignbit_b32 v11, v11, v23, 30
	;; [unrolled: 1-line block ×3, first 2 shown]
	v_sub_nc_u32_e32 v28, 0, v25
	v_xor_b32_e32 v27, v27, v28
	v_xor_b32_e32 v11, v11, v28
	;; [unrolled: 1-line block ×3, first 2 shown]
	v_lshrrev_b32_e32 v28, 29, v3
	v_lshrrev_b32_e32 v3, 30, v3
	v_ffbh_u32_e32 v29, v27
	v_min_u32_e32 v29, 32, v29
	v_sub_nc_u32_e32 v23, 31, v29
	v_lshlrev_b32_e32 v30, 23, v29
	v_alignbit_b32 v27, v27, v11, v23
	v_alignbit_b32 v10, v11, v10, v23
	v_lshlrev_b32_e32 v11, 31, v28
	v_alignbit_b32 v23, v27, v10, 9
	v_or_b32_e32 v28, 0.5, v11
	v_lshrrev_b32_e32 v27, 9, v27
	v_or_b32_e32 v11, 0x33000000, v11
	v_ffbh_u32_e32 v31, v23
	v_sub_nc_u32_e32 v28, v28, v30
	v_min_u32_e32 v30, 32, v31
	v_or_b32_e32 v27, v27, v28
	v_not_b32_e32 v28, v30
	v_mul_f32_e32 v31, 0x3fc90fda, v27
	v_add_lshl_u32 v29, v30, v29, 23
	v_alignbit_b32 v10, v23, v10, v28
	v_fma_f32 v23, 0x3fc90fda, v27, -v31
	v_sub_nc_u32_e32 v11, v11, v29
	v_lshrrev_b32_e32 v10, 9, v10
	v_fmac_f32_e32 v23, 0x33a22168, v27
	v_or_b32_e32 v10, v11, v10
	v_add_nc_u32_e32 v11, v25, v3
	v_fmac_f32_e32 v23, 0x3fc90fda, v10
	v_add_f32_e32 v10, v31, v23
.LBB347_101:                            ;   in Loop: Header=BB347_73 Depth=3
	s_or_saveexec_b32 s2, s36
	v_mul_f32_e64 v3, 0x3f22f983, |v21|
	v_rndne_f32_e32 v3, v3
	s_xor_b32 exec_lo, exec_lo, s2
; %bb.102:                              ;   in Loop: Header=BB347_73 Depth=3
	v_fma_f32 v10, 0xbfc90fda, v3, |v21|
	v_cvt_i32_f32_e32 v11, v3
	v_fmac_f32_e32 v10, 0xb3a22168, v3
	v_fmac_f32_e32 v10, 0xa7c234c4, v3
; %bb.103:                              ;   in Loop: Header=BB347_73 Depth=3
	s_or_b32 exec_lo, exec_lo, s2
                                        ; implicit-def: $vgpr25
                                        ; implicit-def: $vgpr23
	s_and_saveexec_b32 s2, s35
	s_xor_b32 s35, exec_lo, s2
	s_cbranch_execz .LBB347_105
; %bb.104:                              ;   in Loop: Header=BB347_73 Depth=3
	v_mad_u64_u32 v[27:28], null, 0xfe5163ab, v24, 0
	v_cmp_lt_u32_e64 s2, 63, v26
	v_cndmask_b32_e64 v23, 0, 0xffffffc0, s2
	v_mov_b32_e32 v3, v28
	v_add_nc_u32_e32 v23, v23, v26
	v_mad_u64_u32 v[28:29], null, 0x3c439041, v24, v[3:4]
	v_cmp_lt_u32_e64 s3, 31, v23
	v_mov_b32_e32 v3, v29
	v_mad_u64_u32 v[29:30], null, 0xdb629599, v24, v[3:4]
	v_mov_b32_e32 v3, v30
	v_cndmask_b32_e64 v27, v29, v27, s2
	v_mad_u64_u32 v[30:31], null, 0xf534ddc0, v24, v[3:4]
	v_mov_b32_e32 v3, v31
	v_mad_u64_u32 v[31:32], null, 0xfc2757d1, v24, v[3:4]
	v_mov_b32_e32 v3, v32
	v_cndmask_b32_e64 v32, 0, 0xffffffe0, s3
	v_mad_u64_u32 v[25:26], null, 0x4e441529, v24, v[3:4]
	v_mov_b32_e32 v3, v26
	v_add_nc_u32_e32 v26, v32, v23
	v_cndmask_b32_e64 v32, v25, v30, s2
	v_mad_u64_u32 v[23:24], null, 0xa2f9836e, v24, v[3:4]
	v_cmp_lt_u32_e64 s7, 31, v26
	v_cndmask_b32_e64 v3, 0, 0xffffffe0, s7
	v_cndmask_b32_e64 v23, v23, v31, s2
	v_cndmask_b32_e64 v24, v24, v25, s2
	v_cndmask_b32_e64 v25, v31, v29, s2
	v_add_nc_u32_e32 v3, v3, v26
	v_cndmask_b32_e64 v26, v30, v28, s2
	v_cndmask_b32_e64 v28, v23, v32, s3
	;; [unrolled: 1-line block ×4, first 2 shown]
	v_sub_nc_u32_e32 v30, 32, v3
	v_cndmask_b32_e64 v25, v25, v26, s3
	v_cmp_eq_u32_e64 s2, 0, v3
	v_cndmask_b32_e64 v23, v23, v28, s7
	v_cndmask_b32_e64 v28, v28, v24, s7
	;; [unrolled: 1-line block ×3, first 2 shown]
	v_alignbit_b32 v31, v23, v28, v30
	v_alignbit_b32 v29, v28, v24, v30
	v_cndmask_b32_e64 v3, v31, v23, s2
	v_cndmask_b32_e64 v23, v26, v27, s3
	;; [unrolled: 1-line block ×3, first 2 shown]
	v_bfe_u32 v27, v3, 29, 1
	v_cndmask_b32_e64 v23, v25, v23, s7
	v_alignbit_b32 v25, v3, v26, 30
	v_sub_nc_u32_e32 v28, 0, v27
	v_alignbit_b32 v29, v24, v23, v30
	v_xor_b32_e32 v25, v25, v28
	v_cndmask_b32_e64 v24, v29, v24, s2
	v_ffbh_u32_e32 v29, v25
	v_alignbit_b32 v26, v26, v24, 30
	v_alignbit_b32 v23, v24, v23, 30
	v_min_u32_e32 v29, 32, v29
	v_xor_b32_e32 v24, v26, v28
	v_xor_b32_e32 v23, v23, v28
	v_lshrrev_b32_e32 v28, 29, v3
	v_lshrrev_b32_e32 v3, 30, v3
	v_sub_nc_u32_e32 v26, 31, v29
	v_lshlrev_b32_e32 v30, 23, v29
	v_alignbit_b32 v25, v25, v24, v26
	v_alignbit_b32 v23, v24, v23, v26
	v_lshlrev_b32_e32 v24, 31, v28
	v_alignbit_b32 v26, v25, v23, 9
	v_or_b32_e32 v28, 0.5, v24
	v_lshrrev_b32_e32 v25, 9, v25
	v_or_b32_e32 v24, 0x33000000, v24
	v_ffbh_u32_e32 v31, v26
	v_sub_nc_u32_e32 v28, v28, v30
	v_min_u32_e32 v30, 32, v31
	v_or_b32_e32 v25, v25, v28
	v_not_b32_e32 v28, v30
	v_mul_f32_e32 v31, 0x3fc90fda, v25
	v_add_lshl_u32 v29, v30, v29, 23
	v_alignbit_b32 v23, v26, v23, v28
	v_fma_f32 v26, 0x3fc90fda, v25, -v31
	v_sub_nc_u32_e32 v24, v24, v29
	v_lshrrev_b32_e32 v23, 9, v23
	v_fmac_f32_e32 v26, 0x33a22168, v25
	v_add_nc_u32_e32 v25, v27, v3
                                        ; implicit-def: $vgpr3
	v_or_b32_e32 v23, v24, v23
	v_fmac_f32_e32 v26, 0x3fc90fda, v23
	v_add_f32_e32 v23, v31, v26
	s_andn2_saveexec_b32 s2, s35
	s_cbranch_execnz .LBB347_106
	s_branch .LBB347_107
.LBB347_105:                            ;   in Loop: Header=BB347_73 Depth=3
	s_andn2_saveexec_b32 s2, s35
.LBB347_106:                            ;   in Loop: Header=BB347_73 Depth=3
	v_fma_f32 v23, 0xbfc90fda, v3, |v21|
	v_cvt_i32_f32_e32 v25, v3
	v_fmac_f32_e32 v23, 0xb3a22168, v3
	v_fmac_f32_e32 v23, 0xa7c234c4, v3
.LBB347_107:                            ;   in Loop: Header=BB347_73 Depth=3
	s_or_b32 exec_lo, exec_lo, s2
	v_and_b32_e32 v24, 0x7fffffff, v9
	v_cmp_ngt_f32_e64 s35, 0x48000000, |v9|
                                        ; implicit-def: $vgpr27
                                        ; implicit-def: $vgpr26
	v_lshrrev_b32_e32 v3, 23, v24
	v_and_or_b32 v28, v24, s20, 0x800000
	v_add_nc_u32_e32 v29, 0xffffff88, v3
	s_and_saveexec_b32 s2, s35
	s_xor_b32 s36, exec_lo, s2
	s_cbranch_execz .LBB347_109
; %bb.108:                              ;   in Loop: Header=BB347_73 Depth=3
	v_mad_u64_u32 v[26:27], null, 0xfe5163ab, v28, 0
	v_cmp_lt_u32_e64 s2, 63, v29
	v_mov_b32_e32 v3, v27
	v_cndmask_b32_e64 v27, 0, 0xffffffc0, s2
	v_mad_u64_u32 v[30:31], null, 0x3c439041, v28, v[3:4]
	v_add_nc_u32_e32 v27, v27, v29
	v_cmp_lt_u32_e64 s3, 31, v27
	v_mov_b32_e32 v3, v31
	v_cndmask_b32_e64 v36, 0, 0xffffffe0, s3
	v_mad_u64_u32 v[31:32], null, 0xdb629599, v28, v[3:4]
	v_add_nc_u32_e32 v27, v36, v27
	v_mov_b32_e32 v3, v32
	v_cmp_lt_u32_e64 s7, 31, v27
	v_cndmask_b32_e64 v26, v31, v26, s2
	v_mad_u64_u32 v[32:33], null, 0xf534ddc0, v28, v[3:4]
	v_mov_b32_e32 v3, v33
	v_mad_u64_u32 v[33:34], null, 0xfc2757d1, v28, v[3:4]
	v_mov_b32_e32 v3, v34
	v_mad_u64_u32 v[34:35], null, 0x4e441529, v28, v[3:4]
	v_mov_b32_e32 v3, v35
	v_cndmask_b32_e64 v37, v34, v32, s2
	v_mad_u64_u32 v[35:36], null, 0xa2f9836e, v28, v[3:4]
	v_cndmask_b32_e64 v3, 0, 0xffffffe0, s7
	v_add_nc_u32_e32 v3, v3, v27
	v_cndmask_b32_e64 v35, v35, v33, s2
	v_cndmask_b32_e64 v34, v36, v34, s2
	;; [unrolled: 1-line block ×4, first 2 shown]
	v_cmp_eq_u32_e64 s2, 0, v3
	v_cndmask_b32_e64 v30, v35, v37, s3
	v_cndmask_b32_e64 v32, v34, v35, s3
	;; [unrolled: 1-line block ×3, first 2 shown]
	v_sub_nc_u32_e32 v35, 32, v3
	v_cndmask_b32_e64 v33, v33, v27, s3
	v_cndmask_b32_e64 v26, v27, v26, s3
	;; [unrolled: 1-line block ×6, first 2 shown]
	v_alignbit_b32 v36, v32, v30, v35
	v_alignbit_b32 v31, v30, v34, v35
	;; [unrolled: 1-line block ×3, first 2 shown]
	v_cndmask_b32_e64 v3, v36, v32, s2
	v_cndmask_b32_e64 v27, v31, v30, s2
	;; [unrolled: 1-line block ×3, first 2 shown]
	v_bfe_u32 v30, v3, 29, 1
	v_alignbit_b32 v31, v3, v27, 30
	v_alignbit_b32 v27, v27, v33, 30
	;; [unrolled: 1-line block ×3, first 2 shown]
	v_sub_nc_u32_e32 v32, 0, v30
	v_xor_b32_e32 v31, v31, v32
	v_xor_b32_e32 v27, v27, v32
	;; [unrolled: 1-line block ×3, first 2 shown]
	v_lshrrev_b32_e32 v32, 29, v3
	v_lshrrev_b32_e32 v3, 30, v3
	v_ffbh_u32_e32 v34, v31
	v_min_u32_e32 v34, 32, v34
	v_sub_nc_u32_e32 v33, 31, v34
	v_lshlrev_b32_e32 v35, 23, v34
	v_alignbit_b32 v31, v31, v27, v33
	v_alignbit_b32 v26, v27, v26, v33
	v_lshlrev_b32_e32 v27, 31, v32
	v_alignbit_b32 v32, v31, v26, 9
	v_or_b32_e32 v33, 0.5, v27
	v_lshrrev_b32_e32 v31, 9, v31
	v_or_b32_e32 v27, 0x33000000, v27
	v_ffbh_u32_e32 v36, v32
	v_sub_nc_u32_e32 v33, v33, v35
	v_min_u32_e32 v35, 32, v36
	v_or_b32_e32 v31, v31, v33
	v_not_b32_e32 v33, v35
	v_mul_f32_e32 v36, 0x3fc90fda, v31
	v_add_lshl_u32 v34, v35, v34, 23
	v_alignbit_b32 v26, v32, v26, v33
	v_fma_f32 v32, 0x3fc90fda, v31, -v36
	v_sub_nc_u32_e32 v27, v27, v34
	v_lshrrev_b32_e32 v26, 9, v26
	v_fmac_f32_e32 v32, 0x33a22168, v31
	v_or_b32_e32 v26, v27, v26
	v_add_nc_u32_e32 v27, v30, v3
	v_fmac_f32_e32 v32, 0x3fc90fda, v26
	v_add_f32_e32 v26, v36, v32
.LBB347_109:                            ;   in Loop: Header=BB347_73 Depth=3
	s_or_saveexec_b32 s2, s36
	v_mul_f32_e64 v3, 0x3f22f983, |v9|
	v_rndne_f32_e32 v31, v3
	s_xor_b32 exec_lo, exec_lo, s2
; %bb.110:                              ;   in Loop: Header=BB347_73 Depth=3
	v_fma_f32 v26, 0xbfc90fda, v31, |v9|
	v_cvt_i32_f32_e32 v27, v31
	v_fmac_f32_e32 v26, 0xb3a22168, v31
	v_fmac_f32_e32 v26, 0xa7c234c4, v31
; %bb.111:                              ;   in Loop: Header=BB347_73 Depth=3
	s_or_b32 exec_lo, exec_lo, s2
                                        ; implicit-def: $vgpr30
                                        ; implicit-def: $vgpr3
	s_and_saveexec_b32 s2, s35
	s_xor_b32 s35, exec_lo, s2
	s_cbranch_execz .LBB347_113
; %bb.112:                              ;   in Loop: Header=BB347_73 Depth=3
	v_mad_u64_u32 v[30:31], null, 0xfe5163ab, v28, 0
	v_cmp_lt_u32_e64 s2, 63, v29
	v_cndmask_b32_e64 v36, 0, 0xffffffc0, s2
	v_mov_b32_e32 v3, v31
	v_add_nc_u32_e32 v29, v36, v29
	v_mad_u64_u32 v[31:32], null, 0x3c439041, v28, v[3:4]
	v_cmp_lt_u32_e64 s3, 31, v29
	v_mov_b32_e32 v3, v32
	v_cndmask_b32_e64 v37, 0, 0xffffffe0, s3
	v_mad_u64_u32 v[32:33], null, 0xdb629599, v28, v[3:4]
	v_mov_b32_e32 v3, v33
	v_cndmask_b32_e64 v30, v32, v30, s2
	v_mad_u64_u32 v[33:34], null, 0xf534ddc0, v28, v[3:4]
	;; [unrolled: 3-line block ×3, first 2 shown]
	v_mov_b32_e32 v3, v35
	v_mad_u64_u32 v[35:36], null, 0x4e441529, v28, v[3:4]
	v_mov_b32_e32 v3, v36
	v_add_nc_u32_e32 v36, v37, v29
	v_cndmask_b32_e64 v37, v35, v33, s2
	v_mad_u64_u32 v[28:29], null, 0xa2f9836e, v28, v[3:4]
	v_cmp_lt_u32_e64 s7, 31, v36
	v_cndmask_b32_e64 v3, 0, 0xffffffe0, s7
	v_cndmask_b32_e64 v28, v28, v34, s2
	v_cndmask_b32_e64 v29, v29, v35, s2
	v_cndmask_b32_e64 v34, v34, v32, s2
	v_add_nc_u32_e32 v3, v3, v36
	v_cndmask_b32_e64 v33, v28, v37, s3
	v_cndmask_b32_e64 v28, v29, v28, s3
	;; [unrolled: 1-line block ×4, first 2 shown]
	v_sub_nc_u32_e32 v35, 32, v3
	v_cmp_eq_u32_e64 s2, 0, v3
	v_cndmask_b32_e64 v28, v28, v33, s7
	v_cndmask_b32_e64 v33, v33, v29, s7
	v_cndmask_b32_e64 v29, v29, v34, s7
	v_alignbit_b32 v36, v28, v33, v35
	v_alignbit_b32 v32, v33, v29, v35
	v_cndmask_b32_e64 v3, v36, v28, s2
	v_cndmask_b32_e64 v28, v31, v30, s3
	;; [unrolled: 1-line block ×3, first 2 shown]
	v_bfe_u32 v31, v3, 29, 1
	v_cndmask_b32_e64 v28, v34, v28, s7
	v_alignbit_b32 v32, v3, v30, 30
	v_sub_nc_u32_e32 v33, 0, v31
	v_alignbit_b32 v34, v29, v28, v35
	v_xor_b32_e32 v32, v32, v33
	v_cndmask_b32_e64 v29, v34, v29, s2
	v_ffbh_u32_e32 v34, v32
	v_alignbit_b32 v30, v30, v29, 30
	v_alignbit_b32 v28, v29, v28, 30
	v_min_u32_e32 v34, 32, v34
	v_xor_b32_e32 v29, v30, v33
	v_xor_b32_e32 v28, v28, v33
	v_lshrrev_b32_e32 v33, 29, v3
	v_sub_nc_u32_e32 v30, 31, v34
	v_lshlrev_b32_e32 v35, 23, v34
	v_alignbit_b32 v32, v32, v29, v30
	v_alignbit_b32 v28, v29, v28, v30
	v_lshlrev_b32_e32 v29, 31, v33
	v_alignbit_b32 v30, v32, v28, 9
	v_or_b32_e32 v33, 0.5, v29
	v_lshrrev_b32_e32 v32, 9, v32
	v_or_b32_e32 v29, 0x33000000, v29
	v_ffbh_u32_e32 v36, v30
	v_sub_nc_u32_e32 v33, v33, v35
	v_min_u32_e32 v35, 32, v36
	v_or_b32_e32 v32, v32, v33
	v_not_b32_e32 v33, v35
	v_mul_f32_e32 v36, 0x3fc90fda, v32
	v_add_lshl_u32 v34, v35, v34, 23
	v_alignbit_b32 v28, v30, v28, v33
	v_fma_f32 v30, 0x3fc90fda, v32, -v36
	v_sub_nc_u32_e32 v29, v29, v34
	v_lshrrev_b32_e32 v28, 9, v28
	v_fmac_f32_e32 v30, 0x33a22168, v32
	v_or_b32_e32 v28, v29, v28
	v_fmac_f32_e32 v30, 0x3fc90fda, v28
	v_lshrrev_b32_e32 v28, 30, v3
	v_add_f32_e32 v3, v36, v30
	v_add_nc_u32_e32 v30, v31, v28
                                        ; implicit-def: $vgpr31
	s_andn2_saveexec_b32 s2, s35
	s_cbranch_execnz .LBB347_114
	s_branch .LBB347_115
.LBB347_113:                            ;   in Loop: Header=BB347_73 Depth=3
	s_andn2_saveexec_b32 s2, s35
.LBB347_114:                            ;   in Loop: Header=BB347_73 Depth=3
	v_fma_f32 v3, 0xbfc90fda, v31, |v9|
	v_cvt_i32_f32_e32 v30, v31
	v_fmac_f32_e32 v3, 0xb3a22168, v31
	v_fmac_f32_e32 v3, 0xa7c234c4, v31
.LBB347_115:                            ;   in Loop: Header=BB347_73 Depth=3
	s_or_b32 exec_lo, exec_lo, s2
	v_mul_f32_e32 v28, v10, v10
	v_mul_f32_e32 v31, v23, v23
	v_xor_b32_e32 v8, v8, v22
	v_lshlrev_b32_e32 v29, 30, v11
	v_and_b32_e32 v11, 1, v11
	v_fmaak_f32 v32, s22, v28, 0x3c0881c4
	v_fmaak_f32 v33, s21, v28, 0xbab64f3b
	;; [unrolled: 1-line block ×4, first 2 shown]
	v_and_b32_e32 v35, 1, v25
	v_fmaak_f32 v32, v28, v32, 0xbe2aaa9d
	v_fmaak_f32 v33, v28, v33, 0x3d2aabf7
	;; [unrolled: 1-line block ×4, first 2 shown]
	v_cmp_eq_u32_e64 s2, 0, v11
	v_mul_f32_e32 v32, v28, v32
	v_fmaak_f32 v33, v28, v33, 0xbf000004
	v_mul_f32_e32 v22, v31, v22
	v_fmaak_f32 v34, v31, v34, 0xbf000004
	v_lshlrev_b32_e32 v25, 30, v25
	v_fmac_f32_e32 v10, v10, v32
	v_fma_f32 v28, v28, v33, 1.0
	v_and_b32_e32 v29, 0x80000000, v29
	v_fmac_f32_e32 v23, v23, v22
	v_fma_f32 v22, v31, v34, 1.0
	v_mul_f32_e32 v11, v26, v26
	v_cndmask_b32_e64 v10, v28, v10, s2
	v_cmp_eq_u32_e64 s2, 0, v35
	v_mul_f32_e32 v28, v3, v3
	v_lshlrev_b32_e32 v32, 30, v27
	v_and_b32_e32 v27, 1, v27
	v_xor3_b32 v8, v8, v29, v10
	v_cndmask_b32_e64 v22, -v23, v22, s2
	v_and_b32_e32 v10, 0x80000000, v25
	v_fmaak_f32 v23, s22, v11, 0x3c0881c4
	v_fmaak_f32 v25, s21, v11, 0xbab64f3b
	;; [unrolled: 1-line block ×4, first 2 shown]
	v_cmp_eq_u32_e64 s2, 0, v27
	v_fmaak_f32 v23, v11, v23, 0xbe2aaa9d
	v_fmaak_f32 v25, v11, v25, 0x3d2aabf7
	;; [unrolled: 1-line block ×4, first 2 shown]
	v_and_b32_e32 v32, 0x80000000, v32
	v_mul_f32_e32 v23, v11, v23
	v_fmaak_f32 v25, v11, v25, 0xbf000004
	v_mul_f32_e32 v29, v28, v29
	v_fmaak_f32 v31, v28, v31, 0xbf000004
	v_xor_b32_e32 v24, v24, v9
	v_fmac_f32_e32 v26, v26, v23
	v_fma_f32 v11, v11, v25, 1.0
	v_and_b32_e32 v25, 1, v30
	v_fmac_f32_e32 v3, v3, v29
	v_fma_f32 v23, v28, v31, 1.0
	v_lshlrev_b32_e32 v28, 30, v30
	v_cndmask_b32_e64 v11, v11, v26, s2
	v_cmp_eq_u32_e64 s2, 0, v25
	v_xor_b32_e32 v10, v10, v22
	v_cmp_class_f32_e64 s3, v9, 0x1f8
	v_xor3_b32 v11, v24, v32, v11
	v_cndmask_b32_e64 v3, -v3, v23, s2
	v_and_b32_e32 v23, 0x80000000, v28
	v_cmp_class_f32_e64 s2, v21, 0x1f8
	v_xor_b32_e32 v3, v23, v3
	v_cndmask_b32_e64 v9, 0x7fc00000, v10, s2
	v_cndmask_b32_e64 v8, 0x7fc00000, v8, s2
	;; [unrolled: 1-line block ×4, first 2 shown]
	v_mul_f32_e32 v11, 0x7f800000, v9
	v_cmp_neq_f32_e64 s2, 0, v9
	v_mul_f32_e32 v22, 0x7f800000, v10
	v_mul_f32_e32 v21, 0x7f800000, v3
	v_cndmask_b32_e64 v9, 0, v11, s2
	v_cmp_neq_f32_e64 s2, 0, v3
	v_mul_f32_e32 v11, 0x7f800000, v8
	v_cndmask_b32_e64 v3, 0, v21, s2
	v_cmp_neq_f32_e64 s2, 0, v8
	v_add_f32_e32 v9, v9, v3
	v_cndmask_b32_e64 v8, 0, v11, s2
	v_cmp_neq_f32_e64 s2, 0, v10
	v_add_f32_e32 v23, -1.0, v9
	v_cndmask_b32_e64 v10, 0, v22, s2
	v_add_f32_e32 v3, v8, v10
	v_max_f32_e64 v10, |v23|, |v3|
	v_cvt_f64_f32_e32 v[8:9], v10
	v_cmp_eq_f32_e64 s2, 0x7f800000, v10
	v_frexp_exp_i32_f64_e32 v8, v[8:9]
	v_sub_nc_u32_e32 v9, 0, v8
	v_ldexp_f32 v11, |v3|, v9
	v_ldexp_f32 v9, |v23|, v9
	v_mul_f32_e32 v11, v11, v11
	v_fmac_f32_e32 v11, v9, v9
	v_sqrt_f32_e32 v9, v11
	v_ldexp_f32 v9, v9, v8
	v_add_f32_e32 v8, 1.0, v23
	v_cmp_ngt_f32_e64 s3, 0.5, v9
	v_max_f32_e64 v9, |v8|, |v3|
	s_or_b32 s2, s2, s3
	s_and_saveexec_b32 s3, s2
	s_xor_b32 s7, exec_lo, s3
	s_cbranch_execz .LBB347_117
; %bb.116:                              ;   in Loop: Header=BB347_73 Depth=3
	v_cvt_f64_f32_e32 v[10:11], v9
	v_cmp_neq_f32_e64 s2, 0x7f800000, v9
	v_frexp_exp_i32_f64_e32 v10, v[10:11]
	v_sub_nc_u32_e32 v11, 0, v10
	v_ldexp_f32 v21, |v3|, v11
	v_ldexp_f32 v11, |v8|, v11
	v_mul_f32_e32 v21, v21, v21
	v_fmac_f32_e32 v21, v11, v11
	v_sqrt_f32_e32 v11, v21
	v_ldexp_f32 v10, v11, v10
	v_cndmask_b32_e64 v10, 0x7f800000, v10, s2
	v_cmp_gt_f32_e64 s2, 0x800000, v10
	v_cndmask_b32_e64 v11, 0, 32, s2
	v_ldexp_f32 v10, v10, v11
	v_log_f32_e32 v10, v10
	v_mul_f32_e32 v11, 0x3f317217, v10
	v_cmp_gt_f32_e64 s3, 0x7f800000, |v10|
	v_fma_f32 v11, 0x3f317217, v10, -v11
	v_fmac_f32_e32 v11, 0x3377d1cf, v10
	v_fmac_f32_e32 v11, 0x3f317217, v10
	v_cndmask_b32_e64 v10, v10, v11, s3
	v_cndmask_b32_e64 v11, 0, 0x41b17218, s2
	v_sub_f32_e32 v23, v10, v11
.LBB347_117:                            ;   in Loop: Header=BB347_73 Depth=3
	s_andn2_saveexec_b32 s3, s7
	s_cbranch_execz .LBB347_68
; %bb.118:                              ;   in Loop: Header=BB347_73 Depth=3
	v_add_f32_e32 v10, 2.0, v23
	s_mov_b32 s7, exec_lo
	v_mul_f32_e32 v10, v23, v10
	v_fmac_f32_e32 v10, v3, v3
	v_cmpx_neq_f32_e32 0, v10
	s_cbranch_execz .LBB347_67
; %bb.119:                              ;   in Loop: Header=BB347_73 Depth=3
	v_add_f32_e32 v11, 1.0, v10
	v_cvt_f64_f32_e32 v[21:22], v11
	v_frexp_exp_i32_f64_e32 v21, v[21:22]
	v_frexp_mant_f32_e32 v22, v11
	v_cmp_gt_f32_e64 s2, 0x3f2aaaab, v22
	v_add_f32_e32 v22, -1.0, v11
	v_sub_f32_e32 v24, v22, v11
	v_sub_f32_e32 v22, v10, v22
	v_add_f32_e32 v24, 1.0, v24
	v_add_f32_e32 v22, v22, v24
	v_subrev_co_ci_u32_e64 v21, null, 0, v21, s2
	v_cmp_neq_f32_e64 s2, 0x7f800000, v10
	v_sub_nc_u32_e32 v23, 0, v21
	v_cvt_f32_i32_e32 v21, v21
	v_ldexp_f32 v11, v11, v23
	v_ldexp_f32 v22, v22, v23
	v_add_f32_e32 v25, 1.0, v11
	v_add_f32_e32 v23, -1.0, v11
	v_add_f32_e32 v24, -1.0, v25
	v_add_f32_e32 v26, 1.0, v23
	v_sub_f32_e32 v24, v11, v24
	v_sub_f32_e32 v11, v11, v26
	v_add_f32_e32 v24, v22, v24
	v_add_f32_e32 v11, v22, v11
	;; [unrolled: 1-line block ×4, first 2 shown]
	v_rcp_f32_e32 v22, v26
	v_sub_f32_e32 v25, v26, v25
	v_sub_f32_e32 v23, v27, v23
	;; [unrolled: 1-line block ×4, first 2 shown]
	v_mul_f32_e32 v28, v27, v22
	v_mul_f32_e32 v29, v26, v28
	v_fma_f32 v25, v28, v26, -v29
	v_fmac_f32_e32 v25, v28, v24
	v_add_f32_e32 v30, v29, v25
	v_sub_f32_e32 v31, v27, v30
	v_sub_f32_e32 v23, v30, v29
	v_sub_f32_e32 v27, v27, v31
	v_sub_f32_e32 v23, v23, v25
	v_sub_f32_e32 v27, v27, v30
	v_add_f32_e32 v11, v11, v27
	v_add_f32_e32 v11, v23, v11
	v_add_f32_e32 v23, v31, v11
	v_mul_f32_e32 v25, v22, v23
	v_sub_f32_e32 v30, v31, v23
	v_mul_f32_e32 v27, v26, v25
	v_add_f32_e32 v11, v11, v30
	v_fma_f32 v26, v25, v26, -v27
	v_fmac_f32_e32 v26, v25, v24
	v_add_f32_e32 v24, v27, v26
	v_sub_f32_e32 v29, v23, v24
	v_sub_f32_e32 v27, v24, v27
	;; [unrolled: 1-line block ×5, first 2 shown]
	v_add_f32_e32 v11, v11, v23
	v_add_f32_e32 v23, v28, v25
	;; [unrolled: 1-line block ×3, first 2 shown]
	v_sub_f32_e32 v24, v23, v28
	v_add_f32_e32 v11, v29, v11
	v_sub_f32_e32 v24, v25, v24
	v_mul_f32_e32 v11, v22, v11
	v_add_f32_e32 v11, v24, v11
	v_add_f32_e32 v22, v23, v11
	v_mul_f32_e32 v24, v22, v22
	v_fmaak_f32 v25, s23, v24, 0x3ecc95a3
	v_mul_f32_e32 v26, v22, v24
	v_fmaak_f32 v24, v24, v25, 0x3f2aaada
	v_ldexp_f32 v25, v22, 1
	v_sub_f32_e32 v22, v22, v23
	v_mul_f32_e32 v24, v26, v24
	v_mul_f32_e32 v26, 0x3f317218, v21
	v_sub_f32_e32 v11, v11, v22
	v_add_f32_e32 v23, v25, v24
	v_ldexp_f32 v11, v11, 1
	v_sub_f32_e32 v22, v23, v25
	v_fma_f32 v25, 0x3f317218, v21, -v26
	v_sub_f32_e32 v22, v24, v22
	v_fmac_f32_e32 v25, 0xb102e308, v21
	v_add_f32_e32 v11, v11, v22
	v_add_f32_e32 v21, v26, v25
	;; [unrolled: 1-line block ×3, first 2 shown]
	v_sub_f32_e32 v26, v21, v26
	v_add_f32_e32 v24, v21, v22
	v_sub_f32_e32 v23, v22, v23
	v_sub_f32_e32 v25, v25, v26
	;; [unrolled: 1-line block ×6, first 2 shown]
	v_add_f32_e32 v23, v25, v11
	v_sub_f32_e32 v21, v21, v28
	v_add_f32_e32 v21, v22, v21
	v_sub_f32_e32 v22, v23, v25
	;; [unrolled: 2-line block ×3, first 2 shown]
	v_sub_f32_e32 v11, v11, v22
	v_add_f32_e32 v26, v24, v21
	v_sub_f32_e32 v23, v25, v23
	v_sub_f32_e32 v22, v26, v24
	v_add_f32_e32 v11, v11, v23
	v_sub_f32_e32 v21, v21, v22
	v_add_f32_e32 v11, v11, v21
	v_add_f32_e32 v11, v26, v11
	v_cndmask_b32_e64 v11, 0x7f800000, v11, s2
	v_cmp_ngt_f32_e64 s2, -1.0, v10
	v_cndmask_b32_e64 v11, 0x7fc00000, v11, s2
	v_cmp_neq_f32_e64 s2, -1.0, v10
	v_cndmask_b32_e64 v11, 0xff800000, v11, s2
	v_cmp_gt_f32_e64 s2, 0x33800000, |v10|
	v_cndmask_b32_e64 v10, v11, v10, s2
	v_mul_f32_e32 v23, 0.5, v10
	s_branch .LBB347_67
.LBB347_120:                            ;   in Loop: Header=BB347_7 Depth=2
	s_or_b32 exec_lo, exec_lo, s29
	s_and_saveexec_b32 s3, vcc_lo
	s_cbranch_execz .LBB347_6
; %bb.121:                              ;   in Loop: Header=BB347_7 Depth=2
	s_mov_b32 s7, exec_lo
	v_cmpx_gt_u32_e64 s13, v7
	s_cbranch_execz .LBB347_123
; %bb.122:                              ;   in Loop: Header=BB347_7 Depth=2
	ds_read_b64 v[9:10], v1
	v_mov_b32_e32 v8, v4
	v_lshlrev_b64 v[6:7], 3, v[7:8]
	v_add_co_u32 v6, s2, v19, v6
	v_add_co_ci_u32_e64 v7, null, v20, v7, s2
	s_waitcnt lgkmcnt(0)
	global_store_dwordx2 v[6:7], v[9:10], off
.LBB347_123:                            ;   in Loop: Header=BB347_7 Depth=2
	s_or_b32 exec_lo, exec_lo, s7
	v_cmp_gt_u32_e64 s2, s13, v5
	s_and_b32 exec_lo, exec_lo, s2
	s_cbranch_execz .LBB347_6
; %bb.124:                              ;   in Loop: Header=BB347_7 Depth=2
	ds_read_b64 v[7:8], v15
	v_mov_b32_e32 v6, v4
	v_lshlrev_b64 v[5:6], 3, v[5:6]
	v_add_co_u32 v5, s2, v19, v5
	v_add_co_ci_u32_e64 v6, null, v20, v6, s2
	s_waitcnt lgkmcnt(0)
	global_store_dwordx2 v[5:6], v[7:8], off
	s_branch .LBB347_6
.LBB347_125:
	s_mov_b32 s0, 0
.LBB347_126:
	s_andn2_b32 vcc_lo, exec_lo, s0
	s_cbranch_vccnz .LBB347_253
; %bb.127:
	s_load_dword s2, s[4:5], 0x3c
	s_add_u32 s0, s4, 48
	s_addc_u32 s1, s5, 0
	s_mov_b32 s7, 0
	s_waitcnt lgkmcnt(0)
	s_lshr_b32 s2, s2, 16
	s_mul_hi_u32 s19, s2, s6
	s_mul_i32 s18, s2, s6
	s_mov_b32 s6, s12
	v_cmp_ge_u64_e64 s3, s[18:19], s[6:7]
	s_and_b32 vcc_lo, exec_lo, s3
	s_cbranch_vccnz .LBB347_253
; %bb.128:
	s_load_dword s1, s[0:1], 0x0
	s_lshl_b32 s20, 1, s14
	s_and_b32 s2, 0xffff, s2
	s_ashr_i32 s21, s20, 31
	s_cmp_lg_u32 s13, 0
	v_mov_b32_e32 v4, 0
	v_lshl_add_u32 v14, v0, 3, v13
	s_mov_b32 s22, s13
	s_cselect_b32 s25, -1, 0
	s_lshl_b64 s[12:13], s[20:21], 1
	v_cmp_eq_u32_e64 s0, 0, v0
	s_lshl_b32 s3, s12, 3
	v_mov_b32_e32 v1, v4
	v_lshl_add_u32 v15, s20, 3, v14
	v_add3_u32 v16, v13, s3, -8
	v_mov_b32_e32 v17, 0x4016cbe4
	s_mov_b32 s23, s7
	s_mov_b32 s5, 0x7fffff
	;; [unrolled: 1-line block ×3, first 2 shown]
	s_add_i32 s26, s14, 1
	s_waitcnt lgkmcnt(0)
	s_mul_i32 s27, s1, s2
	s_mov_b32 s28, 0xb94c1982
	s_mov_b32 s29, 0x3e9b6dac
	;; [unrolled: 1-line block ×3, first 2 shown]
	s_branch .LBB347_130
.LBB347_129:                            ;   in Loop: Header=BB347_130 Depth=1
	s_add_u32 s18, s18, s27
	s_addc_u32 s19, s19, 0
	v_cmp_ge_u64_e64 s1, s[18:19], s[6:7]
	s_and_b32 vcc_lo, exec_lo, s1
	s_cbranch_vccnz .LBB347_253
.LBB347_130:                            ; =>This Loop Header: Depth=1
                                        ;     Child Loop BB347_133 Depth 2
                                        ;       Child Loop BB347_199 Depth 3
	s_andn2_b32 vcc_lo, exec_lo, s25
	s_cbranch_vccnz .LBB347_129
; %bb.131:                              ;   in Loop: Header=BB347_130 Depth=1
	v_add_co_u32 v5, s1, s18, v2
	v_add_co_ci_u32_e64 v6, null, s19, 0, s1
	v_mov_b32_e32 v10, s17
	v_mad_u64_u32 v[7:8], null, v5, s22, 0
	v_cmp_gt_u64_e64 s1, s[6:7], v[5:6]
	v_cmp_le_u64_e64 s2, s[6:7], v[5:6]
	s_mov_b64 s[14:15], 0
	v_mov_b32_e32 v3, v8
	v_mad_u64_u32 v[8:9], null, v6, s22, v[3:4]
	v_mov_b32_e32 v9, s16
	v_lshlrev_b64 v[7:8], 3, v[7:8]
	v_add_co_u32 v18, vcc_lo, s10, v7
	v_add_co_ci_u32_e64 v19, null, s11, v8, vcc_lo
	v_add_co_u32 v20, vcc_lo, s8, v7
	v_add_co_ci_u32_e64 v21, null, s9, v8, vcc_lo
	s_branch .LBB347_133
.LBB347_132:                            ;   in Loop: Header=BB347_133 Depth=2
	s_or_b32 exec_lo, exec_lo, s3
	ds_read_b64 v[9:10], v16
	s_add_u32 s14, s14, s12
	s_addc_u32 s15, s15, s13
	s_waitcnt lgkmcnt(0)
	s_waitcnt_vscnt null, 0x0
	v_cmp_ge_u64_e64 s3, s[14:15], s[22:23]
	s_barrier
	buffer_gl0_inv
	s_and_b32 vcc_lo, exec_lo, s3
	s_cbranch_vccnz .LBB347_129
.LBB347_133:                            ;   Parent Loop BB347_130 Depth=1
                                        ; =>  This Loop Header: Depth=2
                                        ;       Child Loop BB347_199 Depth 3
	v_add_co_u32 v7, s3, s14, v0
	v_add_co_ci_u32_e64 v8, null, s15, 0, s3
	v_add_co_u32 v5, vcc_lo, v7, s20
	v_add_co_ci_u32_e64 v6, null, s21, v8, vcc_lo
	s_and_saveexec_b32 s31, s1
	s_cbranch_execz .LBB347_192
; %bb.134:                              ;   in Loop: Header=BB347_133 Depth=2
	s_mov_b32 s3, exec_lo
	v_cmpx_le_u64_e64 s[22:23], v[7:8]
	s_xor_b32 s3, exec_lo, s3
; %bb.135:                              ;   in Loop: Header=BB347_133 Depth=2
	v_mov_b32_e32 v11, s16
	v_mov_b32_e32 v12, s17
	ds_write_b64 v14, v[11:12]
; %bb.136:                              ;   in Loop: Header=BB347_133 Depth=2
	s_andn2_saveexec_b32 s3, s3
	s_cbranch_execz .LBB347_138
; %bb.137:                              ;   in Loop: Header=BB347_133 Depth=2
	v_lshlrev_b64 v[11:12], 3, v[7:8]
	v_add_co_u32 v11, vcc_lo, v18, v11
	v_add_co_ci_u32_e64 v12, null, v19, v12, vcc_lo
	global_load_dwordx2 v[11:12], v[11:12], off
	s_waitcnt vmcnt(0)
	ds_write_b64 v14, v[11:12]
.LBB347_138:                            ;   in Loop: Header=BB347_133 Depth=2
	s_or_b32 exec_lo, exec_lo, s3
	s_mov_b32 s3, exec_lo
	v_cmpx_le_u64_e64 s[22:23], v[5:6]
	s_xor_b32 s3, exec_lo, s3
	s_cbranch_execz .LBB347_141
; %bb.139:                              ;   in Loop: Header=BB347_133 Depth=2
	v_mov_b32_e32 v11, s16
	v_mov_b32_e32 v12, s17
	ds_write_b64 v15, v[11:12]
	s_andn2_saveexec_b32 s3, s3
	s_cbranch_execnz .LBB347_142
.LBB347_140:                            ;   in Loop: Header=BB347_133 Depth=2
	s_or_b32 exec_lo, exec_lo, s3
	s_and_b32 exec_lo, exec_lo, s0
	s_cbranch_execnz .LBB347_143
	s_branch .LBB347_192
.LBB347_141:                            ;   in Loop: Header=BB347_133 Depth=2
	s_andn2_saveexec_b32 s3, s3
	s_cbranch_execz .LBB347_140
.LBB347_142:                            ;   in Loop: Header=BB347_133 Depth=2
	v_lshlrev_b64 v[11:12], 3, v[5:6]
	v_add_co_u32 v11, vcc_lo, v18, v11
	v_add_co_ci_u32_e64 v12, null, v19, v12, vcc_lo
	global_load_dwordx2 v[11:12], v[11:12], off
	s_waitcnt vmcnt(0)
	ds_write_b64 v15, v[11:12]
	s_or_b32 exec_lo, exec_lo, s3
	s_and_b32 exec_lo, exec_lo, s0
	s_cbranch_execz .LBB347_192
.LBB347_143:                            ;   in Loop: Header=BB347_133 Depth=2
	ds_read_b64 v[11:12], v13
	v_cmp_o_f32_e32 vcc_lo, v9, v10
	v_mov_b32_e32 v22, v10
	v_mov_b32_e32 v24, v9
	;; [unrolled: 1-line block ×3, first 2 shown]
	s_and_saveexec_b32 s33, vcc_lo
	s_cbranch_execz .LBB347_145
; %bb.144:                              ;   in Loop: Header=BB347_133 Depth=2
	s_waitcnt lgkmcnt(0)
	v_cmp_u_f32_e64 s3, v11, v12
	v_cmp_lt_f32_e64 s4, v11, v9
	s_or_b32 s3, s4, s3
	v_cndmask_b32_e64 v22, v10, v12, s3
	v_cndmask_b32_e64 v24, v9, v11, s3
	v_mov_b32_e32 v23, v22
.LBB347_145:                            ;   in Loop: Header=BB347_133 Depth=2
	s_or_b32 exec_lo, exec_lo, s33
	s_and_saveexec_b32 s4, vcc_lo
	s_cbranch_execz .LBB347_147
; %bb.146:                              ;   in Loop: Header=BB347_133 Depth=2
	s_waitcnt lgkmcnt(0)
	v_cmp_u_f32_e32 vcc_lo, v11, v12
	v_cmp_ge_f32_e64 s3, v11, v9
	s_or_b32 vcc_lo, s3, vcc_lo
	v_cndmask_b32_e32 v10, v10, v12, vcc_lo
	v_cndmask_b32_e32 v9, v9, v11, vcc_lo
.LBB347_147:                            ;   in Loop: Header=BB347_133 Depth=2
	s_or_b32 exec_lo, exec_lo, s4
	s_waitcnt lgkmcnt(0)
	v_mov_b32_e32 v11, 0x7fc00000
	v_mov_b32_e32 v12, 0x7fc00000
	s_mov_b32 s33, exec_lo
	v_cmpx_o_f32_e32 v24, v22
	s_cbranch_execz .LBB347_191
; %bb.148:                              ;   in Loop: Header=BB347_133 Depth=2
	v_cmp_class_f32_e64 s3, v24, 0x1f8
	v_cmp_neq_f32_e32 vcc_lo, v9, v24
	s_or_b32 s3, s3, vcc_lo
	s_and_saveexec_b32 s4, s3
	s_xor_b32 s34, exec_lo, s4
	s_cbranch_execz .LBB347_164
; %bb.149:                              ;   in Loop: Header=BB347_133 Depth=2
	v_sub_f32_e32 v11, v22, v10
                                        ; implicit-def: $vgpr23
                                        ; implicit-def: $vgpr22
	v_and_b32_e32 v12, 0x7fffffff, v11
	v_cmp_ngt_f32_e64 s35, 0x48000000, |v11|
	v_lshrrev_b32_e32 v3, 23, v12
	v_and_or_b32 v25, v12, s5, 0x800000
	v_add_nc_u32_e32 v26, 0xffffff88, v3
	s_and_saveexec_b32 s3, s35
	s_xor_b32 s36, exec_lo, s3
	s_cbranch_execz .LBB347_151
; %bb.150:                              ;   in Loop: Header=BB347_133 Depth=2
	v_mad_u64_u32 v[22:23], null, 0xfe5163ab, v25, 0
	v_cmp_lt_u32_e32 vcc_lo, 63, v26
	v_mov_b32_e32 v3, v23
	v_cndmask_b32_e64 v23, 0, 0xffffffc0, vcc_lo
	v_mad_u64_u32 v[27:28], null, 0x3c439041, v25, v[3:4]
	v_add_nc_u32_e32 v23, v23, v26
	v_cmp_lt_u32_e64 s3, 31, v23
	v_mov_b32_e32 v3, v28
	v_cndmask_b32_e64 v33, 0, 0xffffffe0, s3
	v_mad_u64_u32 v[28:29], null, 0xdb629599, v25, v[3:4]
	v_add_nc_u32_e32 v23, v33, v23
	v_mov_b32_e32 v3, v29
	v_cmp_lt_u32_e64 s4, 31, v23
	v_cndmask_b32_e32 v22, v28, v22, vcc_lo
	v_mad_u64_u32 v[29:30], null, 0xf534ddc0, v25, v[3:4]
	v_mov_b32_e32 v3, v30
	v_mad_u64_u32 v[30:31], null, 0xfc2757d1, v25, v[3:4]
	v_mov_b32_e32 v3, v31
	;; [unrolled: 2-line block ×3, first 2 shown]
	v_cndmask_b32_e32 v34, v31, v29, vcc_lo
	v_mad_u64_u32 v[32:33], null, 0xa2f9836e, v25, v[3:4]
	v_cndmask_b32_e64 v3, 0, 0xffffffe0, s4
	v_add_nc_u32_e32 v3, v3, v23
	v_cndmask_b32_e32 v32, v32, v30, vcc_lo
	v_cndmask_b32_e32 v31, v33, v31, vcc_lo
	;; [unrolled: 1-line block ×4, first 2 shown]
	v_cmp_eq_u32_e32 vcc_lo, 0, v3
	v_cndmask_b32_e64 v27, v32, v34, s3
	v_cndmask_b32_e64 v29, v31, v32, s3
	;; [unrolled: 1-line block ×3, first 2 shown]
	v_sub_nc_u32_e32 v32, 32, v3
	v_cndmask_b32_e64 v30, v30, v23, s3
	v_cndmask_b32_e64 v22, v23, v22, s3
	;; [unrolled: 1-line block ×6, first 2 shown]
	v_alignbit_b32 v33, v29, v27, v32
	v_alignbit_b32 v28, v27, v31, v32
	;; [unrolled: 1-line block ×3, first 2 shown]
	v_cndmask_b32_e32 v3, v33, v29, vcc_lo
	v_cndmask_b32_e32 v23, v28, v27, vcc_lo
	;; [unrolled: 1-line block ×3, first 2 shown]
	v_bfe_u32 v27, v3, 29, 1
	v_alignbit_b32 v28, v3, v23, 30
	v_alignbit_b32 v23, v23, v30, 30
	;; [unrolled: 1-line block ×3, first 2 shown]
	v_sub_nc_u32_e32 v29, 0, v27
	v_xor_b32_e32 v28, v28, v29
	v_xor_b32_e32 v23, v23, v29
	;; [unrolled: 1-line block ×3, first 2 shown]
	v_lshrrev_b32_e32 v29, 29, v3
	v_lshrrev_b32_e32 v3, 30, v3
	v_ffbh_u32_e32 v31, v28
	v_min_u32_e32 v31, 32, v31
	v_sub_nc_u32_e32 v30, 31, v31
	v_lshlrev_b32_e32 v32, 23, v31
	v_alignbit_b32 v28, v28, v23, v30
	v_alignbit_b32 v22, v23, v22, v30
	v_lshlrev_b32_e32 v23, 31, v29
	v_alignbit_b32 v29, v28, v22, 9
	v_or_b32_e32 v30, 0.5, v23
	v_lshrrev_b32_e32 v28, 9, v28
	v_or_b32_e32 v23, 0x33000000, v23
	v_ffbh_u32_e32 v33, v29
	v_sub_nc_u32_e32 v30, v30, v32
	v_min_u32_e32 v32, 32, v33
	v_or_b32_e32 v28, v28, v30
	v_not_b32_e32 v30, v32
	v_mul_f32_e32 v33, 0x3fc90fda, v28
	v_add_lshl_u32 v31, v32, v31, 23
	v_alignbit_b32 v22, v29, v22, v30
	v_fma_f32 v29, 0x3fc90fda, v28, -v33
	v_sub_nc_u32_e32 v23, v23, v31
	v_lshrrev_b32_e32 v22, 9, v22
	v_fmac_f32_e32 v29, 0x33a22168, v28
	v_or_b32_e32 v22, v23, v22
	v_add_nc_u32_e32 v23, v27, v3
	v_fmac_f32_e32 v29, 0x3fc90fda, v22
	v_add_f32_e32 v22, v33, v29
.LBB347_151:                            ;   in Loop: Header=BB347_133 Depth=2
	s_or_saveexec_b32 s3, s36
	v_mul_f32_e64 v3, 0x3f22f983, |v11|
	v_rndne_f32_e32 v28, v3
	s_xor_b32 exec_lo, exec_lo, s3
; %bb.152:                              ;   in Loop: Header=BB347_133 Depth=2
	v_fma_f32 v22, 0xbfc90fda, v28, |v11|
	v_cvt_i32_f32_e32 v23, v28
	v_fmac_f32_e32 v22, 0xb3a22168, v28
	v_fmac_f32_e32 v22, 0xa7c234c4, v28
; %bb.153:                              ;   in Loop: Header=BB347_133 Depth=2
	s_or_b32 exec_lo, exec_lo, s3
                                        ; implicit-def: $vgpr27
                                        ; implicit-def: $vgpr3
	s_and_saveexec_b32 s3, s35
	s_xor_b32 s35, exec_lo, s3
	s_cbranch_execz .LBB347_155
; %bb.154:                              ;   in Loop: Header=BB347_133 Depth=2
	v_mad_u64_u32 v[27:28], null, 0xfe5163ab, v25, 0
	v_cmp_lt_u32_e32 vcc_lo, 63, v26
	v_cndmask_b32_e64 v33, 0, 0xffffffc0, vcc_lo
	v_mov_b32_e32 v3, v28
	v_add_nc_u32_e32 v26, v33, v26
	v_mad_u64_u32 v[28:29], null, 0x3c439041, v25, v[3:4]
	v_cmp_lt_u32_e64 s3, 31, v26
	v_mov_b32_e32 v3, v29
	v_cndmask_b32_e64 v34, 0, 0xffffffe0, s3
	v_mad_u64_u32 v[29:30], null, 0xdb629599, v25, v[3:4]
	v_mov_b32_e32 v3, v30
	v_cndmask_b32_e32 v27, v29, v27, vcc_lo
	v_mad_u64_u32 v[30:31], null, 0xf534ddc0, v25, v[3:4]
	v_mov_b32_e32 v3, v31
	v_cndmask_b32_e32 v28, v30, v28, vcc_lo
	v_mad_u64_u32 v[31:32], null, 0xfc2757d1, v25, v[3:4]
	v_mov_b32_e32 v3, v32
	v_mad_u64_u32 v[32:33], null, 0x4e441529, v25, v[3:4]
	v_mov_b32_e32 v3, v33
	v_add_nc_u32_e32 v33, v34, v26
	v_cndmask_b32_e32 v34, v32, v30, vcc_lo
	v_mad_u64_u32 v[25:26], null, 0xa2f9836e, v25, v[3:4]
	v_cmp_lt_u32_e64 s4, 31, v33
	v_cndmask_b32_e64 v3, 0, 0xffffffe0, s4
	v_cndmask_b32_e32 v25, v25, v31, vcc_lo
	v_cndmask_b32_e32 v26, v26, v32, vcc_lo
	;; [unrolled: 1-line block ×3, first 2 shown]
	v_add_nc_u32_e32 v3, v3, v33
	v_cndmask_b32_e64 v30, v25, v34, s3
	v_cndmask_b32_e64 v25, v26, v25, s3
	;; [unrolled: 1-line block ×4, first 2 shown]
	v_sub_nc_u32_e32 v32, 32, v3
	v_cmp_eq_u32_e32 vcc_lo, 0, v3
	v_cndmask_b32_e64 v25, v25, v30, s4
	v_cndmask_b32_e64 v30, v30, v26, s4
	;; [unrolled: 1-line block ×3, first 2 shown]
	v_alignbit_b32 v33, v25, v30, v32
	v_alignbit_b32 v29, v30, v26, v32
	v_cndmask_b32_e32 v3, v33, v25, vcc_lo
	v_cndmask_b32_e64 v25, v28, v27, s3
	v_cndmask_b32_e32 v27, v29, v30, vcc_lo
	v_bfe_u32 v28, v3, 29, 1
	v_cndmask_b32_e64 v25, v31, v25, s4
	v_alignbit_b32 v29, v3, v27, 30
	v_sub_nc_u32_e32 v30, 0, v28
	v_alignbit_b32 v31, v26, v25, v32
	v_xor_b32_e32 v29, v29, v30
	v_cndmask_b32_e32 v26, v31, v26, vcc_lo
	v_ffbh_u32_e32 v31, v29
	v_alignbit_b32 v27, v27, v26, 30
	v_alignbit_b32 v25, v26, v25, 30
	v_min_u32_e32 v31, 32, v31
	v_xor_b32_e32 v26, v27, v30
	v_xor_b32_e32 v25, v25, v30
	v_lshrrev_b32_e32 v30, 29, v3
	v_sub_nc_u32_e32 v27, 31, v31
	v_lshlrev_b32_e32 v32, 23, v31
	v_alignbit_b32 v29, v29, v26, v27
	v_alignbit_b32 v25, v26, v25, v27
	v_lshlrev_b32_e32 v26, 31, v30
	v_alignbit_b32 v27, v29, v25, 9
	v_or_b32_e32 v30, 0.5, v26
	v_lshrrev_b32_e32 v29, 9, v29
	v_or_b32_e32 v26, 0x33000000, v26
	v_ffbh_u32_e32 v33, v27
	v_sub_nc_u32_e32 v30, v30, v32
	v_min_u32_e32 v32, 32, v33
	v_or_b32_e32 v29, v29, v30
	v_not_b32_e32 v30, v32
	v_mul_f32_e32 v33, 0x3fc90fda, v29
	v_add_lshl_u32 v31, v32, v31, 23
	v_alignbit_b32 v25, v27, v25, v30
	v_fma_f32 v27, 0x3fc90fda, v29, -v33
	v_sub_nc_u32_e32 v26, v26, v31
	v_lshrrev_b32_e32 v25, 9, v25
	v_fmac_f32_e32 v27, 0x33a22168, v29
	v_or_b32_e32 v25, v26, v25
	v_fmac_f32_e32 v27, 0x3fc90fda, v25
	v_lshrrev_b32_e32 v25, 30, v3
	v_add_f32_e32 v3, v33, v27
	v_add_nc_u32_e32 v27, v28, v25
                                        ; implicit-def: $vgpr28
	s_andn2_saveexec_b32 s3, s35
	s_cbranch_execnz .LBB347_156
	s_branch .LBB347_157
.LBB347_155:                            ;   in Loop: Header=BB347_133 Depth=2
	s_andn2_saveexec_b32 s3, s35
.LBB347_156:                            ;   in Loop: Header=BB347_133 Depth=2
	v_fma_f32 v3, 0xbfc90fda, v28, |v11|
	v_cvt_i32_f32_e32 v27, v28
	v_fmac_f32_e32 v3, 0xb3a22168, v28
	v_fmac_f32_e32 v3, 0xa7c234c4, v28
.LBB347_157:                            ;   in Loop: Header=BB347_133 Depth=2
	s_or_b32 exec_lo, exec_lo, s3
	v_sub_f32_e32 v24, v24, v9
	v_mul_f32_e32 v28, v22, v22
	v_mul_f32_e32 v29, v3, v3
	v_lshlrev_b32_e32 v25, 30, v23
	v_and_b32_e32 v23, 1, v23
	v_mul_f32_e32 v26, 0x3fb8aa3b, v24
	v_fmaak_f32 v33, s24, v28, 0xbab64f3b
	v_fmaak_f32 v34, s28, v28, 0x3c0881c4
	;; [unrolled: 1-line block ×4, first 2 shown]
	v_fma_f32 v31, 0x3fb8aa3b, v24, -v26
	v_rndne_f32_e32 v32, v26
	v_and_b32_e32 v30, 1, v27
	v_cmp_eq_u32_e32 vcc_lo, 0, v23
	v_lshlrev_b32_e32 v27, 30, v27
	v_fmac_f32_e32 v31, 0x32a5705f, v24
	v_sub_f32_e32 v26, v26, v32
	v_cvt_i32_f32_e32 v32, v32
	v_xor_b32_e32 v12, v12, v11
	v_and_b32_e32 v25, 0x80000000, v25
	v_and_b32_e32 v27, 0x80000000, v27
	v_add_f32_e32 v26, v26, v31
	v_fmaak_f32 v31, v28, v33, 0x3d2aabf7
	v_fmaak_f32 v33, v28, v34, 0xbe2aaa9d
	v_fmaak_f32 v34, v29, v35, 0xbe2aaa9d
	v_fmaak_f32 v35, v29, v36, 0x3d2aabf7
	v_exp_f32_e32 v26, v26
	v_fmaak_f32 v31, v28, v31, 0xbf000004
	v_mul_f32_e32 v33, v28, v33
	v_mul_f32_e32 v34, v29, v34
	v_fmaak_f32 v35, v29, v35, 0xbf000004
	v_cmp_nlt_f32_e64 s3, 0x42b17218, v24
	v_fma_f32 v28, v28, v31, 1.0
	v_fmac_f32_e32 v22, v22, v33
	v_fmac_f32_e32 v3, v3, v34
	v_fma_f32 v29, v29, v35, 1.0
	v_ldexp_f32 v26, v26, v32
	v_cndmask_b32_e64 v22, -v22, v28, vcc_lo
	v_cmp_eq_u32_e32 vcc_lo, 0, v30
	v_xor_b32_e32 v22, v25, v22
	v_cndmask_b32_e32 v3, v29, v3, vcc_lo
	v_cmp_ngt_f32_e32 vcc_lo, 0xc2ce8ed0, v24
	v_xor3_b32 v3, v12, v27, v3
	v_cndmask_b32_e32 v23, 0, v26, vcc_lo
	v_cmp_class_f32_e64 vcc_lo, v11, 0x1f8
	v_cndmask_b32_e64 v24, 0x7f800000, v23, s3
	v_cndmask_b32_e32 v22, 0x7fc00000, v22, vcc_lo
	v_cndmask_b32_e32 v3, 0x7fc00000, v3, vcc_lo
	v_mul_f32_e32 v23, v24, v22
	v_mul_f32_e32 v3, v24, v3
	v_max_f32_e64 v25, |v23|, |v3|
	v_cvt_f64_f32_e32 v[11:12], v25
	v_cmp_eq_f32_e32 vcc_lo, 0x7f800000, v25
	v_frexp_exp_i32_f64_e32 v11, v[11:12]
	v_sub_nc_u32_e32 v12, 0, v11
	v_ldexp_f32 v26, |v3|, v12
	v_ldexp_f32 v12, |v23|, v12
	v_mul_f32_e32 v26, v26, v26
	v_fmac_f32_e32 v26, v12, v12
	v_sqrt_f32_e32 v12, v26
	v_ldexp_f32 v12, v12, v11
	v_fma_f32 v11, v24, v22, 1.0
	v_cmp_ngt_f32_e64 s3, 0.5, v12
	v_max_f32_e64 v12, |v11|, |v3|
	s_or_b32 s3, vcc_lo, s3
	s_and_saveexec_b32 s4, s3
	s_xor_b32 s4, exec_lo, s4
	s_cbranch_execz .LBB347_159
; %bb.158:                              ;   in Loop: Header=BB347_133 Depth=2
	v_cvt_f64_f32_e32 v[22:23], v12
	v_cmp_neq_f32_e32 vcc_lo, 0x7f800000, v12
	v_frexp_exp_i32_f64_e32 v22, v[22:23]
	v_sub_nc_u32_e32 v23, 0, v22
	v_ldexp_f32 v24, |v3|, v23
	v_ldexp_f32 v23, |v11|, v23
	v_mul_f32_e32 v24, v24, v24
	v_fmac_f32_e32 v24, v23, v23
	v_sqrt_f32_e32 v23, v24
	v_ldexp_f32 v22, v23, v22
	v_cndmask_b32_e32 v22, 0x7f800000, v22, vcc_lo
	v_cmp_gt_f32_e32 vcc_lo, 0x800000, v22
	v_cndmask_b32_e64 v23, 0, 32, vcc_lo
	v_ldexp_f32 v22, v22, v23
	v_log_f32_e32 v22, v22
	v_mul_f32_e32 v23, 0x3f317217, v22
	v_cmp_gt_f32_e64 s3, 0x7f800000, |v22|
	v_fma_f32 v23, 0x3f317217, v22, -v23
	v_fmac_f32_e32 v23, 0x3377d1cf, v22
	v_fmac_f32_e32 v23, 0x3f317217, v22
	v_cndmask_b32_e64 v22, v22, v23, s3
	v_cndmask_b32_e64 v23, 0, 0x41b17218, vcc_lo
	v_sub_f32_e32 v23, v22, v23
.LBB347_159:                            ;   in Loop: Header=BB347_133 Depth=2
	s_andn2_saveexec_b32 s3, s4
	s_cbranch_execz .LBB347_163
; %bb.160:                              ;   in Loop: Header=BB347_133 Depth=2
	v_add_f32_e32 v24, 2.0, v23
	v_mul_f32_e32 v22, v3, v3
	s_mov_b32 s4, exec_lo
	v_fmac_f32_e32 v22, v23, v24
	v_cmpx_neq_f32_e32 0, v22
	s_cbranch_execz .LBB347_162
; %bb.161:                              ;   in Loop: Header=BB347_133 Depth=2
	v_add_f32_e32 v25, 1.0, v22
	v_cvt_f64_f32_e32 v[23:24], v25
	v_frexp_exp_i32_f64_e32 v23, v[23:24]
	v_frexp_mant_f32_e32 v24, v25
	v_cmp_gt_f32_e32 vcc_lo, 0x3f2aaaab, v24
	v_add_f32_e32 v24, -1.0, v25
	v_sub_f32_e32 v27, v24, v25
	v_sub_f32_e32 v24, v22, v24
	v_add_f32_e32 v27, 1.0, v27
	v_add_f32_e32 v24, v24, v27
	v_subrev_co_ci_u32_e64 v23, null, 0, v23, vcc_lo
	v_cmp_neq_f32_e32 vcc_lo, 0x7f800000, v22
	v_sub_nc_u32_e32 v26, 0, v23
	v_cvt_f32_i32_e32 v23, v23
	v_ldexp_f32 v25, v25, v26
	v_ldexp_f32 v24, v24, v26
	v_add_f32_e32 v28, 1.0, v25
	v_add_f32_e32 v26, -1.0, v25
	v_add_f32_e32 v27, -1.0, v28
	v_add_f32_e32 v29, 1.0, v26
	v_sub_f32_e32 v27, v25, v27
	v_sub_f32_e32 v25, v25, v29
	v_add_f32_e32 v27, v24, v27
	v_add_f32_e32 v24, v24, v25
	v_add_f32_e32 v29, v28, v27
	v_add_f32_e32 v30, v26, v24
	v_rcp_f32_e32 v25, v29
	v_sub_f32_e32 v28, v29, v28
	v_sub_f32_e32 v26, v30, v26
	;; [unrolled: 1-line block ×4, first 2 shown]
	v_mul_f32_e32 v31, v30, v25
	v_mul_f32_e32 v32, v29, v31
	v_fma_f32 v28, v31, v29, -v32
	v_fmac_f32_e32 v28, v31, v27
	v_add_f32_e32 v33, v32, v28
	v_sub_f32_e32 v34, v30, v33
	v_sub_f32_e32 v26, v33, v32
	v_sub_f32_e32 v30, v30, v34
	v_sub_f32_e32 v26, v26, v28
	v_sub_f32_e32 v30, v30, v33
	v_add_f32_e32 v24, v24, v30
	v_add_f32_e32 v24, v26, v24
	v_add_f32_e32 v26, v34, v24
	v_mul_f32_e32 v28, v25, v26
	v_sub_f32_e32 v33, v34, v26
	v_mul_f32_e32 v30, v29, v28
	v_add_f32_e32 v24, v24, v33
	v_fma_f32 v29, v28, v29, -v30
	v_fmac_f32_e32 v29, v28, v27
	v_add_f32_e32 v27, v30, v29
	v_sub_f32_e32 v32, v26, v27
	v_sub_f32_e32 v30, v27, v30
	;; [unrolled: 1-line block ×5, first 2 shown]
	v_add_f32_e32 v24, v24, v26
	v_add_f32_e32 v26, v31, v28
	;; [unrolled: 1-line block ×3, first 2 shown]
	v_sub_f32_e32 v27, v26, v31
	v_add_f32_e32 v24, v32, v24
	v_sub_f32_e32 v27, v28, v27
	v_mul_f32_e32 v24, v25, v24
	v_add_f32_e32 v24, v27, v24
	v_add_f32_e32 v25, v26, v24
	v_mul_f32_e32 v27, v25, v25
	v_fmaak_f32 v28, s29, v27, 0x3ecc95a3
	v_mul_f32_e32 v29, v25, v27
	v_fmaak_f32 v27, v27, v28, 0x3f2aaada
	v_ldexp_f32 v28, v25, 1
	v_sub_f32_e32 v25, v25, v26
	v_mul_f32_e32 v27, v29, v27
	v_mul_f32_e32 v29, 0x3f317218, v23
	v_sub_f32_e32 v24, v24, v25
	v_add_f32_e32 v26, v28, v27
	v_ldexp_f32 v24, v24, 1
	v_sub_f32_e32 v25, v26, v28
	v_fma_f32 v28, 0x3f317218, v23, -v29
	v_sub_f32_e32 v25, v27, v25
	v_fmac_f32_e32 v28, 0xb102e308, v23
	v_add_f32_e32 v23, v24, v25
	v_add_f32_e32 v24, v29, v28
	;; [unrolled: 1-line block ×3, first 2 shown]
	v_sub_f32_e32 v29, v24, v29
	v_add_f32_e32 v27, v24, v25
	v_sub_f32_e32 v26, v25, v26
	v_sub_f32_e32 v28, v28, v29
	;; [unrolled: 1-line block ×6, first 2 shown]
	v_add_f32_e32 v26, v28, v23
	v_sub_f32_e32 v24, v24, v31
	v_add_f32_e32 v24, v25, v24
	v_sub_f32_e32 v25, v26, v28
	;; [unrolled: 2-line block ×3, first 2 shown]
	v_sub_f32_e32 v23, v23, v25
	v_add_f32_e32 v29, v27, v24
	v_sub_f32_e32 v26, v28, v26
	v_sub_f32_e32 v25, v29, v27
	v_add_f32_e32 v23, v23, v26
	v_sub_f32_e32 v24, v24, v25
	v_add_f32_e32 v23, v23, v24
	v_add_f32_e32 v23, v29, v23
	v_cndmask_b32_e32 v23, 0x7f800000, v23, vcc_lo
	v_cmp_ngt_f32_e32 vcc_lo, -1.0, v22
	v_cndmask_b32_e32 v23, 0x7fc00000, v23, vcc_lo
	v_cmp_neq_f32_e32 vcc_lo, -1.0, v22
	v_cndmask_b32_e32 v23, 0xff800000, v23, vcc_lo
	v_cmp_gt_f32_e64 vcc_lo, 0x33800000, |v22|
	v_cndmask_b32_e32 v22, v23, v22, vcc_lo
	v_mul_f32_e32 v23, 0.5, v22
.LBB347_162:                            ;   in Loop: Header=BB347_133 Depth=2
	s_or_b32 exec_lo, exec_lo, s4
.LBB347_163:                            ;   in Loop: Header=BB347_133 Depth=2
	s_or_b32 exec_lo, exec_lo, s3
	v_max_f32_e64 v22, |v3|, |v3|
	v_max_f32_e64 v24, |v11|, |v11|
	v_frexp_mant_f32_e32 v25, v12
	v_frexp_exp_i32_f32_e32 v12, v12
	v_cmp_gt_f32_e64 vcc_lo, |v3|, |v11|
	v_cmp_gt_i32_e64 s3, 0, v11
	v_min_f32_e32 v22, v24, v22
	v_rcp_f32_e32 v24, v25
	v_cmp_class_f32_e64 s4, v11, 0x204
	v_frexp_mant_f32_e32 v25, v22
	v_frexp_exp_i32_f32_e32 v22, v22
	v_mul_f32_e32 v24, v25, v24
	v_sub_nc_u32_e32 v12, v22, v12
	v_cndmask_b32_e64 v25, 0, 0x40490fdb, s3
	v_cmp_class_f32_e64 s3, v3, 0x204
	v_ldexp_f32 v12, v24, v12
	v_mul_f32_e32 v22, v12, v12
	v_fmaak_f32 v24, s30, v22, 0xbc7a590c
	v_fmaak_f32 v24, v22, v24, 0x3d29fb3f
	;; [unrolled: 1-line block ×7, first 2 shown]
	v_mul_f32_e32 v22, v22, v24
	v_fmac_f32_e32 v12, v12, v22
	v_sub_f32_e32 v22, 0x3fc90fdb, v12
	v_cndmask_b32_e32 v12, v12, v22, vcc_lo
	v_cmp_gt_f32_e32 vcc_lo, 0, v11
	v_sub_f32_e32 v22, 0x40490fdb, v12
	v_cndmask_b32_e32 v24, 0x3f490fdb, v17, vcc_lo
	v_cndmask_b32_e32 v12, v12, v22, vcc_lo
	v_cmp_eq_f32_e32 vcc_lo, 0, v3
	v_cndmask_b32_e32 v12, v12, v25, vcc_lo
	s_and_b32 vcc_lo, s4, s3
	v_cndmask_b32_e32 v12, v12, v24, vcc_lo
	v_cmp_o_f32_e32 vcc_lo, v11, v3
	v_add_f32_e32 v24, v9, v23
                                        ; implicit-def: $vgpr23
	v_cndmask_b32_e32 v11, 0x7fc00000, v12, vcc_lo
	v_bfi_b32 v3, 0x7fffffff, v11, v3
	v_add_f32_e32 v22, v10, v3
                                        ; implicit-def: $vgpr10
.LBB347_164:                            ;   in Loop: Header=BB347_133 Depth=2
	s_andn2_saveexec_b32 s34, s34
	s_cbranch_execz .LBB347_190
; %bb.165:                              ;   in Loop: Header=BB347_133 Depth=2
	s_mov_b32 s35, exec_lo
	v_cmpx_ngt_f32_e32 0, v24
	s_cbranch_execz .LBB347_189
; %bb.166:                              ;   in Loop: Header=BB347_133 Depth=2
	v_and_b32_e32 v9, 0x7fffffff, v22
	v_cmp_ngt_f32_e64 s36, 0x48000000, |v22|
                                        ; implicit-def: $vgpr12
                                        ; implicit-def: $vgpr11
	v_lshrrev_b32_e32 v3, 23, v9
	v_and_or_b32 v25, v9, s5, 0x800000
	v_add_nc_u32_e32 v27, 0xffffff88, v3
	s_and_saveexec_b32 s3, s36
	s_xor_b32 s37, exec_lo, s3
	s_cbranch_execz .LBB347_168
; %bb.167:                              ;   in Loop: Header=BB347_133 Depth=2
	v_mad_u64_u32 v[11:12], null, 0xfe5163ab, v25, 0
	v_cmp_lt_u32_e32 vcc_lo, 63, v27
	v_mov_b32_e32 v3, v12
	v_cndmask_b32_e64 v12, 0, 0xffffffc0, vcc_lo
	v_mad_u64_u32 v[28:29], null, 0x3c439041, v25, v[3:4]
	v_add_nc_u32_e32 v12, v12, v27
	v_cmp_lt_u32_e64 s3, 31, v12
	v_mov_b32_e32 v3, v29
	v_cndmask_b32_e64 v24, 0, 0xffffffe0, s3
	v_mad_u64_u32 v[29:30], null, 0xdb629599, v25, v[3:4]
	v_add_nc_u32_e32 v12, v24, v12
	v_mov_b32_e32 v3, v30
	v_cmp_lt_u32_e64 s4, 31, v12
	v_cndmask_b32_e32 v11, v29, v11, vcc_lo
	v_mad_u64_u32 v[30:31], null, 0xf534ddc0, v25, v[3:4]
	v_mov_b32_e32 v3, v31
	v_mad_u64_u32 v[31:32], null, 0xfc2757d1, v25, v[3:4]
	v_mov_b32_e32 v3, v32
	;; [unrolled: 2-line block ×3, first 2 shown]
	v_cndmask_b32_e32 v24, v32, v30, vcc_lo
	v_mad_u64_u32 v[33:34], null, 0xa2f9836e, v25, v[3:4]
	v_cndmask_b32_e64 v3, 0, 0xffffffe0, s4
	v_add_nc_u32_e32 v3, v3, v12
	v_cndmask_b32_e32 v26, v33, v31, vcc_lo
	v_cndmask_b32_e32 v32, v34, v32, vcc_lo
	;; [unrolled: 1-line block ×4, first 2 shown]
	v_sub_nc_u32_e32 v30, 32, v3
	v_cndmask_b32_e64 v28, v26, v24, s3
	v_cndmask_b32_e64 v26, v32, v26, s3
	;; [unrolled: 1-line block ×4, first 2 shown]
	v_cmp_eq_u32_e32 vcc_lo, 0, v3
	v_cndmask_b32_e64 v11, v12, v11, s3
	v_cndmask_b32_e64 v26, v26, v28, s4
	;; [unrolled: 1-line block ×5, first 2 shown]
	v_alignbit_b32 v32, v26, v28, v30
	v_alignbit_b32 v29, v28, v24, v30
	;; [unrolled: 1-line block ×3, first 2 shown]
	v_cndmask_b32_e32 v3, v32, v26, vcc_lo
	v_cndmask_b32_e32 v12, v29, v28, vcc_lo
	;; [unrolled: 1-line block ×3, first 2 shown]
	v_bfe_u32 v26, v3, 29, 1
	v_alignbit_b32 v28, v3, v12, 30
	v_alignbit_b32 v12, v12, v24, 30
	;; [unrolled: 1-line block ×3, first 2 shown]
	v_sub_nc_u32_e32 v29, 0, v26
	v_xor_b32_e32 v28, v28, v29
	v_xor_b32_e32 v12, v12, v29
	;; [unrolled: 1-line block ×3, first 2 shown]
	v_lshrrev_b32_e32 v29, 29, v3
	v_lshrrev_b32_e32 v3, 30, v3
	v_ffbh_u32_e32 v30, v28
	v_min_u32_e32 v30, 32, v30
	v_sub_nc_u32_e32 v24, 31, v30
	v_lshlrev_b32_e32 v31, 23, v30
	v_alignbit_b32 v28, v28, v12, v24
	v_alignbit_b32 v11, v12, v11, v24
	v_lshlrev_b32_e32 v12, 31, v29
	v_alignbit_b32 v24, v28, v11, 9
	v_or_b32_e32 v29, 0.5, v12
	v_lshrrev_b32_e32 v28, 9, v28
	v_or_b32_e32 v12, 0x33000000, v12
	v_ffbh_u32_e32 v32, v24
	v_sub_nc_u32_e32 v29, v29, v31
	v_min_u32_e32 v31, 32, v32
	v_or_b32_e32 v28, v28, v29
	v_not_b32_e32 v29, v31
	v_mul_f32_e32 v32, 0x3fc90fda, v28
	v_add_lshl_u32 v30, v31, v30, 23
	v_alignbit_b32 v11, v24, v11, v29
	v_fma_f32 v24, 0x3fc90fda, v28, -v32
	v_sub_nc_u32_e32 v12, v12, v30
	v_lshrrev_b32_e32 v11, 9, v11
	v_fmac_f32_e32 v24, 0x33a22168, v28
	v_or_b32_e32 v11, v12, v11
	v_add_nc_u32_e32 v12, v26, v3
	v_fmac_f32_e32 v24, 0x3fc90fda, v11
	v_add_f32_e32 v11, v32, v24
.LBB347_168:                            ;   in Loop: Header=BB347_133 Depth=2
	s_or_saveexec_b32 s3, s37
	v_mul_f32_e64 v3, 0x3f22f983, |v22|
	v_rndne_f32_e32 v3, v3
	s_xor_b32 exec_lo, exec_lo, s3
; %bb.169:                              ;   in Loop: Header=BB347_133 Depth=2
	v_fma_f32 v11, 0xbfc90fda, v3, |v22|
	v_cvt_i32_f32_e32 v12, v3
	v_fmac_f32_e32 v11, 0xb3a22168, v3
	v_fmac_f32_e32 v11, 0xa7c234c4, v3
; %bb.170:                              ;   in Loop: Header=BB347_133 Depth=2
	s_or_b32 exec_lo, exec_lo, s3
                                        ; implicit-def: $vgpr26
                                        ; implicit-def: $vgpr24
	s_and_saveexec_b32 s3, s36
	s_xor_b32 s36, exec_lo, s3
	s_cbranch_execz .LBB347_172
; %bb.171:                              ;   in Loop: Header=BB347_133 Depth=2
	v_mad_u64_u32 v[28:29], null, 0xfe5163ab, v25, 0
	v_cmp_lt_u32_e32 vcc_lo, 63, v27
	v_cndmask_b32_e64 v24, 0, 0xffffffc0, vcc_lo
	v_mov_b32_e32 v3, v29
	v_add_nc_u32_e32 v24, v24, v27
	v_mad_u64_u32 v[29:30], null, 0x3c439041, v25, v[3:4]
	v_cmp_lt_u32_e64 s3, 31, v24
	v_mov_b32_e32 v3, v30
	v_mad_u64_u32 v[30:31], null, 0xdb629599, v25, v[3:4]
	v_mov_b32_e32 v3, v31
	v_cndmask_b32_e32 v28, v30, v28, vcc_lo
	v_mad_u64_u32 v[31:32], null, 0xf534ddc0, v25, v[3:4]
	v_mov_b32_e32 v3, v32
	v_mad_u64_u32 v[32:33], null, 0xfc2757d1, v25, v[3:4]
	v_mov_b32_e32 v3, v33
	v_cndmask_b32_e64 v33, 0, 0xffffffe0, s3
	v_mad_u64_u32 v[26:27], null, 0x4e441529, v25, v[3:4]
	v_mov_b32_e32 v3, v27
	v_add_nc_u32_e32 v27, v33, v24
	v_cndmask_b32_e32 v33, v26, v31, vcc_lo
	v_mad_u64_u32 v[24:25], null, 0xa2f9836e, v25, v[3:4]
	v_cmp_lt_u32_e64 s4, 31, v27
	v_cndmask_b32_e64 v3, 0, 0xffffffe0, s4
	v_cndmask_b32_e32 v24, v24, v32, vcc_lo
	v_cndmask_b32_e32 v25, v25, v26, vcc_lo
	;; [unrolled: 1-line block ×3, first 2 shown]
	v_add_nc_u32_e32 v3, v3, v27
	v_cndmask_b32_e32 v27, v31, v29, vcc_lo
	v_cndmask_b32_e64 v29, v24, v33, s3
	v_cndmask_b32_e64 v24, v25, v24, s3
	;; [unrolled: 1-line block ×3, first 2 shown]
	v_sub_nc_u32_e32 v31, 32, v3
	v_cndmask_b32_e64 v26, v26, v27, s3
	v_cmp_eq_u32_e32 vcc_lo, 0, v3
	v_cndmask_b32_e64 v24, v24, v29, s4
	v_cndmask_b32_e64 v29, v29, v25, s4
	;; [unrolled: 1-line block ×3, first 2 shown]
	v_alignbit_b32 v32, v24, v29, v31
	v_alignbit_b32 v30, v29, v25, v31
	v_cndmask_b32_e32 v3, v32, v24, vcc_lo
	v_cndmask_b32_e64 v24, v27, v28, s3
	v_cndmask_b32_e32 v27, v30, v29, vcc_lo
	v_bfe_u32 v28, v3, 29, 1
	v_cndmask_b32_e64 v24, v26, v24, s4
	v_alignbit_b32 v26, v3, v27, 30
	v_sub_nc_u32_e32 v29, 0, v28
	v_alignbit_b32 v30, v25, v24, v31
	v_xor_b32_e32 v26, v26, v29
	v_cndmask_b32_e32 v25, v30, v25, vcc_lo
	v_ffbh_u32_e32 v30, v26
	v_alignbit_b32 v27, v27, v25, 30
	v_alignbit_b32 v24, v25, v24, 30
	v_min_u32_e32 v30, 32, v30
	v_xor_b32_e32 v25, v27, v29
	v_xor_b32_e32 v24, v24, v29
	v_lshrrev_b32_e32 v29, 29, v3
	v_lshrrev_b32_e32 v3, 30, v3
	v_sub_nc_u32_e32 v27, 31, v30
	v_lshlrev_b32_e32 v31, 23, v30
	v_alignbit_b32 v26, v26, v25, v27
	v_alignbit_b32 v24, v25, v24, v27
	v_lshlrev_b32_e32 v25, 31, v29
	v_alignbit_b32 v27, v26, v24, 9
	v_or_b32_e32 v29, 0.5, v25
	v_lshrrev_b32_e32 v26, 9, v26
	v_or_b32_e32 v25, 0x33000000, v25
	v_ffbh_u32_e32 v32, v27
	v_sub_nc_u32_e32 v29, v29, v31
	v_min_u32_e32 v31, 32, v32
	v_or_b32_e32 v26, v26, v29
	v_not_b32_e32 v29, v31
	v_mul_f32_e32 v32, 0x3fc90fda, v26
	v_add_lshl_u32 v30, v31, v30, 23
	v_alignbit_b32 v24, v27, v24, v29
	v_fma_f32 v27, 0x3fc90fda, v26, -v32
	v_sub_nc_u32_e32 v25, v25, v30
	v_lshrrev_b32_e32 v24, 9, v24
	v_fmac_f32_e32 v27, 0x33a22168, v26
	v_add_nc_u32_e32 v26, v28, v3
                                        ; implicit-def: $vgpr3
	v_or_b32_e32 v24, v25, v24
	v_fmac_f32_e32 v27, 0x3fc90fda, v24
	v_add_f32_e32 v24, v32, v27
	s_andn2_saveexec_b32 s3, s36
	s_cbranch_execnz .LBB347_173
	s_branch .LBB347_174
.LBB347_172:                            ;   in Loop: Header=BB347_133 Depth=2
	s_andn2_saveexec_b32 s3, s36
.LBB347_173:                            ;   in Loop: Header=BB347_133 Depth=2
	v_fma_f32 v24, 0xbfc90fda, v3, |v22|
	v_cvt_i32_f32_e32 v26, v3
	v_fmac_f32_e32 v24, 0xb3a22168, v3
	v_fmac_f32_e32 v24, 0xa7c234c4, v3
.LBB347_174:                            ;   in Loop: Header=BB347_133 Depth=2
	s_or_b32 exec_lo, exec_lo, s3
	v_and_b32_e32 v25, 0x7fffffff, v10
	v_cmp_ngt_f32_e64 s36, 0x48000000, |v10|
                                        ; implicit-def: $vgpr28
                                        ; implicit-def: $vgpr27
	v_lshrrev_b32_e32 v3, 23, v25
	v_and_or_b32 v29, v25, s5, 0x800000
	v_add_nc_u32_e32 v30, 0xffffff88, v3
	s_and_saveexec_b32 s3, s36
	s_xor_b32 s37, exec_lo, s3
	s_cbranch_execz .LBB347_176
; %bb.175:                              ;   in Loop: Header=BB347_133 Depth=2
	v_mad_u64_u32 v[27:28], null, 0xfe5163ab, v29, 0
	v_cmp_lt_u32_e32 vcc_lo, 63, v30
	v_mov_b32_e32 v3, v28
	v_cndmask_b32_e64 v28, 0, 0xffffffc0, vcc_lo
	v_mad_u64_u32 v[31:32], null, 0x3c439041, v29, v[3:4]
	v_add_nc_u32_e32 v28, v28, v30
	v_cmp_lt_u32_e64 s3, 31, v28
	v_mov_b32_e32 v3, v32
	v_cndmask_b32_e64 v37, 0, 0xffffffe0, s3
	v_mad_u64_u32 v[32:33], null, 0xdb629599, v29, v[3:4]
	v_add_nc_u32_e32 v28, v37, v28
	v_mov_b32_e32 v3, v33
	v_cmp_lt_u32_e64 s4, 31, v28
	v_cndmask_b32_e32 v27, v32, v27, vcc_lo
	v_mad_u64_u32 v[33:34], null, 0xf534ddc0, v29, v[3:4]
	v_mov_b32_e32 v3, v34
	v_mad_u64_u32 v[34:35], null, 0xfc2757d1, v29, v[3:4]
	v_mov_b32_e32 v3, v35
	v_mad_u64_u32 v[35:36], null, 0x4e441529, v29, v[3:4]
	v_mov_b32_e32 v3, v36
	v_cndmask_b32_e32 v38, v35, v33, vcc_lo
	v_mad_u64_u32 v[36:37], null, 0xa2f9836e, v29, v[3:4]
	v_cndmask_b32_e64 v3, 0, 0xffffffe0, s4
	v_add_nc_u32_e32 v3, v3, v28
	v_cndmask_b32_e32 v36, v36, v34, vcc_lo
	v_cndmask_b32_e32 v35, v37, v35, vcc_lo
	;; [unrolled: 1-line block ×4, first 2 shown]
	v_cmp_eq_u32_e32 vcc_lo, 0, v3
	v_cndmask_b32_e64 v31, v36, v38, s3
	v_cndmask_b32_e64 v33, v35, v36, s3
	;; [unrolled: 1-line block ×3, first 2 shown]
	v_sub_nc_u32_e32 v36, 32, v3
	v_cndmask_b32_e64 v34, v34, v28, s3
	v_cndmask_b32_e64 v27, v28, v27, s3
	;; [unrolled: 1-line block ×6, first 2 shown]
	v_alignbit_b32 v37, v33, v31, v36
	v_alignbit_b32 v32, v31, v35, v36
	;; [unrolled: 1-line block ×3, first 2 shown]
	v_cndmask_b32_e32 v3, v37, v33, vcc_lo
	v_cndmask_b32_e32 v28, v32, v31, vcc_lo
	;; [unrolled: 1-line block ×3, first 2 shown]
	v_bfe_u32 v31, v3, 29, 1
	v_alignbit_b32 v32, v3, v28, 30
	v_alignbit_b32 v28, v28, v34, 30
	;; [unrolled: 1-line block ×3, first 2 shown]
	v_sub_nc_u32_e32 v33, 0, v31
	v_xor_b32_e32 v32, v32, v33
	v_xor_b32_e32 v28, v28, v33
	;; [unrolled: 1-line block ×3, first 2 shown]
	v_lshrrev_b32_e32 v33, 29, v3
	v_lshrrev_b32_e32 v3, 30, v3
	v_ffbh_u32_e32 v35, v32
	v_min_u32_e32 v35, 32, v35
	v_sub_nc_u32_e32 v34, 31, v35
	v_lshlrev_b32_e32 v36, 23, v35
	v_alignbit_b32 v32, v32, v28, v34
	v_alignbit_b32 v27, v28, v27, v34
	v_lshlrev_b32_e32 v28, 31, v33
	v_alignbit_b32 v33, v32, v27, 9
	v_or_b32_e32 v34, 0.5, v28
	v_lshrrev_b32_e32 v32, 9, v32
	v_or_b32_e32 v28, 0x33000000, v28
	v_ffbh_u32_e32 v37, v33
	v_sub_nc_u32_e32 v34, v34, v36
	v_min_u32_e32 v36, 32, v37
	v_or_b32_e32 v32, v32, v34
	v_not_b32_e32 v34, v36
	v_mul_f32_e32 v37, 0x3fc90fda, v32
	v_add_lshl_u32 v35, v36, v35, 23
	v_alignbit_b32 v27, v33, v27, v34
	v_fma_f32 v33, 0x3fc90fda, v32, -v37
	v_sub_nc_u32_e32 v28, v28, v35
	v_lshrrev_b32_e32 v27, 9, v27
	v_fmac_f32_e32 v33, 0x33a22168, v32
	v_or_b32_e32 v27, v28, v27
	v_add_nc_u32_e32 v28, v31, v3
	v_fmac_f32_e32 v33, 0x3fc90fda, v27
	v_add_f32_e32 v27, v37, v33
.LBB347_176:                            ;   in Loop: Header=BB347_133 Depth=2
	s_or_saveexec_b32 s3, s37
	v_mul_f32_e64 v3, 0x3f22f983, |v10|
	v_rndne_f32_e32 v32, v3
	s_xor_b32 exec_lo, exec_lo, s3
; %bb.177:                              ;   in Loop: Header=BB347_133 Depth=2
	v_fma_f32 v27, 0xbfc90fda, v32, |v10|
	v_cvt_i32_f32_e32 v28, v32
	v_fmac_f32_e32 v27, 0xb3a22168, v32
	v_fmac_f32_e32 v27, 0xa7c234c4, v32
; %bb.178:                              ;   in Loop: Header=BB347_133 Depth=2
	s_or_b32 exec_lo, exec_lo, s3
                                        ; implicit-def: $vgpr31
                                        ; implicit-def: $vgpr3
	s_and_saveexec_b32 s3, s36
	s_xor_b32 s36, exec_lo, s3
	s_cbranch_execz .LBB347_180
; %bb.179:                              ;   in Loop: Header=BB347_133 Depth=2
	v_mad_u64_u32 v[31:32], null, 0xfe5163ab, v29, 0
	v_cmp_lt_u32_e32 vcc_lo, 63, v30
	v_cndmask_b32_e64 v37, 0, 0xffffffc0, vcc_lo
	v_mov_b32_e32 v3, v32
	v_add_nc_u32_e32 v30, v37, v30
	v_mad_u64_u32 v[32:33], null, 0x3c439041, v29, v[3:4]
	v_cmp_lt_u32_e64 s3, 31, v30
	v_mov_b32_e32 v3, v33
	v_cndmask_b32_e64 v38, 0, 0xffffffe0, s3
	v_mad_u64_u32 v[33:34], null, 0xdb629599, v29, v[3:4]
	v_mov_b32_e32 v3, v34
	v_cndmask_b32_e32 v31, v33, v31, vcc_lo
	v_mad_u64_u32 v[34:35], null, 0xf534ddc0, v29, v[3:4]
	v_mov_b32_e32 v3, v35
	v_cndmask_b32_e32 v32, v34, v32, vcc_lo
	v_mad_u64_u32 v[35:36], null, 0xfc2757d1, v29, v[3:4]
	v_mov_b32_e32 v3, v36
	v_mad_u64_u32 v[36:37], null, 0x4e441529, v29, v[3:4]
	v_mov_b32_e32 v3, v37
	v_add_nc_u32_e32 v37, v38, v30
	v_cndmask_b32_e32 v38, v36, v34, vcc_lo
	v_mad_u64_u32 v[29:30], null, 0xa2f9836e, v29, v[3:4]
	v_cmp_lt_u32_e64 s4, 31, v37
	v_cndmask_b32_e64 v3, 0, 0xffffffe0, s4
	v_cndmask_b32_e32 v29, v29, v35, vcc_lo
	v_cndmask_b32_e32 v30, v30, v36, vcc_lo
	v_cndmask_b32_e32 v35, v35, v33, vcc_lo
	v_add_nc_u32_e32 v3, v3, v37
	v_cndmask_b32_e64 v34, v29, v38, s3
	v_cndmask_b32_e64 v29, v30, v29, s3
	;; [unrolled: 1-line block ×4, first 2 shown]
	v_sub_nc_u32_e32 v36, 32, v3
	v_cmp_eq_u32_e32 vcc_lo, 0, v3
	v_cndmask_b32_e64 v29, v29, v34, s4
	v_cndmask_b32_e64 v34, v34, v30, s4
	;; [unrolled: 1-line block ×3, first 2 shown]
	v_alignbit_b32 v37, v29, v34, v36
	v_alignbit_b32 v33, v34, v30, v36
	v_cndmask_b32_e32 v3, v37, v29, vcc_lo
	v_cndmask_b32_e64 v29, v32, v31, s3
	v_cndmask_b32_e32 v31, v33, v34, vcc_lo
	v_bfe_u32 v32, v3, 29, 1
	v_cndmask_b32_e64 v29, v35, v29, s4
	v_alignbit_b32 v33, v3, v31, 30
	v_sub_nc_u32_e32 v34, 0, v32
	v_alignbit_b32 v35, v30, v29, v36
	v_xor_b32_e32 v33, v33, v34
	v_cndmask_b32_e32 v30, v35, v30, vcc_lo
	v_ffbh_u32_e32 v35, v33
	v_alignbit_b32 v31, v31, v30, 30
	v_alignbit_b32 v29, v30, v29, 30
	v_min_u32_e32 v35, 32, v35
	v_xor_b32_e32 v30, v31, v34
	v_xor_b32_e32 v29, v29, v34
	v_lshrrev_b32_e32 v34, 29, v3
	v_sub_nc_u32_e32 v31, 31, v35
	v_lshlrev_b32_e32 v36, 23, v35
	v_alignbit_b32 v33, v33, v30, v31
	v_alignbit_b32 v29, v30, v29, v31
	v_lshlrev_b32_e32 v30, 31, v34
	v_alignbit_b32 v31, v33, v29, 9
	v_or_b32_e32 v34, 0.5, v30
	v_lshrrev_b32_e32 v33, 9, v33
	v_or_b32_e32 v30, 0x33000000, v30
	v_ffbh_u32_e32 v37, v31
	v_sub_nc_u32_e32 v34, v34, v36
	v_min_u32_e32 v36, 32, v37
	v_or_b32_e32 v33, v33, v34
	v_not_b32_e32 v34, v36
	v_mul_f32_e32 v37, 0x3fc90fda, v33
	v_add_lshl_u32 v35, v36, v35, 23
	v_alignbit_b32 v29, v31, v29, v34
	v_fma_f32 v31, 0x3fc90fda, v33, -v37
	v_sub_nc_u32_e32 v30, v30, v35
	v_lshrrev_b32_e32 v29, 9, v29
	v_fmac_f32_e32 v31, 0x33a22168, v33
	v_or_b32_e32 v29, v30, v29
	v_fmac_f32_e32 v31, 0x3fc90fda, v29
	v_lshrrev_b32_e32 v29, 30, v3
	v_add_f32_e32 v3, v37, v31
	v_add_nc_u32_e32 v31, v32, v29
                                        ; implicit-def: $vgpr32
	s_andn2_saveexec_b32 s3, s36
	s_cbranch_execnz .LBB347_181
	s_branch .LBB347_182
.LBB347_180:                            ;   in Loop: Header=BB347_133 Depth=2
	s_andn2_saveexec_b32 s3, s36
.LBB347_181:                            ;   in Loop: Header=BB347_133 Depth=2
	v_fma_f32 v3, 0xbfc90fda, v32, |v10|
	v_cvt_i32_f32_e32 v31, v32
	v_fmac_f32_e32 v3, 0xb3a22168, v32
	v_fmac_f32_e32 v3, 0xa7c234c4, v32
.LBB347_182:                            ;   in Loop: Header=BB347_133 Depth=2
	s_or_b32 exec_lo, exec_lo, s3
	v_mul_f32_e32 v29, v11, v11
	v_mul_f32_e32 v32, v24, v24
	v_xor_b32_e32 v9, v9, v23
	v_lshlrev_b32_e32 v30, 30, v12
	v_and_b32_e32 v12, 1, v12
	v_fmaak_f32 v33, s28, v29, 0x3c0881c4
	v_fmaak_f32 v34, s24, v29, 0xbab64f3b
	v_fmaak_f32 v23, s28, v32, 0x3c0881c4
	v_fmaak_f32 v35, s24, v32, 0xbab64f3b
	v_and_b32_e32 v36, 1, v26
	v_fmaak_f32 v33, v29, v33, 0xbe2aaa9d
	v_fmaak_f32 v34, v29, v34, 0x3d2aabf7
	;; [unrolled: 1-line block ×4, first 2 shown]
	v_cmp_eq_u32_e32 vcc_lo, 0, v12
	v_mul_f32_e32 v33, v29, v33
	v_fmaak_f32 v34, v29, v34, 0xbf000004
	v_mul_f32_e32 v23, v32, v23
	v_fmaak_f32 v35, v32, v35, 0xbf000004
	v_lshlrev_b32_e32 v26, 30, v26
	v_fmac_f32_e32 v11, v11, v33
	v_fma_f32 v29, v29, v34, 1.0
	v_and_b32_e32 v30, 0x80000000, v30
	v_fmac_f32_e32 v24, v24, v23
	v_fma_f32 v23, v32, v35, 1.0
	v_mul_f32_e32 v12, v27, v27
	v_cndmask_b32_e32 v11, v29, v11, vcc_lo
	v_cmp_eq_u32_e32 vcc_lo, 0, v36
	v_mul_f32_e32 v29, v3, v3
	v_lshlrev_b32_e32 v33, 30, v28
	v_and_b32_e32 v28, 1, v28
	v_xor3_b32 v9, v9, v30, v11
	v_cndmask_b32_e64 v23, -v24, v23, vcc_lo
	v_and_b32_e32 v11, 0x80000000, v26
	v_fmaak_f32 v24, s28, v12, 0x3c0881c4
	v_fmaak_f32 v26, s24, v12, 0xbab64f3b
	;; [unrolled: 1-line block ×4, first 2 shown]
	v_cmp_eq_u32_e32 vcc_lo, 0, v28
	v_fmaak_f32 v24, v12, v24, 0xbe2aaa9d
	v_fmaak_f32 v26, v12, v26, 0x3d2aabf7
	;; [unrolled: 1-line block ×4, first 2 shown]
	v_and_b32_e32 v33, 0x80000000, v33
	v_mul_f32_e32 v24, v12, v24
	v_fmaak_f32 v26, v12, v26, 0xbf000004
	v_mul_f32_e32 v30, v29, v30
	v_fmaak_f32 v32, v29, v32, 0xbf000004
	v_xor_b32_e32 v25, v25, v10
	v_fmac_f32_e32 v27, v27, v24
	v_fma_f32 v12, v12, v26, 1.0
	v_and_b32_e32 v26, 1, v31
	v_fmac_f32_e32 v3, v3, v30
	v_fma_f32 v24, v29, v32, 1.0
	v_lshlrev_b32_e32 v29, 30, v31
	v_cndmask_b32_e32 v12, v12, v27, vcc_lo
	v_cmp_eq_u32_e32 vcc_lo, 0, v26
	v_xor_b32_e32 v11, v11, v23
	v_cmp_class_f32_e64 s3, v10, 0x1f8
	v_xor3_b32 v12, v25, v33, v12
	v_cndmask_b32_e64 v3, -v3, v24, vcc_lo
	v_and_b32_e32 v24, 0x80000000, v29
	v_cmp_class_f32_e64 vcc_lo, v22, 0x1f8
	v_xor_b32_e32 v3, v24, v3
	v_cndmask_b32_e32 v10, 0x7fc00000, v11, vcc_lo
	v_cndmask_b32_e32 v9, 0x7fc00000, v9, vcc_lo
	v_cndmask_b32_e64 v11, 0x7fc00000, v12, s3
	v_cndmask_b32_e64 v3, 0x7fc00000, v3, s3
	v_mul_f32_e32 v12, 0x7f800000, v10
	v_cmp_neq_f32_e32 vcc_lo, 0, v10
	v_mul_f32_e32 v23, 0x7f800000, v11
	v_mul_f32_e32 v22, 0x7f800000, v3
	v_cndmask_b32_e32 v10, 0, v12, vcc_lo
	v_cmp_neq_f32_e32 vcc_lo, 0, v3
	v_mul_f32_e32 v12, 0x7f800000, v9
	v_cndmask_b32_e32 v3, 0, v22, vcc_lo
	v_cmp_neq_f32_e32 vcc_lo, 0, v9
	v_add_f32_e32 v10, v10, v3
	v_cndmask_b32_e32 v9, 0, v12, vcc_lo
	v_cmp_neq_f32_e32 vcc_lo, 0, v11
	v_add_f32_e32 v24, -1.0, v10
	v_cndmask_b32_e32 v11, 0, v23, vcc_lo
	v_add_f32_e32 v3, v9, v11
	v_max_f32_e64 v11, |v24|, |v3|
	v_cvt_f64_f32_e32 v[9:10], v11
	v_cmp_eq_f32_e32 vcc_lo, 0x7f800000, v11
	v_frexp_exp_i32_f64_e32 v9, v[9:10]
	v_sub_nc_u32_e32 v10, 0, v9
	v_ldexp_f32 v12, |v3|, v10
	v_ldexp_f32 v10, |v24|, v10
	v_mul_f32_e32 v12, v12, v12
	v_fmac_f32_e32 v12, v10, v10
	v_sqrt_f32_e32 v10, v12
	v_ldexp_f32 v10, v10, v9
	v_add_f32_e32 v9, 1.0, v24
	v_cmp_ngt_f32_e64 s3, 0.5, v10
	v_max_f32_e64 v10, |v9|, |v3|
	s_or_b32 s3, vcc_lo, s3
	s_and_saveexec_b32 s4, s3
	s_xor_b32 s4, exec_lo, s4
	s_cbranch_execz .LBB347_184
; %bb.183:                              ;   in Loop: Header=BB347_133 Depth=2
	v_cvt_f64_f32_e32 v[11:12], v10
	v_cmp_neq_f32_e32 vcc_lo, 0x7f800000, v10
	v_frexp_exp_i32_f64_e32 v11, v[11:12]
	v_sub_nc_u32_e32 v12, 0, v11
	v_ldexp_f32 v22, |v3|, v12
	v_ldexp_f32 v12, |v9|, v12
	v_mul_f32_e32 v22, v22, v22
	v_fmac_f32_e32 v22, v12, v12
	v_sqrt_f32_e32 v12, v22
	v_ldexp_f32 v11, v12, v11
	v_cndmask_b32_e32 v11, 0x7f800000, v11, vcc_lo
	v_cmp_gt_f32_e32 vcc_lo, 0x800000, v11
	v_cndmask_b32_e64 v12, 0, 32, vcc_lo
	v_ldexp_f32 v11, v11, v12
	v_log_f32_e32 v11, v11
	v_mul_f32_e32 v12, 0x3f317217, v11
	v_cmp_gt_f32_e64 s3, 0x7f800000, |v11|
	v_fma_f32 v12, 0x3f317217, v11, -v12
	v_fmac_f32_e32 v12, 0x3377d1cf, v11
	v_fmac_f32_e32 v12, 0x3f317217, v11
	v_cndmask_b32_e64 v11, v11, v12, s3
	v_cndmask_b32_e64 v12, 0, 0x41b17218, vcc_lo
	v_sub_f32_e32 v24, v11, v12
.LBB347_184:                            ;   in Loop: Header=BB347_133 Depth=2
	s_andn2_saveexec_b32 s3, s4
	s_cbranch_execz .LBB347_188
; %bb.185:                              ;   in Loop: Header=BB347_133 Depth=2
	v_add_f32_e32 v11, 2.0, v24
	s_mov_b32 s4, exec_lo
	v_mul_f32_e32 v11, v24, v11
	v_fmac_f32_e32 v11, v3, v3
	v_cmpx_neq_f32_e32 0, v11
	s_cbranch_execz .LBB347_187
; %bb.186:                              ;   in Loop: Header=BB347_133 Depth=2
	v_add_f32_e32 v12, 1.0, v11
	v_cvt_f64_f32_e32 v[22:23], v12
	v_frexp_exp_i32_f64_e32 v22, v[22:23]
	v_frexp_mant_f32_e32 v23, v12
	v_cmp_gt_f32_e32 vcc_lo, 0x3f2aaaab, v23
	v_add_f32_e32 v23, -1.0, v12
	v_sub_f32_e32 v25, v23, v12
	v_sub_f32_e32 v23, v11, v23
	v_add_f32_e32 v25, 1.0, v25
	v_add_f32_e32 v23, v23, v25
	v_subrev_co_ci_u32_e64 v22, null, 0, v22, vcc_lo
	v_cmp_neq_f32_e32 vcc_lo, 0x7f800000, v11
	v_sub_nc_u32_e32 v24, 0, v22
	v_cvt_f32_i32_e32 v22, v22
	v_ldexp_f32 v12, v12, v24
	v_ldexp_f32 v23, v23, v24
	v_add_f32_e32 v26, 1.0, v12
	v_add_f32_e32 v24, -1.0, v12
	v_add_f32_e32 v25, -1.0, v26
	v_add_f32_e32 v27, 1.0, v24
	v_sub_f32_e32 v25, v12, v25
	v_sub_f32_e32 v12, v12, v27
	v_add_f32_e32 v25, v23, v25
	v_add_f32_e32 v12, v23, v12
	;; [unrolled: 1-line block ×4, first 2 shown]
	v_rcp_f32_e32 v23, v27
	v_sub_f32_e32 v26, v27, v26
	v_sub_f32_e32 v24, v28, v24
	;; [unrolled: 1-line block ×4, first 2 shown]
	v_mul_f32_e32 v29, v28, v23
	v_mul_f32_e32 v30, v27, v29
	v_fma_f32 v26, v29, v27, -v30
	v_fmac_f32_e32 v26, v29, v25
	v_add_f32_e32 v31, v30, v26
	v_sub_f32_e32 v32, v28, v31
	v_sub_f32_e32 v24, v31, v30
	;; [unrolled: 1-line block ×5, first 2 shown]
	v_add_f32_e32 v12, v12, v28
	v_add_f32_e32 v12, v24, v12
	v_add_f32_e32 v24, v32, v12
	v_mul_f32_e32 v26, v23, v24
	v_sub_f32_e32 v31, v32, v24
	v_mul_f32_e32 v28, v27, v26
	v_add_f32_e32 v12, v12, v31
	v_fma_f32 v27, v26, v27, -v28
	v_fmac_f32_e32 v27, v26, v25
	v_add_f32_e32 v25, v28, v27
	v_sub_f32_e32 v30, v24, v25
	v_sub_f32_e32 v28, v25, v28
	;; [unrolled: 1-line block ×5, first 2 shown]
	v_add_f32_e32 v12, v12, v24
	v_add_f32_e32 v24, v29, v26
	;; [unrolled: 1-line block ×3, first 2 shown]
	v_sub_f32_e32 v25, v24, v29
	v_add_f32_e32 v12, v30, v12
	v_sub_f32_e32 v25, v26, v25
	v_mul_f32_e32 v12, v23, v12
	v_add_f32_e32 v12, v25, v12
	v_add_f32_e32 v23, v24, v12
	v_mul_f32_e32 v25, v23, v23
	v_fmaak_f32 v26, s29, v25, 0x3ecc95a3
	v_mul_f32_e32 v27, v23, v25
	v_fmaak_f32 v25, v25, v26, 0x3f2aaada
	v_ldexp_f32 v26, v23, 1
	v_sub_f32_e32 v23, v23, v24
	v_mul_f32_e32 v25, v27, v25
	v_mul_f32_e32 v27, 0x3f317218, v22
	v_sub_f32_e32 v12, v12, v23
	v_add_f32_e32 v24, v26, v25
	v_ldexp_f32 v12, v12, 1
	v_sub_f32_e32 v23, v24, v26
	v_fma_f32 v26, 0x3f317218, v22, -v27
	v_sub_f32_e32 v23, v25, v23
	v_fmac_f32_e32 v26, 0xb102e308, v22
	v_add_f32_e32 v12, v12, v23
	v_add_f32_e32 v22, v27, v26
	;; [unrolled: 1-line block ×3, first 2 shown]
	v_sub_f32_e32 v27, v22, v27
	v_add_f32_e32 v25, v22, v23
	v_sub_f32_e32 v24, v23, v24
	v_sub_f32_e32 v26, v26, v27
	;; [unrolled: 1-line block ×6, first 2 shown]
	v_add_f32_e32 v24, v26, v12
	v_sub_f32_e32 v22, v22, v29
	v_add_f32_e32 v22, v23, v22
	v_sub_f32_e32 v23, v24, v26
	;; [unrolled: 2-line block ×3, first 2 shown]
	v_sub_f32_e32 v12, v12, v23
	v_add_f32_e32 v27, v25, v22
	v_sub_f32_e32 v24, v26, v24
	v_sub_f32_e32 v23, v27, v25
	v_add_f32_e32 v12, v12, v24
	v_sub_f32_e32 v22, v22, v23
	v_add_f32_e32 v12, v12, v22
	v_add_f32_e32 v12, v27, v12
	v_cndmask_b32_e32 v12, 0x7f800000, v12, vcc_lo
	v_cmp_ngt_f32_e32 vcc_lo, -1.0, v11
	v_cndmask_b32_e32 v12, 0x7fc00000, v12, vcc_lo
	v_cmp_neq_f32_e32 vcc_lo, -1.0, v11
	v_cndmask_b32_e32 v12, 0xff800000, v12, vcc_lo
	v_cmp_gt_f32_e64 vcc_lo, 0x33800000, |v11|
	v_cndmask_b32_e32 v11, v12, v11, vcc_lo
	v_mul_f32_e32 v24, 0.5, v11
.LBB347_187:                            ;   in Loop: Header=BB347_133 Depth=2
	s_or_b32 exec_lo, exec_lo, s4
.LBB347_188:                            ;   in Loop: Header=BB347_133 Depth=2
	s_or_b32 exec_lo, exec_lo, s3
	v_max_f32_e64 v11, |v3|, |v3|
	v_max_f32_e64 v12, |v9|, |v9|
	v_frexp_mant_f32_e32 v22, v10
	v_frexp_exp_i32_f32_e32 v10, v10
	v_cmp_gt_f32_e64 vcc_lo, |v3|, |v9|
	v_cmp_gt_i32_e64 s3, 0, v9
	v_min_f32_e32 v11, v12, v11
	v_rcp_f32_e32 v12, v22
	v_cmp_class_f32_e64 s4, v9, 0x204
	v_frexp_mant_f32_e32 v22, v11
	v_frexp_exp_i32_f32_e32 v11, v11
	v_mul_f32_e32 v12, v22, v12
	v_sub_nc_u32_e32 v10, v11, v10
	v_cndmask_b32_e64 v22, 0, 0x40490fdb, s3
	v_cmp_class_f32_e64 s3, v3, 0x204
	v_ldexp_f32 v10, v12, v10
	v_mul_f32_e32 v11, v10, v10
	v_fmaak_f32 v12, s30, v11, 0xbc7a590c
	v_fmaak_f32 v12, v11, v12, 0x3d29fb3f
	;; [unrolled: 1-line block ×7, first 2 shown]
	v_mul_f32_e32 v11, v11, v12
	v_fmac_f32_e32 v10, v10, v11
	v_sub_f32_e32 v11, 0x3fc90fdb, v10
	v_cndmask_b32_e32 v10, v10, v11, vcc_lo
	v_cmp_gt_f32_e32 vcc_lo, 0, v9
	v_sub_f32_e32 v11, 0x40490fdb, v10
	v_cndmask_b32_e32 v12, 0x3f490fdb, v17, vcc_lo
	v_cndmask_b32_e32 v10, v10, v11, vcc_lo
	v_cmp_eq_f32_e32 vcc_lo, 0, v3
	v_cndmask_b32_e32 v10, v10, v22, vcc_lo
	s_and_b32 vcc_lo, s3, s4
	v_cndmask_b32_e32 v10, v10, v12, vcc_lo
	v_cmp_o_f32_e32 vcc_lo, v9, v3
	v_cndmask_b32_e32 v9, 0x7fc00000, v10, vcc_lo
	v_bfi_b32 v22, 0x7fffffff, v9, v3
.LBB347_189:                            ;   in Loop: Header=BB347_133 Depth=2
	s_or_b32 exec_lo, exec_lo, s35
.LBB347_190:                            ;   in Loop: Header=BB347_133 Depth=2
	s_or_b32 exec_lo, exec_lo, s34
	v_mov_b32_e32 v11, v24
	v_mov_b32_e32 v12, v22
.LBB347_191:                            ;   in Loop: Header=BB347_133 Depth=2
	s_or_b32 exec_lo, exec_lo, s33
	ds_write_b64 v13, v[11:12]
.LBB347_192:                            ;   in Loop: Header=BB347_133 Depth=2
	s_or_b32 exec_lo, exec_lo, s31
	v_mov_b32_e32 v3, 0
	s_mov_b32 s31, 0
	s_waitcnt lgkmcnt(0)
	s_barrier
	buffer_gl0_inv
	s_branch .LBB347_199
.LBB347_193:                            ;   in Loop: Header=BB347_199 Depth=3
	s_or_b32 exec_lo, exec_lo, s4
.LBB347_194:                            ;   in Loop: Header=BB347_199 Depth=3
	s_or_b32 exec_lo, exec_lo, s3
	v_max_f32_e64 v11, |v3|, |v3|
	v_max_f32_e64 v12, |v9|, |v9|
	v_frexp_mant_f32_e32 v24, v10
	v_frexp_exp_i32_f32_e32 v10, v10
	v_cmp_gt_f32_e64 vcc_lo, |v3|, |v9|
	v_cmp_gt_i32_e64 s3, 0, v9
	v_min_f32_e32 v11, v12, v11
	v_rcp_f32_e32 v12, v24
	v_cmp_class_f32_e64 s4, v9, 0x204
	v_frexp_mant_f32_e32 v24, v11
	v_frexp_exp_i32_f32_e32 v11, v11
	v_mul_f32_e32 v12, v24, v12
	v_sub_nc_u32_e32 v10, v11, v10
	v_cndmask_b32_e64 v24, 0, 0x40490fdb, s3
	v_cmp_class_f32_e64 s3, v3, 0x204
	v_ldexp_f32 v10, v12, v10
	v_mul_f32_e32 v11, v10, v10
	v_fmaak_f32 v12, s30, v11, 0xbc7a590c
	v_fmaak_f32 v12, v11, v12, 0x3d29fb3f
	;; [unrolled: 1-line block ×7, first 2 shown]
	v_mul_f32_e32 v11, v11, v12
	v_fmac_f32_e32 v10, v10, v11
	v_sub_f32_e32 v11, 0x3fc90fdb, v10
	v_cndmask_b32_e32 v10, v10, v11, vcc_lo
	v_cmp_gt_f32_e32 vcc_lo, 0, v9
	v_sub_f32_e32 v11, 0x40490fdb, v10
	v_cndmask_b32_e32 v12, 0x3f490fdb, v17, vcc_lo
	v_cndmask_b32_e32 v10, v10, v11, vcc_lo
	v_cmp_eq_f32_e32 vcc_lo, 0, v3
	v_cndmask_b32_e32 v10, v10, v24, vcc_lo
	s_and_b32 vcc_lo, s3, s4
	v_cndmask_b32_e32 v10, v10, v12, vcc_lo
	v_cmp_o_f32_e32 vcc_lo, v9, v3
	v_cndmask_b32_e32 v9, 0x7fc00000, v10, vcc_lo
	v_bfi_b32 v24, 0x7fffffff, v9, v3
.LBB347_195:                            ;   in Loop: Header=BB347_199 Depth=3
	s_or_b32 exec_lo, exec_lo, s36
.LBB347_196:                            ;   in Loop: Header=BB347_199 Depth=3
	s_or_b32 exec_lo, exec_lo, s35
	v_mov_b32_e32 v11, v26
	v_mov_b32_e32 v12, v24
.LBB347_197:                            ;   in Loop: Header=BB347_199 Depth=3
	s_or_b32 exec_lo, exec_lo, s34
	ds_write_b64 v23, v[11:12]
.LBB347_198:                            ;   in Loop: Header=BB347_199 Depth=3
	s_or_b32 exec_lo, exec_lo, s33
	v_cmp_eq_u32_e32 vcc_lo, s26, v22
	v_mov_b32_e32 v3, v22
	s_waitcnt lgkmcnt(0)
	s_barrier
	buffer_gl0_inv
	s_or_b32 s31, vcc_lo, s31
	s_andn2_b32 exec_lo, exec_lo, s31
	s_cbranch_execz .LBB347_248
.LBB347_199:                            ;   Parent Loop BB347_130 Depth=1
                                        ;     Parent Loop BB347_133 Depth=2
                                        ; =>    This Inner Loop Header: Depth=3
	v_add_nc_u32_e32 v22, 1, v3
	s_and_saveexec_b32 s3, s2
	s_xor_b32 s3, exec_lo, s3
; %bb.200:                              ;   in Loop: Header=BB347_199 Depth=3
	v_add_nc_u32_e32 v22, 1, v3
                                        ; implicit-def: $vgpr3
; %bb.201:                              ;   in Loop: Header=BB347_199 Depth=3
	s_andn2_saveexec_b32 s33, s3
	s_cbranch_execz .LBB347_198
; %bb.202:                              ;   in Loop: Header=BB347_199 Depth=3
	v_lshlrev_b32_e64 v9, v3, 1
	v_mov_b32_e32 v12, v1
	v_mov_b32_e32 v11, v0
	s_mov_b32 s3, exec_lo
	v_ashrrev_i32_e32 v10, 31, v9
	v_cmpx_ge_u64_e64 v[0:1], v[9:10]
	s_cbranch_execz .LBB347_204
; %bb.203:                              ;   in Loop: Header=BB347_199 Depth=3
	v_cvt_f32_u32_e32 v10, v9
	v_sub_nc_u32_e32 v11, 0, v9
	v_rcp_iflag_f32_e32 v10, v10
	v_mul_f32_e32 v10, 0x4f7ffffe, v10
	v_cvt_u32_f32_e32 v10, v10
	v_mul_lo_u32 v11, v11, v10
	v_mul_hi_u32 v11, v10, v11
	v_add_nc_u32_e32 v10, v10, v11
	v_mul_hi_u32 v10, v0, v10
	v_mul_lo_u32 v10, v10, v9
	v_sub_nc_u32_e32 v10, v0, v10
	v_sub_nc_u32_e32 v11, v10, v9
	v_cmp_ge_u32_e32 vcc_lo, v10, v9
	v_cndmask_b32_e32 v10, v10, v11, vcc_lo
	v_sub_nc_u32_e32 v11, v10, v9
	v_cmp_ge_u32_e32 vcc_lo, v10, v9
	v_cndmask_b32_e32 v11, v10, v11, vcc_lo
.LBB347_204:                            ;   in Loop: Header=BB347_199 Depth=3
	s_or_b32 exec_lo, exec_lo, s3
	v_lshrrev_b32_e32 v3, v3, v0
	v_lshl_or_b32 v3, v3, v22, v9
	v_lshl_add_u32 v3, v3, 3, v13
	v_add_nc_u32_e32 v9, -8, v3
	v_lshl_add_u32 v23, v11, 3, v3
	ds_read_b64 v[9:10], v9
	ds_read_b64 v[11:12], v23
	s_waitcnt lgkmcnt(1)
	v_cmp_o_f32_e32 vcc_lo, v9, v10
	v_mov_b32_e32 v24, v10
	v_mov_b32_e32 v26, v9
	;; [unrolled: 1-line block ×3, first 2 shown]
	s_and_saveexec_b32 s34, vcc_lo
	s_cbranch_execz .LBB347_206
; %bb.205:                              ;   in Loop: Header=BB347_199 Depth=3
	s_waitcnt lgkmcnt(0)
	v_cmp_u_f32_e64 s3, v11, v12
	v_cmp_lt_f32_e64 s4, v11, v9
	s_or_b32 s3, s3, s4
	v_cndmask_b32_e64 v24, v10, v12, s3
	v_cndmask_b32_e64 v26, v9, v11, s3
	v_mov_b32_e32 v25, v24
.LBB347_206:                            ;   in Loop: Header=BB347_199 Depth=3
	s_or_b32 exec_lo, exec_lo, s34
	s_and_saveexec_b32 s4, vcc_lo
	s_cbranch_execz .LBB347_208
; %bb.207:                              ;   in Loop: Header=BB347_199 Depth=3
	s_waitcnt lgkmcnt(0)
	v_cmp_u_f32_e32 vcc_lo, v11, v12
	v_cmp_ge_f32_e64 s3, v11, v9
	s_or_b32 vcc_lo, vcc_lo, s3
	v_cndmask_b32_e32 v10, v10, v12, vcc_lo
	v_cndmask_b32_e32 v9, v9, v11, vcc_lo
.LBB347_208:                            ;   in Loop: Header=BB347_199 Depth=3
	s_or_b32 exec_lo, exec_lo, s4
	s_waitcnt lgkmcnt(0)
	v_mov_b32_e32 v11, 0x7fc00000
	v_mov_b32_e32 v12, 0x7fc00000
	s_mov_b32 s34, exec_lo
	v_cmpx_o_f32_e32 v26, v24
	s_cbranch_execz .LBB347_197
; %bb.209:                              ;   in Loop: Header=BB347_199 Depth=3
	v_cmp_class_f32_e64 s3, v26, 0x1f8
	v_cmp_neq_f32_e32 vcc_lo, v9, v26
	s_or_b32 s3, s3, vcc_lo
	s_and_saveexec_b32 s4, s3
	s_xor_b32 s35, exec_lo, s4
	s_cbranch_execz .LBB347_225
; %bb.210:                              ;   in Loop: Header=BB347_199 Depth=3
	v_sub_f32_e32 v11, v24, v10
                                        ; implicit-def: $vgpr25
                                        ; implicit-def: $vgpr24
	v_and_b32_e32 v12, 0x7fffffff, v11
	v_cmp_ngt_f32_e64 s36, 0x48000000, |v11|
	v_lshrrev_b32_e32 v3, 23, v12
	v_and_or_b32 v27, v12, s5, 0x800000
	v_add_nc_u32_e32 v28, 0xffffff88, v3
	s_and_saveexec_b32 s3, s36
	s_xor_b32 s37, exec_lo, s3
	s_cbranch_execz .LBB347_212
; %bb.211:                              ;   in Loop: Header=BB347_199 Depth=3
	v_mad_u64_u32 v[24:25], null, 0xfe5163ab, v27, 0
	v_cmp_lt_u32_e32 vcc_lo, 63, v28
	v_mov_b32_e32 v3, v25
	v_cndmask_b32_e64 v25, 0, 0xffffffc0, vcc_lo
	v_mad_u64_u32 v[29:30], null, 0x3c439041, v27, v[3:4]
	v_add_nc_u32_e32 v25, v25, v28
	v_cmp_lt_u32_e64 s3, 31, v25
	v_mov_b32_e32 v3, v30
	v_cndmask_b32_e64 v35, 0, 0xffffffe0, s3
	v_mad_u64_u32 v[30:31], null, 0xdb629599, v27, v[3:4]
	v_add_nc_u32_e32 v25, v35, v25
	v_mov_b32_e32 v3, v31
	v_cmp_lt_u32_e64 s4, 31, v25
	v_cndmask_b32_e32 v24, v30, v24, vcc_lo
	v_mad_u64_u32 v[31:32], null, 0xf534ddc0, v27, v[3:4]
	v_mov_b32_e32 v3, v32
	v_mad_u64_u32 v[32:33], null, 0xfc2757d1, v27, v[3:4]
	v_mov_b32_e32 v3, v33
	;; [unrolled: 2-line block ×3, first 2 shown]
	v_cndmask_b32_e32 v36, v33, v31, vcc_lo
	v_mad_u64_u32 v[34:35], null, 0xa2f9836e, v27, v[3:4]
	v_cndmask_b32_e64 v3, 0, 0xffffffe0, s4
	v_add_nc_u32_e32 v3, v3, v25
	v_cndmask_b32_e32 v34, v34, v32, vcc_lo
	v_cndmask_b32_e32 v33, v35, v33, vcc_lo
	;; [unrolled: 1-line block ×4, first 2 shown]
	v_cmp_eq_u32_e32 vcc_lo, 0, v3
	v_cndmask_b32_e64 v29, v34, v36, s3
	v_cndmask_b32_e64 v31, v33, v34, s3
	;; [unrolled: 1-line block ×3, first 2 shown]
	v_sub_nc_u32_e32 v34, 32, v3
	v_cndmask_b32_e64 v32, v32, v25, s3
	v_cndmask_b32_e64 v24, v25, v24, s3
	;; [unrolled: 1-line block ×6, first 2 shown]
	v_alignbit_b32 v35, v31, v29, v34
	v_alignbit_b32 v30, v29, v33, v34
	;; [unrolled: 1-line block ×3, first 2 shown]
	v_cndmask_b32_e32 v3, v35, v31, vcc_lo
	v_cndmask_b32_e32 v25, v30, v29, vcc_lo
	;; [unrolled: 1-line block ×3, first 2 shown]
	v_bfe_u32 v29, v3, 29, 1
	v_alignbit_b32 v30, v3, v25, 30
	v_alignbit_b32 v25, v25, v32, 30
	;; [unrolled: 1-line block ×3, first 2 shown]
	v_sub_nc_u32_e32 v31, 0, v29
	v_xor_b32_e32 v30, v30, v31
	v_xor_b32_e32 v25, v25, v31
	;; [unrolled: 1-line block ×3, first 2 shown]
	v_lshrrev_b32_e32 v31, 29, v3
	v_lshrrev_b32_e32 v3, 30, v3
	v_ffbh_u32_e32 v33, v30
	v_min_u32_e32 v33, 32, v33
	v_sub_nc_u32_e32 v32, 31, v33
	v_lshlrev_b32_e32 v34, 23, v33
	v_alignbit_b32 v30, v30, v25, v32
	v_alignbit_b32 v24, v25, v24, v32
	v_lshlrev_b32_e32 v25, 31, v31
	v_alignbit_b32 v31, v30, v24, 9
	v_or_b32_e32 v32, 0.5, v25
	v_lshrrev_b32_e32 v30, 9, v30
	v_or_b32_e32 v25, 0x33000000, v25
	v_ffbh_u32_e32 v35, v31
	v_sub_nc_u32_e32 v32, v32, v34
	v_min_u32_e32 v34, 32, v35
	v_or_b32_e32 v30, v30, v32
	v_not_b32_e32 v32, v34
	v_mul_f32_e32 v35, 0x3fc90fda, v30
	v_add_lshl_u32 v33, v34, v33, 23
	v_alignbit_b32 v24, v31, v24, v32
	v_fma_f32 v31, 0x3fc90fda, v30, -v35
	v_sub_nc_u32_e32 v25, v25, v33
	v_lshrrev_b32_e32 v24, 9, v24
	v_fmac_f32_e32 v31, 0x33a22168, v30
	v_or_b32_e32 v24, v25, v24
	v_add_nc_u32_e32 v25, v29, v3
	v_fmac_f32_e32 v31, 0x3fc90fda, v24
	v_add_f32_e32 v24, v35, v31
.LBB347_212:                            ;   in Loop: Header=BB347_199 Depth=3
	s_or_saveexec_b32 s3, s37
	v_mul_f32_e64 v3, 0x3f22f983, |v11|
	v_rndne_f32_e32 v30, v3
	s_xor_b32 exec_lo, exec_lo, s3
; %bb.213:                              ;   in Loop: Header=BB347_199 Depth=3
	v_fma_f32 v24, 0xbfc90fda, v30, |v11|
	v_cvt_i32_f32_e32 v25, v30
	v_fmac_f32_e32 v24, 0xb3a22168, v30
	v_fmac_f32_e32 v24, 0xa7c234c4, v30
; %bb.214:                              ;   in Loop: Header=BB347_199 Depth=3
	s_or_b32 exec_lo, exec_lo, s3
                                        ; implicit-def: $vgpr29
                                        ; implicit-def: $vgpr3
	s_and_saveexec_b32 s3, s36
	s_xor_b32 s36, exec_lo, s3
	s_cbranch_execz .LBB347_216
; %bb.215:                              ;   in Loop: Header=BB347_199 Depth=3
	v_mad_u64_u32 v[29:30], null, 0xfe5163ab, v27, 0
	v_cmp_lt_u32_e32 vcc_lo, 63, v28
	v_cndmask_b32_e64 v35, 0, 0xffffffc0, vcc_lo
	v_mov_b32_e32 v3, v30
	v_add_nc_u32_e32 v28, v35, v28
	v_mad_u64_u32 v[30:31], null, 0x3c439041, v27, v[3:4]
	v_cmp_lt_u32_e64 s3, 31, v28
	v_mov_b32_e32 v3, v31
	v_cndmask_b32_e64 v36, 0, 0xffffffe0, s3
	v_mad_u64_u32 v[31:32], null, 0xdb629599, v27, v[3:4]
	v_mov_b32_e32 v3, v32
	v_cndmask_b32_e32 v29, v31, v29, vcc_lo
	v_mad_u64_u32 v[32:33], null, 0xf534ddc0, v27, v[3:4]
	v_mov_b32_e32 v3, v33
	v_cndmask_b32_e32 v30, v32, v30, vcc_lo
	v_mad_u64_u32 v[33:34], null, 0xfc2757d1, v27, v[3:4]
	v_mov_b32_e32 v3, v34
	v_mad_u64_u32 v[34:35], null, 0x4e441529, v27, v[3:4]
	v_mov_b32_e32 v3, v35
	v_add_nc_u32_e32 v35, v36, v28
	v_cndmask_b32_e32 v36, v34, v32, vcc_lo
	v_mad_u64_u32 v[27:28], null, 0xa2f9836e, v27, v[3:4]
	v_cmp_lt_u32_e64 s4, 31, v35
	v_cndmask_b32_e64 v3, 0, 0xffffffe0, s4
	v_cndmask_b32_e32 v27, v27, v33, vcc_lo
	v_cndmask_b32_e32 v28, v28, v34, vcc_lo
	;; [unrolled: 1-line block ×3, first 2 shown]
	v_add_nc_u32_e32 v3, v3, v35
	v_cndmask_b32_e64 v32, v27, v36, s3
	v_cndmask_b32_e64 v27, v28, v27, s3
	;; [unrolled: 1-line block ×4, first 2 shown]
	v_sub_nc_u32_e32 v34, 32, v3
	v_cmp_eq_u32_e32 vcc_lo, 0, v3
	v_cndmask_b32_e64 v27, v27, v32, s4
	v_cndmask_b32_e64 v32, v32, v28, s4
	;; [unrolled: 1-line block ×3, first 2 shown]
	v_alignbit_b32 v35, v27, v32, v34
	v_alignbit_b32 v31, v32, v28, v34
	v_cndmask_b32_e32 v3, v35, v27, vcc_lo
	v_cndmask_b32_e64 v27, v30, v29, s3
	v_cndmask_b32_e32 v29, v31, v32, vcc_lo
	v_bfe_u32 v30, v3, 29, 1
	v_cndmask_b32_e64 v27, v33, v27, s4
	v_alignbit_b32 v31, v3, v29, 30
	v_sub_nc_u32_e32 v32, 0, v30
	v_alignbit_b32 v33, v28, v27, v34
	v_xor_b32_e32 v31, v31, v32
	v_cndmask_b32_e32 v28, v33, v28, vcc_lo
	v_ffbh_u32_e32 v33, v31
	v_alignbit_b32 v29, v29, v28, 30
	v_alignbit_b32 v27, v28, v27, 30
	v_min_u32_e32 v33, 32, v33
	v_xor_b32_e32 v28, v29, v32
	v_xor_b32_e32 v27, v27, v32
	v_lshrrev_b32_e32 v32, 29, v3
	v_sub_nc_u32_e32 v29, 31, v33
	v_lshlrev_b32_e32 v34, 23, v33
	v_alignbit_b32 v31, v31, v28, v29
	v_alignbit_b32 v27, v28, v27, v29
	v_lshlrev_b32_e32 v28, 31, v32
	v_alignbit_b32 v29, v31, v27, 9
	v_or_b32_e32 v32, 0.5, v28
	v_lshrrev_b32_e32 v31, 9, v31
	v_or_b32_e32 v28, 0x33000000, v28
	v_ffbh_u32_e32 v35, v29
	v_sub_nc_u32_e32 v32, v32, v34
	v_min_u32_e32 v34, 32, v35
	v_or_b32_e32 v31, v31, v32
	v_not_b32_e32 v32, v34
	v_mul_f32_e32 v35, 0x3fc90fda, v31
	v_add_lshl_u32 v33, v34, v33, 23
	v_alignbit_b32 v27, v29, v27, v32
	v_fma_f32 v29, 0x3fc90fda, v31, -v35
	v_sub_nc_u32_e32 v28, v28, v33
	v_lshrrev_b32_e32 v27, 9, v27
	v_fmac_f32_e32 v29, 0x33a22168, v31
	v_or_b32_e32 v27, v28, v27
	v_fmac_f32_e32 v29, 0x3fc90fda, v27
	v_lshrrev_b32_e32 v27, 30, v3
	v_add_f32_e32 v3, v35, v29
	v_add_nc_u32_e32 v29, v30, v27
                                        ; implicit-def: $vgpr30
	s_andn2_saveexec_b32 s3, s36
	s_cbranch_execnz .LBB347_217
	s_branch .LBB347_218
.LBB347_216:                            ;   in Loop: Header=BB347_199 Depth=3
	s_andn2_saveexec_b32 s3, s36
.LBB347_217:                            ;   in Loop: Header=BB347_199 Depth=3
	v_fma_f32 v3, 0xbfc90fda, v30, |v11|
	v_cvt_i32_f32_e32 v29, v30
	v_fmac_f32_e32 v3, 0xb3a22168, v30
	v_fmac_f32_e32 v3, 0xa7c234c4, v30
.LBB347_218:                            ;   in Loop: Header=BB347_199 Depth=3
	s_or_b32 exec_lo, exec_lo, s3
	v_sub_f32_e32 v26, v26, v9
	v_mul_f32_e32 v30, v24, v24
	v_mul_f32_e32 v31, v3, v3
	v_lshlrev_b32_e32 v27, 30, v25
	v_and_b32_e32 v25, 1, v25
	v_mul_f32_e32 v28, 0x3fb8aa3b, v26
	v_fmaak_f32 v35, s24, v30, 0xbab64f3b
	v_fmaak_f32 v36, s28, v30, 0x3c0881c4
	;; [unrolled: 1-line block ×4, first 2 shown]
	v_fma_f32 v33, 0x3fb8aa3b, v26, -v28
	v_rndne_f32_e32 v34, v28
	v_and_b32_e32 v32, 1, v29
	v_cmp_eq_u32_e32 vcc_lo, 0, v25
	v_lshlrev_b32_e32 v29, 30, v29
	v_fmac_f32_e32 v33, 0x32a5705f, v26
	v_sub_f32_e32 v28, v28, v34
	v_cvt_i32_f32_e32 v34, v34
	v_xor_b32_e32 v12, v12, v11
	v_and_b32_e32 v27, 0x80000000, v27
	v_and_b32_e32 v29, 0x80000000, v29
	v_add_f32_e32 v28, v28, v33
	v_fmaak_f32 v33, v30, v35, 0x3d2aabf7
	v_fmaak_f32 v35, v30, v36, 0xbe2aaa9d
	;; [unrolled: 1-line block ×4, first 2 shown]
	v_exp_f32_e32 v28, v28
	v_fmaak_f32 v33, v30, v33, 0xbf000004
	v_mul_f32_e32 v35, v30, v35
	v_mul_f32_e32 v36, v31, v36
	v_fmaak_f32 v37, v31, v37, 0xbf000004
	v_cmp_nlt_f32_e64 s3, 0x42b17218, v26
	v_fma_f32 v30, v30, v33, 1.0
	v_fmac_f32_e32 v24, v24, v35
	v_fmac_f32_e32 v3, v3, v36
	v_fma_f32 v31, v31, v37, 1.0
	v_ldexp_f32 v28, v28, v34
	v_cndmask_b32_e64 v24, -v24, v30, vcc_lo
	v_cmp_eq_u32_e32 vcc_lo, 0, v32
	v_xor_b32_e32 v24, v27, v24
	v_cndmask_b32_e32 v3, v31, v3, vcc_lo
	v_cmp_ngt_f32_e32 vcc_lo, 0xc2ce8ed0, v26
	v_xor3_b32 v3, v12, v29, v3
	v_cndmask_b32_e32 v25, 0, v28, vcc_lo
	v_cmp_class_f32_e64 vcc_lo, v11, 0x1f8
	v_cndmask_b32_e64 v26, 0x7f800000, v25, s3
	v_cndmask_b32_e32 v24, 0x7fc00000, v24, vcc_lo
	v_cndmask_b32_e32 v3, 0x7fc00000, v3, vcc_lo
	v_mul_f32_e32 v25, v26, v24
	v_mul_f32_e32 v3, v26, v3
	v_max_f32_e64 v27, |v25|, |v3|
	v_cvt_f64_f32_e32 v[11:12], v27
	v_cmp_eq_f32_e32 vcc_lo, 0x7f800000, v27
	v_frexp_exp_i32_f64_e32 v11, v[11:12]
	v_sub_nc_u32_e32 v12, 0, v11
	v_ldexp_f32 v28, |v3|, v12
	v_ldexp_f32 v12, |v25|, v12
	v_mul_f32_e32 v28, v28, v28
	v_fmac_f32_e32 v28, v12, v12
	v_sqrt_f32_e32 v12, v28
	v_ldexp_f32 v12, v12, v11
	v_fma_f32 v11, v26, v24, 1.0
	v_cmp_ngt_f32_e64 s3, 0.5, v12
	v_max_f32_e64 v12, |v11|, |v3|
	s_or_b32 s3, vcc_lo, s3
	s_and_saveexec_b32 s4, s3
	s_xor_b32 s4, exec_lo, s4
	s_cbranch_execz .LBB347_220
; %bb.219:                              ;   in Loop: Header=BB347_199 Depth=3
	v_cvt_f64_f32_e32 v[24:25], v12
	v_cmp_neq_f32_e32 vcc_lo, 0x7f800000, v12
	v_frexp_exp_i32_f64_e32 v24, v[24:25]
	v_sub_nc_u32_e32 v25, 0, v24
	v_ldexp_f32 v26, |v3|, v25
	v_ldexp_f32 v25, |v11|, v25
	v_mul_f32_e32 v26, v26, v26
	v_fmac_f32_e32 v26, v25, v25
	v_sqrt_f32_e32 v25, v26
	v_ldexp_f32 v24, v25, v24
	v_cndmask_b32_e32 v24, 0x7f800000, v24, vcc_lo
	v_cmp_gt_f32_e32 vcc_lo, 0x800000, v24
	v_cndmask_b32_e64 v25, 0, 32, vcc_lo
	v_ldexp_f32 v24, v24, v25
	v_log_f32_e32 v24, v24
	v_mul_f32_e32 v25, 0x3f317217, v24
	v_cmp_gt_f32_e64 s3, 0x7f800000, |v24|
	v_fma_f32 v25, 0x3f317217, v24, -v25
	v_fmac_f32_e32 v25, 0x3377d1cf, v24
	v_fmac_f32_e32 v25, 0x3f317217, v24
	v_cndmask_b32_e64 v24, v24, v25, s3
	v_cndmask_b32_e64 v25, 0, 0x41b17218, vcc_lo
	v_sub_f32_e32 v25, v24, v25
.LBB347_220:                            ;   in Loop: Header=BB347_199 Depth=3
	s_andn2_saveexec_b32 s3, s4
	s_cbranch_execz .LBB347_224
; %bb.221:                              ;   in Loop: Header=BB347_199 Depth=3
	v_add_f32_e32 v26, 2.0, v25
	v_mul_f32_e32 v24, v3, v3
	s_mov_b32 s4, exec_lo
	v_fmac_f32_e32 v24, v25, v26
	v_cmpx_neq_f32_e32 0, v24
	s_cbranch_execz .LBB347_223
; %bb.222:                              ;   in Loop: Header=BB347_199 Depth=3
	v_add_f32_e32 v27, 1.0, v24
	v_cvt_f64_f32_e32 v[25:26], v27
	v_frexp_exp_i32_f64_e32 v25, v[25:26]
	v_frexp_mant_f32_e32 v26, v27
	v_cmp_gt_f32_e32 vcc_lo, 0x3f2aaaab, v26
	v_add_f32_e32 v26, -1.0, v27
	v_sub_f32_e32 v29, v26, v27
	v_sub_f32_e32 v26, v24, v26
	v_add_f32_e32 v29, 1.0, v29
	v_add_f32_e32 v26, v26, v29
	v_subrev_co_ci_u32_e64 v25, null, 0, v25, vcc_lo
	v_cmp_neq_f32_e32 vcc_lo, 0x7f800000, v24
	v_sub_nc_u32_e32 v28, 0, v25
	v_cvt_f32_i32_e32 v25, v25
	v_ldexp_f32 v27, v27, v28
	v_ldexp_f32 v26, v26, v28
	v_add_f32_e32 v30, 1.0, v27
	v_add_f32_e32 v28, -1.0, v27
	v_add_f32_e32 v29, -1.0, v30
	v_add_f32_e32 v31, 1.0, v28
	v_sub_f32_e32 v29, v27, v29
	v_sub_f32_e32 v27, v27, v31
	v_add_f32_e32 v29, v26, v29
	v_add_f32_e32 v26, v26, v27
	;; [unrolled: 1-line block ×4, first 2 shown]
	v_rcp_f32_e32 v27, v31
	v_sub_f32_e32 v30, v31, v30
	v_sub_f32_e32 v28, v32, v28
	;; [unrolled: 1-line block ×4, first 2 shown]
	v_mul_f32_e32 v33, v32, v27
	v_mul_f32_e32 v34, v31, v33
	v_fma_f32 v30, v33, v31, -v34
	v_fmac_f32_e32 v30, v33, v29
	v_add_f32_e32 v35, v34, v30
	v_sub_f32_e32 v36, v32, v35
	v_sub_f32_e32 v28, v35, v34
	;; [unrolled: 1-line block ×5, first 2 shown]
	v_add_f32_e32 v26, v26, v32
	v_add_f32_e32 v26, v28, v26
	;; [unrolled: 1-line block ×3, first 2 shown]
	v_mul_f32_e32 v30, v27, v28
	v_sub_f32_e32 v35, v36, v28
	v_mul_f32_e32 v32, v31, v30
	v_add_f32_e32 v26, v26, v35
	v_fma_f32 v31, v30, v31, -v32
	v_fmac_f32_e32 v31, v30, v29
	v_add_f32_e32 v29, v32, v31
	v_sub_f32_e32 v34, v28, v29
	v_sub_f32_e32 v32, v29, v32
	;; [unrolled: 1-line block ×5, first 2 shown]
	v_add_f32_e32 v26, v26, v28
	v_add_f32_e32 v28, v33, v30
	;; [unrolled: 1-line block ×3, first 2 shown]
	v_sub_f32_e32 v29, v28, v33
	v_add_f32_e32 v26, v34, v26
	v_sub_f32_e32 v29, v30, v29
	v_mul_f32_e32 v26, v27, v26
	v_add_f32_e32 v26, v29, v26
	v_add_f32_e32 v27, v28, v26
	v_mul_f32_e32 v29, v27, v27
	v_fmaak_f32 v30, s29, v29, 0x3ecc95a3
	v_mul_f32_e32 v31, v27, v29
	v_fmaak_f32 v29, v29, v30, 0x3f2aaada
	v_ldexp_f32 v30, v27, 1
	v_sub_f32_e32 v27, v27, v28
	v_mul_f32_e32 v29, v31, v29
	v_mul_f32_e32 v31, 0x3f317218, v25
	v_sub_f32_e32 v26, v26, v27
	v_add_f32_e32 v28, v30, v29
	v_ldexp_f32 v26, v26, 1
	v_sub_f32_e32 v27, v28, v30
	v_fma_f32 v30, 0x3f317218, v25, -v31
	v_sub_f32_e32 v27, v29, v27
	v_fmac_f32_e32 v30, 0xb102e308, v25
	v_add_f32_e32 v25, v26, v27
	v_add_f32_e32 v26, v31, v30
	;; [unrolled: 1-line block ×3, first 2 shown]
	v_sub_f32_e32 v31, v26, v31
	v_add_f32_e32 v29, v26, v27
	v_sub_f32_e32 v28, v27, v28
	v_sub_f32_e32 v30, v30, v31
	;; [unrolled: 1-line block ×6, first 2 shown]
	v_add_f32_e32 v28, v30, v25
	v_sub_f32_e32 v26, v26, v33
	v_add_f32_e32 v26, v27, v26
	v_sub_f32_e32 v27, v28, v30
	;; [unrolled: 2-line block ×3, first 2 shown]
	v_sub_f32_e32 v25, v25, v27
	v_add_f32_e32 v31, v29, v26
	v_sub_f32_e32 v28, v30, v28
	v_sub_f32_e32 v27, v31, v29
	v_add_f32_e32 v25, v25, v28
	v_sub_f32_e32 v26, v26, v27
	v_add_f32_e32 v25, v25, v26
	v_add_f32_e32 v25, v31, v25
	v_cndmask_b32_e32 v25, 0x7f800000, v25, vcc_lo
	v_cmp_ngt_f32_e32 vcc_lo, -1.0, v24
	v_cndmask_b32_e32 v25, 0x7fc00000, v25, vcc_lo
	v_cmp_neq_f32_e32 vcc_lo, -1.0, v24
	v_cndmask_b32_e32 v25, 0xff800000, v25, vcc_lo
	v_cmp_gt_f32_e64 vcc_lo, 0x33800000, |v24|
	v_cndmask_b32_e32 v24, v25, v24, vcc_lo
	v_mul_f32_e32 v25, 0.5, v24
.LBB347_223:                            ;   in Loop: Header=BB347_199 Depth=3
	s_or_b32 exec_lo, exec_lo, s4
.LBB347_224:                            ;   in Loop: Header=BB347_199 Depth=3
	s_or_b32 exec_lo, exec_lo, s3
	v_max_f32_e64 v24, |v3|, |v3|
	v_max_f32_e64 v26, |v11|, |v11|
	v_frexp_mant_f32_e32 v27, v12
	v_frexp_exp_i32_f32_e32 v12, v12
	v_cmp_gt_f32_e64 vcc_lo, |v3|, |v11|
	v_cmp_gt_i32_e64 s3, 0, v11
	v_min_f32_e32 v24, v26, v24
	v_rcp_f32_e32 v26, v27
	v_cmp_class_f32_e64 s4, v11, 0x204
	v_frexp_mant_f32_e32 v27, v24
	v_frexp_exp_i32_f32_e32 v24, v24
	v_mul_f32_e32 v26, v27, v26
	v_sub_nc_u32_e32 v12, v24, v12
	v_cndmask_b32_e64 v27, 0, 0x40490fdb, s3
	v_cmp_class_f32_e64 s3, v3, 0x204
	v_ldexp_f32 v12, v26, v12
	v_mul_f32_e32 v24, v12, v12
	v_fmaak_f32 v26, s30, v24, 0xbc7a590c
	v_fmaak_f32 v26, v24, v26, 0x3d29fb3f
	;; [unrolled: 1-line block ×7, first 2 shown]
	v_mul_f32_e32 v24, v24, v26
	v_fmac_f32_e32 v12, v12, v24
	v_sub_f32_e32 v24, 0x3fc90fdb, v12
	v_cndmask_b32_e32 v12, v12, v24, vcc_lo
	v_cmp_gt_f32_e32 vcc_lo, 0, v11
	v_sub_f32_e32 v24, 0x40490fdb, v12
	v_cndmask_b32_e32 v26, 0x3f490fdb, v17, vcc_lo
	v_cndmask_b32_e32 v12, v12, v24, vcc_lo
	v_cmp_eq_f32_e32 vcc_lo, 0, v3
	v_cndmask_b32_e32 v12, v12, v27, vcc_lo
	s_and_b32 vcc_lo, s4, s3
	v_cndmask_b32_e32 v12, v12, v26, vcc_lo
	v_cmp_o_f32_e32 vcc_lo, v11, v3
	v_add_f32_e32 v26, v9, v25
                                        ; implicit-def: $vgpr25
	v_cndmask_b32_e32 v11, 0x7fc00000, v12, vcc_lo
	v_bfi_b32 v3, 0x7fffffff, v11, v3
	v_add_f32_e32 v24, v10, v3
                                        ; implicit-def: $vgpr10
.LBB347_225:                            ;   in Loop: Header=BB347_199 Depth=3
	s_andn2_saveexec_b32 s35, s35
	s_cbranch_execz .LBB347_196
; %bb.226:                              ;   in Loop: Header=BB347_199 Depth=3
	s_mov_b32 s36, exec_lo
	v_cmpx_ngt_f32_e32 0, v26
	s_cbranch_execz .LBB347_195
; %bb.227:                              ;   in Loop: Header=BB347_199 Depth=3
	v_and_b32_e32 v9, 0x7fffffff, v24
	v_cmp_ngt_f32_e64 s37, 0x48000000, |v24|
                                        ; implicit-def: $vgpr12
                                        ; implicit-def: $vgpr11
	v_lshrrev_b32_e32 v3, 23, v9
	v_and_or_b32 v27, v9, s5, 0x800000
	v_add_nc_u32_e32 v29, 0xffffff88, v3
	s_and_saveexec_b32 s3, s37
	s_xor_b32 s38, exec_lo, s3
	s_cbranch_execz .LBB347_229
; %bb.228:                              ;   in Loop: Header=BB347_199 Depth=3
	v_mad_u64_u32 v[11:12], null, 0xfe5163ab, v27, 0
	v_cmp_lt_u32_e32 vcc_lo, 63, v29
	v_mov_b32_e32 v3, v12
	v_cndmask_b32_e64 v12, 0, 0xffffffc0, vcc_lo
	v_mad_u64_u32 v[30:31], null, 0x3c439041, v27, v[3:4]
	v_add_nc_u32_e32 v12, v12, v29
	v_cmp_lt_u32_e64 s3, 31, v12
	v_mov_b32_e32 v3, v31
	v_cndmask_b32_e64 v26, 0, 0xffffffe0, s3
	v_mad_u64_u32 v[31:32], null, 0xdb629599, v27, v[3:4]
	v_add_nc_u32_e32 v12, v26, v12
	v_mov_b32_e32 v3, v32
	v_cmp_lt_u32_e64 s4, 31, v12
	v_cndmask_b32_e32 v11, v31, v11, vcc_lo
	v_mad_u64_u32 v[32:33], null, 0xf534ddc0, v27, v[3:4]
	v_mov_b32_e32 v3, v33
	v_mad_u64_u32 v[33:34], null, 0xfc2757d1, v27, v[3:4]
	v_mov_b32_e32 v3, v34
	;; [unrolled: 2-line block ×3, first 2 shown]
	v_cndmask_b32_e32 v26, v34, v32, vcc_lo
	v_mad_u64_u32 v[35:36], null, 0xa2f9836e, v27, v[3:4]
	v_cndmask_b32_e64 v3, 0, 0xffffffe0, s4
	v_add_nc_u32_e32 v3, v3, v12
	v_cndmask_b32_e32 v28, v35, v33, vcc_lo
	v_cndmask_b32_e32 v34, v36, v34, vcc_lo
	;; [unrolled: 1-line block ×4, first 2 shown]
	v_sub_nc_u32_e32 v32, 32, v3
	v_cndmask_b32_e64 v30, v28, v26, s3
	v_cndmask_b32_e64 v28, v34, v28, s3
	;; [unrolled: 1-line block ×4, first 2 shown]
	v_cmp_eq_u32_e32 vcc_lo, 0, v3
	v_cndmask_b32_e64 v11, v12, v11, s3
	v_cndmask_b32_e64 v28, v28, v30, s4
	v_cndmask_b32_e64 v30, v30, v26, s4
	v_cndmask_b32_e64 v26, v26, v33, s4
	v_cndmask_b32_e64 v11, v33, v11, s4
	v_alignbit_b32 v34, v28, v30, v32
	v_alignbit_b32 v31, v30, v26, v32
	;; [unrolled: 1-line block ×3, first 2 shown]
	v_cndmask_b32_e32 v3, v34, v28, vcc_lo
	v_cndmask_b32_e32 v12, v31, v30, vcc_lo
	;; [unrolled: 1-line block ×3, first 2 shown]
	v_bfe_u32 v28, v3, 29, 1
	v_alignbit_b32 v30, v3, v12, 30
	v_alignbit_b32 v12, v12, v26, 30
	;; [unrolled: 1-line block ×3, first 2 shown]
	v_sub_nc_u32_e32 v31, 0, v28
	v_xor_b32_e32 v30, v30, v31
	v_xor_b32_e32 v12, v12, v31
	;; [unrolled: 1-line block ×3, first 2 shown]
	v_lshrrev_b32_e32 v31, 29, v3
	v_lshrrev_b32_e32 v3, 30, v3
	v_ffbh_u32_e32 v32, v30
	v_min_u32_e32 v32, 32, v32
	v_sub_nc_u32_e32 v26, 31, v32
	v_lshlrev_b32_e32 v33, 23, v32
	v_alignbit_b32 v30, v30, v12, v26
	v_alignbit_b32 v11, v12, v11, v26
	v_lshlrev_b32_e32 v12, 31, v31
	v_alignbit_b32 v26, v30, v11, 9
	v_or_b32_e32 v31, 0.5, v12
	v_lshrrev_b32_e32 v30, 9, v30
	v_or_b32_e32 v12, 0x33000000, v12
	v_ffbh_u32_e32 v34, v26
	v_sub_nc_u32_e32 v31, v31, v33
	v_min_u32_e32 v33, 32, v34
	v_or_b32_e32 v30, v30, v31
	v_not_b32_e32 v31, v33
	v_mul_f32_e32 v34, 0x3fc90fda, v30
	v_add_lshl_u32 v32, v33, v32, 23
	v_alignbit_b32 v11, v26, v11, v31
	v_fma_f32 v26, 0x3fc90fda, v30, -v34
	v_sub_nc_u32_e32 v12, v12, v32
	v_lshrrev_b32_e32 v11, 9, v11
	v_fmac_f32_e32 v26, 0x33a22168, v30
	v_or_b32_e32 v11, v12, v11
	v_add_nc_u32_e32 v12, v28, v3
	v_fmac_f32_e32 v26, 0x3fc90fda, v11
	v_add_f32_e32 v11, v34, v26
.LBB347_229:                            ;   in Loop: Header=BB347_199 Depth=3
	s_or_saveexec_b32 s3, s38
	v_mul_f32_e64 v3, 0x3f22f983, |v24|
	v_rndne_f32_e32 v3, v3
	s_xor_b32 exec_lo, exec_lo, s3
; %bb.230:                              ;   in Loop: Header=BB347_199 Depth=3
	v_fma_f32 v11, 0xbfc90fda, v3, |v24|
	v_cvt_i32_f32_e32 v12, v3
	v_fmac_f32_e32 v11, 0xb3a22168, v3
	v_fmac_f32_e32 v11, 0xa7c234c4, v3
; %bb.231:                              ;   in Loop: Header=BB347_199 Depth=3
	s_or_b32 exec_lo, exec_lo, s3
                                        ; implicit-def: $vgpr28
                                        ; implicit-def: $vgpr26
	s_and_saveexec_b32 s3, s37
	s_xor_b32 s37, exec_lo, s3
	s_cbranch_execz .LBB347_233
; %bb.232:                              ;   in Loop: Header=BB347_199 Depth=3
	v_mad_u64_u32 v[30:31], null, 0xfe5163ab, v27, 0
	v_cmp_lt_u32_e32 vcc_lo, 63, v29
	v_cndmask_b32_e64 v26, 0, 0xffffffc0, vcc_lo
	v_mov_b32_e32 v3, v31
	v_add_nc_u32_e32 v26, v26, v29
	v_mad_u64_u32 v[31:32], null, 0x3c439041, v27, v[3:4]
	v_cmp_lt_u32_e64 s3, 31, v26
	v_mov_b32_e32 v3, v32
	v_mad_u64_u32 v[32:33], null, 0xdb629599, v27, v[3:4]
	v_mov_b32_e32 v3, v33
	v_cndmask_b32_e32 v30, v32, v30, vcc_lo
	v_mad_u64_u32 v[33:34], null, 0xf534ddc0, v27, v[3:4]
	v_mov_b32_e32 v3, v34
	v_mad_u64_u32 v[34:35], null, 0xfc2757d1, v27, v[3:4]
	v_mov_b32_e32 v3, v35
	v_cndmask_b32_e64 v35, 0, 0xffffffe0, s3
	v_mad_u64_u32 v[28:29], null, 0x4e441529, v27, v[3:4]
	v_mov_b32_e32 v3, v29
	v_add_nc_u32_e32 v29, v35, v26
	v_cndmask_b32_e32 v35, v28, v33, vcc_lo
	v_mad_u64_u32 v[26:27], null, 0xa2f9836e, v27, v[3:4]
	v_cmp_lt_u32_e64 s4, 31, v29
	v_cndmask_b32_e64 v3, 0, 0xffffffe0, s4
	v_cndmask_b32_e32 v26, v26, v34, vcc_lo
	v_cndmask_b32_e32 v27, v27, v28, vcc_lo
	;; [unrolled: 1-line block ×3, first 2 shown]
	v_add_nc_u32_e32 v3, v3, v29
	v_cndmask_b32_e32 v29, v33, v31, vcc_lo
	v_cndmask_b32_e64 v31, v26, v35, s3
	v_cndmask_b32_e64 v26, v27, v26, s3
	;; [unrolled: 1-line block ×3, first 2 shown]
	v_sub_nc_u32_e32 v33, 32, v3
	v_cndmask_b32_e64 v28, v28, v29, s3
	v_cmp_eq_u32_e32 vcc_lo, 0, v3
	v_cndmask_b32_e64 v26, v26, v31, s4
	v_cndmask_b32_e64 v31, v31, v27, s4
	;; [unrolled: 1-line block ×3, first 2 shown]
	v_alignbit_b32 v34, v26, v31, v33
	v_alignbit_b32 v32, v31, v27, v33
	v_cndmask_b32_e32 v3, v34, v26, vcc_lo
	v_cndmask_b32_e64 v26, v29, v30, s3
	v_cndmask_b32_e32 v29, v32, v31, vcc_lo
	v_bfe_u32 v30, v3, 29, 1
	v_cndmask_b32_e64 v26, v28, v26, s4
	v_alignbit_b32 v28, v3, v29, 30
	v_sub_nc_u32_e32 v31, 0, v30
	v_alignbit_b32 v32, v27, v26, v33
	v_xor_b32_e32 v28, v28, v31
	v_cndmask_b32_e32 v27, v32, v27, vcc_lo
	v_ffbh_u32_e32 v32, v28
	v_alignbit_b32 v29, v29, v27, 30
	v_alignbit_b32 v26, v27, v26, 30
	v_min_u32_e32 v32, 32, v32
	v_xor_b32_e32 v27, v29, v31
	v_xor_b32_e32 v26, v26, v31
	v_lshrrev_b32_e32 v31, 29, v3
	v_lshrrev_b32_e32 v3, 30, v3
	v_sub_nc_u32_e32 v29, 31, v32
	v_lshlrev_b32_e32 v33, 23, v32
	v_alignbit_b32 v28, v28, v27, v29
	v_alignbit_b32 v26, v27, v26, v29
	v_lshlrev_b32_e32 v27, 31, v31
	v_alignbit_b32 v29, v28, v26, 9
	v_or_b32_e32 v31, 0.5, v27
	v_lshrrev_b32_e32 v28, 9, v28
	v_or_b32_e32 v27, 0x33000000, v27
	v_ffbh_u32_e32 v34, v29
	v_sub_nc_u32_e32 v31, v31, v33
	v_min_u32_e32 v33, 32, v34
	v_or_b32_e32 v28, v28, v31
	v_not_b32_e32 v31, v33
	v_mul_f32_e32 v34, 0x3fc90fda, v28
	v_add_lshl_u32 v32, v33, v32, 23
	v_alignbit_b32 v26, v29, v26, v31
	v_fma_f32 v29, 0x3fc90fda, v28, -v34
	v_sub_nc_u32_e32 v27, v27, v32
	v_lshrrev_b32_e32 v26, 9, v26
	v_fmac_f32_e32 v29, 0x33a22168, v28
	v_add_nc_u32_e32 v28, v30, v3
                                        ; implicit-def: $vgpr3
	v_or_b32_e32 v26, v27, v26
	v_fmac_f32_e32 v29, 0x3fc90fda, v26
	v_add_f32_e32 v26, v34, v29
	s_andn2_saveexec_b32 s3, s37
	s_cbranch_execnz .LBB347_234
	s_branch .LBB347_235
.LBB347_233:                            ;   in Loop: Header=BB347_199 Depth=3
	s_andn2_saveexec_b32 s3, s37
.LBB347_234:                            ;   in Loop: Header=BB347_199 Depth=3
	v_fma_f32 v26, 0xbfc90fda, v3, |v24|
	v_cvt_i32_f32_e32 v28, v3
	v_fmac_f32_e32 v26, 0xb3a22168, v3
	v_fmac_f32_e32 v26, 0xa7c234c4, v3
.LBB347_235:                            ;   in Loop: Header=BB347_199 Depth=3
	s_or_b32 exec_lo, exec_lo, s3
	v_and_b32_e32 v27, 0x7fffffff, v10
	v_cmp_ngt_f32_e64 s37, 0x48000000, |v10|
                                        ; implicit-def: $vgpr30
                                        ; implicit-def: $vgpr29
	v_lshrrev_b32_e32 v3, 23, v27
	v_and_or_b32 v31, v27, s5, 0x800000
	v_add_nc_u32_e32 v32, 0xffffff88, v3
	s_and_saveexec_b32 s3, s37
	s_xor_b32 s38, exec_lo, s3
	s_cbranch_execz .LBB347_237
; %bb.236:                              ;   in Loop: Header=BB347_199 Depth=3
	v_mad_u64_u32 v[29:30], null, 0xfe5163ab, v31, 0
	v_cmp_lt_u32_e32 vcc_lo, 63, v32
	v_mov_b32_e32 v3, v30
	v_cndmask_b32_e64 v30, 0, 0xffffffc0, vcc_lo
	v_mad_u64_u32 v[33:34], null, 0x3c439041, v31, v[3:4]
	v_add_nc_u32_e32 v30, v30, v32
	v_cmp_lt_u32_e64 s3, 31, v30
	v_mov_b32_e32 v3, v34
	v_cndmask_b32_e64 v39, 0, 0xffffffe0, s3
	v_mad_u64_u32 v[34:35], null, 0xdb629599, v31, v[3:4]
	v_add_nc_u32_e32 v30, v39, v30
	v_mov_b32_e32 v3, v35
	v_cmp_lt_u32_e64 s4, 31, v30
	v_cndmask_b32_e32 v29, v34, v29, vcc_lo
	v_mad_u64_u32 v[35:36], null, 0xf534ddc0, v31, v[3:4]
	v_mov_b32_e32 v3, v36
	v_mad_u64_u32 v[36:37], null, 0xfc2757d1, v31, v[3:4]
	v_mov_b32_e32 v3, v37
	v_mad_u64_u32 v[37:38], null, 0x4e441529, v31, v[3:4]
	v_mov_b32_e32 v3, v38
	v_cndmask_b32_e32 v40, v37, v35, vcc_lo
	v_mad_u64_u32 v[38:39], null, 0xa2f9836e, v31, v[3:4]
	v_cndmask_b32_e64 v3, 0, 0xffffffe0, s4
	v_add_nc_u32_e32 v3, v3, v30
	v_cndmask_b32_e32 v38, v38, v36, vcc_lo
	v_cndmask_b32_e32 v37, v39, v37, vcc_lo
	;; [unrolled: 1-line block ×4, first 2 shown]
	v_cmp_eq_u32_e32 vcc_lo, 0, v3
	v_cndmask_b32_e64 v33, v38, v40, s3
	v_cndmask_b32_e64 v35, v37, v38, s3
	;; [unrolled: 1-line block ×3, first 2 shown]
	v_sub_nc_u32_e32 v38, 32, v3
	v_cndmask_b32_e64 v36, v36, v30, s3
	v_cndmask_b32_e64 v29, v30, v29, s3
	;; [unrolled: 1-line block ×6, first 2 shown]
	v_alignbit_b32 v39, v35, v33, v38
	v_alignbit_b32 v34, v33, v37, v38
	;; [unrolled: 1-line block ×3, first 2 shown]
	v_cndmask_b32_e32 v3, v39, v35, vcc_lo
	v_cndmask_b32_e32 v30, v34, v33, vcc_lo
	;; [unrolled: 1-line block ×3, first 2 shown]
	v_bfe_u32 v33, v3, 29, 1
	v_alignbit_b32 v34, v3, v30, 30
	v_alignbit_b32 v30, v30, v36, 30
	v_alignbit_b32 v29, v36, v29, 30
	v_sub_nc_u32_e32 v35, 0, v33
	v_xor_b32_e32 v34, v34, v35
	v_xor_b32_e32 v30, v30, v35
	;; [unrolled: 1-line block ×3, first 2 shown]
	v_lshrrev_b32_e32 v35, 29, v3
	v_lshrrev_b32_e32 v3, 30, v3
	v_ffbh_u32_e32 v37, v34
	v_min_u32_e32 v37, 32, v37
	v_sub_nc_u32_e32 v36, 31, v37
	v_lshlrev_b32_e32 v38, 23, v37
	v_alignbit_b32 v34, v34, v30, v36
	v_alignbit_b32 v29, v30, v29, v36
	v_lshlrev_b32_e32 v30, 31, v35
	v_alignbit_b32 v35, v34, v29, 9
	v_or_b32_e32 v36, 0.5, v30
	v_lshrrev_b32_e32 v34, 9, v34
	v_or_b32_e32 v30, 0x33000000, v30
	v_ffbh_u32_e32 v39, v35
	v_sub_nc_u32_e32 v36, v36, v38
	v_min_u32_e32 v38, 32, v39
	v_or_b32_e32 v34, v34, v36
	v_not_b32_e32 v36, v38
	v_mul_f32_e32 v39, 0x3fc90fda, v34
	v_add_lshl_u32 v37, v38, v37, 23
	v_alignbit_b32 v29, v35, v29, v36
	v_fma_f32 v35, 0x3fc90fda, v34, -v39
	v_sub_nc_u32_e32 v30, v30, v37
	v_lshrrev_b32_e32 v29, 9, v29
	v_fmac_f32_e32 v35, 0x33a22168, v34
	v_or_b32_e32 v29, v30, v29
	v_add_nc_u32_e32 v30, v33, v3
	v_fmac_f32_e32 v35, 0x3fc90fda, v29
	v_add_f32_e32 v29, v39, v35
.LBB347_237:                            ;   in Loop: Header=BB347_199 Depth=3
	s_or_saveexec_b32 s3, s38
	v_mul_f32_e64 v3, 0x3f22f983, |v10|
	v_rndne_f32_e32 v34, v3
	s_xor_b32 exec_lo, exec_lo, s3
; %bb.238:                              ;   in Loop: Header=BB347_199 Depth=3
	v_fma_f32 v29, 0xbfc90fda, v34, |v10|
	v_cvt_i32_f32_e32 v30, v34
	v_fmac_f32_e32 v29, 0xb3a22168, v34
	v_fmac_f32_e32 v29, 0xa7c234c4, v34
; %bb.239:                              ;   in Loop: Header=BB347_199 Depth=3
	s_or_b32 exec_lo, exec_lo, s3
                                        ; implicit-def: $vgpr33
                                        ; implicit-def: $vgpr3
	s_and_saveexec_b32 s3, s37
	s_xor_b32 s37, exec_lo, s3
	s_cbranch_execz .LBB347_241
; %bb.240:                              ;   in Loop: Header=BB347_199 Depth=3
	v_mad_u64_u32 v[33:34], null, 0xfe5163ab, v31, 0
	v_cmp_lt_u32_e32 vcc_lo, 63, v32
	v_cndmask_b32_e64 v39, 0, 0xffffffc0, vcc_lo
	v_mov_b32_e32 v3, v34
	v_add_nc_u32_e32 v32, v39, v32
	v_mad_u64_u32 v[34:35], null, 0x3c439041, v31, v[3:4]
	v_cmp_lt_u32_e64 s3, 31, v32
	v_mov_b32_e32 v3, v35
	v_cndmask_b32_e64 v40, 0, 0xffffffe0, s3
	v_mad_u64_u32 v[35:36], null, 0xdb629599, v31, v[3:4]
	v_mov_b32_e32 v3, v36
	v_cndmask_b32_e32 v33, v35, v33, vcc_lo
	v_mad_u64_u32 v[36:37], null, 0xf534ddc0, v31, v[3:4]
	v_mov_b32_e32 v3, v37
	v_cndmask_b32_e32 v34, v36, v34, vcc_lo
	v_mad_u64_u32 v[37:38], null, 0xfc2757d1, v31, v[3:4]
	v_mov_b32_e32 v3, v38
	v_mad_u64_u32 v[38:39], null, 0x4e441529, v31, v[3:4]
	v_mov_b32_e32 v3, v39
	v_add_nc_u32_e32 v39, v40, v32
	v_cndmask_b32_e32 v40, v38, v36, vcc_lo
	v_mad_u64_u32 v[31:32], null, 0xa2f9836e, v31, v[3:4]
	v_cmp_lt_u32_e64 s4, 31, v39
	v_cndmask_b32_e64 v3, 0, 0xffffffe0, s4
	v_cndmask_b32_e32 v31, v31, v37, vcc_lo
	v_cndmask_b32_e32 v32, v32, v38, vcc_lo
	;; [unrolled: 1-line block ×3, first 2 shown]
	v_add_nc_u32_e32 v3, v3, v39
	v_cndmask_b32_e64 v36, v31, v40, s3
	v_cndmask_b32_e64 v31, v32, v31, s3
	;; [unrolled: 1-line block ×4, first 2 shown]
	v_sub_nc_u32_e32 v38, 32, v3
	v_cmp_eq_u32_e32 vcc_lo, 0, v3
	v_cndmask_b32_e64 v31, v31, v36, s4
	v_cndmask_b32_e64 v36, v36, v32, s4
	;; [unrolled: 1-line block ×3, first 2 shown]
	v_alignbit_b32 v39, v31, v36, v38
	v_alignbit_b32 v35, v36, v32, v38
	v_cndmask_b32_e32 v3, v39, v31, vcc_lo
	v_cndmask_b32_e64 v31, v34, v33, s3
	v_cndmask_b32_e32 v33, v35, v36, vcc_lo
	v_bfe_u32 v34, v3, 29, 1
	v_cndmask_b32_e64 v31, v37, v31, s4
	v_alignbit_b32 v35, v3, v33, 30
	v_sub_nc_u32_e32 v36, 0, v34
	v_alignbit_b32 v37, v32, v31, v38
	v_xor_b32_e32 v35, v35, v36
	v_cndmask_b32_e32 v32, v37, v32, vcc_lo
	v_ffbh_u32_e32 v37, v35
	v_alignbit_b32 v33, v33, v32, 30
	v_alignbit_b32 v31, v32, v31, 30
	v_min_u32_e32 v37, 32, v37
	v_xor_b32_e32 v32, v33, v36
	v_xor_b32_e32 v31, v31, v36
	v_lshrrev_b32_e32 v36, 29, v3
	v_sub_nc_u32_e32 v33, 31, v37
	v_lshlrev_b32_e32 v38, 23, v37
	v_alignbit_b32 v35, v35, v32, v33
	v_alignbit_b32 v31, v32, v31, v33
	v_lshlrev_b32_e32 v32, 31, v36
	v_alignbit_b32 v33, v35, v31, 9
	v_or_b32_e32 v36, 0.5, v32
	v_lshrrev_b32_e32 v35, 9, v35
	v_or_b32_e32 v32, 0x33000000, v32
	v_ffbh_u32_e32 v39, v33
	v_sub_nc_u32_e32 v36, v36, v38
	v_min_u32_e32 v38, 32, v39
	v_or_b32_e32 v35, v35, v36
	v_not_b32_e32 v36, v38
	v_mul_f32_e32 v39, 0x3fc90fda, v35
	v_add_lshl_u32 v37, v38, v37, 23
	v_alignbit_b32 v31, v33, v31, v36
	v_fma_f32 v33, 0x3fc90fda, v35, -v39
	v_sub_nc_u32_e32 v32, v32, v37
	v_lshrrev_b32_e32 v31, 9, v31
	v_fmac_f32_e32 v33, 0x33a22168, v35
	v_or_b32_e32 v31, v32, v31
	v_fmac_f32_e32 v33, 0x3fc90fda, v31
	v_lshrrev_b32_e32 v31, 30, v3
	v_add_f32_e32 v3, v39, v33
	v_add_nc_u32_e32 v33, v34, v31
                                        ; implicit-def: $vgpr34
	s_andn2_saveexec_b32 s3, s37
	s_cbranch_execnz .LBB347_242
	s_branch .LBB347_243
.LBB347_241:                            ;   in Loop: Header=BB347_199 Depth=3
	s_andn2_saveexec_b32 s3, s37
.LBB347_242:                            ;   in Loop: Header=BB347_199 Depth=3
	v_fma_f32 v3, 0xbfc90fda, v34, |v10|
	v_cvt_i32_f32_e32 v33, v34
	v_fmac_f32_e32 v3, 0xb3a22168, v34
	v_fmac_f32_e32 v3, 0xa7c234c4, v34
.LBB347_243:                            ;   in Loop: Header=BB347_199 Depth=3
	s_or_b32 exec_lo, exec_lo, s3
	v_mul_f32_e32 v31, v11, v11
	v_mul_f32_e32 v34, v26, v26
	v_xor_b32_e32 v9, v9, v25
	v_lshlrev_b32_e32 v32, 30, v12
	v_and_b32_e32 v12, 1, v12
	v_fmaak_f32 v35, s28, v31, 0x3c0881c4
	v_fmaak_f32 v36, s24, v31, 0xbab64f3b
	v_fmaak_f32 v25, s28, v34, 0x3c0881c4
	v_fmaak_f32 v37, s24, v34, 0xbab64f3b
	v_and_b32_e32 v38, 1, v28
	v_fmaak_f32 v35, v31, v35, 0xbe2aaa9d
	v_fmaak_f32 v36, v31, v36, 0x3d2aabf7
	;; [unrolled: 1-line block ×4, first 2 shown]
	v_cmp_eq_u32_e32 vcc_lo, 0, v12
	v_mul_f32_e32 v35, v31, v35
	v_fmaak_f32 v36, v31, v36, 0xbf000004
	v_mul_f32_e32 v25, v34, v25
	v_fmaak_f32 v37, v34, v37, 0xbf000004
	v_lshlrev_b32_e32 v28, 30, v28
	v_fmac_f32_e32 v11, v11, v35
	v_fma_f32 v31, v31, v36, 1.0
	v_and_b32_e32 v32, 0x80000000, v32
	v_fmac_f32_e32 v26, v26, v25
	v_fma_f32 v25, v34, v37, 1.0
	v_mul_f32_e32 v12, v29, v29
	v_cndmask_b32_e32 v11, v31, v11, vcc_lo
	v_cmp_eq_u32_e32 vcc_lo, 0, v38
	v_mul_f32_e32 v31, v3, v3
	v_lshlrev_b32_e32 v35, 30, v30
	v_and_b32_e32 v30, 1, v30
	v_xor3_b32 v9, v9, v32, v11
	v_cndmask_b32_e64 v25, -v26, v25, vcc_lo
	v_and_b32_e32 v11, 0x80000000, v28
	v_fmaak_f32 v26, s28, v12, 0x3c0881c4
	v_fmaak_f32 v28, s24, v12, 0xbab64f3b
	;; [unrolled: 1-line block ×4, first 2 shown]
	v_cmp_eq_u32_e32 vcc_lo, 0, v30
	v_fmaak_f32 v26, v12, v26, 0xbe2aaa9d
	v_fmaak_f32 v28, v12, v28, 0x3d2aabf7
	;; [unrolled: 1-line block ×4, first 2 shown]
	v_and_b32_e32 v35, 0x80000000, v35
	v_mul_f32_e32 v26, v12, v26
	v_fmaak_f32 v28, v12, v28, 0xbf000004
	v_mul_f32_e32 v32, v31, v32
	v_fmaak_f32 v34, v31, v34, 0xbf000004
	v_xor_b32_e32 v27, v27, v10
	v_fmac_f32_e32 v29, v29, v26
	v_fma_f32 v12, v12, v28, 1.0
	v_and_b32_e32 v28, 1, v33
	v_fmac_f32_e32 v3, v3, v32
	v_fma_f32 v26, v31, v34, 1.0
	v_lshlrev_b32_e32 v31, 30, v33
	v_cndmask_b32_e32 v12, v12, v29, vcc_lo
	v_cmp_eq_u32_e32 vcc_lo, 0, v28
	v_xor_b32_e32 v11, v11, v25
	v_cmp_class_f32_e64 s3, v10, 0x1f8
	v_xor3_b32 v12, v27, v35, v12
	v_cndmask_b32_e64 v3, -v3, v26, vcc_lo
	v_and_b32_e32 v26, 0x80000000, v31
	v_cmp_class_f32_e64 vcc_lo, v24, 0x1f8
	v_xor_b32_e32 v3, v26, v3
	v_cndmask_b32_e32 v10, 0x7fc00000, v11, vcc_lo
	v_cndmask_b32_e32 v9, 0x7fc00000, v9, vcc_lo
	v_cndmask_b32_e64 v11, 0x7fc00000, v12, s3
	v_cndmask_b32_e64 v3, 0x7fc00000, v3, s3
	v_mul_f32_e32 v12, 0x7f800000, v10
	v_cmp_neq_f32_e32 vcc_lo, 0, v10
	v_mul_f32_e32 v25, 0x7f800000, v11
	v_mul_f32_e32 v24, 0x7f800000, v3
	v_cndmask_b32_e32 v10, 0, v12, vcc_lo
	v_cmp_neq_f32_e32 vcc_lo, 0, v3
	v_mul_f32_e32 v12, 0x7f800000, v9
	v_cndmask_b32_e32 v3, 0, v24, vcc_lo
	v_cmp_neq_f32_e32 vcc_lo, 0, v9
	v_add_f32_e32 v10, v10, v3
	v_cndmask_b32_e32 v9, 0, v12, vcc_lo
	v_cmp_neq_f32_e32 vcc_lo, 0, v11
	v_add_f32_e32 v26, -1.0, v10
	v_cndmask_b32_e32 v11, 0, v25, vcc_lo
	v_add_f32_e32 v3, v9, v11
	v_max_f32_e64 v11, |v26|, |v3|
	v_cvt_f64_f32_e32 v[9:10], v11
	v_cmp_eq_f32_e32 vcc_lo, 0x7f800000, v11
	v_frexp_exp_i32_f64_e32 v9, v[9:10]
	v_sub_nc_u32_e32 v10, 0, v9
	v_ldexp_f32 v12, |v3|, v10
	v_ldexp_f32 v10, |v26|, v10
	v_mul_f32_e32 v12, v12, v12
	v_fmac_f32_e32 v12, v10, v10
	v_sqrt_f32_e32 v10, v12
	v_ldexp_f32 v10, v10, v9
	v_add_f32_e32 v9, 1.0, v26
	v_cmp_ngt_f32_e64 s3, 0.5, v10
	v_max_f32_e64 v10, |v9|, |v3|
	s_or_b32 s3, vcc_lo, s3
	s_and_saveexec_b32 s4, s3
	s_xor_b32 s4, exec_lo, s4
	s_cbranch_execz .LBB347_245
; %bb.244:                              ;   in Loop: Header=BB347_199 Depth=3
	v_cvt_f64_f32_e32 v[11:12], v10
	v_cmp_neq_f32_e32 vcc_lo, 0x7f800000, v10
	v_frexp_exp_i32_f64_e32 v11, v[11:12]
	v_sub_nc_u32_e32 v12, 0, v11
	v_ldexp_f32 v24, |v3|, v12
	v_ldexp_f32 v12, |v9|, v12
	v_mul_f32_e32 v24, v24, v24
	v_fmac_f32_e32 v24, v12, v12
	v_sqrt_f32_e32 v12, v24
	v_ldexp_f32 v11, v12, v11
	v_cndmask_b32_e32 v11, 0x7f800000, v11, vcc_lo
	v_cmp_gt_f32_e32 vcc_lo, 0x800000, v11
	v_cndmask_b32_e64 v12, 0, 32, vcc_lo
	v_ldexp_f32 v11, v11, v12
	v_log_f32_e32 v11, v11
	v_mul_f32_e32 v12, 0x3f317217, v11
	v_cmp_gt_f32_e64 s3, 0x7f800000, |v11|
	v_fma_f32 v12, 0x3f317217, v11, -v12
	v_fmac_f32_e32 v12, 0x3377d1cf, v11
	v_fmac_f32_e32 v12, 0x3f317217, v11
	v_cndmask_b32_e64 v11, v11, v12, s3
	v_cndmask_b32_e64 v12, 0, 0x41b17218, vcc_lo
	v_sub_f32_e32 v26, v11, v12
.LBB347_245:                            ;   in Loop: Header=BB347_199 Depth=3
	s_andn2_saveexec_b32 s3, s4
	s_cbranch_execz .LBB347_194
; %bb.246:                              ;   in Loop: Header=BB347_199 Depth=3
	v_add_f32_e32 v11, 2.0, v26
	s_mov_b32 s4, exec_lo
	v_mul_f32_e32 v11, v26, v11
	v_fmac_f32_e32 v11, v3, v3
	v_cmpx_neq_f32_e32 0, v11
	s_cbranch_execz .LBB347_193
; %bb.247:                              ;   in Loop: Header=BB347_199 Depth=3
	v_add_f32_e32 v12, 1.0, v11
	v_cvt_f64_f32_e32 v[24:25], v12
	v_frexp_exp_i32_f64_e32 v24, v[24:25]
	v_frexp_mant_f32_e32 v25, v12
	v_cmp_gt_f32_e32 vcc_lo, 0x3f2aaaab, v25
	v_add_f32_e32 v25, -1.0, v12
	v_sub_f32_e32 v27, v25, v12
	v_sub_f32_e32 v25, v11, v25
	v_add_f32_e32 v27, 1.0, v27
	v_add_f32_e32 v25, v25, v27
	v_subrev_co_ci_u32_e64 v24, null, 0, v24, vcc_lo
	v_cmp_neq_f32_e32 vcc_lo, 0x7f800000, v11
	v_sub_nc_u32_e32 v26, 0, v24
	v_cvt_f32_i32_e32 v24, v24
	v_ldexp_f32 v12, v12, v26
	v_ldexp_f32 v25, v25, v26
	v_add_f32_e32 v28, 1.0, v12
	v_add_f32_e32 v26, -1.0, v12
	v_add_f32_e32 v27, -1.0, v28
	v_add_f32_e32 v29, 1.0, v26
	v_sub_f32_e32 v27, v12, v27
	v_sub_f32_e32 v12, v12, v29
	v_add_f32_e32 v27, v25, v27
	v_add_f32_e32 v12, v25, v12
	;; [unrolled: 1-line block ×4, first 2 shown]
	v_rcp_f32_e32 v25, v29
	v_sub_f32_e32 v28, v29, v28
	v_sub_f32_e32 v26, v30, v26
	;; [unrolled: 1-line block ×4, first 2 shown]
	v_mul_f32_e32 v31, v30, v25
	v_mul_f32_e32 v32, v29, v31
	v_fma_f32 v28, v31, v29, -v32
	v_fmac_f32_e32 v28, v31, v27
	v_add_f32_e32 v33, v32, v28
	v_sub_f32_e32 v34, v30, v33
	v_sub_f32_e32 v26, v33, v32
	v_sub_f32_e32 v30, v30, v34
	v_sub_f32_e32 v26, v26, v28
	v_sub_f32_e32 v30, v30, v33
	v_add_f32_e32 v12, v12, v30
	v_add_f32_e32 v12, v26, v12
	;; [unrolled: 1-line block ×3, first 2 shown]
	v_mul_f32_e32 v28, v25, v26
	v_sub_f32_e32 v33, v34, v26
	v_mul_f32_e32 v30, v29, v28
	v_add_f32_e32 v12, v12, v33
	v_fma_f32 v29, v28, v29, -v30
	v_fmac_f32_e32 v29, v28, v27
	v_add_f32_e32 v27, v30, v29
	v_sub_f32_e32 v32, v26, v27
	v_sub_f32_e32 v30, v27, v30
	;; [unrolled: 1-line block ×5, first 2 shown]
	v_add_f32_e32 v12, v12, v26
	v_add_f32_e32 v26, v31, v28
	;; [unrolled: 1-line block ×3, first 2 shown]
	v_sub_f32_e32 v27, v26, v31
	v_add_f32_e32 v12, v32, v12
	v_sub_f32_e32 v27, v28, v27
	v_mul_f32_e32 v12, v25, v12
	v_add_f32_e32 v12, v27, v12
	v_add_f32_e32 v25, v26, v12
	v_mul_f32_e32 v27, v25, v25
	v_fmaak_f32 v28, s29, v27, 0x3ecc95a3
	v_mul_f32_e32 v29, v25, v27
	v_fmaak_f32 v27, v27, v28, 0x3f2aaada
	v_ldexp_f32 v28, v25, 1
	v_sub_f32_e32 v25, v25, v26
	v_mul_f32_e32 v27, v29, v27
	v_mul_f32_e32 v29, 0x3f317218, v24
	v_sub_f32_e32 v12, v12, v25
	v_add_f32_e32 v26, v28, v27
	v_ldexp_f32 v12, v12, 1
	v_sub_f32_e32 v25, v26, v28
	v_fma_f32 v28, 0x3f317218, v24, -v29
	v_sub_f32_e32 v25, v27, v25
	v_fmac_f32_e32 v28, 0xb102e308, v24
	v_add_f32_e32 v12, v12, v25
	v_add_f32_e32 v24, v29, v28
	;; [unrolled: 1-line block ×3, first 2 shown]
	v_sub_f32_e32 v29, v24, v29
	v_add_f32_e32 v27, v24, v25
	v_sub_f32_e32 v26, v25, v26
	v_sub_f32_e32 v28, v28, v29
	;; [unrolled: 1-line block ×6, first 2 shown]
	v_add_f32_e32 v26, v28, v12
	v_sub_f32_e32 v24, v24, v31
	v_add_f32_e32 v24, v25, v24
	v_sub_f32_e32 v25, v26, v28
	;; [unrolled: 2-line block ×3, first 2 shown]
	v_sub_f32_e32 v12, v12, v25
	v_add_f32_e32 v29, v27, v24
	v_sub_f32_e32 v26, v28, v26
	v_sub_f32_e32 v25, v29, v27
	v_add_f32_e32 v12, v12, v26
	v_sub_f32_e32 v24, v24, v25
	v_add_f32_e32 v12, v12, v24
	v_add_f32_e32 v12, v29, v12
	v_cndmask_b32_e32 v12, 0x7f800000, v12, vcc_lo
	v_cmp_ngt_f32_e32 vcc_lo, -1.0, v11
	v_cndmask_b32_e32 v12, 0x7fc00000, v12, vcc_lo
	v_cmp_neq_f32_e32 vcc_lo, -1.0, v11
	v_cndmask_b32_e32 v12, 0xff800000, v12, vcc_lo
	v_cmp_gt_f32_e64 vcc_lo, 0x33800000, |v11|
	v_cndmask_b32_e32 v11, v12, v11, vcc_lo
	v_mul_f32_e32 v26, 0.5, v11
	s_branch .LBB347_193
.LBB347_248:                            ;   in Loop: Header=BB347_133 Depth=2
	s_or_b32 exec_lo, exec_lo, s31
	s_and_saveexec_b32 s3, s1
	s_cbranch_execz .LBB347_132
; %bb.249:                              ;   in Loop: Header=BB347_133 Depth=2
	s_mov_b32 s4, exec_lo
	v_cmpx_gt_u64_e64 s[22:23], v[7:8]
	s_cbranch_execz .LBB347_251
; %bb.250:                              ;   in Loop: Header=BB347_133 Depth=2
	ds_read_b64 v[9:10], v14
	v_lshlrev_b64 v[7:8], 3, v[7:8]
	v_add_co_u32 v7, vcc_lo, v20, v7
	v_add_co_ci_u32_e64 v8, null, v21, v8, vcc_lo
	s_waitcnt lgkmcnt(0)
	global_store_dwordx2 v[7:8], v[9:10], off
.LBB347_251:                            ;   in Loop: Header=BB347_133 Depth=2
	s_or_b32 exec_lo, exec_lo, s4
	v_cmp_gt_u64_e32 vcc_lo, s[22:23], v[5:6]
	s_and_b32 exec_lo, exec_lo, vcc_lo
	s_cbranch_execz .LBB347_132
; %bb.252:                              ;   in Loop: Header=BB347_133 Depth=2
	ds_read_b64 v[7:8], v15
	v_lshlrev_b64 v[5:6], 3, v[5:6]
	v_add_co_u32 v5, vcc_lo, v20, v5
	v_add_co_ci_u32_e64 v6, null, v21, v6, vcc_lo
	s_waitcnt lgkmcnt(0)
	global_store_dwordx2 v[5:6], v[7:8], off
	s_branch .LBB347_132
.LBB347_253:
	s_endpgm
	.section	.rodata,"a",@progbits
	.p2align	6, 0x0
	.amdhsa_kernel _ZN2at6native32tensor_kernel_scan_innermost_dimIN3c107complexIfEEZZZNS0_31launch_logcumsumexp_cuda_kernelERKNS_10TensorBaseES7_lENKUlvE_clEvENKUlvE2_clEvEUlS4_S4_E_EEvPT_PKSB_jjjSB_T0_
		.amdhsa_group_segment_fixed_size 0
		.amdhsa_private_segment_fixed_size 0
		.amdhsa_kernarg_size 304
		.amdhsa_user_sgpr_count 6
		.amdhsa_user_sgpr_private_segment_buffer 1
		.amdhsa_user_sgpr_dispatch_ptr 0
		.amdhsa_user_sgpr_queue_ptr 0
		.amdhsa_user_sgpr_kernarg_segment_ptr 1
		.amdhsa_user_sgpr_dispatch_id 0
		.amdhsa_user_sgpr_flat_scratch_init 0
		.amdhsa_user_sgpr_private_segment_size 0
		.amdhsa_wavefront_size32 1
		.amdhsa_uses_dynamic_stack 0
		.amdhsa_system_sgpr_private_segment_wavefront_offset 0
		.amdhsa_system_sgpr_workgroup_id_x 1
		.amdhsa_system_sgpr_workgroup_id_y 0
		.amdhsa_system_sgpr_workgroup_id_z 0
		.amdhsa_system_sgpr_workgroup_info 0
		.amdhsa_system_vgpr_workitem_id 1
		.amdhsa_next_free_vgpr 41
		.amdhsa_next_free_sgpr 39
		.amdhsa_reserve_vcc 1
		.amdhsa_reserve_flat_scratch 0
		.amdhsa_float_round_mode_32 0
		.amdhsa_float_round_mode_16_64 0
		.amdhsa_float_denorm_mode_32 3
		.amdhsa_float_denorm_mode_16_64 3
		.amdhsa_dx10_clamp 1
		.amdhsa_ieee_mode 1
		.amdhsa_fp16_overflow 0
		.amdhsa_workgroup_processor_mode 1
		.amdhsa_memory_ordered 1
		.amdhsa_forward_progress 1
		.amdhsa_shared_vgpr_count 0
		.amdhsa_exception_fp_ieee_invalid_op 0
		.amdhsa_exception_fp_denorm_src 0
		.amdhsa_exception_fp_ieee_div_zero 0
		.amdhsa_exception_fp_ieee_overflow 0
		.amdhsa_exception_fp_ieee_underflow 0
		.amdhsa_exception_fp_ieee_inexact 0
		.amdhsa_exception_int_div_zero 0
	.end_amdhsa_kernel
	.section	.text._ZN2at6native32tensor_kernel_scan_innermost_dimIN3c107complexIfEEZZZNS0_31launch_logcumsumexp_cuda_kernelERKNS_10TensorBaseES7_lENKUlvE_clEvENKUlvE2_clEvEUlS4_S4_E_EEvPT_PKSB_jjjSB_T0_,"axG",@progbits,_ZN2at6native32tensor_kernel_scan_innermost_dimIN3c107complexIfEEZZZNS0_31launch_logcumsumexp_cuda_kernelERKNS_10TensorBaseES7_lENKUlvE_clEvENKUlvE2_clEvEUlS4_S4_E_EEvPT_PKSB_jjjSB_T0_,comdat
.Lfunc_end347:
	.size	_ZN2at6native32tensor_kernel_scan_innermost_dimIN3c107complexIfEEZZZNS0_31launch_logcumsumexp_cuda_kernelERKNS_10TensorBaseES7_lENKUlvE_clEvENKUlvE2_clEvEUlS4_S4_E_EEvPT_PKSB_jjjSB_T0_, .Lfunc_end347-_ZN2at6native32tensor_kernel_scan_innermost_dimIN3c107complexIfEEZZZNS0_31launch_logcumsumexp_cuda_kernelERKNS_10TensorBaseES7_lENKUlvE_clEvENKUlvE2_clEvEUlS4_S4_E_EEvPT_PKSB_jjjSB_T0_
                                        ; -- End function
	.set _ZN2at6native32tensor_kernel_scan_innermost_dimIN3c107complexIfEEZZZNS0_31launch_logcumsumexp_cuda_kernelERKNS_10TensorBaseES7_lENKUlvE_clEvENKUlvE2_clEvEUlS4_S4_E_EEvPT_PKSB_jjjSB_T0_.num_vgpr, 41
	.set _ZN2at6native32tensor_kernel_scan_innermost_dimIN3c107complexIfEEZZZNS0_31launch_logcumsumexp_cuda_kernelERKNS_10TensorBaseES7_lENKUlvE_clEvENKUlvE2_clEvEUlS4_S4_E_EEvPT_PKSB_jjjSB_T0_.num_agpr, 0
	.set _ZN2at6native32tensor_kernel_scan_innermost_dimIN3c107complexIfEEZZZNS0_31launch_logcumsumexp_cuda_kernelERKNS_10TensorBaseES7_lENKUlvE_clEvENKUlvE2_clEvEUlS4_S4_E_EEvPT_PKSB_jjjSB_T0_.numbered_sgpr, 39
	.set _ZN2at6native32tensor_kernel_scan_innermost_dimIN3c107complexIfEEZZZNS0_31launch_logcumsumexp_cuda_kernelERKNS_10TensorBaseES7_lENKUlvE_clEvENKUlvE2_clEvEUlS4_S4_E_EEvPT_PKSB_jjjSB_T0_.num_named_barrier, 0
	.set _ZN2at6native32tensor_kernel_scan_innermost_dimIN3c107complexIfEEZZZNS0_31launch_logcumsumexp_cuda_kernelERKNS_10TensorBaseES7_lENKUlvE_clEvENKUlvE2_clEvEUlS4_S4_E_EEvPT_PKSB_jjjSB_T0_.private_seg_size, 0
	.set _ZN2at6native32tensor_kernel_scan_innermost_dimIN3c107complexIfEEZZZNS0_31launch_logcumsumexp_cuda_kernelERKNS_10TensorBaseES7_lENKUlvE_clEvENKUlvE2_clEvEUlS4_S4_E_EEvPT_PKSB_jjjSB_T0_.uses_vcc, 1
	.set _ZN2at6native32tensor_kernel_scan_innermost_dimIN3c107complexIfEEZZZNS0_31launch_logcumsumexp_cuda_kernelERKNS_10TensorBaseES7_lENKUlvE_clEvENKUlvE2_clEvEUlS4_S4_E_EEvPT_PKSB_jjjSB_T0_.uses_flat_scratch, 0
	.set _ZN2at6native32tensor_kernel_scan_innermost_dimIN3c107complexIfEEZZZNS0_31launch_logcumsumexp_cuda_kernelERKNS_10TensorBaseES7_lENKUlvE_clEvENKUlvE2_clEvEUlS4_S4_E_EEvPT_PKSB_jjjSB_T0_.has_dyn_sized_stack, 0
	.set _ZN2at6native32tensor_kernel_scan_innermost_dimIN3c107complexIfEEZZZNS0_31launch_logcumsumexp_cuda_kernelERKNS_10TensorBaseES7_lENKUlvE_clEvENKUlvE2_clEvEUlS4_S4_E_EEvPT_PKSB_jjjSB_T0_.has_recursion, 0
	.set _ZN2at6native32tensor_kernel_scan_innermost_dimIN3c107complexIfEEZZZNS0_31launch_logcumsumexp_cuda_kernelERKNS_10TensorBaseES7_lENKUlvE_clEvENKUlvE2_clEvEUlS4_S4_E_EEvPT_PKSB_jjjSB_T0_.has_indirect_call, 0
	.section	.AMDGPU.csdata,"",@progbits
; Kernel info:
; codeLenInByte = 30864
; TotalNumSgprs: 41
; NumVgprs: 41
; ScratchSize: 0
; MemoryBound: 0
; FloatMode: 240
; IeeeMode: 1
; LDSByteSize: 0 bytes/workgroup (compile time only)
; SGPRBlocks: 0
; VGPRBlocks: 5
; NumSGPRsForWavesPerEU: 41
; NumVGPRsForWavesPerEU: 41
; Occupancy: 16
; WaveLimiterHint : 0
; COMPUTE_PGM_RSRC2:SCRATCH_EN: 0
; COMPUTE_PGM_RSRC2:USER_SGPR: 6
; COMPUTE_PGM_RSRC2:TRAP_HANDLER: 0
; COMPUTE_PGM_RSRC2:TGID_X_EN: 1
; COMPUTE_PGM_RSRC2:TGID_Y_EN: 0
; COMPUTE_PGM_RSRC2:TGID_Z_EN: 0
; COMPUTE_PGM_RSRC2:TIDIG_COMP_CNT: 1
	.section	.text._ZN2at6native28tensor_kernel_scan_outer_dimIN3c107complexIfEEjZZZNS0_31launch_logcumsumexp_cuda_kernelERKNS_10TensorBaseES7_lENKUlvE_clEvENKUlvE2_clEvEUlS4_S4_E_EEvPT_PKSB_jjjSB_T1_,"axG",@progbits,_ZN2at6native28tensor_kernel_scan_outer_dimIN3c107complexIfEEjZZZNS0_31launch_logcumsumexp_cuda_kernelERKNS_10TensorBaseES7_lENKUlvE_clEvENKUlvE2_clEvEUlS4_S4_E_EEvPT_PKSB_jjjSB_T1_,comdat
	.globl	_ZN2at6native28tensor_kernel_scan_outer_dimIN3c107complexIfEEjZZZNS0_31launch_logcumsumexp_cuda_kernelERKNS_10TensorBaseES7_lENKUlvE_clEvENKUlvE2_clEvEUlS4_S4_E_EEvPT_PKSB_jjjSB_T1_ ; -- Begin function _ZN2at6native28tensor_kernel_scan_outer_dimIN3c107complexIfEEjZZZNS0_31launch_logcumsumexp_cuda_kernelERKNS_10TensorBaseES7_lENKUlvE_clEvENKUlvE2_clEvEUlS4_S4_E_EEvPT_PKSB_jjjSB_T1_
	.p2align	8
	.type	_ZN2at6native28tensor_kernel_scan_outer_dimIN3c107complexIfEEjZZZNS0_31launch_logcumsumexp_cuda_kernelERKNS_10TensorBaseES7_lENKUlvE_clEvENKUlvE2_clEvEUlS4_S4_E_EEvPT_PKSB_jjjSB_T1_,@function
_ZN2at6native28tensor_kernel_scan_outer_dimIN3c107complexIfEEjZZZNS0_31launch_logcumsumexp_cuda_kernelERKNS_10TensorBaseES7_lENKUlvE_clEvENKUlvE2_clEvEUlS4_S4_E_EEvPT_PKSB_jjjSB_T1_: ; @_ZN2at6native28tensor_kernel_scan_outer_dimIN3c107complexIfEEjZZZNS0_31launch_logcumsumexp_cuda_kernelERKNS_10TensorBaseES7_lENKUlvE_clEvENKUlvE2_clEvEUlS4_S4_E_EEvPT_PKSB_jjjSB_T1_
; %bb.0:
	s_load_dwordx4 s[8:11], s[4:5], 0x10
	s_waitcnt lgkmcnt(0)
	s_cmp_ge_u32 s6, s8
	s_cbranch_scc1 .LBB348_57
; %bb.1:
	s_clause 0x3
	s_load_dword s0, s[4:5], 0x3c
	s_load_dword s3, s[4:5], 0x30
	s_load_dwordx4 s[12:15], s[4:5], 0x0
	s_load_dwordx2 s[16:17], s[4:5], 0x20
	v_mov_b32_e32 v1, 0
	s_add_u32 s4, s4, 48
	s_addc_u32 s5, s5, 0
	s_mul_i32 s1, s6, s10
	v_mov_b32_e32 v8, 0x4016cbe4
	s_mov_b32 s19, 0
	s_mov_b32 s18, s9
	s_mul_i32 s1, s1, s9
	s_mov_b32 s11, 0x7fffff
	s_mov_b32 s24, 0x37d75334
	;; [unrolled: 1-line block ×5, first 2 shown]
	s_waitcnt lgkmcnt(0)
	s_and_b32 s26, s0, 0xffff
	s_cmp_lg_u32 s10, 0
	v_mad_u64_u32 v[2:3], null, s7, s26, v[0:1]
	s_mul_i32 s7, s3, s10
	s_cselect_b32 s27, -1, 0
	s_mul_i32 s7, s7, s9
	s_lshl_b64 s[20:21], s[18:19], 3
	s_mov_b32 s18, s1
	v_cmp_gt_u32_e64 s0, s9, v2
	s_branch .LBB348_3
.LBB348_2:                              ;   in Loop: Header=BB348_3 Depth=1
	s_or_b32 exec_lo, exec_lo, s30
	s_add_i32 s6, s3, s6
	s_add_i32 s18, s18, s7
	s_cmp_ge_u32 s6, s8
	s_cbranch_scc1 .LBB348_57
.LBB348_3:                              ; =>This Loop Header: Depth=1
                                        ;     Child Loop BB348_6 Depth 2
                                        ;       Child Loop BB348_13 Depth 3
	s_and_saveexec_b32 s30, s0
	s_cbranch_execz .LBB348_2
; %bb.4:                                ;   in Loop: Header=BB348_3 Depth=1
	s_load_dword s31, s[4:5], 0x4
	v_mov_b32_e32 v3, v2
	s_lshl_b64 s[22:23], s[18:19], 3
	s_mov_b32 s33, 0
	s_waitcnt lgkmcnt(0)
	s_mul_i32 s31, s31, s26
	s_branch .LBB348_6
.LBB348_5:                              ;   in Loop: Header=BB348_6 Depth=2
	v_add_nc_u32_e32 v3, s31, v3
	v_cmp_le_u32_e32 vcc_lo, s9, v3
	s_or_b32 s33, vcc_lo, s33
	s_andn2_b32 exec_lo, exec_lo, s33
	s_cbranch_execz .LBB348_2
.LBB348_6:                              ;   Parent Loop BB348_3 Depth=1
                                        ; =>  This Loop Header: Depth=2
                                        ;       Child Loop BB348_13 Depth 3
	s_andn2_b32 vcc_lo, exec_lo, s27
	s_cbranch_vccnz .LBB348_5
; %bb.7:                                ;   in Loop: Header=BB348_6 Depth=2
	v_mov_b32_e32 v4, v1
	v_mov_b32_e32 v7, s17
	;; [unrolled: 1-line block ×3, first 2 shown]
	s_mov_b32 s34, s10
	v_lshlrev_b64 v[4:5], 3, v[3:4]
	v_add_co_u32 v9, vcc_lo, s22, v4
	v_add_co_ci_u32_e64 v10, null, s23, v5, vcc_lo
	s_branch .LBB348_13
.LBB348_8:                              ;   in Loop: Header=BB348_13 Depth=3
	s_or_b32 exec_lo, exec_lo, s2
.LBB348_9:                              ;   in Loop: Header=BB348_13 Depth=3
	s_or_b32 exec_lo, exec_lo, s1
	v_max_f32_e64 v6, |v0|, |v0|
	v_max_f32_e64 v7, |v4|, |v4|
	v_frexp_mant_f32_e32 v11, v5
	v_frexp_exp_i32_f32_e32 v5, v5
	v_cmp_gt_f32_e64 vcc_lo, |v0|, |v4|
	v_cmp_gt_i32_e64 s1, 0, v4
	v_min_f32_e32 v6, v7, v6
	v_rcp_f32_e32 v7, v11
	v_cmp_class_f32_e64 s2, v4, 0x204
	v_frexp_mant_f32_e32 v11, v6
	v_frexp_exp_i32_f32_e32 v6, v6
	v_mul_f32_e32 v7, v11, v7
	v_sub_nc_u32_e32 v5, v6, v5
	v_cndmask_b32_e64 v11, 0, 0x40490fdb, s1
	v_cmp_class_f32_e64 s1, v0, 0x204
	v_ldexp_f32 v5, v7, v5
	v_mul_f32_e32 v6, v5, v5
	v_fmaak_f32 v7, s29, v6, 0xbc7a590c
	v_fmaak_f32 v7, v6, v7, 0x3d29fb3f
	;; [unrolled: 1-line block ×7, first 2 shown]
	v_mul_f32_e32 v6, v6, v7
	v_fmac_f32_e32 v5, v5, v6
	v_sub_f32_e32 v6, 0x3fc90fdb, v5
	v_cndmask_b32_e32 v5, v5, v6, vcc_lo
	v_cmp_gt_f32_e32 vcc_lo, 0, v4
	v_sub_f32_e32 v6, 0x40490fdb, v5
	v_cndmask_b32_e32 v7, 0x3f490fdb, v8, vcc_lo
	v_cndmask_b32_e32 v5, v5, v6, vcc_lo
	v_cmp_eq_f32_e32 vcc_lo, 0, v0
	v_cndmask_b32_e32 v5, v5, v11, vcc_lo
	s_and_b32 vcc_lo, s1, s2
	v_cndmask_b32_e32 v5, v5, v7, vcc_lo
	v_cmp_o_f32_e32 vcc_lo, v4, v0
	v_cndmask_b32_e32 v4, 0x7fc00000, v5, vcc_lo
	v_bfi_b32 v11, 0x7fffffff, v4, v0
.LBB348_10:                             ;   in Loop: Header=BB348_13 Depth=3
	s_or_b32 exec_lo, exec_lo, s37
.LBB348_11:                             ;   in Loop: Header=BB348_13 Depth=3
	s_or_b32 exec_lo, exec_lo, s36
	v_mov_b32_e32 v6, v13
	v_mov_b32_e32 v7, v11
.LBB348_12:                             ;   in Loop: Header=BB348_13 Depth=3
	s_or_b32 exec_lo, exec_lo, s35
	v_add_co_u32 v4, vcc_lo, s12, v9
	v_add_co_ci_u32_e64 v5, null, s13, v10, vcc_lo
	v_add_co_u32 v9, vcc_lo, v9, s20
	v_add_co_ci_u32_e64 v10, null, s21, v10, vcc_lo
	s_add_i32 s34, s34, -1
	global_store_dwordx2 v[4:5], v[6:7], off
	s_cmp_eq_u32 s34, 0
	s_cbranch_scc1 .LBB348_5
.LBB348_13:                             ;   Parent Loop BB348_3 Depth=1
                                        ;     Parent Loop BB348_6 Depth=2
                                        ; =>    This Inner Loop Header: Depth=3
	v_add_co_u32 v4, vcc_lo, s14, v9
	v_add_co_ci_u32_e64 v5, null, s15, v10, vcc_lo
	global_load_dwordx2 v[4:5], v[4:5], off
	s_waitcnt vmcnt(0)
	v_cmp_o_f32_e32 vcc_lo, v4, v5
	v_mov_b32_e32 v11, v5
	v_mov_b32_e32 v13, v4
	v_mov_b32_e32 v12, v5
	s_and_saveexec_b32 s35, vcc_lo
; %bb.14:                               ;   in Loop: Header=BB348_13 Depth=3
	v_cmp_u_f32_e64 s1, v6, v7
	v_cmp_lt_f32_e64 s2, v6, v4
	s_or_b32 s1, s1, s2
	v_cndmask_b32_e64 v11, v5, v7, s1
	v_cndmask_b32_e64 v13, v4, v6, s1
	v_mov_b32_e32 v12, v11
; %bb.15:                               ;   in Loop: Header=BB348_13 Depth=3
	s_or_b32 exec_lo, exec_lo, s35
	s_and_saveexec_b32 s2, vcc_lo
; %bb.16:                               ;   in Loop: Header=BB348_13 Depth=3
	v_cmp_u_f32_e32 vcc_lo, v6, v7
	v_cmp_ge_f32_e64 s1, v6, v4
	s_or_b32 vcc_lo, vcc_lo, s1
	v_cndmask_b32_e32 v5, v5, v7, vcc_lo
	v_cndmask_b32_e32 v4, v4, v6, vcc_lo
; %bb.17:                               ;   in Loop: Header=BB348_13 Depth=3
	s_or_b32 exec_lo, exec_lo, s2
	v_mov_b32_e32 v6, 0x7fc00000
	v_mov_b32_e32 v7, 0x7fc00000
	s_mov_b32 s35, exec_lo
	v_cmpx_o_f32_e32 v13, v11
	s_cbranch_execz .LBB348_12
; %bb.18:                               ;   in Loop: Header=BB348_13 Depth=3
	v_cmp_class_f32_e64 s1, v13, 0x1f8
	v_cmp_neq_f32_e32 vcc_lo, v4, v13
	s_or_b32 s1, s1, vcc_lo
	s_and_saveexec_b32 s2, s1
	s_xor_b32 s36, exec_lo, s2
	s_cbranch_execz .LBB348_34
; %bb.19:                               ;   in Loop: Header=BB348_13 Depth=3
	v_sub_f32_e32 v6, v11, v5
                                        ; implicit-def: $vgpr12
                                        ; implicit-def: $vgpr11
	v_and_b32_e32 v7, 0x7fffffff, v6
	v_cmp_ngt_f32_e64 s37, 0x48000000, |v6|
	v_lshrrev_b32_e32 v0, 23, v7
	v_and_or_b32 v14, v7, s11, 0x800000
	v_add_nc_u32_e32 v15, 0xffffff88, v0
	s_and_saveexec_b32 s1, s37
	s_xor_b32 s38, exec_lo, s1
	s_cbranch_execz .LBB348_21
; %bb.20:                               ;   in Loop: Header=BB348_13 Depth=3
	v_mad_u64_u32 v[11:12], null, 0xfe5163ab, v14, 0
	v_cmp_lt_u32_e32 vcc_lo, 63, v15
	v_mov_b32_e32 v0, v12
	v_cndmask_b32_e64 v12, 0, 0xffffffc0, vcc_lo
	v_mad_u64_u32 v[16:17], null, 0x3c439041, v14, v[0:1]
	v_add_nc_u32_e32 v12, v12, v15
	v_cmp_lt_u32_e64 s1, 31, v12
	v_mov_b32_e32 v0, v17
	v_cndmask_b32_e64 v22, 0, 0xffffffe0, s1
	v_mad_u64_u32 v[17:18], null, 0xdb629599, v14, v[0:1]
	v_add_nc_u32_e32 v12, v22, v12
	v_mov_b32_e32 v0, v18
	v_cmp_lt_u32_e64 s2, 31, v12
	v_cndmask_b32_e32 v11, v17, v11, vcc_lo
	v_mad_u64_u32 v[18:19], null, 0xf534ddc0, v14, v[0:1]
	v_mov_b32_e32 v0, v19
	v_mad_u64_u32 v[19:20], null, 0xfc2757d1, v14, v[0:1]
	v_mov_b32_e32 v0, v20
	;; [unrolled: 2-line block ×3, first 2 shown]
	v_cndmask_b32_e32 v23, v20, v18, vcc_lo
	v_mad_u64_u32 v[21:22], null, 0xa2f9836e, v14, v[0:1]
	v_cndmask_b32_e64 v0, 0, 0xffffffe0, s2
	v_add_nc_u32_e32 v0, v0, v12
	v_cndmask_b32_e32 v21, v21, v19, vcc_lo
	v_cndmask_b32_e32 v20, v22, v20, vcc_lo
	;; [unrolled: 1-line block ×4, first 2 shown]
	v_cmp_eq_u32_e32 vcc_lo, 0, v0
	v_cndmask_b32_e64 v16, v21, v23, s1
	v_cndmask_b32_e64 v18, v20, v21, s1
	;; [unrolled: 1-line block ×3, first 2 shown]
	v_sub_nc_u32_e32 v21, 32, v0
	v_cndmask_b32_e64 v19, v19, v12, s1
	v_cndmask_b32_e64 v11, v12, v11, s1
	;; [unrolled: 1-line block ×6, first 2 shown]
	v_alignbit_b32 v22, v18, v16, v21
	v_alignbit_b32 v17, v16, v20, v21
	;; [unrolled: 1-line block ×3, first 2 shown]
	v_cndmask_b32_e32 v0, v22, v18, vcc_lo
	v_cndmask_b32_e32 v12, v17, v16, vcc_lo
	;; [unrolled: 1-line block ×3, first 2 shown]
	v_bfe_u32 v16, v0, 29, 1
	v_alignbit_b32 v17, v0, v12, 30
	v_alignbit_b32 v12, v12, v19, 30
	;; [unrolled: 1-line block ×3, first 2 shown]
	v_sub_nc_u32_e32 v18, 0, v16
	v_xor_b32_e32 v17, v17, v18
	v_xor_b32_e32 v12, v12, v18
	;; [unrolled: 1-line block ×3, first 2 shown]
	v_lshrrev_b32_e32 v18, 29, v0
	v_lshrrev_b32_e32 v0, 30, v0
	v_ffbh_u32_e32 v20, v17
	v_min_u32_e32 v20, 32, v20
	v_sub_nc_u32_e32 v19, 31, v20
	v_lshlrev_b32_e32 v21, 23, v20
	v_alignbit_b32 v17, v17, v12, v19
	v_alignbit_b32 v11, v12, v11, v19
	v_lshlrev_b32_e32 v12, 31, v18
	v_alignbit_b32 v18, v17, v11, 9
	v_or_b32_e32 v19, 0.5, v12
	v_lshrrev_b32_e32 v17, 9, v17
	v_or_b32_e32 v12, 0x33000000, v12
	v_ffbh_u32_e32 v22, v18
	v_sub_nc_u32_e32 v19, v19, v21
	v_min_u32_e32 v21, 32, v22
	v_or_b32_e32 v17, v17, v19
	v_not_b32_e32 v19, v21
	v_mul_f32_e32 v22, 0x3fc90fda, v17
	v_add_lshl_u32 v20, v21, v20, 23
	v_alignbit_b32 v11, v18, v11, v19
	v_fma_f32 v18, 0x3fc90fda, v17, -v22
	v_sub_nc_u32_e32 v12, v12, v20
	v_lshrrev_b32_e32 v11, 9, v11
	v_fmac_f32_e32 v18, 0x33a22168, v17
	v_or_b32_e32 v11, v12, v11
	v_add_nc_u32_e32 v12, v16, v0
	v_fmac_f32_e32 v18, 0x3fc90fda, v11
	v_add_f32_e32 v11, v22, v18
.LBB348_21:                             ;   in Loop: Header=BB348_13 Depth=3
	s_or_saveexec_b32 s1, s38
	v_mul_f32_e64 v0, 0x3f22f983, |v6|
	v_rndne_f32_e32 v17, v0
	s_xor_b32 exec_lo, exec_lo, s1
; %bb.22:                               ;   in Loop: Header=BB348_13 Depth=3
	v_fma_f32 v11, 0xbfc90fda, v17, |v6|
	v_cvt_i32_f32_e32 v12, v17
	v_fmac_f32_e32 v11, 0xb3a22168, v17
	v_fmac_f32_e32 v11, 0xa7c234c4, v17
; %bb.23:                               ;   in Loop: Header=BB348_13 Depth=3
	s_or_b32 exec_lo, exec_lo, s1
                                        ; implicit-def: $vgpr16
                                        ; implicit-def: $vgpr0
	s_and_saveexec_b32 s1, s37
	s_xor_b32 s37, exec_lo, s1
	s_cbranch_execz .LBB348_25
; %bb.24:                               ;   in Loop: Header=BB348_13 Depth=3
	v_mad_u64_u32 v[16:17], null, 0xfe5163ab, v14, 0
	v_cmp_lt_u32_e32 vcc_lo, 63, v15
	v_cndmask_b32_e64 v22, 0, 0xffffffc0, vcc_lo
	v_mov_b32_e32 v0, v17
	v_add_nc_u32_e32 v15, v22, v15
	v_mad_u64_u32 v[17:18], null, 0x3c439041, v14, v[0:1]
	v_cmp_lt_u32_e64 s1, 31, v15
	v_mov_b32_e32 v0, v18
	v_cndmask_b32_e64 v23, 0, 0xffffffe0, s1
	v_mad_u64_u32 v[18:19], null, 0xdb629599, v14, v[0:1]
	v_mov_b32_e32 v0, v19
	v_cndmask_b32_e32 v16, v18, v16, vcc_lo
	v_mad_u64_u32 v[19:20], null, 0xf534ddc0, v14, v[0:1]
	v_mov_b32_e32 v0, v20
	v_cndmask_b32_e32 v17, v19, v17, vcc_lo
	v_mad_u64_u32 v[20:21], null, 0xfc2757d1, v14, v[0:1]
	v_mov_b32_e32 v0, v21
	v_mad_u64_u32 v[21:22], null, 0x4e441529, v14, v[0:1]
	v_mov_b32_e32 v0, v22
	v_add_nc_u32_e32 v22, v23, v15
	v_cndmask_b32_e32 v23, v21, v19, vcc_lo
	v_mad_u64_u32 v[14:15], null, 0xa2f9836e, v14, v[0:1]
	v_cmp_lt_u32_e64 s2, 31, v22
	v_cndmask_b32_e64 v0, 0, 0xffffffe0, s2
	v_cndmask_b32_e32 v14, v14, v20, vcc_lo
	v_cndmask_b32_e32 v15, v15, v21, vcc_lo
	;; [unrolled: 1-line block ×3, first 2 shown]
	v_add_nc_u32_e32 v0, v0, v22
	v_cndmask_b32_e64 v19, v14, v23, s1
	v_cndmask_b32_e64 v14, v15, v14, s1
	;; [unrolled: 1-line block ×4, first 2 shown]
	v_sub_nc_u32_e32 v21, 32, v0
	v_cmp_eq_u32_e32 vcc_lo, 0, v0
	v_cndmask_b32_e64 v14, v14, v19, s2
	v_cndmask_b32_e64 v19, v19, v15, s2
	;; [unrolled: 1-line block ×3, first 2 shown]
	v_alignbit_b32 v22, v14, v19, v21
	v_alignbit_b32 v18, v19, v15, v21
	v_cndmask_b32_e32 v0, v22, v14, vcc_lo
	v_cndmask_b32_e64 v14, v17, v16, s1
	v_cndmask_b32_e32 v16, v18, v19, vcc_lo
	v_bfe_u32 v17, v0, 29, 1
	v_cndmask_b32_e64 v14, v20, v14, s2
	v_alignbit_b32 v18, v0, v16, 30
	v_sub_nc_u32_e32 v19, 0, v17
	v_alignbit_b32 v20, v15, v14, v21
	v_xor_b32_e32 v18, v18, v19
	v_cndmask_b32_e32 v15, v20, v15, vcc_lo
	v_ffbh_u32_e32 v20, v18
	v_alignbit_b32 v16, v16, v15, 30
	v_alignbit_b32 v14, v15, v14, 30
	v_min_u32_e32 v20, 32, v20
	v_xor_b32_e32 v15, v16, v19
	v_xor_b32_e32 v14, v14, v19
	v_lshrrev_b32_e32 v19, 29, v0
	v_sub_nc_u32_e32 v16, 31, v20
	v_lshlrev_b32_e32 v21, 23, v20
	v_alignbit_b32 v18, v18, v15, v16
	v_alignbit_b32 v14, v15, v14, v16
	v_lshlrev_b32_e32 v15, 31, v19
	v_alignbit_b32 v16, v18, v14, 9
	v_or_b32_e32 v19, 0.5, v15
	v_lshrrev_b32_e32 v18, 9, v18
	v_or_b32_e32 v15, 0x33000000, v15
	v_ffbh_u32_e32 v22, v16
	v_sub_nc_u32_e32 v19, v19, v21
	v_min_u32_e32 v21, 32, v22
	v_or_b32_e32 v18, v18, v19
	v_not_b32_e32 v19, v21
	v_mul_f32_e32 v22, 0x3fc90fda, v18
	v_add_lshl_u32 v20, v21, v20, 23
	v_alignbit_b32 v14, v16, v14, v19
	v_fma_f32 v16, 0x3fc90fda, v18, -v22
	v_sub_nc_u32_e32 v15, v15, v20
	v_lshrrev_b32_e32 v14, 9, v14
	v_fmac_f32_e32 v16, 0x33a22168, v18
	v_or_b32_e32 v14, v15, v14
	v_fmac_f32_e32 v16, 0x3fc90fda, v14
	v_lshrrev_b32_e32 v14, 30, v0
	v_add_f32_e32 v0, v22, v16
	v_add_nc_u32_e32 v16, v17, v14
                                        ; implicit-def: $vgpr17
	s_andn2_saveexec_b32 s1, s37
	s_cbranch_execnz .LBB348_26
	s_branch .LBB348_27
.LBB348_25:                             ;   in Loop: Header=BB348_13 Depth=3
	s_andn2_saveexec_b32 s1, s37
.LBB348_26:                             ;   in Loop: Header=BB348_13 Depth=3
	v_fma_f32 v0, 0xbfc90fda, v17, |v6|
	v_cvt_i32_f32_e32 v16, v17
	v_fmac_f32_e32 v0, 0xb3a22168, v17
	v_fmac_f32_e32 v0, 0xa7c234c4, v17
.LBB348_27:                             ;   in Loop: Header=BB348_13 Depth=3
	s_or_b32 exec_lo, exec_lo, s1
	v_sub_f32_e32 v13, v13, v4
	v_mul_f32_e32 v17, v11, v11
	v_mul_f32_e32 v18, v0, v0
	v_lshlrev_b32_e32 v14, 30, v12
	v_and_b32_e32 v12, 1, v12
	v_mul_f32_e32 v15, 0x3fb8aa3b, v13
	v_fmaak_f32 v22, s24, v17, 0xbab64f3b
	v_fmaak_f32 v23, s25, v17, 0x3c0881c4
	;; [unrolled: 1-line block ×4, first 2 shown]
	v_fma_f32 v20, 0x3fb8aa3b, v13, -v15
	v_rndne_f32_e32 v21, v15
	v_and_b32_e32 v19, 1, v16
	v_cmp_eq_u32_e32 vcc_lo, 0, v12
	v_lshlrev_b32_e32 v16, 30, v16
	v_fmac_f32_e32 v20, 0x32a5705f, v13
	v_sub_f32_e32 v15, v15, v21
	v_cvt_i32_f32_e32 v21, v21
	v_xor_b32_e32 v7, v7, v6
	v_and_b32_e32 v14, 0x80000000, v14
	v_and_b32_e32 v16, 0x80000000, v16
	v_add_f32_e32 v15, v15, v20
	v_fmaak_f32 v20, v17, v22, 0x3d2aabf7
	v_fmaak_f32 v22, v17, v23, 0xbe2aaa9d
	;; [unrolled: 1-line block ×4, first 2 shown]
	v_exp_f32_e32 v15, v15
	v_fmaak_f32 v20, v17, v20, 0xbf000004
	v_mul_f32_e32 v22, v17, v22
	v_mul_f32_e32 v23, v18, v23
	v_fmaak_f32 v24, v18, v24, 0xbf000004
	v_cmp_nlt_f32_e64 s1, 0x42b17218, v13
	v_fma_f32 v17, v17, v20, 1.0
	v_fmac_f32_e32 v11, v11, v22
	v_fmac_f32_e32 v0, v0, v23
	v_fma_f32 v18, v18, v24, 1.0
	v_ldexp_f32 v15, v15, v21
	v_cndmask_b32_e64 v11, -v11, v17, vcc_lo
	v_cmp_eq_u32_e32 vcc_lo, 0, v19
	v_xor_b32_e32 v11, v14, v11
	v_cndmask_b32_e32 v0, v18, v0, vcc_lo
	v_cmp_ngt_f32_e32 vcc_lo, 0xc2ce8ed0, v13
	v_xor3_b32 v0, v7, v16, v0
	v_cndmask_b32_e32 v12, 0, v15, vcc_lo
	v_cmp_class_f32_e64 vcc_lo, v6, 0x1f8
	v_cndmask_b32_e64 v13, 0x7f800000, v12, s1
	v_cndmask_b32_e32 v11, 0x7fc00000, v11, vcc_lo
	v_cndmask_b32_e32 v0, 0x7fc00000, v0, vcc_lo
	v_mul_f32_e32 v12, v13, v11
	v_mul_f32_e32 v0, v13, v0
	v_max_f32_e64 v14, |v12|, |v0|
	v_cvt_f64_f32_e32 v[6:7], v14
	v_cmp_eq_f32_e32 vcc_lo, 0x7f800000, v14
	v_frexp_exp_i32_f64_e32 v6, v[6:7]
	v_sub_nc_u32_e32 v7, 0, v6
	v_ldexp_f32 v15, |v0|, v7
	v_ldexp_f32 v7, |v12|, v7
	v_mul_f32_e32 v15, v15, v15
	v_fmac_f32_e32 v15, v7, v7
	v_sqrt_f32_e32 v7, v15
	v_ldexp_f32 v7, v7, v6
	v_fma_f32 v6, v13, v11, 1.0
	v_cmp_ngt_f32_e64 s1, 0.5, v7
	v_max_f32_e64 v7, |v6|, |v0|
	s_or_b32 s1, vcc_lo, s1
	s_and_saveexec_b32 s2, s1
	s_xor_b32 s2, exec_lo, s2
	s_cbranch_execz .LBB348_29
; %bb.28:                               ;   in Loop: Header=BB348_13 Depth=3
	v_cvt_f64_f32_e32 v[11:12], v7
	v_cmp_neq_f32_e32 vcc_lo, 0x7f800000, v7
	v_frexp_exp_i32_f64_e32 v11, v[11:12]
	v_sub_nc_u32_e32 v12, 0, v11
	v_ldexp_f32 v13, |v0|, v12
	v_ldexp_f32 v12, |v6|, v12
	v_mul_f32_e32 v13, v13, v13
	v_fmac_f32_e32 v13, v12, v12
	v_sqrt_f32_e32 v12, v13
	v_ldexp_f32 v11, v12, v11
	v_cndmask_b32_e32 v11, 0x7f800000, v11, vcc_lo
	v_cmp_gt_f32_e32 vcc_lo, 0x800000, v11
	v_cndmask_b32_e64 v12, 0, 32, vcc_lo
	v_ldexp_f32 v11, v11, v12
	v_log_f32_e32 v11, v11
	v_mul_f32_e32 v12, 0x3f317217, v11
	v_cmp_gt_f32_e64 s1, 0x7f800000, |v11|
	v_fma_f32 v12, 0x3f317217, v11, -v12
	v_fmac_f32_e32 v12, 0x3377d1cf, v11
	v_fmac_f32_e32 v12, 0x3f317217, v11
	v_cndmask_b32_e64 v11, v11, v12, s1
	v_cndmask_b32_e64 v12, 0, 0x41b17218, vcc_lo
	v_sub_f32_e32 v12, v11, v12
.LBB348_29:                             ;   in Loop: Header=BB348_13 Depth=3
	s_andn2_saveexec_b32 s1, s2
	s_cbranch_execz .LBB348_33
; %bb.30:                               ;   in Loop: Header=BB348_13 Depth=3
	v_add_f32_e32 v13, 2.0, v12
	v_mul_f32_e32 v11, v0, v0
	s_mov_b32 s2, exec_lo
	v_fmac_f32_e32 v11, v12, v13
	v_cmpx_neq_f32_e32 0, v11
	s_cbranch_execz .LBB348_32
; %bb.31:                               ;   in Loop: Header=BB348_13 Depth=3
	v_add_f32_e32 v14, 1.0, v11
	v_cvt_f64_f32_e32 v[12:13], v14
	v_frexp_exp_i32_f64_e32 v12, v[12:13]
	v_frexp_mant_f32_e32 v13, v14
	v_cmp_gt_f32_e32 vcc_lo, 0x3f2aaaab, v13
	v_add_f32_e32 v13, -1.0, v14
	v_sub_f32_e32 v16, v13, v14
	v_sub_f32_e32 v13, v11, v13
	v_add_f32_e32 v16, 1.0, v16
	v_add_f32_e32 v13, v13, v16
	v_subrev_co_ci_u32_e64 v12, null, 0, v12, vcc_lo
	v_cmp_neq_f32_e32 vcc_lo, 0x7f800000, v11
	v_sub_nc_u32_e32 v15, 0, v12
	v_cvt_f32_i32_e32 v12, v12
	v_ldexp_f32 v14, v14, v15
	v_ldexp_f32 v13, v13, v15
	v_add_f32_e32 v17, 1.0, v14
	v_add_f32_e32 v15, -1.0, v14
	v_add_f32_e32 v16, -1.0, v17
	v_add_f32_e32 v18, 1.0, v15
	v_sub_f32_e32 v16, v14, v16
	v_sub_f32_e32 v14, v14, v18
	v_add_f32_e32 v16, v13, v16
	v_add_f32_e32 v13, v13, v14
	;; [unrolled: 1-line block ×4, first 2 shown]
	v_rcp_f32_e32 v14, v18
	v_sub_f32_e32 v17, v18, v17
	v_sub_f32_e32 v15, v19, v15
	;; [unrolled: 1-line block ×4, first 2 shown]
	v_mul_f32_e32 v20, v19, v14
	v_mul_f32_e32 v21, v18, v20
	v_fma_f32 v17, v20, v18, -v21
	v_fmac_f32_e32 v17, v20, v16
	v_add_f32_e32 v22, v21, v17
	v_sub_f32_e32 v23, v19, v22
	v_sub_f32_e32 v15, v22, v21
	;; [unrolled: 1-line block ×5, first 2 shown]
	v_add_f32_e32 v13, v13, v19
	v_add_f32_e32 v13, v15, v13
	;; [unrolled: 1-line block ×3, first 2 shown]
	v_mul_f32_e32 v17, v14, v15
	v_sub_f32_e32 v22, v23, v15
	v_mul_f32_e32 v19, v18, v17
	v_add_f32_e32 v13, v13, v22
	v_fma_f32 v18, v17, v18, -v19
	v_fmac_f32_e32 v18, v17, v16
	v_add_f32_e32 v16, v19, v18
	v_sub_f32_e32 v21, v15, v16
	v_sub_f32_e32 v19, v16, v19
	;; [unrolled: 1-line block ×5, first 2 shown]
	v_add_f32_e32 v13, v13, v15
	v_add_f32_e32 v15, v20, v17
	;; [unrolled: 1-line block ×3, first 2 shown]
	v_sub_f32_e32 v16, v15, v20
	v_add_f32_e32 v13, v21, v13
	v_sub_f32_e32 v16, v17, v16
	v_mul_f32_e32 v13, v14, v13
	v_add_f32_e32 v13, v16, v13
	v_add_f32_e32 v14, v15, v13
	v_mul_f32_e32 v16, v14, v14
	v_fmaak_f32 v17, s28, v16, 0x3ecc95a3
	v_mul_f32_e32 v18, v14, v16
	v_fmaak_f32 v16, v16, v17, 0x3f2aaada
	v_ldexp_f32 v17, v14, 1
	v_sub_f32_e32 v14, v14, v15
	v_mul_f32_e32 v16, v18, v16
	v_mul_f32_e32 v18, 0x3f317218, v12
	v_sub_f32_e32 v13, v13, v14
	v_add_f32_e32 v15, v17, v16
	v_ldexp_f32 v13, v13, 1
	v_sub_f32_e32 v14, v15, v17
	v_fma_f32 v17, 0x3f317218, v12, -v18
	v_sub_f32_e32 v14, v16, v14
	v_fmac_f32_e32 v17, 0xb102e308, v12
	v_add_f32_e32 v12, v13, v14
	v_add_f32_e32 v13, v18, v17
	;; [unrolled: 1-line block ×3, first 2 shown]
	v_sub_f32_e32 v18, v13, v18
	v_add_f32_e32 v16, v13, v14
	v_sub_f32_e32 v15, v14, v15
	v_sub_f32_e32 v17, v17, v18
	;; [unrolled: 1-line block ×6, first 2 shown]
	v_add_f32_e32 v15, v17, v12
	v_sub_f32_e32 v13, v13, v20
	v_add_f32_e32 v13, v14, v13
	v_sub_f32_e32 v14, v15, v17
	;; [unrolled: 2-line block ×3, first 2 shown]
	v_sub_f32_e32 v12, v12, v14
	v_add_f32_e32 v18, v16, v13
	v_sub_f32_e32 v15, v17, v15
	v_sub_f32_e32 v14, v18, v16
	v_add_f32_e32 v12, v12, v15
	v_sub_f32_e32 v13, v13, v14
	v_add_f32_e32 v12, v12, v13
	v_add_f32_e32 v12, v18, v12
	v_cndmask_b32_e32 v12, 0x7f800000, v12, vcc_lo
	v_cmp_ngt_f32_e32 vcc_lo, -1.0, v11
	v_cndmask_b32_e32 v12, 0x7fc00000, v12, vcc_lo
	v_cmp_neq_f32_e32 vcc_lo, -1.0, v11
	v_cndmask_b32_e32 v12, 0xff800000, v12, vcc_lo
	v_cmp_gt_f32_e64 vcc_lo, 0x33800000, |v11|
	v_cndmask_b32_e32 v11, v12, v11, vcc_lo
	v_mul_f32_e32 v12, 0.5, v11
.LBB348_32:                             ;   in Loop: Header=BB348_13 Depth=3
	s_or_b32 exec_lo, exec_lo, s2
.LBB348_33:                             ;   in Loop: Header=BB348_13 Depth=3
	s_or_b32 exec_lo, exec_lo, s1
	v_max_f32_e64 v11, |v0|, |v0|
	v_max_f32_e64 v13, |v6|, |v6|
	v_frexp_mant_f32_e32 v14, v7
	v_frexp_exp_i32_f32_e32 v7, v7
	v_cmp_gt_f32_e64 vcc_lo, |v0|, |v6|
	v_cmp_gt_i32_e64 s1, 0, v6
	v_min_f32_e32 v11, v13, v11
	v_rcp_f32_e32 v13, v14
	v_cmp_class_f32_e64 s2, v6, 0x204
	v_frexp_mant_f32_e32 v14, v11
	v_frexp_exp_i32_f32_e32 v11, v11
	v_mul_f32_e32 v13, v14, v13
	v_sub_nc_u32_e32 v7, v11, v7
	v_cndmask_b32_e64 v14, 0, 0x40490fdb, s1
	v_cmp_class_f32_e64 s1, v0, 0x204
	v_ldexp_f32 v7, v13, v7
	v_mul_f32_e32 v11, v7, v7
	v_fmaak_f32 v13, s29, v11, 0xbc7a590c
	v_fmaak_f32 v13, v11, v13, 0x3d29fb3f
	;; [unrolled: 1-line block ×7, first 2 shown]
	v_mul_f32_e32 v11, v11, v13
	v_fmac_f32_e32 v7, v7, v11
	v_sub_f32_e32 v11, 0x3fc90fdb, v7
	v_cndmask_b32_e32 v7, v7, v11, vcc_lo
	v_cmp_gt_f32_e32 vcc_lo, 0, v6
	v_sub_f32_e32 v11, 0x40490fdb, v7
	v_cndmask_b32_e32 v13, 0x3f490fdb, v8, vcc_lo
	v_cndmask_b32_e32 v7, v7, v11, vcc_lo
	v_cmp_eq_f32_e32 vcc_lo, 0, v0
	v_cndmask_b32_e32 v7, v7, v14, vcc_lo
	s_and_b32 vcc_lo, s2, s1
	v_cndmask_b32_e32 v7, v7, v13, vcc_lo
	v_cmp_o_f32_e32 vcc_lo, v6, v0
	v_add_f32_e32 v13, v4, v12
                                        ; implicit-def: $vgpr12
	v_cndmask_b32_e32 v6, 0x7fc00000, v7, vcc_lo
	v_bfi_b32 v0, 0x7fffffff, v6, v0
	v_add_f32_e32 v11, v5, v0
                                        ; implicit-def: $vgpr5
.LBB348_34:                             ;   in Loop: Header=BB348_13 Depth=3
	s_andn2_saveexec_b32 s36, s36
	s_cbranch_execz .LBB348_11
; %bb.35:                               ;   in Loop: Header=BB348_13 Depth=3
	s_mov_b32 s37, exec_lo
	v_cmpx_ngt_f32_e32 0, v13
	s_cbranch_execz .LBB348_10
; %bb.36:                               ;   in Loop: Header=BB348_13 Depth=3
	v_and_b32_e32 v4, 0x7fffffff, v11
	v_cmp_ngt_f32_e64 s38, 0x48000000, |v11|
                                        ; implicit-def: $vgpr7
                                        ; implicit-def: $vgpr6
	v_lshrrev_b32_e32 v0, 23, v4
	v_and_or_b32 v14, v4, s11, 0x800000
	v_add_nc_u32_e32 v16, 0xffffff88, v0
	s_and_saveexec_b32 s1, s38
	s_xor_b32 s39, exec_lo, s1
	s_cbranch_execz .LBB348_38
; %bb.37:                               ;   in Loop: Header=BB348_13 Depth=3
	v_mad_u64_u32 v[6:7], null, 0xfe5163ab, v14, 0
	v_cmp_lt_u32_e32 vcc_lo, 63, v16
	v_mov_b32_e32 v0, v7
	v_cndmask_b32_e64 v7, 0, 0xffffffc0, vcc_lo
	v_mad_u64_u32 v[17:18], null, 0x3c439041, v14, v[0:1]
	v_add_nc_u32_e32 v7, v7, v16
	v_cmp_lt_u32_e64 s1, 31, v7
	v_mov_b32_e32 v0, v18
	v_cndmask_b32_e64 v13, 0, 0xffffffe0, s1
	v_mad_u64_u32 v[18:19], null, 0xdb629599, v14, v[0:1]
	v_add_nc_u32_e32 v7, v13, v7
	v_mov_b32_e32 v0, v19
	v_cmp_lt_u32_e64 s2, 31, v7
	v_cndmask_b32_e32 v6, v18, v6, vcc_lo
	v_mad_u64_u32 v[19:20], null, 0xf534ddc0, v14, v[0:1]
	v_mov_b32_e32 v0, v20
	v_mad_u64_u32 v[20:21], null, 0xfc2757d1, v14, v[0:1]
	v_mov_b32_e32 v0, v21
	;; [unrolled: 2-line block ×3, first 2 shown]
	v_cndmask_b32_e32 v13, v21, v19, vcc_lo
	v_mad_u64_u32 v[22:23], null, 0xa2f9836e, v14, v[0:1]
	v_cndmask_b32_e64 v0, 0, 0xffffffe0, s2
	v_add_nc_u32_e32 v0, v0, v7
	v_cndmask_b32_e32 v15, v22, v20, vcc_lo
	v_cndmask_b32_e32 v21, v23, v21, vcc_lo
	;; [unrolled: 1-line block ×4, first 2 shown]
	v_sub_nc_u32_e32 v19, 32, v0
	v_cndmask_b32_e64 v17, v15, v13, s1
	v_cndmask_b32_e64 v15, v21, v15, s1
	v_cndmask_b32_e64 v13, v13, v20, s1
	v_cndmask_b32_e64 v20, v20, v7, s1
	v_cmp_eq_u32_e32 vcc_lo, 0, v0
	v_cndmask_b32_e64 v6, v7, v6, s1
	v_cndmask_b32_e64 v15, v15, v17, s2
	;; [unrolled: 1-line block ×5, first 2 shown]
	v_alignbit_b32 v21, v15, v17, v19
	v_alignbit_b32 v18, v17, v13, v19
	;; [unrolled: 1-line block ×3, first 2 shown]
	v_cndmask_b32_e32 v0, v21, v15, vcc_lo
	v_cndmask_b32_e32 v7, v18, v17, vcc_lo
	;; [unrolled: 1-line block ×3, first 2 shown]
	v_bfe_u32 v15, v0, 29, 1
	v_alignbit_b32 v17, v0, v7, 30
	v_alignbit_b32 v7, v7, v13, 30
	;; [unrolled: 1-line block ×3, first 2 shown]
	v_sub_nc_u32_e32 v18, 0, v15
	v_xor_b32_e32 v17, v17, v18
	v_xor_b32_e32 v7, v7, v18
	;; [unrolled: 1-line block ×3, first 2 shown]
	v_lshrrev_b32_e32 v18, 29, v0
	v_lshrrev_b32_e32 v0, 30, v0
	v_ffbh_u32_e32 v19, v17
	v_min_u32_e32 v19, 32, v19
	v_sub_nc_u32_e32 v13, 31, v19
	v_lshlrev_b32_e32 v20, 23, v19
	v_alignbit_b32 v17, v17, v7, v13
	v_alignbit_b32 v6, v7, v6, v13
	v_lshlrev_b32_e32 v7, 31, v18
	v_alignbit_b32 v13, v17, v6, 9
	v_or_b32_e32 v18, 0.5, v7
	v_lshrrev_b32_e32 v17, 9, v17
	v_or_b32_e32 v7, 0x33000000, v7
	v_ffbh_u32_e32 v21, v13
	v_sub_nc_u32_e32 v18, v18, v20
	v_min_u32_e32 v20, 32, v21
	v_or_b32_e32 v17, v17, v18
	v_not_b32_e32 v18, v20
	v_mul_f32_e32 v21, 0x3fc90fda, v17
	v_add_lshl_u32 v19, v20, v19, 23
	v_alignbit_b32 v6, v13, v6, v18
	v_fma_f32 v13, 0x3fc90fda, v17, -v21
	v_sub_nc_u32_e32 v7, v7, v19
	v_lshrrev_b32_e32 v6, 9, v6
	v_fmac_f32_e32 v13, 0x33a22168, v17
	v_or_b32_e32 v6, v7, v6
	v_add_nc_u32_e32 v7, v15, v0
	v_fmac_f32_e32 v13, 0x3fc90fda, v6
	v_add_f32_e32 v6, v21, v13
.LBB348_38:                             ;   in Loop: Header=BB348_13 Depth=3
	s_or_saveexec_b32 s1, s39
	v_mul_f32_e64 v0, 0x3f22f983, |v11|
	v_rndne_f32_e32 v0, v0
	s_xor_b32 exec_lo, exec_lo, s1
; %bb.39:                               ;   in Loop: Header=BB348_13 Depth=3
	v_fma_f32 v6, 0xbfc90fda, v0, |v11|
	v_cvt_i32_f32_e32 v7, v0
	v_fmac_f32_e32 v6, 0xb3a22168, v0
	v_fmac_f32_e32 v6, 0xa7c234c4, v0
; %bb.40:                               ;   in Loop: Header=BB348_13 Depth=3
	s_or_b32 exec_lo, exec_lo, s1
                                        ; implicit-def: $vgpr15
                                        ; implicit-def: $vgpr13
	s_and_saveexec_b32 s1, s38
	s_xor_b32 s38, exec_lo, s1
	s_cbranch_execz .LBB348_42
; %bb.41:                               ;   in Loop: Header=BB348_13 Depth=3
	v_mad_u64_u32 v[17:18], null, 0xfe5163ab, v14, 0
	v_cmp_lt_u32_e32 vcc_lo, 63, v16
	v_cndmask_b32_e64 v13, 0, 0xffffffc0, vcc_lo
	v_mov_b32_e32 v0, v18
	v_add_nc_u32_e32 v13, v13, v16
	v_mad_u64_u32 v[18:19], null, 0x3c439041, v14, v[0:1]
	v_cmp_lt_u32_e64 s1, 31, v13
	v_mov_b32_e32 v0, v19
	v_mad_u64_u32 v[19:20], null, 0xdb629599, v14, v[0:1]
	v_mov_b32_e32 v0, v20
	v_cndmask_b32_e32 v17, v19, v17, vcc_lo
	v_mad_u64_u32 v[20:21], null, 0xf534ddc0, v14, v[0:1]
	v_mov_b32_e32 v0, v21
	v_mad_u64_u32 v[21:22], null, 0xfc2757d1, v14, v[0:1]
	v_mov_b32_e32 v0, v22
	v_cndmask_b32_e64 v22, 0, 0xffffffe0, s1
	v_mad_u64_u32 v[15:16], null, 0x4e441529, v14, v[0:1]
	v_mov_b32_e32 v0, v16
	v_add_nc_u32_e32 v16, v22, v13
	v_cndmask_b32_e32 v22, v15, v20, vcc_lo
	v_mad_u64_u32 v[13:14], null, 0xa2f9836e, v14, v[0:1]
	v_cmp_lt_u32_e64 s2, 31, v16
	v_cndmask_b32_e64 v0, 0, 0xffffffe0, s2
	v_cndmask_b32_e32 v13, v13, v21, vcc_lo
	v_cndmask_b32_e32 v14, v14, v15, vcc_lo
	v_cndmask_b32_e32 v15, v21, v19, vcc_lo
	v_add_nc_u32_e32 v0, v0, v16
	v_cndmask_b32_e32 v16, v20, v18, vcc_lo
	v_cndmask_b32_e64 v18, v13, v22, s1
	v_cndmask_b32_e64 v13, v14, v13, s1
	;; [unrolled: 1-line block ×3, first 2 shown]
	v_sub_nc_u32_e32 v20, 32, v0
	v_cndmask_b32_e64 v15, v15, v16, s1
	v_cmp_eq_u32_e32 vcc_lo, 0, v0
	v_cndmask_b32_e64 v13, v13, v18, s2
	v_cndmask_b32_e64 v18, v18, v14, s2
	v_cndmask_b32_e64 v14, v14, v15, s2
	v_alignbit_b32 v21, v13, v18, v20
	v_alignbit_b32 v19, v18, v14, v20
	v_cndmask_b32_e32 v0, v21, v13, vcc_lo
	v_cndmask_b32_e64 v13, v16, v17, s1
	v_cndmask_b32_e32 v16, v19, v18, vcc_lo
	v_bfe_u32 v17, v0, 29, 1
	v_cndmask_b32_e64 v13, v15, v13, s2
	v_alignbit_b32 v15, v0, v16, 30
	v_sub_nc_u32_e32 v18, 0, v17
	v_alignbit_b32 v19, v14, v13, v20
	v_xor_b32_e32 v15, v15, v18
	v_cndmask_b32_e32 v14, v19, v14, vcc_lo
	v_ffbh_u32_e32 v19, v15
	v_alignbit_b32 v16, v16, v14, 30
	v_alignbit_b32 v13, v14, v13, 30
	v_min_u32_e32 v19, 32, v19
	v_xor_b32_e32 v14, v16, v18
	v_xor_b32_e32 v13, v13, v18
	v_lshrrev_b32_e32 v18, 29, v0
	v_lshrrev_b32_e32 v0, 30, v0
	v_sub_nc_u32_e32 v16, 31, v19
	v_lshlrev_b32_e32 v20, 23, v19
	v_alignbit_b32 v15, v15, v14, v16
	v_alignbit_b32 v13, v14, v13, v16
	v_lshlrev_b32_e32 v14, 31, v18
	v_alignbit_b32 v16, v15, v13, 9
	v_or_b32_e32 v18, 0.5, v14
	v_lshrrev_b32_e32 v15, 9, v15
	v_or_b32_e32 v14, 0x33000000, v14
	v_ffbh_u32_e32 v21, v16
	v_sub_nc_u32_e32 v18, v18, v20
	v_min_u32_e32 v20, 32, v21
	v_or_b32_e32 v15, v15, v18
	v_not_b32_e32 v18, v20
	v_mul_f32_e32 v21, 0x3fc90fda, v15
	v_add_lshl_u32 v19, v20, v19, 23
	v_alignbit_b32 v13, v16, v13, v18
	v_fma_f32 v16, 0x3fc90fda, v15, -v21
	v_sub_nc_u32_e32 v14, v14, v19
	v_lshrrev_b32_e32 v13, 9, v13
	v_fmac_f32_e32 v16, 0x33a22168, v15
	v_add_nc_u32_e32 v15, v17, v0
                                        ; implicit-def: $vgpr0
	v_or_b32_e32 v13, v14, v13
	v_fmac_f32_e32 v16, 0x3fc90fda, v13
	v_add_f32_e32 v13, v21, v16
	s_andn2_saveexec_b32 s1, s38
	s_cbranch_execnz .LBB348_43
	s_branch .LBB348_44
.LBB348_42:                             ;   in Loop: Header=BB348_13 Depth=3
	s_andn2_saveexec_b32 s1, s38
.LBB348_43:                             ;   in Loop: Header=BB348_13 Depth=3
	v_fma_f32 v13, 0xbfc90fda, v0, |v11|
	v_cvt_i32_f32_e32 v15, v0
	v_fmac_f32_e32 v13, 0xb3a22168, v0
	v_fmac_f32_e32 v13, 0xa7c234c4, v0
.LBB348_44:                             ;   in Loop: Header=BB348_13 Depth=3
	s_or_b32 exec_lo, exec_lo, s1
	v_and_b32_e32 v14, 0x7fffffff, v5
	v_cmp_ngt_f32_e64 s38, 0x48000000, |v5|
                                        ; implicit-def: $vgpr17
                                        ; implicit-def: $vgpr16
	v_lshrrev_b32_e32 v0, 23, v14
	v_and_or_b32 v18, v14, s11, 0x800000
	v_add_nc_u32_e32 v19, 0xffffff88, v0
	s_and_saveexec_b32 s1, s38
	s_xor_b32 s39, exec_lo, s1
	s_cbranch_execz .LBB348_46
; %bb.45:                               ;   in Loop: Header=BB348_13 Depth=3
	v_mad_u64_u32 v[16:17], null, 0xfe5163ab, v18, 0
	v_cmp_lt_u32_e32 vcc_lo, 63, v19
	v_mov_b32_e32 v0, v17
	v_cndmask_b32_e64 v17, 0, 0xffffffc0, vcc_lo
	v_mad_u64_u32 v[20:21], null, 0x3c439041, v18, v[0:1]
	v_add_nc_u32_e32 v17, v17, v19
	v_cmp_lt_u32_e64 s1, 31, v17
	v_mov_b32_e32 v0, v21
	v_cndmask_b32_e64 v26, 0, 0xffffffe0, s1
	v_mad_u64_u32 v[21:22], null, 0xdb629599, v18, v[0:1]
	v_add_nc_u32_e32 v17, v26, v17
	v_mov_b32_e32 v0, v22
	v_cmp_lt_u32_e64 s2, 31, v17
	v_cndmask_b32_e32 v16, v21, v16, vcc_lo
	v_mad_u64_u32 v[22:23], null, 0xf534ddc0, v18, v[0:1]
	v_mov_b32_e32 v0, v23
	v_mad_u64_u32 v[23:24], null, 0xfc2757d1, v18, v[0:1]
	v_mov_b32_e32 v0, v24
	;; [unrolled: 2-line block ×3, first 2 shown]
	v_cndmask_b32_e32 v27, v24, v22, vcc_lo
	v_mad_u64_u32 v[25:26], null, 0xa2f9836e, v18, v[0:1]
	v_cndmask_b32_e64 v0, 0, 0xffffffe0, s2
	v_add_nc_u32_e32 v0, v0, v17
	v_cndmask_b32_e32 v25, v25, v23, vcc_lo
	v_cndmask_b32_e32 v24, v26, v24, vcc_lo
	;; [unrolled: 1-line block ×4, first 2 shown]
	v_cmp_eq_u32_e32 vcc_lo, 0, v0
	v_cndmask_b32_e64 v20, v25, v27, s1
	v_cndmask_b32_e64 v22, v24, v25, s1
	;; [unrolled: 1-line block ×3, first 2 shown]
	v_sub_nc_u32_e32 v25, 32, v0
	v_cndmask_b32_e64 v23, v23, v17, s1
	v_cndmask_b32_e64 v16, v17, v16, s1
	;; [unrolled: 1-line block ×6, first 2 shown]
	v_alignbit_b32 v26, v22, v20, v25
	v_alignbit_b32 v21, v20, v24, v25
	;; [unrolled: 1-line block ×3, first 2 shown]
	v_cndmask_b32_e32 v0, v26, v22, vcc_lo
	v_cndmask_b32_e32 v17, v21, v20, vcc_lo
	;; [unrolled: 1-line block ×3, first 2 shown]
	v_bfe_u32 v20, v0, 29, 1
	v_alignbit_b32 v21, v0, v17, 30
	v_alignbit_b32 v17, v17, v23, 30
	;; [unrolled: 1-line block ×3, first 2 shown]
	v_sub_nc_u32_e32 v22, 0, v20
	v_xor_b32_e32 v21, v21, v22
	v_xor_b32_e32 v17, v17, v22
	;; [unrolled: 1-line block ×3, first 2 shown]
	v_lshrrev_b32_e32 v22, 29, v0
	v_lshrrev_b32_e32 v0, 30, v0
	v_ffbh_u32_e32 v24, v21
	v_min_u32_e32 v24, 32, v24
	v_sub_nc_u32_e32 v23, 31, v24
	v_lshlrev_b32_e32 v25, 23, v24
	v_alignbit_b32 v21, v21, v17, v23
	v_alignbit_b32 v16, v17, v16, v23
	v_lshlrev_b32_e32 v17, 31, v22
	v_alignbit_b32 v22, v21, v16, 9
	v_or_b32_e32 v23, 0.5, v17
	v_lshrrev_b32_e32 v21, 9, v21
	v_or_b32_e32 v17, 0x33000000, v17
	v_ffbh_u32_e32 v26, v22
	v_sub_nc_u32_e32 v23, v23, v25
	v_min_u32_e32 v25, 32, v26
	v_or_b32_e32 v21, v21, v23
	v_not_b32_e32 v23, v25
	v_mul_f32_e32 v26, 0x3fc90fda, v21
	v_add_lshl_u32 v24, v25, v24, 23
	v_alignbit_b32 v16, v22, v16, v23
	v_fma_f32 v22, 0x3fc90fda, v21, -v26
	v_sub_nc_u32_e32 v17, v17, v24
	v_lshrrev_b32_e32 v16, 9, v16
	v_fmac_f32_e32 v22, 0x33a22168, v21
	v_or_b32_e32 v16, v17, v16
	v_add_nc_u32_e32 v17, v20, v0
	v_fmac_f32_e32 v22, 0x3fc90fda, v16
	v_add_f32_e32 v16, v26, v22
.LBB348_46:                             ;   in Loop: Header=BB348_13 Depth=3
	s_or_saveexec_b32 s1, s39
	v_mul_f32_e64 v0, 0x3f22f983, |v5|
	v_rndne_f32_e32 v21, v0
	s_xor_b32 exec_lo, exec_lo, s1
; %bb.47:                               ;   in Loop: Header=BB348_13 Depth=3
	v_fma_f32 v16, 0xbfc90fda, v21, |v5|
	v_cvt_i32_f32_e32 v17, v21
	v_fmac_f32_e32 v16, 0xb3a22168, v21
	v_fmac_f32_e32 v16, 0xa7c234c4, v21
; %bb.48:                               ;   in Loop: Header=BB348_13 Depth=3
	s_or_b32 exec_lo, exec_lo, s1
                                        ; implicit-def: $vgpr20
                                        ; implicit-def: $vgpr0
	s_and_saveexec_b32 s1, s38
	s_xor_b32 s38, exec_lo, s1
	s_cbranch_execz .LBB348_50
; %bb.49:                               ;   in Loop: Header=BB348_13 Depth=3
	v_mad_u64_u32 v[20:21], null, 0xfe5163ab, v18, 0
	v_cmp_lt_u32_e32 vcc_lo, 63, v19
	v_cndmask_b32_e64 v26, 0, 0xffffffc0, vcc_lo
	v_mov_b32_e32 v0, v21
	v_add_nc_u32_e32 v19, v26, v19
	v_mad_u64_u32 v[21:22], null, 0x3c439041, v18, v[0:1]
	v_cmp_lt_u32_e64 s1, 31, v19
	v_mov_b32_e32 v0, v22
	v_cndmask_b32_e64 v27, 0, 0xffffffe0, s1
	v_mad_u64_u32 v[22:23], null, 0xdb629599, v18, v[0:1]
	v_mov_b32_e32 v0, v23
	v_cndmask_b32_e32 v20, v22, v20, vcc_lo
	v_mad_u64_u32 v[23:24], null, 0xf534ddc0, v18, v[0:1]
	v_mov_b32_e32 v0, v24
	v_cndmask_b32_e32 v21, v23, v21, vcc_lo
	v_mad_u64_u32 v[24:25], null, 0xfc2757d1, v18, v[0:1]
	v_mov_b32_e32 v0, v25
	v_mad_u64_u32 v[25:26], null, 0x4e441529, v18, v[0:1]
	v_mov_b32_e32 v0, v26
	v_add_nc_u32_e32 v26, v27, v19
	v_cndmask_b32_e32 v27, v25, v23, vcc_lo
	v_mad_u64_u32 v[18:19], null, 0xa2f9836e, v18, v[0:1]
	v_cmp_lt_u32_e64 s2, 31, v26
	v_cndmask_b32_e64 v0, 0, 0xffffffe0, s2
	v_cndmask_b32_e32 v18, v18, v24, vcc_lo
	v_cndmask_b32_e32 v19, v19, v25, vcc_lo
	;; [unrolled: 1-line block ×3, first 2 shown]
	v_add_nc_u32_e32 v0, v0, v26
	v_cndmask_b32_e64 v23, v18, v27, s1
	v_cndmask_b32_e64 v18, v19, v18, s1
	;; [unrolled: 1-line block ×4, first 2 shown]
	v_sub_nc_u32_e32 v25, 32, v0
	v_cmp_eq_u32_e32 vcc_lo, 0, v0
	v_cndmask_b32_e64 v18, v18, v23, s2
	v_cndmask_b32_e64 v23, v23, v19, s2
	v_cndmask_b32_e64 v19, v19, v24, s2
	v_alignbit_b32 v26, v18, v23, v25
	v_alignbit_b32 v22, v23, v19, v25
	v_cndmask_b32_e32 v0, v26, v18, vcc_lo
	v_cndmask_b32_e64 v18, v21, v20, s1
	v_cndmask_b32_e32 v20, v22, v23, vcc_lo
	v_bfe_u32 v21, v0, 29, 1
	v_cndmask_b32_e64 v18, v24, v18, s2
	v_alignbit_b32 v22, v0, v20, 30
	v_sub_nc_u32_e32 v23, 0, v21
	v_alignbit_b32 v24, v19, v18, v25
	v_xor_b32_e32 v22, v22, v23
	v_cndmask_b32_e32 v19, v24, v19, vcc_lo
	v_ffbh_u32_e32 v24, v22
	v_alignbit_b32 v20, v20, v19, 30
	v_alignbit_b32 v18, v19, v18, 30
	v_min_u32_e32 v24, 32, v24
	v_xor_b32_e32 v19, v20, v23
	v_xor_b32_e32 v18, v18, v23
	v_lshrrev_b32_e32 v23, 29, v0
	v_sub_nc_u32_e32 v20, 31, v24
	v_lshlrev_b32_e32 v25, 23, v24
	v_alignbit_b32 v22, v22, v19, v20
	v_alignbit_b32 v18, v19, v18, v20
	v_lshlrev_b32_e32 v19, 31, v23
	v_alignbit_b32 v20, v22, v18, 9
	v_or_b32_e32 v23, 0.5, v19
	v_lshrrev_b32_e32 v22, 9, v22
	v_or_b32_e32 v19, 0x33000000, v19
	v_ffbh_u32_e32 v26, v20
	v_sub_nc_u32_e32 v23, v23, v25
	v_min_u32_e32 v25, 32, v26
	v_or_b32_e32 v22, v22, v23
	v_not_b32_e32 v23, v25
	v_mul_f32_e32 v26, 0x3fc90fda, v22
	v_add_lshl_u32 v24, v25, v24, 23
	v_alignbit_b32 v18, v20, v18, v23
	v_fma_f32 v20, 0x3fc90fda, v22, -v26
	v_sub_nc_u32_e32 v19, v19, v24
	v_lshrrev_b32_e32 v18, 9, v18
	v_fmac_f32_e32 v20, 0x33a22168, v22
	v_or_b32_e32 v18, v19, v18
	v_fmac_f32_e32 v20, 0x3fc90fda, v18
	v_lshrrev_b32_e32 v18, 30, v0
	v_add_f32_e32 v0, v26, v20
	v_add_nc_u32_e32 v20, v21, v18
                                        ; implicit-def: $vgpr21
	s_andn2_saveexec_b32 s1, s38
	s_cbranch_execnz .LBB348_51
	s_branch .LBB348_52
.LBB348_50:                             ;   in Loop: Header=BB348_13 Depth=3
	s_andn2_saveexec_b32 s1, s38
.LBB348_51:                             ;   in Loop: Header=BB348_13 Depth=3
	v_fma_f32 v0, 0xbfc90fda, v21, |v5|
	v_cvt_i32_f32_e32 v20, v21
	v_fmac_f32_e32 v0, 0xb3a22168, v21
	v_fmac_f32_e32 v0, 0xa7c234c4, v21
.LBB348_52:                             ;   in Loop: Header=BB348_13 Depth=3
	s_or_b32 exec_lo, exec_lo, s1
	v_mul_f32_e32 v18, v6, v6
	v_mul_f32_e32 v21, v13, v13
	v_xor_b32_e32 v4, v4, v12
	v_lshlrev_b32_e32 v19, 30, v7
	v_and_b32_e32 v7, 1, v7
	v_fmaak_f32 v22, s25, v18, 0x3c0881c4
	v_fmaak_f32 v23, s24, v18, 0xbab64f3b
	v_fmaak_f32 v12, s25, v21, 0x3c0881c4
	v_fmaak_f32 v24, s24, v21, 0xbab64f3b
	v_and_b32_e32 v25, 1, v15
	v_fmaak_f32 v22, v18, v22, 0xbe2aaa9d
	v_fmaak_f32 v23, v18, v23, 0x3d2aabf7
	v_fmaak_f32 v12, v21, v12, 0xbe2aaa9d
	v_fmaak_f32 v24, v21, v24, 0x3d2aabf7
	v_cmp_eq_u32_e32 vcc_lo, 0, v7
	v_mul_f32_e32 v22, v18, v22
	v_fmaak_f32 v23, v18, v23, 0xbf000004
	v_mul_f32_e32 v12, v21, v12
	v_fmaak_f32 v24, v21, v24, 0xbf000004
	v_lshlrev_b32_e32 v15, 30, v15
	v_fmac_f32_e32 v6, v6, v22
	v_fma_f32 v18, v18, v23, 1.0
	v_and_b32_e32 v19, 0x80000000, v19
	v_fmac_f32_e32 v13, v13, v12
	v_fma_f32 v12, v21, v24, 1.0
	v_mul_f32_e32 v7, v16, v16
	v_cndmask_b32_e32 v6, v18, v6, vcc_lo
	v_cmp_eq_u32_e32 vcc_lo, 0, v25
	v_mul_f32_e32 v18, v0, v0
	v_lshlrev_b32_e32 v22, 30, v17
	v_and_b32_e32 v17, 1, v17
	v_xor3_b32 v4, v4, v19, v6
	v_cndmask_b32_e64 v12, -v13, v12, vcc_lo
	v_and_b32_e32 v6, 0x80000000, v15
	v_fmaak_f32 v13, s25, v7, 0x3c0881c4
	v_fmaak_f32 v15, s24, v7, 0xbab64f3b
	;; [unrolled: 1-line block ×4, first 2 shown]
	v_cmp_eq_u32_e32 vcc_lo, 0, v17
	v_fmaak_f32 v13, v7, v13, 0xbe2aaa9d
	v_fmaak_f32 v15, v7, v15, 0x3d2aabf7
	;; [unrolled: 1-line block ×4, first 2 shown]
	v_and_b32_e32 v22, 0x80000000, v22
	v_mul_f32_e32 v13, v7, v13
	v_fmaak_f32 v15, v7, v15, 0xbf000004
	v_mul_f32_e32 v19, v18, v19
	v_fmaak_f32 v21, v18, v21, 0xbf000004
	v_xor_b32_e32 v14, v14, v5
	v_fmac_f32_e32 v16, v16, v13
	v_fma_f32 v7, v7, v15, 1.0
	v_and_b32_e32 v15, 1, v20
	v_fmac_f32_e32 v0, v0, v19
	v_fma_f32 v13, v18, v21, 1.0
	v_lshlrev_b32_e32 v18, 30, v20
	v_cndmask_b32_e32 v7, v7, v16, vcc_lo
	v_cmp_eq_u32_e32 vcc_lo, 0, v15
	v_xor_b32_e32 v6, v6, v12
	v_cmp_class_f32_e64 s1, v5, 0x1f8
	v_xor3_b32 v7, v14, v22, v7
	v_cndmask_b32_e64 v0, -v0, v13, vcc_lo
	v_and_b32_e32 v13, 0x80000000, v18
	v_cmp_class_f32_e64 vcc_lo, v11, 0x1f8
	v_xor_b32_e32 v0, v13, v0
	v_cndmask_b32_e32 v5, 0x7fc00000, v6, vcc_lo
	v_cndmask_b32_e32 v4, 0x7fc00000, v4, vcc_lo
	v_cndmask_b32_e64 v6, 0x7fc00000, v7, s1
	v_cndmask_b32_e64 v0, 0x7fc00000, v0, s1
	v_mul_f32_e32 v7, 0x7f800000, v5
	v_cmp_neq_f32_e32 vcc_lo, 0, v5
	v_mul_f32_e32 v12, 0x7f800000, v6
	v_mul_f32_e32 v11, 0x7f800000, v0
	v_cndmask_b32_e32 v5, 0, v7, vcc_lo
	v_cmp_neq_f32_e32 vcc_lo, 0, v0
	v_mul_f32_e32 v7, 0x7f800000, v4
	v_cndmask_b32_e32 v0, 0, v11, vcc_lo
	v_cmp_neq_f32_e32 vcc_lo, 0, v4
	v_add_f32_e32 v5, v5, v0
	v_cndmask_b32_e32 v4, 0, v7, vcc_lo
	v_cmp_neq_f32_e32 vcc_lo, 0, v6
	v_add_f32_e32 v13, -1.0, v5
	v_cndmask_b32_e32 v6, 0, v12, vcc_lo
	v_add_f32_e32 v0, v4, v6
	v_max_f32_e64 v6, |v13|, |v0|
	v_cvt_f64_f32_e32 v[4:5], v6
	v_cmp_eq_f32_e32 vcc_lo, 0x7f800000, v6
	v_frexp_exp_i32_f64_e32 v4, v[4:5]
	v_sub_nc_u32_e32 v5, 0, v4
	v_ldexp_f32 v7, |v0|, v5
	v_ldexp_f32 v5, |v13|, v5
	v_mul_f32_e32 v7, v7, v7
	v_fmac_f32_e32 v7, v5, v5
	v_sqrt_f32_e32 v5, v7
	v_ldexp_f32 v5, v5, v4
	v_add_f32_e32 v4, 1.0, v13
	v_cmp_ngt_f32_e64 s1, 0.5, v5
	v_max_f32_e64 v5, |v4|, |v0|
	s_or_b32 s1, vcc_lo, s1
	s_and_saveexec_b32 s2, s1
	s_xor_b32 s2, exec_lo, s2
	s_cbranch_execz .LBB348_54
; %bb.53:                               ;   in Loop: Header=BB348_13 Depth=3
	v_cvt_f64_f32_e32 v[6:7], v5
	v_cmp_neq_f32_e32 vcc_lo, 0x7f800000, v5
	v_frexp_exp_i32_f64_e32 v6, v[6:7]
	v_sub_nc_u32_e32 v7, 0, v6
	v_ldexp_f32 v11, |v0|, v7
	v_ldexp_f32 v7, |v4|, v7
	v_mul_f32_e32 v11, v11, v11
	v_fmac_f32_e32 v11, v7, v7
	v_sqrt_f32_e32 v7, v11
	v_ldexp_f32 v6, v7, v6
	v_cndmask_b32_e32 v6, 0x7f800000, v6, vcc_lo
	v_cmp_gt_f32_e32 vcc_lo, 0x800000, v6
	v_cndmask_b32_e64 v7, 0, 32, vcc_lo
	v_ldexp_f32 v6, v6, v7
	v_log_f32_e32 v6, v6
	v_mul_f32_e32 v7, 0x3f317217, v6
	v_cmp_gt_f32_e64 s1, 0x7f800000, |v6|
	v_fma_f32 v7, 0x3f317217, v6, -v7
	v_fmac_f32_e32 v7, 0x3377d1cf, v6
	v_fmac_f32_e32 v7, 0x3f317217, v6
	v_cndmask_b32_e64 v6, v6, v7, s1
	v_cndmask_b32_e64 v7, 0, 0x41b17218, vcc_lo
	v_sub_f32_e32 v13, v6, v7
.LBB348_54:                             ;   in Loop: Header=BB348_13 Depth=3
	s_andn2_saveexec_b32 s1, s2
	s_cbranch_execz .LBB348_9
; %bb.55:                               ;   in Loop: Header=BB348_13 Depth=3
	v_add_f32_e32 v6, 2.0, v13
	s_mov_b32 s2, exec_lo
	v_mul_f32_e32 v6, v13, v6
	v_fmac_f32_e32 v6, v0, v0
	v_cmpx_neq_f32_e32 0, v6
	s_cbranch_execz .LBB348_8
; %bb.56:                               ;   in Loop: Header=BB348_13 Depth=3
	v_add_f32_e32 v7, 1.0, v6
	v_cvt_f64_f32_e32 v[11:12], v7
	v_frexp_exp_i32_f64_e32 v11, v[11:12]
	v_frexp_mant_f32_e32 v12, v7
	v_cmp_gt_f32_e32 vcc_lo, 0x3f2aaaab, v12
	v_add_f32_e32 v12, -1.0, v7
	v_sub_f32_e32 v14, v12, v7
	v_sub_f32_e32 v12, v6, v12
	v_add_f32_e32 v14, 1.0, v14
	v_add_f32_e32 v12, v12, v14
	v_subrev_co_ci_u32_e64 v11, null, 0, v11, vcc_lo
	v_cmp_neq_f32_e32 vcc_lo, 0x7f800000, v6
	v_sub_nc_u32_e32 v13, 0, v11
	v_cvt_f32_i32_e32 v11, v11
	v_ldexp_f32 v7, v7, v13
	v_ldexp_f32 v12, v12, v13
	v_add_f32_e32 v15, 1.0, v7
	v_add_f32_e32 v13, -1.0, v7
	v_add_f32_e32 v14, -1.0, v15
	v_add_f32_e32 v16, 1.0, v13
	v_sub_f32_e32 v14, v7, v14
	v_sub_f32_e32 v7, v7, v16
	v_add_f32_e32 v14, v12, v14
	v_add_f32_e32 v7, v12, v7
	v_add_f32_e32 v16, v15, v14
	v_add_f32_e32 v17, v13, v7
	v_rcp_f32_e32 v12, v16
	v_sub_f32_e32 v15, v16, v15
	v_sub_f32_e32 v13, v17, v13
	;; [unrolled: 1-line block ×4, first 2 shown]
	v_mul_f32_e32 v18, v17, v12
	v_mul_f32_e32 v19, v16, v18
	v_fma_f32 v15, v18, v16, -v19
	v_fmac_f32_e32 v15, v18, v14
	v_add_f32_e32 v20, v19, v15
	v_sub_f32_e32 v21, v17, v20
	v_sub_f32_e32 v13, v20, v19
	;; [unrolled: 1-line block ×5, first 2 shown]
	v_add_f32_e32 v7, v7, v17
	v_add_f32_e32 v7, v13, v7
	;; [unrolled: 1-line block ×3, first 2 shown]
	v_mul_f32_e32 v15, v12, v13
	v_sub_f32_e32 v20, v21, v13
	v_mul_f32_e32 v17, v16, v15
	v_add_f32_e32 v7, v7, v20
	v_fma_f32 v16, v15, v16, -v17
	v_fmac_f32_e32 v16, v15, v14
	v_add_f32_e32 v14, v17, v16
	v_sub_f32_e32 v19, v13, v14
	v_sub_f32_e32 v17, v14, v17
	v_sub_f32_e32 v13, v13, v19
	v_sub_f32_e32 v13, v13, v14
	v_sub_f32_e32 v14, v17, v16
	v_add_f32_e32 v7, v7, v13
	v_add_f32_e32 v13, v18, v15
	;; [unrolled: 1-line block ×3, first 2 shown]
	v_sub_f32_e32 v14, v13, v18
	v_add_f32_e32 v7, v19, v7
	v_sub_f32_e32 v14, v15, v14
	v_mul_f32_e32 v7, v12, v7
	v_add_f32_e32 v7, v14, v7
	v_add_f32_e32 v12, v13, v7
	v_mul_f32_e32 v14, v12, v12
	v_fmaak_f32 v15, s28, v14, 0x3ecc95a3
	v_mul_f32_e32 v16, v12, v14
	v_fmaak_f32 v14, v14, v15, 0x3f2aaada
	v_ldexp_f32 v15, v12, 1
	v_sub_f32_e32 v12, v12, v13
	v_mul_f32_e32 v14, v16, v14
	v_mul_f32_e32 v16, 0x3f317218, v11
	v_sub_f32_e32 v7, v7, v12
	v_add_f32_e32 v13, v15, v14
	v_ldexp_f32 v7, v7, 1
	v_sub_f32_e32 v12, v13, v15
	v_fma_f32 v15, 0x3f317218, v11, -v16
	v_sub_f32_e32 v12, v14, v12
	v_fmac_f32_e32 v15, 0xb102e308, v11
	v_add_f32_e32 v7, v7, v12
	v_add_f32_e32 v11, v16, v15
	;; [unrolled: 1-line block ×3, first 2 shown]
	v_sub_f32_e32 v16, v11, v16
	v_add_f32_e32 v14, v11, v12
	v_sub_f32_e32 v13, v12, v13
	v_sub_f32_e32 v15, v15, v16
	;; [unrolled: 1-line block ×6, first 2 shown]
	v_add_f32_e32 v13, v15, v7
	v_sub_f32_e32 v11, v11, v18
	v_add_f32_e32 v11, v12, v11
	v_sub_f32_e32 v12, v13, v15
	;; [unrolled: 2-line block ×3, first 2 shown]
	v_sub_f32_e32 v7, v7, v12
	v_add_f32_e32 v16, v14, v11
	v_sub_f32_e32 v13, v15, v13
	v_sub_f32_e32 v12, v16, v14
	v_add_f32_e32 v7, v7, v13
	v_sub_f32_e32 v11, v11, v12
	v_add_f32_e32 v7, v7, v11
	v_add_f32_e32 v7, v16, v7
	v_cndmask_b32_e32 v7, 0x7f800000, v7, vcc_lo
	v_cmp_ngt_f32_e32 vcc_lo, -1.0, v6
	v_cndmask_b32_e32 v7, 0x7fc00000, v7, vcc_lo
	v_cmp_neq_f32_e32 vcc_lo, -1.0, v6
	v_cndmask_b32_e32 v7, 0xff800000, v7, vcc_lo
	v_cmp_gt_f32_e64 vcc_lo, 0x33800000, |v6|
	v_cndmask_b32_e32 v6, v7, v6, vcc_lo
	v_mul_f32_e32 v13, 0.5, v6
	s_branch .LBB348_8
.LBB348_57:
	s_endpgm
	.section	.rodata,"a",@progbits
	.p2align	6, 0x0
	.amdhsa_kernel _ZN2at6native28tensor_kernel_scan_outer_dimIN3c107complexIfEEjZZZNS0_31launch_logcumsumexp_cuda_kernelERKNS_10TensorBaseES7_lENKUlvE_clEvENKUlvE2_clEvEUlS4_S4_E_EEvPT_PKSB_jjjSB_T1_
		.amdhsa_group_segment_fixed_size 0
		.amdhsa_private_segment_fixed_size 0
		.amdhsa_kernarg_size 304
		.amdhsa_user_sgpr_count 6
		.amdhsa_user_sgpr_private_segment_buffer 1
		.amdhsa_user_sgpr_dispatch_ptr 0
		.amdhsa_user_sgpr_queue_ptr 0
		.amdhsa_user_sgpr_kernarg_segment_ptr 1
		.amdhsa_user_sgpr_dispatch_id 0
		.amdhsa_user_sgpr_flat_scratch_init 0
		.amdhsa_user_sgpr_private_segment_size 0
		.amdhsa_wavefront_size32 1
		.amdhsa_uses_dynamic_stack 0
		.amdhsa_system_sgpr_private_segment_wavefront_offset 0
		.amdhsa_system_sgpr_workgroup_id_x 1
		.amdhsa_system_sgpr_workgroup_id_y 1
		.amdhsa_system_sgpr_workgroup_id_z 0
		.amdhsa_system_sgpr_workgroup_info 0
		.amdhsa_system_vgpr_workitem_id 0
		.amdhsa_next_free_vgpr 28
		.amdhsa_next_free_sgpr 40
		.amdhsa_reserve_vcc 1
		.amdhsa_reserve_flat_scratch 0
		.amdhsa_float_round_mode_32 0
		.amdhsa_float_round_mode_16_64 0
		.amdhsa_float_denorm_mode_32 3
		.amdhsa_float_denorm_mode_16_64 3
		.amdhsa_dx10_clamp 1
		.amdhsa_ieee_mode 1
		.amdhsa_fp16_overflow 0
		.amdhsa_workgroup_processor_mode 1
		.amdhsa_memory_ordered 1
		.amdhsa_forward_progress 1
		.amdhsa_shared_vgpr_count 0
		.amdhsa_exception_fp_ieee_invalid_op 0
		.amdhsa_exception_fp_denorm_src 0
		.amdhsa_exception_fp_ieee_div_zero 0
		.amdhsa_exception_fp_ieee_overflow 0
		.amdhsa_exception_fp_ieee_underflow 0
		.amdhsa_exception_fp_ieee_inexact 0
		.amdhsa_exception_int_div_zero 0
	.end_amdhsa_kernel
	.section	.text._ZN2at6native28tensor_kernel_scan_outer_dimIN3c107complexIfEEjZZZNS0_31launch_logcumsumexp_cuda_kernelERKNS_10TensorBaseES7_lENKUlvE_clEvENKUlvE2_clEvEUlS4_S4_E_EEvPT_PKSB_jjjSB_T1_,"axG",@progbits,_ZN2at6native28tensor_kernel_scan_outer_dimIN3c107complexIfEEjZZZNS0_31launch_logcumsumexp_cuda_kernelERKNS_10TensorBaseES7_lENKUlvE_clEvENKUlvE2_clEvEUlS4_S4_E_EEvPT_PKSB_jjjSB_T1_,comdat
.Lfunc_end348:
	.size	_ZN2at6native28tensor_kernel_scan_outer_dimIN3c107complexIfEEjZZZNS0_31launch_logcumsumexp_cuda_kernelERKNS_10TensorBaseES7_lENKUlvE_clEvENKUlvE2_clEvEUlS4_S4_E_EEvPT_PKSB_jjjSB_T1_, .Lfunc_end348-_ZN2at6native28tensor_kernel_scan_outer_dimIN3c107complexIfEEjZZZNS0_31launch_logcumsumexp_cuda_kernelERKNS_10TensorBaseES7_lENKUlvE_clEvENKUlvE2_clEvEUlS4_S4_E_EEvPT_PKSB_jjjSB_T1_
                                        ; -- End function
	.set _ZN2at6native28tensor_kernel_scan_outer_dimIN3c107complexIfEEjZZZNS0_31launch_logcumsumexp_cuda_kernelERKNS_10TensorBaseES7_lENKUlvE_clEvENKUlvE2_clEvEUlS4_S4_E_EEvPT_PKSB_jjjSB_T1_.num_vgpr, 28
	.set _ZN2at6native28tensor_kernel_scan_outer_dimIN3c107complexIfEEjZZZNS0_31launch_logcumsumexp_cuda_kernelERKNS_10TensorBaseES7_lENKUlvE_clEvENKUlvE2_clEvEUlS4_S4_E_EEvPT_PKSB_jjjSB_T1_.num_agpr, 0
	.set _ZN2at6native28tensor_kernel_scan_outer_dimIN3c107complexIfEEjZZZNS0_31launch_logcumsumexp_cuda_kernelERKNS_10TensorBaseES7_lENKUlvE_clEvENKUlvE2_clEvEUlS4_S4_E_EEvPT_PKSB_jjjSB_T1_.numbered_sgpr, 40
	.set _ZN2at6native28tensor_kernel_scan_outer_dimIN3c107complexIfEEjZZZNS0_31launch_logcumsumexp_cuda_kernelERKNS_10TensorBaseES7_lENKUlvE_clEvENKUlvE2_clEvEUlS4_S4_E_EEvPT_PKSB_jjjSB_T1_.num_named_barrier, 0
	.set _ZN2at6native28tensor_kernel_scan_outer_dimIN3c107complexIfEEjZZZNS0_31launch_logcumsumexp_cuda_kernelERKNS_10TensorBaseES7_lENKUlvE_clEvENKUlvE2_clEvEUlS4_S4_E_EEvPT_PKSB_jjjSB_T1_.private_seg_size, 0
	.set _ZN2at6native28tensor_kernel_scan_outer_dimIN3c107complexIfEEjZZZNS0_31launch_logcumsumexp_cuda_kernelERKNS_10TensorBaseES7_lENKUlvE_clEvENKUlvE2_clEvEUlS4_S4_E_EEvPT_PKSB_jjjSB_T1_.uses_vcc, 1
	.set _ZN2at6native28tensor_kernel_scan_outer_dimIN3c107complexIfEEjZZZNS0_31launch_logcumsumexp_cuda_kernelERKNS_10TensorBaseES7_lENKUlvE_clEvENKUlvE2_clEvEUlS4_S4_E_EEvPT_PKSB_jjjSB_T1_.uses_flat_scratch, 0
	.set _ZN2at6native28tensor_kernel_scan_outer_dimIN3c107complexIfEEjZZZNS0_31launch_logcumsumexp_cuda_kernelERKNS_10TensorBaseES7_lENKUlvE_clEvENKUlvE2_clEvEUlS4_S4_E_EEvPT_PKSB_jjjSB_T1_.has_dyn_sized_stack, 0
	.set _ZN2at6native28tensor_kernel_scan_outer_dimIN3c107complexIfEEjZZZNS0_31launch_logcumsumexp_cuda_kernelERKNS_10TensorBaseES7_lENKUlvE_clEvENKUlvE2_clEvEUlS4_S4_E_EEvPT_PKSB_jjjSB_T1_.has_recursion, 0
	.set _ZN2at6native28tensor_kernel_scan_outer_dimIN3c107complexIfEEjZZZNS0_31launch_logcumsumexp_cuda_kernelERKNS_10TensorBaseES7_lENKUlvE_clEvENKUlvE2_clEvEUlS4_S4_E_EEvPT_PKSB_jjjSB_T1_.has_indirect_call, 0
	.section	.AMDGPU.csdata,"",@progbits
; Kernel info:
; codeLenInByte = 7316
; TotalNumSgprs: 42
; NumVgprs: 28
; ScratchSize: 0
; MemoryBound: 0
; FloatMode: 240
; IeeeMode: 1
; LDSByteSize: 0 bytes/workgroup (compile time only)
; SGPRBlocks: 0
; VGPRBlocks: 3
; NumSGPRsForWavesPerEU: 42
; NumVGPRsForWavesPerEU: 28
; Occupancy: 16
; WaveLimiterHint : 0
; COMPUTE_PGM_RSRC2:SCRATCH_EN: 0
; COMPUTE_PGM_RSRC2:USER_SGPR: 6
; COMPUTE_PGM_RSRC2:TRAP_HANDLER: 0
; COMPUTE_PGM_RSRC2:TGID_X_EN: 1
; COMPUTE_PGM_RSRC2:TGID_Y_EN: 1
; COMPUTE_PGM_RSRC2:TGID_Z_EN: 0
; COMPUTE_PGM_RSRC2:TIDIG_COMP_CNT: 0
	.section	.text._ZN2at6native28tensor_kernel_scan_outer_dimIN3c107complexIfEEmZZZNS0_31launch_logcumsumexp_cuda_kernelERKNS_10TensorBaseES7_lENKUlvE_clEvENKUlvE2_clEvEUlS4_S4_E_EEvPT_PKSB_jjjSB_T1_,"axG",@progbits,_ZN2at6native28tensor_kernel_scan_outer_dimIN3c107complexIfEEmZZZNS0_31launch_logcumsumexp_cuda_kernelERKNS_10TensorBaseES7_lENKUlvE_clEvENKUlvE2_clEvEUlS4_S4_E_EEvPT_PKSB_jjjSB_T1_,comdat
	.globl	_ZN2at6native28tensor_kernel_scan_outer_dimIN3c107complexIfEEmZZZNS0_31launch_logcumsumexp_cuda_kernelERKNS_10TensorBaseES7_lENKUlvE_clEvENKUlvE2_clEvEUlS4_S4_E_EEvPT_PKSB_jjjSB_T1_ ; -- Begin function _ZN2at6native28tensor_kernel_scan_outer_dimIN3c107complexIfEEmZZZNS0_31launch_logcumsumexp_cuda_kernelERKNS_10TensorBaseES7_lENKUlvE_clEvENKUlvE2_clEvEUlS4_S4_E_EEvPT_PKSB_jjjSB_T1_
	.p2align	8
	.type	_ZN2at6native28tensor_kernel_scan_outer_dimIN3c107complexIfEEmZZZNS0_31launch_logcumsumexp_cuda_kernelERKNS_10TensorBaseES7_lENKUlvE_clEvENKUlvE2_clEvEUlS4_S4_E_EEvPT_PKSB_jjjSB_T1_,@function
_ZN2at6native28tensor_kernel_scan_outer_dimIN3c107complexIfEEmZZZNS0_31launch_logcumsumexp_cuda_kernelERKNS_10TensorBaseES7_lENKUlvE_clEvENKUlvE2_clEvEUlS4_S4_E_EEvPT_PKSB_jjjSB_T1_: ; @_ZN2at6native28tensor_kernel_scan_outer_dimIN3c107complexIfEEmZZZNS0_31launch_logcumsumexp_cuda_kernelERKNS_10TensorBaseES7_lENKUlvE_clEvENKUlvE2_clEvEUlS4_S4_E_EEvPT_PKSB_jjjSB_T1_
; %bb.0:
	s_load_dwordx4 s[8:11], s[4:5], 0x10
	s_waitcnt lgkmcnt(0)
	s_cmp_ge_u32 s6, s8
	s_cbranch_scc1 .LBB349_57
; %bb.1:
	s_clause 0x3
	s_load_dword s2, s[4:5], 0x3c
	s_load_dword s3, s[4:5], 0x30
	s_load_dwordx4 s[12:15], s[4:5], 0x0
	s_load_dwordx2 s[16:17], s[4:5], 0x20
	v_mov_b32_e32 v1, 0
	s_add_u32 s4, s4, 48
	s_addc_u32 s5, s5, 0
	s_mov_b32 s1, 0
	s_mov_b32 s0, s9
	v_mov_b32_e32 v8, 0x4016cbe4
	s_mul_hi_u32 s19, s10, s9
	s_mul_i32 s18, s10, s9
	s_mov_b32 s22, 0x37d75334
	s_mov_b32 s24, 0xb94c1982
	;; [unrolled: 1-line block ×4, first 2 shown]
	s_waitcnt lgkmcnt(0)
	s_and_b32 s11, s2, 0xffff
	s_cmp_lg_u32 s10, 0
	v_mad_u64_u32 v[2:3], null, s7, s11, v[0:1]
	s_cselect_b32 s23, -1, 0
	s_lshl_b64 s[20:21], s[0:1], 3
	s_mov_b32 s7, 0x7fffff
	s_lshl_b64 s[18:19], s[18:19], 3
	v_cmp_gt_u32_e64 s0, s9, v2
	s_branch .LBB349_3
.LBB349_2:                              ;   in Loop: Header=BB349_3 Depth=1
	s_or_b32 exec_lo, exec_lo, s27
	s_add_i32 s6, s6, s3
	s_cmp_ge_u32 s6, s8
	s_cbranch_scc1 .LBB349_57
.LBB349_3:                              ; =>This Loop Header: Depth=1
                                        ;     Child Loop BB349_6 Depth 2
                                        ;       Child Loop BB349_13 Depth 3
	s_and_saveexec_b32 s27, s0
	s_cbranch_execz .LBB349_2
; %bb.4:                                ;   in Loop: Header=BB349_3 Depth=1
	s_load_dword s30, s[4:5], 0x4
	v_mov_b32_e32 v3, v2
	s_mul_i32 s1, s19, s6
	s_mul_hi_u32 s2, s18, s6
	s_mul_i32 s28, s18, s6
	s_add_i32 s29, s2, s1
	s_mov_b32 s31, 0
	s_waitcnt lgkmcnt(0)
	s_mul_i32 s30, s30, s11
	s_branch .LBB349_6
.LBB349_5:                              ;   in Loop: Header=BB349_6 Depth=2
	v_add_nc_u32_e32 v3, s30, v3
	v_cmp_le_u32_e32 vcc_lo, s9, v3
	s_or_b32 s31, vcc_lo, s31
	s_andn2_b32 exec_lo, exec_lo, s31
	s_cbranch_execz .LBB349_2
.LBB349_6:                              ;   Parent Loop BB349_3 Depth=1
                                        ; =>  This Loop Header: Depth=2
                                        ;       Child Loop BB349_13 Depth 3
	s_andn2_b32 vcc_lo, exec_lo, s23
	s_cbranch_vccnz .LBB349_5
; %bb.7:                                ;   in Loop: Header=BB349_6 Depth=2
	v_mov_b32_e32 v4, v1
	v_mov_b32_e32 v7, s17
	;; [unrolled: 1-line block ×3, first 2 shown]
	s_mov_b32 s33, s10
	v_lshlrev_b64 v[4:5], 3, v[3:4]
	v_add_co_u32 v9, vcc_lo, s28, v4
	v_add_co_ci_u32_e64 v10, null, s29, v5, vcc_lo
	s_branch .LBB349_13
.LBB349_8:                              ;   in Loop: Header=BB349_13 Depth=3
	s_or_b32 exec_lo, exec_lo, s2
.LBB349_9:                              ;   in Loop: Header=BB349_13 Depth=3
	s_or_b32 exec_lo, exec_lo, s1
	v_max_f32_e64 v6, |v0|, |v0|
	v_max_f32_e64 v7, |v4|, |v4|
	v_frexp_mant_f32_e32 v11, v5
	v_frexp_exp_i32_f32_e32 v5, v5
	v_cmp_gt_f32_e64 vcc_lo, |v0|, |v4|
	v_cmp_gt_i32_e64 s1, 0, v4
	v_min_f32_e32 v6, v7, v6
	v_rcp_f32_e32 v7, v11
	v_cmp_class_f32_e64 s2, v4, 0x204
	v_frexp_mant_f32_e32 v11, v6
	v_frexp_exp_i32_f32_e32 v6, v6
	v_mul_f32_e32 v7, v11, v7
	v_sub_nc_u32_e32 v5, v6, v5
	v_cndmask_b32_e64 v11, 0, 0x40490fdb, s1
	v_cmp_class_f32_e64 s1, v0, 0x204
	v_ldexp_f32 v5, v7, v5
	v_mul_f32_e32 v6, v5, v5
	v_fmaak_f32 v7, s26, v6, 0xbc7a590c
	v_fmaak_f32 v7, v6, v7, 0x3d29fb3f
	;; [unrolled: 1-line block ×7, first 2 shown]
	v_mul_f32_e32 v6, v6, v7
	v_fmac_f32_e32 v5, v5, v6
	v_sub_f32_e32 v6, 0x3fc90fdb, v5
	v_cndmask_b32_e32 v5, v5, v6, vcc_lo
	v_cmp_gt_f32_e32 vcc_lo, 0, v4
	v_sub_f32_e32 v6, 0x40490fdb, v5
	v_cndmask_b32_e32 v7, 0x3f490fdb, v8, vcc_lo
	v_cndmask_b32_e32 v5, v5, v6, vcc_lo
	v_cmp_eq_f32_e32 vcc_lo, 0, v0
	v_cndmask_b32_e32 v5, v5, v11, vcc_lo
	s_and_b32 vcc_lo, s1, s2
	v_cndmask_b32_e32 v5, v5, v7, vcc_lo
	v_cmp_o_f32_e32 vcc_lo, v4, v0
	v_cndmask_b32_e32 v4, 0x7fc00000, v5, vcc_lo
	v_bfi_b32 v11, 0x7fffffff, v4, v0
.LBB349_10:                             ;   in Loop: Header=BB349_13 Depth=3
	s_or_b32 exec_lo, exec_lo, s36
.LBB349_11:                             ;   in Loop: Header=BB349_13 Depth=3
	s_or_b32 exec_lo, exec_lo, s35
	v_mov_b32_e32 v6, v13
	v_mov_b32_e32 v7, v11
.LBB349_12:                             ;   in Loop: Header=BB349_13 Depth=3
	s_or_b32 exec_lo, exec_lo, s34
	v_add_co_u32 v4, vcc_lo, s12, v9
	v_add_co_ci_u32_e64 v5, null, s13, v10, vcc_lo
	v_add_co_u32 v9, vcc_lo, v9, s20
	v_add_co_ci_u32_e64 v10, null, s21, v10, vcc_lo
	s_add_i32 s33, s33, -1
	global_store_dwordx2 v[4:5], v[6:7], off
	s_cmp_eq_u32 s33, 0
	s_cbranch_scc1 .LBB349_5
.LBB349_13:                             ;   Parent Loop BB349_3 Depth=1
                                        ;     Parent Loop BB349_6 Depth=2
                                        ; =>    This Inner Loop Header: Depth=3
	v_add_co_u32 v4, vcc_lo, s14, v9
	v_add_co_ci_u32_e64 v5, null, s15, v10, vcc_lo
	global_load_dwordx2 v[4:5], v[4:5], off
	s_waitcnt vmcnt(0)
	v_cmp_o_f32_e32 vcc_lo, v4, v5
	v_mov_b32_e32 v11, v5
	v_mov_b32_e32 v13, v4
	;; [unrolled: 1-line block ×3, first 2 shown]
	s_and_saveexec_b32 s34, vcc_lo
; %bb.14:                               ;   in Loop: Header=BB349_13 Depth=3
	v_cmp_u_f32_e64 s1, v6, v7
	v_cmp_lt_f32_e64 s2, v6, v4
	s_or_b32 s1, s1, s2
	v_cndmask_b32_e64 v11, v5, v7, s1
	v_cndmask_b32_e64 v13, v4, v6, s1
	v_mov_b32_e32 v12, v11
; %bb.15:                               ;   in Loop: Header=BB349_13 Depth=3
	s_or_b32 exec_lo, exec_lo, s34
	s_and_saveexec_b32 s2, vcc_lo
; %bb.16:                               ;   in Loop: Header=BB349_13 Depth=3
	v_cmp_u_f32_e32 vcc_lo, v6, v7
	v_cmp_ge_f32_e64 s1, v6, v4
	s_or_b32 vcc_lo, vcc_lo, s1
	v_cndmask_b32_e32 v5, v5, v7, vcc_lo
	v_cndmask_b32_e32 v4, v4, v6, vcc_lo
; %bb.17:                               ;   in Loop: Header=BB349_13 Depth=3
	s_or_b32 exec_lo, exec_lo, s2
	v_mov_b32_e32 v6, 0x7fc00000
	v_mov_b32_e32 v7, 0x7fc00000
	s_mov_b32 s34, exec_lo
	v_cmpx_o_f32_e32 v13, v11
	s_cbranch_execz .LBB349_12
; %bb.18:                               ;   in Loop: Header=BB349_13 Depth=3
	v_cmp_class_f32_e64 s1, v13, 0x1f8
	v_cmp_neq_f32_e32 vcc_lo, v4, v13
	s_or_b32 s1, s1, vcc_lo
	s_and_saveexec_b32 s2, s1
	s_xor_b32 s35, exec_lo, s2
	s_cbranch_execz .LBB349_34
; %bb.19:                               ;   in Loop: Header=BB349_13 Depth=3
	v_sub_f32_e32 v6, v11, v5
                                        ; implicit-def: $vgpr12
                                        ; implicit-def: $vgpr11
	v_and_b32_e32 v7, 0x7fffffff, v6
	v_cmp_ngt_f32_e64 s36, 0x48000000, |v6|
	v_lshrrev_b32_e32 v0, 23, v7
	v_and_or_b32 v14, v7, s7, 0x800000
	v_add_nc_u32_e32 v15, 0xffffff88, v0
	s_and_saveexec_b32 s1, s36
	s_xor_b32 s37, exec_lo, s1
	s_cbranch_execz .LBB349_21
; %bb.20:                               ;   in Loop: Header=BB349_13 Depth=3
	v_mad_u64_u32 v[11:12], null, 0xfe5163ab, v14, 0
	v_cmp_lt_u32_e32 vcc_lo, 63, v15
	v_mov_b32_e32 v0, v12
	v_cndmask_b32_e64 v12, 0, 0xffffffc0, vcc_lo
	v_mad_u64_u32 v[16:17], null, 0x3c439041, v14, v[0:1]
	v_add_nc_u32_e32 v12, v12, v15
	v_cmp_lt_u32_e64 s1, 31, v12
	v_mov_b32_e32 v0, v17
	v_cndmask_b32_e64 v22, 0, 0xffffffe0, s1
	v_mad_u64_u32 v[17:18], null, 0xdb629599, v14, v[0:1]
	v_add_nc_u32_e32 v12, v22, v12
	v_mov_b32_e32 v0, v18
	v_cmp_lt_u32_e64 s2, 31, v12
	v_cndmask_b32_e32 v11, v17, v11, vcc_lo
	v_mad_u64_u32 v[18:19], null, 0xf534ddc0, v14, v[0:1]
	v_mov_b32_e32 v0, v19
	v_mad_u64_u32 v[19:20], null, 0xfc2757d1, v14, v[0:1]
	v_mov_b32_e32 v0, v20
	;; [unrolled: 2-line block ×3, first 2 shown]
	v_cndmask_b32_e32 v23, v20, v18, vcc_lo
	v_mad_u64_u32 v[21:22], null, 0xa2f9836e, v14, v[0:1]
	v_cndmask_b32_e64 v0, 0, 0xffffffe0, s2
	v_add_nc_u32_e32 v0, v0, v12
	v_cndmask_b32_e32 v21, v21, v19, vcc_lo
	v_cndmask_b32_e32 v20, v22, v20, vcc_lo
	;; [unrolled: 1-line block ×4, first 2 shown]
	v_cmp_eq_u32_e32 vcc_lo, 0, v0
	v_cndmask_b32_e64 v16, v21, v23, s1
	v_cndmask_b32_e64 v18, v20, v21, s1
	;; [unrolled: 1-line block ×3, first 2 shown]
	v_sub_nc_u32_e32 v21, 32, v0
	v_cndmask_b32_e64 v19, v19, v12, s1
	v_cndmask_b32_e64 v11, v12, v11, s1
	;; [unrolled: 1-line block ×6, first 2 shown]
	v_alignbit_b32 v22, v18, v16, v21
	v_alignbit_b32 v17, v16, v20, v21
	;; [unrolled: 1-line block ×3, first 2 shown]
	v_cndmask_b32_e32 v0, v22, v18, vcc_lo
	v_cndmask_b32_e32 v12, v17, v16, vcc_lo
	;; [unrolled: 1-line block ×3, first 2 shown]
	v_bfe_u32 v16, v0, 29, 1
	v_alignbit_b32 v17, v0, v12, 30
	v_alignbit_b32 v12, v12, v19, 30
	;; [unrolled: 1-line block ×3, first 2 shown]
	v_sub_nc_u32_e32 v18, 0, v16
	v_xor_b32_e32 v17, v17, v18
	v_xor_b32_e32 v12, v12, v18
	;; [unrolled: 1-line block ×3, first 2 shown]
	v_lshrrev_b32_e32 v18, 29, v0
	v_lshrrev_b32_e32 v0, 30, v0
	v_ffbh_u32_e32 v20, v17
	v_min_u32_e32 v20, 32, v20
	v_sub_nc_u32_e32 v19, 31, v20
	v_lshlrev_b32_e32 v21, 23, v20
	v_alignbit_b32 v17, v17, v12, v19
	v_alignbit_b32 v11, v12, v11, v19
	v_lshlrev_b32_e32 v12, 31, v18
	v_alignbit_b32 v18, v17, v11, 9
	v_or_b32_e32 v19, 0.5, v12
	v_lshrrev_b32_e32 v17, 9, v17
	v_or_b32_e32 v12, 0x33000000, v12
	v_ffbh_u32_e32 v22, v18
	v_sub_nc_u32_e32 v19, v19, v21
	v_min_u32_e32 v21, 32, v22
	v_or_b32_e32 v17, v17, v19
	v_not_b32_e32 v19, v21
	v_mul_f32_e32 v22, 0x3fc90fda, v17
	v_add_lshl_u32 v20, v21, v20, 23
	v_alignbit_b32 v11, v18, v11, v19
	v_fma_f32 v18, 0x3fc90fda, v17, -v22
	v_sub_nc_u32_e32 v12, v12, v20
	v_lshrrev_b32_e32 v11, 9, v11
	v_fmac_f32_e32 v18, 0x33a22168, v17
	v_or_b32_e32 v11, v12, v11
	v_add_nc_u32_e32 v12, v16, v0
	v_fmac_f32_e32 v18, 0x3fc90fda, v11
	v_add_f32_e32 v11, v22, v18
.LBB349_21:                             ;   in Loop: Header=BB349_13 Depth=3
	s_or_saveexec_b32 s1, s37
	v_mul_f32_e64 v0, 0x3f22f983, |v6|
	v_rndne_f32_e32 v17, v0
	s_xor_b32 exec_lo, exec_lo, s1
; %bb.22:                               ;   in Loop: Header=BB349_13 Depth=3
	v_fma_f32 v11, 0xbfc90fda, v17, |v6|
	v_cvt_i32_f32_e32 v12, v17
	v_fmac_f32_e32 v11, 0xb3a22168, v17
	v_fmac_f32_e32 v11, 0xa7c234c4, v17
; %bb.23:                               ;   in Loop: Header=BB349_13 Depth=3
	s_or_b32 exec_lo, exec_lo, s1
                                        ; implicit-def: $vgpr16
                                        ; implicit-def: $vgpr0
	s_and_saveexec_b32 s1, s36
	s_xor_b32 s36, exec_lo, s1
	s_cbranch_execz .LBB349_25
; %bb.24:                               ;   in Loop: Header=BB349_13 Depth=3
	v_mad_u64_u32 v[16:17], null, 0xfe5163ab, v14, 0
	v_cmp_lt_u32_e32 vcc_lo, 63, v15
	v_cndmask_b32_e64 v22, 0, 0xffffffc0, vcc_lo
	v_mov_b32_e32 v0, v17
	v_add_nc_u32_e32 v15, v22, v15
	v_mad_u64_u32 v[17:18], null, 0x3c439041, v14, v[0:1]
	v_cmp_lt_u32_e64 s1, 31, v15
	v_mov_b32_e32 v0, v18
	v_cndmask_b32_e64 v23, 0, 0xffffffe0, s1
	v_mad_u64_u32 v[18:19], null, 0xdb629599, v14, v[0:1]
	v_mov_b32_e32 v0, v19
	v_cndmask_b32_e32 v16, v18, v16, vcc_lo
	v_mad_u64_u32 v[19:20], null, 0xf534ddc0, v14, v[0:1]
	v_mov_b32_e32 v0, v20
	v_cndmask_b32_e32 v17, v19, v17, vcc_lo
	v_mad_u64_u32 v[20:21], null, 0xfc2757d1, v14, v[0:1]
	v_mov_b32_e32 v0, v21
	v_mad_u64_u32 v[21:22], null, 0x4e441529, v14, v[0:1]
	v_mov_b32_e32 v0, v22
	v_add_nc_u32_e32 v22, v23, v15
	v_cndmask_b32_e32 v23, v21, v19, vcc_lo
	v_mad_u64_u32 v[14:15], null, 0xa2f9836e, v14, v[0:1]
	v_cmp_lt_u32_e64 s2, 31, v22
	v_cndmask_b32_e64 v0, 0, 0xffffffe0, s2
	v_cndmask_b32_e32 v14, v14, v20, vcc_lo
	v_cndmask_b32_e32 v15, v15, v21, vcc_lo
	;; [unrolled: 1-line block ×3, first 2 shown]
	v_add_nc_u32_e32 v0, v0, v22
	v_cndmask_b32_e64 v19, v14, v23, s1
	v_cndmask_b32_e64 v14, v15, v14, s1
	;; [unrolled: 1-line block ×4, first 2 shown]
	v_sub_nc_u32_e32 v21, 32, v0
	v_cmp_eq_u32_e32 vcc_lo, 0, v0
	v_cndmask_b32_e64 v14, v14, v19, s2
	v_cndmask_b32_e64 v19, v19, v15, s2
	v_cndmask_b32_e64 v15, v15, v20, s2
	v_alignbit_b32 v22, v14, v19, v21
	v_alignbit_b32 v18, v19, v15, v21
	v_cndmask_b32_e32 v0, v22, v14, vcc_lo
	v_cndmask_b32_e64 v14, v17, v16, s1
	v_cndmask_b32_e32 v16, v18, v19, vcc_lo
	v_bfe_u32 v17, v0, 29, 1
	v_cndmask_b32_e64 v14, v20, v14, s2
	v_alignbit_b32 v18, v0, v16, 30
	v_sub_nc_u32_e32 v19, 0, v17
	v_alignbit_b32 v20, v15, v14, v21
	v_xor_b32_e32 v18, v18, v19
	v_cndmask_b32_e32 v15, v20, v15, vcc_lo
	v_ffbh_u32_e32 v20, v18
	v_alignbit_b32 v16, v16, v15, 30
	v_alignbit_b32 v14, v15, v14, 30
	v_min_u32_e32 v20, 32, v20
	v_xor_b32_e32 v15, v16, v19
	v_xor_b32_e32 v14, v14, v19
	v_lshrrev_b32_e32 v19, 29, v0
	v_sub_nc_u32_e32 v16, 31, v20
	v_lshlrev_b32_e32 v21, 23, v20
	v_alignbit_b32 v18, v18, v15, v16
	v_alignbit_b32 v14, v15, v14, v16
	v_lshlrev_b32_e32 v15, 31, v19
	v_alignbit_b32 v16, v18, v14, 9
	v_or_b32_e32 v19, 0.5, v15
	v_lshrrev_b32_e32 v18, 9, v18
	v_or_b32_e32 v15, 0x33000000, v15
	v_ffbh_u32_e32 v22, v16
	v_sub_nc_u32_e32 v19, v19, v21
	v_min_u32_e32 v21, 32, v22
	v_or_b32_e32 v18, v18, v19
	v_not_b32_e32 v19, v21
	v_mul_f32_e32 v22, 0x3fc90fda, v18
	v_add_lshl_u32 v20, v21, v20, 23
	v_alignbit_b32 v14, v16, v14, v19
	v_fma_f32 v16, 0x3fc90fda, v18, -v22
	v_sub_nc_u32_e32 v15, v15, v20
	v_lshrrev_b32_e32 v14, 9, v14
	v_fmac_f32_e32 v16, 0x33a22168, v18
	v_or_b32_e32 v14, v15, v14
	v_fmac_f32_e32 v16, 0x3fc90fda, v14
	v_lshrrev_b32_e32 v14, 30, v0
	v_add_f32_e32 v0, v22, v16
	v_add_nc_u32_e32 v16, v17, v14
                                        ; implicit-def: $vgpr17
	s_andn2_saveexec_b32 s1, s36
	s_cbranch_execnz .LBB349_26
	s_branch .LBB349_27
.LBB349_25:                             ;   in Loop: Header=BB349_13 Depth=3
	s_andn2_saveexec_b32 s1, s36
.LBB349_26:                             ;   in Loop: Header=BB349_13 Depth=3
	v_fma_f32 v0, 0xbfc90fda, v17, |v6|
	v_cvt_i32_f32_e32 v16, v17
	v_fmac_f32_e32 v0, 0xb3a22168, v17
	v_fmac_f32_e32 v0, 0xa7c234c4, v17
.LBB349_27:                             ;   in Loop: Header=BB349_13 Depth=3
	s_or_b32 exec_lo, exec_lo, s1
	v_sub_f32_e32 v13, v13, v4
	v_mul_f32_e32 v17, v11, v11
	v_mul_f32_e32 v18, v0, v0
	v_lshlrev_b32_e32 v14, 30, v12
	v_and_b32_e32 v12, 1, v12
	v_mul_f32_e32 v15, 0x3fb8aa3b, v13
	v_fmaak_f32 v22, s22, v17, 0xbab64f3b
	v_fmaak_f32 v23, s24, v17, 0x3c0881c4
	;; [unrolled: 1-line block ×4, first 2 shown]
	v_fma_f32 v20, 0x3fb8aa3b, v13, -v15
	v_rndne_f32_e32 v21, v15
	v_and_b32_e32 v19, 1, v16
	v_cmp_eq_u32_e32 vcc_lo, 0, v12
	v_lshlrev_b32_e32 v16, 30, v16
	v_fmac_f32_e32 v20, 0x32a5705f, v13
	v_sub_f32_e32 v15, v15, v21
	v_cvt_i32_f32_e32 v21, v21
	v_xor_b32_e32 v7, v7, v6
	v_and_b32_e32 v14, 0x80000000, v14
	v_and_b32_e32 v16, 0x80000000, v16
	v_add_f32_e32 v15, v15, v20
	v_fmaak_f32 v20, v17, v22, 0x3d2aabf7
	v_fmaak_f32 v22, v17, v23, 0xbe2aaa9d
	;; [unrolled: 1-line block ×4, first 2 shown]
	v_exp_f32_e32 v15, v15
	v_fmaak_f32 v20, v17, v20, 0xbf000004
	v_mul_f32_e32 v22, v17, v22
	v_mul_f32_e32 v23, v18, v23
	v_fmaak_f32 v24, v18, v24, 0xbf000004
	v_cmp_nlt_f32_e64 s1, 0x42b17218, v13
	v_fma_f32 v17, v17, v20, 1.0
	v_fmac_f32_e32 v11, v11, v22
	v_fmac_f32_e32 v0, v0, v23
	v_fma_f32 v18, v18, v24, 1.0
	v_ldexp_f32 v15, v15, v21
	v_cndmask_b32_e64 v11, -v11, v17, vcc_lo
	v_cmp_eq_u32_e32 vcc_lo, 0, v19
	v_xor_b32_e32 v11, v14, v11
	v_cndmask_b32_e32 v0, v18, v0, vcc_lo
	v_cmp_ngt_f32_e32 vcc_lo, 0xc2ce8ed0, v13
	v_xor3_b32 v0, v7, v16, v0
	v_cndmask_b32_e32 v12, 0, v15, vcc_lo
	v_cmp_class_f32_e64 vcc_lo, v6, 0x1f8
	v_cndmask_b32_e64 v13, 0x7f800000, v12, s1
	v_cndmask_b32_e32 v11, 0x7fc00000, v11, vcc_lo
	v_cndmask_b32_e32 v0, 0x7fc00000, v0, vcc_lo
	v_mul_f32_e32 v12, v13, v11
	v_mul_f32_e32 v0, v13, v0
	v_max_f32_e64 v14, |v12|, |v0|
	v_cvt_f64_f32_e32 v[6:7], v14
	v_cmp_eq_f32_e32 vcc_lo, 0x7f800000, v14
	v_frexp_exp_i32_f64_e32 v6, v[6:7]
	v_sub_nc_u32_e32 v7, 0, v6
	v_ldexp_f32 v15, |v0|, v7
	v_ldexp_f32 v7, |v12|, v7
	v_mul_f32_e32 v15, v15, v15
	v_fmac_f32_e32 v15, v7, v7
	v_sqrt_f32_e32 v7, v15
	v_ldexp_f32 v7, v7, v6
	v_fma_f32 v6, v13, v11, 1.0
	v_cmp_ngt_f32_e64 s1, 0.5, v7
	v_max_f32_e64 v7, |v6|, |v0|
	s_or_b32 s1, vcc_lo, s1
	s_and_saveexec_b32 s2, s1
	s_xor_b32 s2, exec_lo, s2
	s_cbranch_execz .LBB349_29
; %bb.28:                               ;   in Loop: Header=BB349_13 Depth=3
	v_cvt_f64_f32_e32 v[11:12], v7
	v_cmp_neq_f32_e32 vcc_lo, 0x7f800000, v7
	v_frexp_exp_i32_f64_e32 v11, v[11:12]
	v_sub_nc_u32_e32 v12, 0, v11
	v_ldexp_f32 v13, |v0|, v12
	v_ldexp_f32 v12, |v6|, v12
	v_mul_f32_e32 v13, v13, v13
	v_fmac_f32_e32 v13, v12, v12
	v_sqrt_f32_e32 v12, v13
	v_ldexp_f32 v11, v12, v11
	v_cndmask_b32_e32 v11, 0x7f800000, v11, vcc_lo
	v_cmp_gt_f32_e32 vcc_lo, 0x800000, v11
	v_cndmask_b32_e64 v12, 0, 32, vcc_lo
	v_ldexp_f32 v11, v11, v12
	v_log_f32_e32 v11, v11
	v_mul_f32_e32 v12, 0x3f317217, v11
	v_cmp_gt_f32_e64 s1, 0x7f800000, |v11|
	v_fma_f32 v12, 0x3f317217, v11, -v12
	v_fmac_f32_e32 v12, 0x3377d1cf, v11
	v_fmac_f32_e32 v12, 0x3f317217, v11
	v_cndmask_b32_e64 v11, v11, v12, s1
	v_cndmask_b32_e64 v12, 0, 0x41b17218, vcc_lo
	v_sub_f32_e32 v12, v11, v12
.LBB349_29:                             ;   in Loop: Header=BB349_13 Depth=3
	s_andn2_saveexec_b32 s1, s2
	s_cbranch_execz .LBB349_33
; %bb.30:                               ;   in Loop: Header=BB349_13 Depth=3
	v_add_f32_e32 v13, 2.0, v12
	v_mul_f32_e32 v11, v0, v0
	s_mov_b32 s2, exec_lo
	v_fmac_f32_e32 v11, v12, v13
	v_cmpx_neq_f32_e32 0, v11
	s_cbranch_execz .LBB349_32
; %bb.31:                               ;   in Loop: Header=BB349_13 Depth=3
	v_add_f32_e32 v14, 1.0, v11
	v_cvt_f64_f32_e32 v[12:13], v14
	v_frexp_exp_i32_f64_e32 v12, v[12:13]
	v_frexp_mant_f32_e32 v13, v14
	v_cmp_gt_f32_e32 vcc_lo, 0x3f2aaaab, v13
	v_add_f32_e32 v13, -1.0, v14
	v_sub_f32_e32 v16, v13, v14
	v_sub_f32_e32 v13, v11, v13
	v_add_f32_e32 v16, 1.0, v16
	v_add_f32_e32 v13, v13, v16
	v_subrev_co_ci_u32_e64 v12, null, 0, v12, vcc_lo
	v_cmp_neq_f32_e32 vcc_lo, 0x7f800000, v11
	v_sub_nc_u32_e32 v15, 0, v12
	v_cvt_f32_i32_e32 v12, v12
	v_ldexp_f32 v14, v14, v15
	v_ldexp_f32 v13, v13, v15
	v_add_f32_e32 v17, 1.0, v14
	v_add_f32_e32 v15, -1.0, v14
	v_add_f32_e32 v16, -1.0, v17
	v_add_f32_e32 v18, 1.0, v15
	v_sub_f32_e32 v16, v14, v16
	v_sub_f32_e32 v14, v14, v18
	v_add_f32_e32 v16, v13, v16
	v_add_f32_e32 v13, v13, v14
	;; [unrolled: 1-line block ×4, first 2 shown]
	v_rcp_f32_e32 v14, v18
	v_sub_f32_e32 v17, v18, v17
	v_sub_f32_e32 v15, v19, v15
	;; [unrolled: 1-line block ×4, first 2 shown]
	v_mul_f32_e32 v20, v19, v14
	v_mul_f32_e32 v21, v18, v20
	v_fma_f32 v17, v20, v18, -v21
	v_fmac_f32_e32 v17, v20, v16
	v_add_f32_e32 v22, v21, v17
	v_sub_f32_e32 v23, v19, v22
	v_sub_f32_e32 v15, v22, v21
	;; [unrolled: 1-line block ×5, first 2 shown]
	v_add_f32_e32 v13, v13, v19
	v_add_f32_e32 v13, v15, v13
	;; [unrolled: 1-line block ×3, first 2 shown]
	v_mul_f32_e32 v17, v14, v15
	v_sub_f32_e32 v22, v23, v15
	v_mul_f32_e32 v19, v18, v17
	v_add_f32_e32 v13, v13, v22
	v_fma_f32 v18, v17, v18, -v19
	v_fmac_f32_e32 v18, v17, v16
	v_add_f32_e32 v16, v19, v18
	v_sub_f32_e32 v21, v15, v16
	v_sub_f32_e32 v19, v16, v19
	;; [unrolled: 1-line block ×5, first 2 shown]
	v_add_f32_e32 v13, v13, v15
	v_add_f32_e32 v15, v20, v17
	;; [unrolled: 1-line block ×3, first 2 shown]
	v_sub_f32_e32 v16, v15, v20
	v_add_f32_e32 v13, v21, v13
	v_sub_f32_e32 v16, v17, v16
	v_mul_f32_e32 v13, v14, v13
	v_add_f32_e32 v13, v16, v13
	v_add_f32_e32 v14, v15, v13
	v_mul_f32_e32 v16, v14, v14
	v_fmaak_f32 v17, s25, v16, 0x3ecc95a3
	v_mul_f32_e32 v18, v14, v16
	v_fmaak_f32 v16, v16, v17, 0x3f2aaada
	v_ldexp_f32 v17, v14, 1
	v_sub_f32_e32 v14, v14, v15
	v_mul_f32_e32 v16, v18, v16
	v_mul_f32_e32 v18, 0x3f317218, v12
	v_sub_f32_e32 v13, v13, v14
	v_add_f32_e32 v15, v17, v16
	v_ldexp_f32 v13, v13, 1
	v_sub_f32_e32 v14, v15, v17
	v_fma_f32 v17, 0x3f317218, v12, -v18
	v_sub_f32_e32 v14, v16, v14
	v_fmac_f32_e32 v17, 0xb102e308, v12
	v_add_f32_e32 v12, v13, v14
	v_add_f32_e32 v13, v18, v17
	;; [unrolled: 1-line block ×3, first 2 shown]
	v_sub_f32_e32 v18, v13, v18
	v_add_f32_e32 v16, v13, v14
	v_sub_f32_e32 v15, v14, v15
	v_sub_f32_e32 v17, v17, v18
	;; [unrolled: 1-line block ×6, first 2 shown]
	v_add_f32_e32 v15, v17, v12
	v_sub_f32_e32 v13, v13, v20
	v_add_f32_e32 v13, v14, v13
	v_sub_f32_e32 v14, v15, v17
	;; [unrolled: 2-line block ×3, first 2 shown]
	v_sub_f32_e32 v12, v12, v14
	v_add_f32_e32 v18, v16, v13
	v_sub_f32_e32 v15, v17, v15
	v_sub_f32_e32 v14, v18, v16
	v_add_f32_e32 v12, v12, v15
	v_sub_f32_e32 v13, v13, v14
	v_add_f32_e32 v12, v12, v13
	v_add_f32_e32 v12, v18, v12
	v_cndmask_b32_e32 v12, 0x7f800000, v12, vcc_lo
	v_cmp_ngt_f32_e32 vcc_lo, -1.0, v11
	v_cndmask_b32_e32 v12, 0x7fc00000, v12, vcc_lo
	v_cmp_neq_f32_e32 vcc_lo, -1.0, v11
	v_cndmask_b32_e32 v12, 0xff800000, v12, vcc_lo
	v_cmp_gt_f32_e64 vcc_lo, 0x33800000, |v11|
	v_cndmask_b32_e32 v11, v12, v11, vcc_lo
	v_mul_f32_e32 v12, 0.5, v11
.LBB349_32:                             ;   in Loop: Header=BB349_13 Depth=3
	s_or_b32 exec_lo, exec_lo, s2
.LBB349_33:                             ;   in Loop: Header=BB349_13 Depth=3
	s_or_b32 exec_lo, exec_lo, s1
	v_max_f32_e64 v11, |v0|, |v0|
	v_max_f32_e64 v13, |v6|, |v6|
	v_frexp_mant_f32_e32 v14, v7
	v_frexp_exp_i32_f32_e32 v7, v7
	v_cmp_gt_f32_e64 vcc_lo, |v0|, |v6|
	v_cmp_gt_i32_e64 s1, 0, v6
	v_min_f32_e32 v11, v13, v11
	v_rcp_f32_e32 v13, v14
	v_cmp_class_f32_e64 s2, v6, 0x204
	v_frexp_mant_f32_e32 v14, v11
	v_frexp_exp_i32_f32_e32 v11, v11
	v_mul_f32_e32 v13, v14, v13
	v_sub_nc_u32_e32 v7, v11, v7
	v_cndmask_b32_e64 v14, 0, 0x40490fdb, s1
	v_cmp_class_f32_e64 s1, v0, 0x204
	v_ldexp_f32 v7, v13, v7
	v_mul_f32_e32 v11, v7, v7
	v_fmaak_f32 v13, s26, v11, 0xbc7a590c
	v_fmaak_f32 v13, v11, v13, 0x3d29fb3f
	;; [unrolled: 1-line block ×7, first 2 shown]
	v_mul_f32_e32 v11, v11, v13
	v_fmac_f32_e32 v7, v7, v11
	v_sub_f32_e32 v11, 0x3fc90fdb, v7
	v_cndmask_b32_e32 v7, v7, v11, vcc_lo
	v_cmp_gt_f32_e32 vcc_lo, 0, v6
	v_sub_f32_e32 v11, 0x40490fdb, v7
	v_cndmask_b32_e32 v13, 0x3f490fdb, v8, vcc_lo
	v_cndmask_b32_e32 v7, v7, v11, vcc_lo
	v_cmp_eq_f32_e32 vcc_lo, 0, v0
	v_cndmask_b32_e32 v7, v7, v14, vcc_lo
	s_and_b32 vcc_lo, s2, s1
	v_cndmask_b32_e32 v7, v7, v13, vcc_lo
	v_cmp_o_f32_e32 vcc_lo, v6, v0
	v_add_f32_e32 v13, v4, v12
                                        ; implicit-def: $vgpr12
	v_cndmask_b32_e32 v6, 0x7fc00000, v7, vcc_lo
	v_bfi_b32 v0, 0x7fffffff, v6, v0
	v_add_f32_e32 v11, v5, v0
                                        ; implicit-def: $vgpr5
.LBB349_34:                             ;   in Loop: Header=BB349_13 Depth=3
	s_andn2_saveexec_b32 s35, s35
	s_cbranch_execz .LBB349_11
; %bb.35:                               ;   in Loop: Header=BB349_13 Depth=3
	s_mov_b32 s36, exec_lo
	v_cmpx_ngt_f32_e32 0, v13
	s_cbranch_execz .LBB349_10
; %bb.36:                               ;   in Loop: Header=BB349_13 Depth=3
	v_and_b32_e32 v4, 0x7fffffff, v11
	v_cmp_ngt_f32_e64 s37, 0x48000000, |v11|
                                        ; implicit-def: $vgpr7
                                        ; implicit-def: $vgpr6
	v_lshrrev_b32_e32 v0, 23, v4
	v_and_or_b32 v14, v4, s7, 0x800000
	v_add_nc_u32_e32 v16, 0xffffff88, v0
	s_and_saveexec_b32 s1, s37
	s_xor_b32 s38, exec_lo, s1
	s_cbranch_execz .LBB349_38
; %bb.37:                               ;   in Loop: Header=BB349_13 Depth=3
	v_mad_u64_u32 v[6:7], null, 0xfe5163ab, v14, 0
	v_cmp_lt_u32_e32 vcc_lo, 63, v16
	v_mov_b32_e32 v0, v7
	v_cndmask_b32_e64 v7, 0, 0xffffffc0, vcc_lo
	v_mad_u64_u32 v[17:18], null, 0x3c439041, v14, v[0:1]
	v_add_nc_u32_e32 v7, v7, v16
	v_cmp_lt_u32_e64 s1, 31, v7
	v_mov_b32_e32 v0, v18
	v_cndmask_b32_e64 v13, 0, 0xffffffe0, s1
	v_mad_u64_u32 v[18:19], null, 0xdb629599, v14, v[0:1]
	v_add_nc_u32_e32 v7, v13, v7
	v_mov_b32_e32 v0, v19
	v_cmp_lt_u32_e64 s2, 31, v7
	v_cndmask_b32_e32 v6, v18, v6, vcc_lo
	v_mad_u64_u32 v[19:20], null, 0xf534ddc0, v14, v[0:1]
	v_mov_b32_e32 v0, v20
	v_mad_u64_u32 v[20:21], null, 0xfc2757d1, v14, v[0:1]
	v_mov_b32_e32 v0, v21
	;; [unrolled: 2-line block ×3, first 2 shown]
	v_cndmask_b32_e32 v13, v21, v19, vcc_lo
	v_mad_u64_u32 v[22:23], null, 0xa2f9836e, v14, v[0:1]
	v_cndmask_b32_e64 v0, 0, 0xffffffe0, s2
	v_add_nc_u32_e32 v0, v0, v7
	v_cndmask_b32_e32 v15, v22, v20, vcc_lo
	v_cndmask_b32_e32 v21, v23, v21, vcc_lo
	;; [unrolled: 1-line block ×4, first 2 shown]
	v_sub_nc_u32_e32 v19, 32, v0
	v_cndmask_b32_e64 v17, v15, v13, s1
	v_cndmask_b32_e64 v15, v21, v15, s1
	;; [unrolled: 1-line block ×4, first 2 shown]
	v_cmp_eq_u32_e32 vcc_lo, 0, v0
	v_cndmask_b32_e64 v6, v7, v6, s1
	v_cndmask_b32_e64 v15, v15, v17, s2
	;; [unrolled: 1-line block ×5, first 2 shown]
	v_alignbit_b32 v21, v15, v17, v19
	v_alignbit_b32 v18, v17, v13, v19
	;; [unrolled: 1-line block ×3, first 2 shown]
	v_cndmask_b32_e32 v0, v21, v15, vcc_lo
	v_cndmask_b32_e32 v7, v18, v17, vcc_lo
	;; [unrolled: 1-line block ×3, first 2 shown]
	v_bfe_u32 v15, v0, 29, 1
	v_alignbit_b32 v17, v0, v7, 30
	v_alignbit_b32 v7, v7, v13, 30
	;; [unrolled: 1-line block ×3, first 2 shown]
	v_sub_nc_u32_e32 v18, 0, v15
	v_xor_b32_e32 v17, v17, v18
	v_xor_b32_e32 v7, v7, v18
	;; [unrolled: 1-line block ×3, first 2 shown]
	v_lshrrev_b32_e32 v18, 29, v0
	v_lshrrev_b32_e32 v0, 30, v0
	v_ffbh_u32_e32 v19, v17
	v_min_u32_e32 v19, 32, v19
	v_sub_nc_u32_e32 v13, 31, v19
	v_lshlrev_b32_e32 v20, 23, v19
	v_alignbit_b32 v17, v17, v7, v13
	v_alignbit_b32 v6, v7, v6, v13
	v_lshlrev_b32_e32 v7, 31, v18
	v_alignbit_b32 v13, v17, v6, 9
	v_or_b32_e32 v18, 0.5, v7
	v_lshrrev_b32_e32 v17, 9, v17
	v_or_b32_e32 v7, 0x33000000, v7
	v_ffbh_u32_e32 v21, v13
	v_sub_nc_u32_e32 v18, v18, v20
	v_min_u32_e32 v20, 32, v21
	v_or_b32_e32 v17, v17, v18
	v_not_b32_e32 v18, v20
	v_mul_f32_e32 v21, 0x3fc90fda, v17
	v_add_lshl_u32 v19, v20, v19, 23
	v_alignbit_b32 v6, v13, v6, v18
	v_fma_f32 v13, 0x3fc90fda, v17, -v21
	v_sub_nc_u32_e32 v7, v7, v19
	v_lshrrev_b32_e32 v6, 9, v6
	v_fmac_f32_e32 v13, 0x33a22168, v17
	v_or_b32_e32 v6, v7, v6
	v_add_nc_u32_e32 v7, v15, v0
	v_fmac_f32_e32 v13, 0x3fc90fda, v6
	v_add_f32_e32 v6, v21, v13
.LBB349_38:                             ;   in Loop: Header=BB349_13 Depth=3
	s_or_saveexec_b32 s1, s38
	v_mul_f32_e64 v0, 0x3f22f983, |v11|
	v_rndne_f32_e32 v0, v0
	s_xor_b32 exec_lo, exec_lo, s1
; %bb.39:                               ;   in Loop: Header=BB349_13 Depth=3
	v_fma_f32 v6, 0xbfc90fda, v0, |v11|
	v_cvt_i32_f32_e32 v7, v0
	v_fmac_f32_e32 v6, 0xb3a22168, v0
	v_fmac_f32_e32 v6, 0xa7c234c4, v0
; %bb.40:                               ;   in Loop: Header=BB349_13 Depth=3
	s_or_b32 exec_lo, exec_lo, s1
                                        ; implicit-def: $vgpr15
                                        ; implicit-def: $vgpr13
	s_and_saveexec_b32 s1, s37
	s_xor_b32 s37, exec_lo, s1
	s_cbranch_execz .LBB349_42
; %bb.41:                               ;   in Loop: Header=BB349_13 Depth=3
	v_mad_u64_u32 v[17:18], null, 0xfe5163ab, v14, 0
	v_cmp_lt_u32_e32 vcc_lo, 63, v16
	v_cndmask_b32_e64 v13, 0, 0xffffffc0, vcc_lo
	v_mov_b32_e32 v0, v18
	v_add_nc_u32_e32 v13, v13, v16
	v_mad_u64_u32 v[18:19], null, 0x3c439041, v14, v[0:1]
	v_cmp_lt_u32_e64 s1, 31, v13
	v_mov_b32_e32 v0, v19
	v_mad_u64_u32 v[19:20], null, 0xdb629599, v14, v[0:1]
	v_mov_b32_e32 v0, v20
	v_cndmask_b32_e32 v17, v19, v17, vcc_lo
	v_mad_u64_u32 v[20:21], null, 0xf534ddc0, v14, v[0:1]
	v_mov_b32_e32 v0, v21
	v_mad_u64_u32 v[21:22], null, 0xfc2757d1, v14, v[0:1]
	v_mov_b32_e32 v0, v22
	v_cndmask_b32_e64 v22, 0, 0xffffffe0, s1
	v_mad_u64_u32 v[15:16], null, 0x4e441529, v14, v[0:1]
	v_mov_b32_e32 v0, v16
	v_add_nc_u32_e32 v16, v22, v13
	v_cndmask_b32_e32 v22, v15, v20, vcc_lo
	v_mad_u64_u32 v[13:14], null, 0xa2f9836e, v14, v[0:1]
	v_cmp_lt_u32_e64 s2, 31, v16
	v_cndmask_b32_e64 v0, 0, 0xffffffe0, s2
	v_cndmask_b32_e32 v13, v13, v21, vcc_lo
	v_cndmask_b32_e32 v14, v14, v15, vcc_lo
	;; [unrolled: 1-line block ×3, first 2 shown]
	v_add_nc_u32_e32 v0, v0, v16
	v_cndmask_b32_e32 v16, v20, v18, vcc_lo
	v_cndmask_b32_e64 v18, v13, v22, s1
	v_cndmask_b32_e64 v13, v14, v13, s1
	;; [unrolled: 1-line block ×3, first 2 shown]
	v_sub_nc_u32_e32 v20, 32, v0
	v_cndmask_b32_e64 v15, v15, v16, s1
	v_cmp_eq_u32_e32 vcc_lo, 0, v0
	v_cndmask_b32_e64 v13, v13, v18, s2
	v_cndmask_b32_e64 v18, v18, v14, s2
	;; [unrolled: 1-line block ×3, first 2 shown]
	v_alignbit_b32 v21, v13, v18, v20
	v_alignbit_b32 v19, v18, v14, v20
	v_cndmask_b32_e32 v0, v21, v13, vcc_lo
	v_cndmask_b32_e64 v13, v16, v17, s1
	v_cndmask_b32_e32 v16, v19, v18, vcc_lo
	v_bfe_u32 v17, v0, 29, 1
	v_cndmask_b32_e64 v13, v15, v13, s2
	v_alignbit_b32 v15, v0, v16, 30
	v_sub_nc_u32_e32 v18, 0, v17
	v_alignbit_b32 v19, v14, v13, v20
	v_xor_b32_e32 v15, v15, v18
	v_cndmask_b32_e32 v14, v19, v14, vcc_lo
	v_ffbh_u32_e32 v19, v15
	v_alignbit_b32 v16, v16, v14, 30
	v_alignbit_b32 v13, v14, v13, 30
	v_min_u32_e32 v19, 32, v19
	v_xor_b32_e32 v14, v16, v18
	v_xor_b32_e32 v13, v13, v18
	v_lshrrev_b32_e32 v18, 29, v0
	v_lshrrev_b32_e32 v0, 30, v0
	v_sub_nc_u32_e32 v16, 31, v19
	v_lshlrev_b32_e32 v20, 23, v19
	v_alignbit_b32 v15, v15, v14, v16
	v_alignbit_b32 v13, v14, v13, v16
	v_lshlrev_b32_e32 v14, 31, v18
	v_alignbit_b32 v16, v15, v13, 9
	v_or_b32_e32 v18, 0.5, v14
	v_lshrrev_b32_e32 v15, 9, v15
	v_or_b32_e32 v14, 0x33000000, v14
	v_ffbh_u32_e32 v21, v16
	v_sub_nc_u32_e32 v18, v18, v20
	v_min_u32_e32 v20, 32, v21
	v_or_b32_e32 v15, v15, v18
	v_not_b32_e32 v18, v20
	v_mul_f32_e32 v21, 0x3fc90fda, v15
	v_add_lshl_u32 v19, v20, v19, 23
	v_alignbit_b32 v13, v16, v13, v18
	v_fma_f32 v16, 0x3fc90fda, v15, -v21
	v_sub_nc_u32_e32 v14, v14, v19
	v_lshrrev_b32_e32 v13, 9, v13
	v_fmac_f32_e32 v16, 0x33a22168, v15
	v_add_nc_u32_e32 v15, v17, v0
                                        ; implicit-def: $vgpr0
	v_or_b32_e32 v13, v14, v13
	v_fmac_f32_e32 v16, 0x3fc90fda, v13
	v_add_f32_e32 v13, v21, v16
	s_andn2_saveexec_b32 s1, s37
	s_cbranch_execnz .LBB349_43
	s_branch .LBB349_44
.LBB349_42:                             ;   in Loop: Header=BB349_13 Depth=3
	s_andn2_saveexec_b32 s1, s37
.LBB349_43:                             ;   in Loop: Header=BB349_13 Depth=3
	v_fma_f32 v13, 0xbfc90fda, v0, |v11|
	v_cvt_i32_f32_e32 v15, v0
	v_fmac_f32_e32 v13, 0xb3a22168, v0
	v_fmac_f32_e32 v13, 0xa7c234c4, v0
.LBB349_44:                             ;   in Loop: Header=BB349_13 Depth=3
	s_or_b32 exec_lo, exec_lo, s1
	v_and_b32_e32 v14, 0x7fffffff, v5
	v_cmp_ngt_f32_e64 s37, 0x48000000, |v5|
                                        ; implicit-def: $vgpr17
                                        ; implicit-def: $vgpr16
	v_lshrrev_b32_e32 v0, 23, v14
	v_and_or_b32 v18, v14, s7, 0x800000
	v_add_nc_u32_e32 v19, 0xffffff88, v0
	s_and_saveexec_b32 s1, s37
	s_xor_b32 s38, exec_lo, s1
	s_cbranch_execz .LBB349_46
; %bb.45:                               ;   in Loop: Header=BB349_13 Depth=3
	v_mad_u64_u32 v[16:17], null, 0xfe5163ab, v18, 0
	v_cmp_lt_u32_e32 vcc_lo, 63, v19
	v_mov_b32_e32 v0, v17
	v_cndmask_b32_e64 v17, 0, 0xffffffc0, vcc_lo
	v_mad_u64_u32 v[20:21], null, 0x3c439041, v18, v[0:1]
	v_add_nc_u32_e32 v17, v17, v19
	v_cmp_lt_u32_e64 s1, 31, v17
	v_mov_b32_e32 v0, v21
	v_cndmask_b32_e64 v26, 0, 0xffffffe0, s1
	v_mad_u64_u32 v[21:22], null, 0xdb629599, v18, v[0:1]
	v_add_nc_u32_e32 v17, v26, v17
	v_mov_b32_e32 v0, v22
	v_cmp_lt_u32_e64 s2, 31, v17
	v_cndmask_b32_e32 v16, v21, v16, vcc_lo
	v_mad_u64_u32 v[22:23], null, 0xf534ddc0, v18, v[0:1]
	v_mov_b32_e32 v0, v23
	v_mad_u64_u32 v[23:24], null, 0xfc2757d1, v18, v[0:1]
	v_mov_b32_e32 v0, v24
	;; [unrolled: 2-line block ×3, first 2 shown]
	v_cndmask_b32_e32 v27, v24, v22, vcc_lo
	v_mad_u64_u32 v[25:26], null, 0xa2f9836e, v18, v[0:1]
	v_cndmask_b32_e64 v0, 0, 0xffffffe0, s2
	v_add_nc_u32_e32 v0, v0, v17
	v_cndmask_b32_e32 v25, v25, v23, vcc_lo
	v_cndmask_b32_e32 v24, v26, v24, vcc_lo
	;; [unrolled: 1-line block ×4, first 2 shown]
	v_cmp_eq_u32_e32 vcc_lo, 0, v0
	v_cndmask_b32_e64 v20, v25, v27, s1
	v_cndmask_b32_e64 v22, v24, v25, s1
	;; [unrolled: 1-line block ×3, first 2 shown]
	v_sub_nc_u32_e32 v25, 32, v0
	v_cndmask_b32_e64 v23, v23, v17, s1
	v_cndmask_b32_e64 v16, v17, v16, s1
	v_cndmask_b32_e64 v22, v22, v20, s2
	v_cndmask_b32_e64 v20, v20, v24, s2
	v_cndmask_b32_e64 v24, v24, v23, s2
	v_cndmask_b32_e64 v16, v23, v16, s2
	v_alignbit_b32 v26, v22, v20, v25
	v_alignbit_b32 v21, v20, v24, v25
	;; [unrolled: 1-line block ×3, first 2 shown]
	v_cndmask_b32_e32 v0, v26, v22, vcc_lo
	v_cndmask_b32_e32 v17, v21, v20, vcc_lo
	;; [unrolled: 1-line block ×3, first 2 shown]
	v_bfe_u32 v20, v0, 29, 1
	v_alignbit_b32 v21, v0, v17, 30
	v_alignbit_b32 v17, v17, v23, 30
	;; [unrolled: 1-line block ×3, first 2 shown]
	v_sub_nc_u32_e32 v22, 0, v20
	v_xor_b32_e32 v21, v21, v22
	v_xor_b32_e32 v17, v17, v22
	;; [unrolled: 1-line block ×3, first 2 shown]
	v_lshrrev_b32_e32 v22, 29, v0
	v_lshrrev_b32_e32 v0, 30, v0
	v_ffbh_u32_e32 v24, v21
	v_min_u32_e32 v24, 32, v24
	v_sub_nc_u32_e32 v23, 31, v24
	v_lshlrev_b32_e32 v25, 23, v24
	v_alignbit_b32 v21, v21, v17, v23
	v_alignbit_b32 v16, v17, v16, v23
	v_lshlrev_b32_e32 v17, 31, v22
	v_alignbit_b32 v22, v21, v16, 9
	v_or_b32_e32 v23, 0.5, v17
	v_lshrrev_b32_e32 v21, 9, v21
	v_or_b32_e32 v17, 0x33000000, v17
	v_ffbh_u32_e32 v26, v22
	v_sub_nc_u32_e32 v23, v23, v25
	v_min_u32_e32 v25, 32, v26
	v_or_b32_e32 v21, v21, v23
	v_not_b32_e32 v23, v25
	v_mul_f32_e32 v26, 0x3fc90fda, v21
	v_add_lshl_u32 v24, v25, v24, 23
	v_alignbit_b32 v16, v22, v16, v23
	v_fma_f32 v22, 0x3fc90fda, v21, -v26
	v_sub_nc_u32_e32 v17, v17, v24
	v_lshrrev_b32_e32 v16, 9, v16
	v_fmac_f32_e32 v22, 0x33a22168, v21
	v_or_b32_e32 v16, v17, v16
	v_add_nc_u32_e32 v17, v20, v0
	v_fmac_f32_e32 v22, 0x3fc90fda, v16
	v_add_f32_e32 v16, v26, v22
.LBB349_46:                             ;   in Loop: Header=BB349_13 Depth=3
	s_or_saveexec_b32 s1, s38
	v_mul_f32_e64 v0, 0x3f22f983, |v5|
	v_rndne_f32_e32 v21, v0
	s_xor_b32 exec_lo, exec_lo, s1
; %bb.47:                               ;   in Loop: Header=BB349_13 Depth=3
	v_fma_f32 v16, 0xbfc90fda, v21, |v5|
	v_cvt_i32_f32_e32 v17, v21
	v_fmac_f32_e32 v16, 0xb3a22168, v21
	v_fmac_f32_e32 v16, 0xa7c234c4, v21
; %bb.48:                               ;   in Loop: Header=BB349_13 Depth=3
	s_or_b32 exec_lo, exec_lo, s1
                                        ; implicit-def: $vgpr20
                                        ; implicit-def: $vgpr0
	s_and_saveexec_b32 s1, s37
	s_xor_b32 s37, exec_lo, s1
	s_cbranch_execz .LBB349_50
; %bb.49:                               ;   in Loop: Header=BB349_13 Depth=3
	v_mad_u64_u32 v[20:21], null, 0xfe5163ab, v18, 0
	v_cmp_lt_u32_e32 vcc_lo, 63, v19
	v_cndmask_b32_e64 v26, 0, 0xffffffc0, vcc_lo
	v_mov_b32_e32 v0, v21
	v_add_nc_u32_e32 v19, v26, v19
	v_mad_u64_u32 v[21:22], null, 0x3c439041, v18, v[0:1]
	v_cmp_lt_u32_e64 s1, 31, v19
	v_mov_b32_e32 v0, v22
	v_cndmask_b32_e64 v27, 0, 0xffffffe0, s1
	v_mad_u64_u32 v[22:23], null, 0xdb629599, v18, v[0:1]
	v_mov_b32_e32 v0, v23
	v_cndmask_b32_e32 v20, v22, v20, vcc_lo
	v_mad_u64_u32 v[23:24], null, 0xf534ddc0, v18, v[0:1]
	v_mov_b32_e32 v0, v24
	v_cndmask_b32_e32 v21, v23, v21, vcc_lo
	v_mad_u64_u32 v[24:25], null, 0xfc2757d1, v18, v[0:1]
	v_mov_b32_e32 v0, v25
	v_mad_u64_u32 v[25:26], null, 0x4e441529, v18, v[0:1]
	v_mov_b32_e32 v0, v26
	v_add_nc_u32_e32 v26, v27, v19
	v_cndmask_b32_e32 v27, v25, v23, vcc_lo
	v_mad_u64_u32 v[18:19], null, 0xa2f9836e, v18, v[0:1]
	v_cmp_lt_u32_e64 s2, 31, v26
	v_cndmask_b32_e64 v0, 0, 0xffffffe0, s2
	v_cndmask_b32_e32 v18, v18, v24, vcc_lo
	v_cndmask_b32_e32 v19, v19, v25, vcc_lo
	;; [unrolled: 1-line block ×3, first 2 shown]
	v_add_nc_u32_e32 v0, v0, v26
	v_cndmask_b32_e64 v23, v18, v27, s1
	v_cndmask_b32_e64 v18, v19, v18, s1
	;; [unrolled: 1-line block ×4, first 2 shown]
	v_sub_nc_u32_e32 v25, 32, v0
	v_cmp_eq_u32_e32 vcc_lo, 0, v0
	v_cndmask_b32_e64 v18, v18, v23, s2
	v_cndmask_b32_e64 v23, v23, v19, s2
	;; [unrolled: 1-line block ×3, first 2 shown]
	v_alignbit_b32 v26, v18, v23, v25
	v_alignbit_b32 v22, v23, v19, v25
	v_cndmask_b32_e32 v0, v26, v18, vcc_lo
	v_cndmask_b32_e64 v18, v21, v20, s1
	v_cndmask_b32_e32 v20, v22, v23, vcc_lo
	v_bfe_u32 v21, v0, 29, 1
	v_cndmask_b32_e64 v18, v24, v18, s2
	v_alignbit_b32 v22, v0, v20, 30
	v_sub_nc_u32_e32 v23, 0, v21
	v_alignbit_b32 v24, v19, v18, v25
	v_xor_b32_e32 v22, v22, v23
	v_cndmask_b32_e32 v19, v24, v19, vcc_lo
	v_ffbh_u32_e32 v24, v22
	v_alignbit_b32 v20, v20, v19, 30
	v_alignbit_b32 v18, v19, v18, 30
	v_min_u32_e32 v24, 32, v24
	v_xor_b32_e32 v19, v20, v23
	v_xor_b32_e32 v18, v18, v23
	v_lshrrev_b32_e32 v23, 29, v0
	v_sub_nc_u32_e32 v20, 31, v24
	v_lshlrev_b32_e32 v25, 23, v24
	v_alignbit_b32 v22, v22, v19, v20
	v_alignbit_b32 v18, v19, v18, v20
	v_lshlrev_b32_e32 v19, 31, v23
	v_alignbit_b32 v20, v22, v18, 9
	v_or_b32_e32 v23, 0.5, v19
	v_lshrrev_b32_e32 v22, 9, v22
	v_or_b32_e32 v19, 0x33000000, v19
	v_ffbh_u32_e32 v26, v20
	v_sub_nc_u32_e32 v23, v23, v25
	v_min_u32_e32 v25, 32, v26
	v_or_b32_e32 v22, v22, v23
	v_not_b32_e32 v23, v25
	v_mul_f32_e32 v26, 0x3fc90fda, v22
	v_add_lshl_u32 v24, v25, v24, 23
	v_alignbit_b32 v18, v20, v18, v23
	v_fma_f32 v20, 0x3fc90fda, v22, -v26
	v_sub_nc_u32_e32 v19, v19, v24
	v_lshrrev_b32_e32 v18, 9, v18
	v_fmac_f32_e32 v20, 0x33a22168, v22
	v_or_b32_e32 v18, v19, v18
	v_fmac_f32_e32 v20, 0x3fc90fda, v18
	v_lshrrev_b32_e32 v18, 30, v0
	v_add_f32_e32 v0, v26, v20
	v_add_nc_u32_e32 v20, v21, v18
                                        ; implicit-def: $vgpr21
	s_andn2_saveexec_b32 s1, s37
	s_cbranch_execnz .LBB349_51
	s_branch .LBB349_52
.LBB349_50:                             ;   in Loop: Header=BB349_13 Depth=3
	s_andn2_saveexec_b32 s1, s37
.LBB349_51:                             ;   in Loop: Header=BB349_13 Depth=3
	v_fma_f32 v0, 0xbfc90fda, v21, |v5|
	v_cvt_i32_f32_e32 v20, v21
	v_fmac_f32_e32 v0, 0xb3a22168, v21
	v_fmac_f32_e32 v0, 0xa7c234c4, v21
.LBB349_52:                             ;   in Loop: Header=BB349_13 Depth=3
	s_or_b32 exec_lo, exec_lo, s1
	v_mul_f32_e32 v18, v6, v6
	v_mul_f32_e32 v21, v13, v13
	v_xor_b32_e32 v4, v4, v12
	v_lshlrev_b32_e32 v19, 30, v7
	v_and_b32_e32 v7, 1, v7
	v_fmaak_f32 v22, s24, v18, 0x3c0881c4
	v_fmaak_f32 v23, s22, v18, 0xbab64f3b
	;; [unrolled: 1-line block ×4, first 2 shown]
	v_and_b32_e32 v25, 1, v15
	v_fmaak_f32 v22, v18, v22, 0xbe2aaa9d
	v_fmaak_f32 v23, v18, v23, 0x3d2aabf7
	;; [unrolled: 1-line block ×4, first 2 shown]
	v_cmp_eq_u32_e32 vcc_lo, 0, v7
	v_mul_f32_e32 v22, v18, v22
	v_fmaak_f32 v23, v18, v23, 0xbf000004
	v_mul_f32_e32 v12, v21, v12
	v_fmaak_f32 v24, v21, v24, 0xbf000004
	v_lshlrev_b32_e32 v15, 30, v15
	v_fmac_f32_e32 v6, v6, v22
	v_fma_f32 v18, v18, v23, 1.0
	v_and_b32_e32 v19, 0x80000000, v19
	v_fmac_f32_e32 v13, v13, v12
	v_fma_f32 v12, v21, v24, 1.0
	v_mul_f32_e32 v7, v16, v16
	v_cndmask_b32_e32 v6, v18, v6, vcc_lo
	v_cmp_eq_u32_e32 vcc_lo, 0, v25
	v_mul_f32_e32 v18, v0, v0
	v_lshlrev_b32_e32 v22, 30, v17
	v_and_b32_e32 v17, 1, v17
	v_xor3_b32 v4, v4, v19, v6
	v_cndmask_b32_e64 v12, -v13, v12, vcc_lo
	v_and_b32_e32 v6, 0x80000000, v15
	v_fmaak_f32 v13, s24, v7, 0x3c0881c4
	v_fmaak_f32 v15, s22, v7, 0xbab64f3b
	;; [unrolled: 1-line block ×4, first 2 shown]
	v_cmp_eq_u32_e32 vcc_lo, 0, v17
	v_fmaak_f32 v13, v7, v13, 0xbe2aaa9d
	v_fmaak_f32 v15, v7, v15, 0x3d2aabf7
	v_fmaak_f32 v19, v18, v19, 0xbe2aaa9d
	v_fmaak_f32 v21, v18, v21, 0x3d2aabf7
	v_and_b32_e32 v22, 0x80000000, v22
	v_mul_f32_e32 v13, v7, v13
	v_fmaak_f32 v15, v7, v15, 0xbf000004
	v_mul_f32_e32 v19, v18, v19
	v_fmaak_f32 v21, v18, v21, 0xbf000004
	v_xor_b32_e32 v14, v14, v5
	v_fmac_f32_e32 v16, v16, v13
	v_fma_f32 v7, v7, v15, 1.0
	v_and_b32_e32 v15, 1, v20
	v_fmac_f32_e32 v0, v0, v19
	v_fma_f32 v13, v18, v21, 1.0
	v_lshlrev_b32_e32 v18, 30, v20
	v_cndmask_b32_e32 v7, v7, v16, vcc_lo
	v_cmp_eq_u32_e32 vcc_lo, 0, v15
	v_xor_b32_e32 v6, v6, v12
	v_cmp_class_f32_e64 s1, v5, 0x1f8
	v_xor3_b32 v7, v14, v22, v7
	v_cndmask_b32_e64 v0, -v0, v13, vcc_lo
	v_and_b32_e32 v13, 0x80000000, v18
	v_cmp_class_f32_e64 vcc_lo, v11, 0x1f8
	v_xor_b32_e32 v0, v13, v0
	v_cndmask_b32_e32 v5, 0x7fc00000, v6, vcc_lo
	v_cndmask_b32_e32 v4, 0x7fc00000, v4, vcc_lo
	v_cndmask_b32_e64 v6, 0x7fc00000, v7, s1
	v_cndmask_b32_e64 v0, 0x7fc00000, v0, s1
	v_mul_f32_e32 v7, 0x7f800000, v5
	v_cmp_neq_f32_e32 vcc_lo, 0, v5
	v_mul_f32_e32 v12, 0x7f800000, v6
	v_mul_f32_e32 v11, 0x7f800000, v0
	v_cndmask_b32_e32 v5, 0, v7, vcc_lo
	v_cmp_neq_f32_e32 vcc_lo, 0, v0
	v_mul_f32_e32 v7, 0x7f800000, v4
	v_cndmask_b32_e32 v0, 0, v11, vcc_lo
	v_cmp_neq_f32_e32 vcc_lo, 0, v4
	v_add_f32_e32 v5, v5, v0
	v_cndmask_b32_e32 v4, 0, v7, vcc_lo
	v_cmp_neq_f32_e32 vcc_lo, 0, v6
	v_add_f32_e32 v13, -1.0, v5
	v_cndmask_b32_e32 v6, 0, v12, vcc_lo
	v_add_f32_e32 v0, v4, v6
	v_max_f32_e64 v6, |v13|, |v0|
	v_cvt_f64_f32_e32 v[4:5], v6
	v_cmp_eq_f32_e32 vcc_lo, 0x7f800000, v6
	v_frexp_exp_i32_f64_e32 v4, v[4:5]
	v_sub_nc_u32_e32 v5, 0, v4
	v_ldexp_f32 v7, |v0|, v5
	v_ldexp_f32 v5, |v13|, v5
	v_mul_f32_e32 v7, v7, v7
	v_fmac_f32_e32 v7, v5, v5
	v_sqrt_f32_e32 v5, v7
	v_ldexp_f32 v5, v5, v4
	v_add_f32_e32 v4, 1.0, v13
	v_cmp_ngt_f32_e64 s1, 0.5, v5
	v_max_f32_e64 v5, |v4|, |v0|
	s_or_b32 s1, vcc_lo, s1
	s_and_saveexec_b32 s2, s1
	s_xor_b32 s2, exec_lo, s2
	s_cbranch_execz .LBB349_54
; %bb.53:                               ;   in Loop: Header=BB349_13 Depth=3
	v_cvt_f64_f32_e32 v[6:7], v5
	v_cmp_neq_f32_e32 vcc_lo, 0x7f800000, v5
	v_frexp_exp_i32_f64_e32 v6, v[6:7]
	v_sub_nc_u32_e32 v7, 0, v6
	v_ldexp_f32 v11, |v0|, v7
	v_ldexp_f32 v7, |v4|, v7
	v_mul_f32_e32 v11, v11, v11
	v_fmac_f32_e32 v11, v7, v7
	v_sqrt_f32_e32 v7, v11
	v_ldexp_f32 v6, v7, v6
	v_cndmask_b32_e32 v6, 0x7f800000, v6, vcc_lo
	v_cmp_gt_f32_e32 vcc_lo, 0x800000, v6
	v_cndmask_b32_e64 v7, 0, 32, vcc_lo
	v_ldexp_f32 v6, v6, v7
	v_log_f32_e32 v6, v6
	v_mul_f32_e32 v7, 0x3f317217, v6
	v_cmp_gt_f32_e64 s1, 0x7f800000, |v6|
	v_fma_f32 v7, 0x3f317217, v6, -v7
	v_fmac_f32_e32 v7, 0x3377d1cf, v6
	v_fmac_f32_e32 v7, 0x3f317217, v6
	v_cndmask_b32_e64 v6, v6, v7, s1
	v_cndmask_b32_e64 v7, 0, 0x41b17218, vcc_lo
	v_sub_f32_e32 v13, v6, v7
.LBB349_54:                             ;   in Loop: Header=BB349_13 Depth=3
	s_andn2_saveexec_b32 s1, s2
	s_cbranch_execz .LBB349_9
; %bb.55:                               ;   in Loop: Header=BB349_13 Depth=3
	v_add_f32_e32 v6, 2.0, v13
	s_mov_b32 s2, exec_lo
	v_mul_f32_e32 v6, v13, v6
	v_fmac_f32_e32 v6, v0, v0
	v_cmpx_neq_f32_e32 0, v6
	s_cbranch_execz .LBB349_8
; %bb.56:                               ;   in Loop: Header=BB349_13 Depth=3
	v_add_f32_e32 v7, 1.0, v6
	v_cvt_f64_f32_e32 v[11:12], v7
	v_frexp_exp_i32_f64_e32 v11, v[11:12]
	v_frexp_mant_f32_e32 v12, v7
	v_cmp_gt_f32_e32 vcc_lo, 0x3f2aaaab, v12
	v_add_f32_e32 v12, -1.0, v7
	v_sub_f32_e32 v14, v12, v7
	v_sub_f32_e32 v12, v6, v12
	v_add_f32_e32 v14, 1.0, v14
	v_add_f32_e32 v12, v12, v14
	v_subrev_co_ci_u32_e64 v11, null, 0, v11, vcc_lo
	v_cmp_neq_f32_e32 vcc_lo, 0x7f800000, v6
	v_sub_nc_u32_e32 v13, 0, v11
	v_cvt_f32_i32_e32 v11, v11
	v_ldexp_f32 v7, v7, v13
	v_ldexp_f32 v12, v12, v13
	v_add_f32_e32 v15, 1.0, v7
	v_add_f32_e32 v13, -1.0, v7
	v_add_f32_e32 v14, -1.0, v15
	v_add_f32_e32 v16, 1.0, v13
	v_sub_f32_e32 v14, v7, v14
	v_sub_f32_e32 v7, v7, v16
	v_add_f32_e32 v14, v12, v14
	v_add_f32_e32 v7, v12, v7
	;; [unrolled: 1-line block ×4, first 2 shown]
	v_rcp_f32_e32 v12, v16
	v_sub_f32_e32 v15, v16, v15
	v_sub_f32_e32 v13, v17, v13
	;; [unrolled: 1-line block ×4, first 2 shown]
	v_mul_f32_e32 v18, v17, v12
	v_mul_f32_e32 v19, v16, v18
	v_fma_f32 v15, v18, v16, -v19
	v_fmac_f32_e32 v15, v18, v14
	v_add_f32_e32 v20, v19, v15
	v_sub_f32_e32 v21, v17, v20
	v_sub_f32_e32 v13, v20, v19
	;; [unrolled: 1-line block ×5, first 2 shown]
	v_add_f32_e32 v7, v7, v17
	v_add_f32_e32 v7, v13, v7
	;; [unrolled: 1-line block ×3, first 2 shown]
	v_mul_f32_e32 v15, v12, v13
	v_sub_f32_e32 v20, v21, v13
	v_mul_f32_e32 v17, v16, v15
	v_add_f32_e32 v7, v7, v20
	v_fma_f32 v16, v15, v16, -v17
	v_fmac_f32_e32 v16, v15, v14
	v_add_f32_e32 v14, v17, v16
	v_sub_f32_e32 v19, v13, v14
	v_sub_f32_e32 v17, v14, v17
	;; [unrolled: 1-line block ×5, first 2 shown]
	v_add_f32_e32 v7, v7, v13
	v_add_f32_e32 v13, v18, v15
	;; [unrolled: 1-line block ×3, first 2 shown]
	v_sub_f32_e32 v14, v13, v18
	v_add_f32_e32 v7, v19, v7
	v_sub_f32_e32 v14, v15, v14
	v_mul_f32_e32 v7, v12, v7
	v_add_f32_e32 v7, v14, v7
	v_add_f32_e32 v12, v13, v7
	v_mul_f32_e32 v14, v12, v12
	v_fmaak_f32 v15, s25, v14, 0x3ecc95a3
	v_mul_f32_e32 v16, v12, v14
	v_fmaak_f32 v14, v14, v15, 0x3f2aaada
	v_ldexp_f32 v15, v12, 1
	v_sub_f32_e32 v12, v12, v13
	v_mul_f32_e32 v14, v16, v14
	v_mul_f32_e32 v16, 0x3f317218, v11
	v_sub_f32_e32 v7, v7, v12
	v_add_f32_e32 v13, v15, v14
	v_ldexp_f32 v7, v7, 1
	v_sub_f32_e32 v12, v13, v15
	v_fma_f32 v15, 0x3f317218, v11, -v16
	v_sub_f32_e32 v12, v14, v12
	v_fmac_f32_e32 v15, 0xb102e308, v11
	v_add_f32_e32 v7, v7, v12
	v_add_f32_e32 v11, v16, v15
	;; [unrolled: 1-line block ×3, first 2 shown]
	v_sub_f32_e32 v16, v11, v16
	v_add_f32_e32 v14, v11, v12
	v_sub_f32_e32 v13, v12, v13
	v_sub_f32_e32 v15, v15, v16
	;; [unrolled: 1-line block ×6, first 2 shown]
	v_add_f32_e32 v13, v15, v7
	v_sub_f32_e32 v11, v11, v18
	v_add_f32_e32 v11, v12, v11
	v_sub_f32_e32 v12, v13, v15
	;; [unrolled: 2-line block ×3, first 2 shown]
	v_sub_f32_e32 v7, v7, v12
	v_add_f32_e32 v16, v14, v11
	v_sub_f32_e32 v13, v15, v13
	v_sub_f32_e32 v12, v16, v14
	v_add_f32_e32 v7, v7, v13
	v_sub_f32_e32 v11, v11, v12
	v_add_f32_e32 v7, v7, v11
	v_add_f32_e32 v7, v16, v7
	v_cndmask_b32_e32 v7, 0x7f800000, v7, vcc_lo
	v_cmp_ngt_f32_e32 vcc_lo, -1.0, v6
	v_cndmask_b32_e32 v7, 0x7fc00000, v7, vcc_lo
	v_cmp_neq_f32_e32 vcc_lo, -1.0, v6
	v_cndmask_b32_e32 v7, 0xff800000, v7, vcc_lo
	v_cmp_gt_f32_e64 vcc_lo, 0x33800000, |v6|
	v_cndmask_b32_e32 v6, v7, v6, vcc_lo
	v_mul_f32_e32 v13, 0.5, v6
	s_branch .LBB349_8
.LBB349_57:
	s_endpgm
	.section	.rodata,"a",@progbits
	.p2align	6, 0x0
	.amdhsa_kernel _ZN2at6native28tensor_kernel_scan_outer_dimIN3c107complexIfEEmZZZNS0_31launch_logcumsumexp_cuda_kernelERKNS_10TensorBaseES7_lENKUlvE_clEvENKUlvE2_clEvEUlS4_S4_E_EEvPT_PKSB_jjjSB_T1_
		.amdhsa_group_segment_fixed_size 0
		.amdhsa_private_segment_fixed_size 0
		.amdhsa_kernarg_size 304
		.amdhsa_user_sgpr_count 6
		.amdhsa_user_sgpr_private_segment_buffer 1
		.amdhsa_user_sgpr_dispatch_ptr 0
		.amdhsa_user_sgpr_queue_ptr 0
		.amdhsa_user_sgpr_kernarg_segment_ptr 1
		.amdhsa_user_sgpr_dispatch_id 0
		.amdhsa_user_sgpr_flat_scratch_init 0
		.amdhsa_user_sgpr_private_segment_size 0
		.amdhsa_wavefront_size32 1
		.amdhsa_uses_dynamic_stack 0
		.amdhsa_system_sgpr_private_segment_wavefront_offset 0
		.amdhsa_system_sgpr_workgroup_id_x 1
		.amdhsa_system_sgpr_workgroup_id_y 1
		.amdhsa_system_sgpr_workgroup_id_z 0
		.amdhsa_system_sgpr_workgroup_info 0
		.amdhsa_system_vgpr_workitem_id 0
		.amdhsa_next_free_vgpr 28
		.amdhsa_next_free_sgpr 39
		.amdhsa_reserve_vcc 1
		.amdhsa_reserve_flat_scratch 0
		.amdhsa_float_round_mode_32 0
		.amdhsa_float_round_mode_16_64 0
		.amdhsa_float_denorm_mode_32 3
		.amdhsa_float_denorm_mode_16_64 3
		.amdhsa_dx10_clamp 1
		.amdhsa_ieee_mode 1
		.amdhsa_fp16_overflow 0
		.amdhsa_workgroup_processor_mode 1
		.amdhsa_memory_ordered 1
		.amdhsa_forward_progress 1
		.amdhsa_shared_vgpr_count 0
		.amdhsa_exception_fp_ieee_invalid_op 0
		.amdhsa_exception_fp_denorm_src 0
		.amdhsa_exception_fp_ieee_div_zero 0
		.amdhsa_exception_fp_ieee_overflow 0
		.amdhsa_exception_fp_ieee_underflow 0
		.amdhsa_exception_fp_ieee_inexact 0
		.amdhsa_exception_int_div_zero 0
	.end_amdhsa_kernel
	.section	.text._ZN2at6native28tensor_kernel_scan_outer_dimIN3c107complexIfEEmZZZNS0_31launch_logcumsumexp_cuda_kernelERKNS_10TensorBaseES7_lENKUlvE_clEvENKUlvE2_clEvEUlS4_S4_E_EEvPT_PKSB_jjjSB_T1_,"axG",@progbits,_ZN2at6native28tensor_kernel_scan_outer_dimIN3c107complexIfEEmZZZNS0_31launch_logcumsumexp_cuda_kernelERKNS_10TensorBaseES7_lENKUlvE_clEvENKUlvE2_clEvEUlS4_S4_E_EEvPT_PKSB_jjjSB_T1_,comdat
.Lfunc_end349:
	.size	_ZN2at6native28tensor_kernel_scan_outer_dimIN3c107complexIfEEmZZZNS0_31launch_logcumsumexp_cuda_kernelERKNS_10TensorBaseES7_lENKUlvE_clEvENKUlvE2_clEvEUlS4_S4_E_EEvPT_PKSB_jjjSB_T1_, .Lfunc_end349-_ZN2at6native28tensor_kernel_scan_outer_dimIN3c107complexIfEEmZZZNS0_31launch_logcumsumexp_cuda_kernelERKNS_10TensorBaseES7_lENKUlvE_clEvENKUlvE2_clEvEUlS4_S4_E_EEvPT_PKSB_jjjSB_T1_
                                        ; -- End function
	.set _ZN2at6native28tensor_kernel_scan_outer_dimIN3c107complexIfEEmZZZNS0_31launch_logcumsumexp_cuda_kernelERKNS_10TensorBaseES7_lENKUlvE_clEvENKUlvE2_clEvEUlS4_S4_E_EEvPT_PKSB_jjjSB_T1_.num_vgpr, 28
	.set _ZN2at6native28tensor_kernel_scan_outer_dimIN3c107complexIfEEmZZZNS0_31launch_logcumsumexp_cuda_kernelERKNS_10TensorBaseES7_lENKUlvE_clEvENKUlvE2_clEvEUlS4_S4_E_EEvPT_PKSB_jjjSB_T1_.num_agpr, 0
	.set _ZN2at6native28tensor_kernel_scan_outer_dimIN3c107complexIfEEmZZZNS0_31launch_logcumsumexp_cuda_kernelERKNS_10TensorBaseES7_lENKUlvE_clEvENKUlvE2_clEvEUlS4_S4_E_EEvPT_PKSB_jjjSB_T1_.numbered_sgpr, 39
	.set _ZN2at6native28tensor_kernel_scan_outer_dimIN3c107complexIfEEmZZZNS0_31launch_logcumsumexp_cuda_kernelERKNS_10TensorBaseES7_lENKUlvE_clEvENKUlvE2_clEvEUlS4_S4_E_EEvPT_PKSB_jjjSB_T1_.num_named_barrier, 0
	.set _ZN2at6native28tensor_kernel_scan_outer_dimIN3c107complexIfEEmZZZNS0_31launch_logcumsumexp_cuda_kernelERKNS_10TensorBaseES7_lENKUlvE_clEvENKUlvE2_clEvEUlS4_S4_E_EEvPT_PKSB_jjjSB_T1_.private_seg_size, 0
	.set _ZN2at6native28tensor_kernel_scan_outer_dimIN3c107complexIfEEmZZZNS0_31launch_logcumsumexp_cuda_kernelERKNS_10TensorBaseES7_lENKUlvE_clEvENKUlvE2_clEvEUlS4_S4_E_EEvPT_PKSB_jjjSB_T1_.uses_vcc, 1
	.set _ZN2at6native28tensor_kernel_scan_outer_dimIN3c107complexIfEEmZZZNS0_31launch_logcumsumexp_cuda_kernelERKNS_10TensorBaseES7_lENKUlvE_clEvENKUlvE2_clEvEUlS4_S4_E_EEvPT_PKSB_jjjSB_T1_.uses_flat_scratch, 0
	.set _ZN2at6native28tensor_kernel_scan_outer_dimIN3c107complexIfEEmZZZNS0_31launch_logcumsumexp_cuda_kernelERKNS_10TensorBaseES7_lENKUlvE_clEvENKUlvE2_clEvEUlS4_S4_E_EEvPT_PKSB_jjjSB_T1_.has_dyn_sized_stack, 0
	.set _ZN2at6native28tensor_kernel_scan_outer_dimIN3c107complexIfEEmZZZNS0_31launch_logcumsumexp_cuda_kernelERKNS_10TensorBaseES7_lENKUlvE_clEvENKUlvE2_clEvEUlS4_S4_E_EEvPT_PKSB_jjjSB_T1_.has_recursion, 0
	.set _ZN2at6native28tensor_kernel_scan_outer_dimIN3c107complexIfEEmZZZNS0_31launch_logcumsumexp_cuda_kernelERKNS_10TensorBaseES7_lENKUlvE_clEvENKUlvE2_clEvEUlS4_S4_E_EEvPT_PKSB_jjjSB_T1_.has_indirect_call, 0
	.section	.AMDGPU.csdata,"",@progbits
; Kernel info:
; codeLenInByte = 7316
; TotalNumSgprs: 41
; NumVgprs: 28
; ScratchSize: 0
; MemoryBound: 0
; FloatMode: 240
; IeeeMode: 1
; LDSByteSize: 0 bytes/workgroup (compile time only)
; SGPRBlocks: 0
; VGPRBlocks: 3
; NumSGPRsForWavesPerEU: 41
; NumVGPRsForWavesPerEU: 28
; Occupancy: 16
; WaveLimiterHint : 0
; COMPUTE_PGM_RSRC2:SCRATCH_EN: 0
; COMPUTE_PGM_RSRC2:USER_SGPR: 6
; COMPUTE_PGM_RSRC2:TRAP_HANDLER: 0
; COMPUTE_PGM_RSRC2:TGID_X_EN: 1
; COMPUTE_PGM_RSRC2:TGID_Y_EN: 1
; COMPUTE_PGM_RSRC2:TGID_Z_EN: 0
; COMPUTE_PGM_RSRC2:TIDIG_COMP_CNT: 0
	.section	.text._ZN7rocprim17ROCPRIM_400000_NS6detail31init_lookback_scan_state_kernelINS1_19lookback_scan_stateIN3c104HalfELb0ELb1EEENS1_16block_id_wrapperIjLb0EEEEEvT_jT0_jPNS9_10value_typeE,"axG",@progbits,_ZN7rocprim17ROCPRIM_400000_NS6detail31init_lookback_scan_state_kernelINS1_19lookback_scan_stateIN3c104HalfELb0ELb1EEENS1_16block_id_wrapperIjLb0EEEEEvT_jT0_jPNS9_10value_typeE,comdat
	.protected	_ZN7rocprim17ROCPRIM_400000_NS6detail31init_lookback_scan_state_kernelINS1_19lookback_scan_stateIN3c104HalfELb0ELb1EEENS1_16block_id_wrapperIjLb0EEEEEvT_jT0_jPNS9_10value_typeE ; -- Begin function _ZN7rocprim17ROCPRIM_400000_NS6detail31init_lookback_scan_state_kernelINS1_19lookback_scan_stateIN3c104HalfELb0ELb1EEENS1_16block_id_wrapperIjLb0EEEEEvT_jT0_jPNS9_10value_typeE
	.globl	_ZN7rocprim17ROCPRIM_400000_NS6detail31init_lookback_scan_state_kernelINS1_19lookback_scan_stateIN3c104HalfELb0ELb1EEENS1_16block_id_wrapperIjLb0EEEEEvT_jT0_jPNS9_10value_typeE
	.p2align	8
	.type	_ZN7rocprim17ROCPRIM_400000_NS6detail31init_lookback_scan_state_kernelINS1_19lookback_scan_stateIN3c104HalfELb0ELb1EEENS1_16block_id_wrapperIjLb0EEEEEvT_jT0_jPNS9_10value_typeE,@function
_ZN7rocprim17ROCPRIM_400000_NS6detail31init_lookback_scan_state_kernelINS1_19lookback_scan_stateIN3c104HalfELb0ELb1EEENS1_16block_id_wrapperIjLb0EEEEEvT_jT0_jPNS9_10value_typeE: ; @_ZN7rocprim17ROCPRIM_400000_NS6detail31init_lookback_scan_state_kernelINS1_19lookback_scan_stateIN3c104HalfELb0ELb1EEENS1_16block_id_wrapperIjLb0EEEEEvT_jT0_jPNS9_10value_typeE
; %bb.0:
	s_clause 0x3
	s_load_dword s8, s[4:5], 0x2c
	s_load_dwordx2 s[2:3], s[4:5], 0x18
	s_load_dwordx2 s[0:1], s[4:5], 0x0
	s_load_dword s7, s[4:5], 0x8
	s_waitcnt lgkmcnt(0)
	s_and_b32 s8, s8, 0xffff
	s_cmp_eq_u64 s[2:3], 0
	v_mad_u64_u32 v[0:1], null, s6, s8, v[0:1]
	s_cbranch_scc1 .LBB350_6
; %bb.1:
	s_load_dword s4, s[4:5], 0x10
	s_waitcnt lgkmcnt(0)
	s_cmp_lt_u32 s4, s7
	s_cselect_b32 s5, s4, 0
	v_cmp_eq_u32_e32 vcc_lo, s5, v0
	s_mov_b32 s5, 0
	s_and_saveexec_b32 s6, vcc_lo
	s_cbranch_execz .LBB350_5
; %bb.2:
	s_add_i32 s4, s4, 32
	v_mov_b32_e32 v2, 0
	s_lshl_b64 s[4:5], s[4:5], 2
	s_add_u32 s4, s0, s4
	s_addc_u32 s5, s1, s5
	global_load_dword v1, v2, s[4:5] glc dlc
	s_waitcnt vmcnt(0)
	v_and_b32_e32 v3, 0xff0000, v1
	v_cmp_ne_u32_e32 vcc_lo, 0, v3
	s_cbranch_vccnz .LBB350_4
.LBB350_3:                              ; =>This Inner Loop Header: Depth=1
	global_load_dword v1, v2, s[4:5] glc dlc
	s_waitcnt vmcnt(0)
	v_and_b32_e32 v3, 0xff0000, v1
	v_cmp_eq_u32_e32 vcc_lo, 0, v3
	s_cbranch_vccnz .LBB350_3
.LBB350_4:
	v_mov_b32_e32 v2, 0
	global_store_short v2, v1, s[2:3]
.LBB350_5:
	s_or_b32 exec_lo, exec_lo, s6
.LBB350_6:
	s_mov_b32 s2, exec_lo
	v_cmpx_gt_u32_e64 s7, v0
	s_cbranch_execz .LBB350_8
; %bb.7:
	v_add_nc_u32_e32 v1, 32, v0
	v_mov_b32_e32 v2, 0
	v_lshlrev_b64 v[3:4], 2, v[1:2]
	v_add_co_u32 v3, vcc_lo, s0, v3
	v_add_co_ci_u32_e64 v4, null, s1, v4, vcc_lo
	global_store_dword v[3:4], v2, off
.LBB350_8:
	s_or_b32 exec_lo, exec_lo, s2
	s_mov_b32 s2, exec_lo
	v_cmpx_gt_u32_e32 32, v0
	s_cbranch_execz .LBB350_10
; %bb.9:
	v_mov_b32_e32 v1, 0
	v_mov_b32_e32 v2, 0xff0000
	v_lshlrev_b64 v[0:1], 2, v[0:1]
	v_add_co_u32 v0, vcc_lo, s0, v0
	v_add_co_ci_u32_e64 v1, null, s1, v1, vcc_lo
	global_store_dword v[0:1], v2, off
.LBB350_10:
	s_endpgm
	.section	.rodata,"a",@progbits
	.p2align	6, 0x0
	.amdhsa_kernel _ZN7rocprim17ROCPRIM_400000_NS6detail31init_lookback_scan_state_kernelINS1_19lookback_scan_stateIN3c104HalfELb0ELb1EEENS1_16block_id_wrapperIjLb0EEEEEvT_jT0_jPNS9_10value_typeE
		.amdhsa_group_segment_fixed_size 0
		.amdhsa_private_segment_fixed_size 0
		.amdhsa_kernarg_size 288
		.amdhsa_user_sgpr_count 6
		.amdhsa_user_sgpr_private_segment_buffer 1
		.amdhsa_user_sgpr_dispatch_ptr 0
		.amdhsa_user_sgpr_queue_ptr 0
		.amdhsa_user_sgpr_kernarg_segment_ptr 1
		.amdhsa_user_sgpr_dispatch_id 0
		.amdhsa_user_sgpr_flat_scratch_init 0
		.amdhsa_user_sgpr_private_segment_size 0
		.amdhsa_wavefront_size32 1
		.amdhsa_uses_dynamic_stack 0
		.amdhsa_system_sgpr_private_segment_wavefront_offset 0
		.amdhsa_system_sgpr_workgroup_id_x 1
		.amdhsa_system_sgpr_workgroup_id_y 0
		.amdhsa_system_sgpr_workgroup_id_z 0
		.amdhsa_system_sgpr_workgroup_info 0
		.amdhsa_system_vgpr_workitem_id 0
		.amdhsa_next_free_vgpr 5
		.amdhsa_next_free_sgpr 9
		.amdhsa_reserve_vcc 1
		.amdhsa_reserve_flat_scratch 0
		.amdhsa_float_round_mode_32 0
		.amdhsa_float_round_mode_16_64 0
		.amdhsa_float_denorm_mode_32 3
		.amdhsa_float_denorm_mode_16_64 3
		.amdhsa_dx10_clamp 1
		.amdhsa_ieee_mode 1
		.amdhsa_fp16_overflow 0
		.amdhsa_workgroup_processor_mode 1
		.amdhsa_memory_ordered 1
		.amdhsa_forward_progress 1
		.amdhsa_shared_vgpr_count 0
		.amdhsa_exception_fp_ieee_invalid_op 0
		.amdhsa_exception_fp_denorm_src 0
		.amdhsa_exception_fp_ieee_div_zero 0
		.amdhsa_exception_fp_ieee_overflow 0
		.amdhsa_exception_fp_ieee_underflow 0
		.amdhsa_exception_fp_ieee_inexact 0
		.amdhsa_exception_int_div_zero 0
	.end_amdhsa_kernel
	.section	.text._ZN7rocprim17ROCPRIM_400000_NS6detail31init_lookback_scan_state_kernelINS1_19lookback_scan_stateIN3c104HalfELb0ELb1EEENS1_16block_id_wrapperIjLb0EEEEEvT_jT0_jPNS9_10value_typeE,"axG",@progbits,_ZN7rocprim17ROCPRIM_400000_NS6detail31init_lookback_scan_state_kernelINS1_19lookback_scan_stateIN3c104HalfELb0ELb1EEENS1_16block_id_wrapperIjLb0EEEEEvT_jT0_jPNS9_10value_typeE,comdat
.Lfunc_end350:
	.size	_ZN7rocprim17ROCPRIM_400000_NS6detail31init_lookback_scan_state_kernelINS1_19lookback_scan_stateIN3c104HalfELb0ELb1EEENS1_16block_id_wrapperIjLb0EEEEEvT_jT0_jPNS9_10value_typeE, .Lfunc_end350-_ZN7rocprim17ROCPRIM_400000_NS6detail31init_lookback_scan_state_kernelINS1_19lookback_scan_stateIN3c104HalfELb0ELb1EEENS1_16block_id_wrapperIjLb0EEEEEvT_jT0_jPNS9_10value_typeE
                                        ; -- End function
	.set _ZN7rocprim17ROCPRIM_400000_NS6detail31init_lookback_scan_state_kernelINS1_19lookback_scan_stateIN3c104HalfELb0ELb1EEENS1_16block_id_wrapperIjLb0EEEEEvT_jT0_jPNS9_10value_typeE.num_vgpr, 5
	.set _ZN7rocprim17ROCPRIM_400000_NS6detail31init_lookback_scan_state_kernelINS1_19lookback_scan_stateIN3c104HalfELb0ELb1EEENS1_16block_id_wrapperIjLb0EEEEEvT_jT0_jPNS9_10value_typeE.num_agpr, 0
	.set _ZN7rocprim17ROCPRIM_400000_NS6detail31init_lookback_scan_state_kernelINS1_19lookback_scan_stateIN3c104HalfELb0ELb1EEENS1_16block_id_wrapperIjLb0EEEEEvT_jT0_jPNS9_10value_typeE.numbered_sgpr, 9
	.set _ZN7rocprim17ROCPRIM_400000_NS6detail31init_lookback_scan_state_kernelINS1_19lookback_scan_stateIN3c104HalfELb0ELb1EEENS1_16block_id_wrapperIjLb0EEEEEvT_jT0_jPNS9_10value_typeE.num_named_barrier, 0
	.set _ZN7rocprim17ROCPRIM_400000_NS6detail31init_lookback_scan_state_kernelINS1_19lookback_scan_stateIN3c104HalfELb0ELb1EEENS1_16block_id_wrapperIjLb0EEEEEvT_jT0_jPNS9_10value_typeE.private_seg_size, 0
	.set _ZN7rocprim17ROCPRIM_400000_NS6detail31init_lookback_scan_state_kernelINS1_19lookback_scan_stateIN3c104HalfELb0ELb1EEENS1_16block_id_wrapperIjLb0EEEEEvT_jT0_jPNS9_10value_typeE.uses_vcc, 1
	.set _ZN7rocprim17ROCPRIM_400000_NS6detail31init_lookback_scan_state_kernelINS1_19lookback_scan_stateIN3c104HalfELb0ELb1EEENS1_16block_id_wrapperIjLb0EEEEEvT_jT0_jPNS9_10value_typeE.uses_flat_scratch, 0
	.set _ZN7rocprim17ROCPRIM_400000_NS6detail31init_lookback_scan_state_kernelINS1_19lookback_scan_stateIN3c104HalfELb0ELb1EEENS1_16block_id_wrapperIjLb0EEEEEvT_jT0_jPNS9_10value_typeE.has_dyn_sized_stack, 0
	.set _ZN7rocprim17ROCPRIM_400000_NS6detail31init_lookback_scan_state_kernelINS1_19lookback_scan_stateIN3c104HalfELb0ELb1EEENS1_16block_id_wrapperIjLb0EEEEEvT_jT0_jPNS9_10value_typeE.has_recursion, 0
	.set _ZN7rocprim17ROCPRIM_400000_NS6detail31init_lookback_scan_state_kernelINS1_19lookback_scan_stateIN3c104HalfELb0ELb1EEENS1_16block_id_wrapperIjLb0EEEEEvT_jT0_jPNS9_10value_typeE.has_indirect_call, 0
	.section	.AMDGPU.csdata,"",@progbits
; Kernel info:
; codeLenInByte = 312
; TotalNumSgprs: 11
; NumVgprs: 5
; ScratchSize: 0
; MemoryBound: 0
; FloatMode: 240
; IeeeMode: 1
; LDSByteSize: 0 bytes/workgroup (compile time only)
; SGPRBlocks: 0
; VGPRBlocks: 0
; NumSGPRsForWavesPerEU: 11
; NumVGPRsForWavesPerEU: 5
; Occupancy: 16
; WaveLimiterHint : 0
; COMPUTE_PGM_RSRC2:SCRATCH_EN: 0
; COMPUTE_PGM_RSRC2:USER_SGPR: 6
; COMPUTE_PGM_RSRC2:TRAP_HANDLER: 0
; COMPUTE_PGM_RSRC2:TGID_X_EN: 1
; COMPUTE_PGM_RSRC2:TGID_Y_EN: 0
; COMPUTE_PGM_RSRC2:TGID_Z_EN: 0
; COMPUTE_PGM_RSRC2:TIDIG_COMP_CNT: 0
	.section	.text._ZN7rocprim17ROCPRIM_400000_NS6detail17trampoline_kernelINS0_14default_configENS1_20scan_config_selectorIN3c104HalfEEEZZNS1_9scan_implILNS1_25lookback_scan_determinismE0ELb0ELb0ES3_PKS6_PS6_S6_ZZZN2at6native31launch_logcumsumexp_cuda_kernelERKNSD_10TensorBaseESH_lENKUlvE_clEvENKUlvE3_clEvEUlS6_S6_E_S6_EEDaPvRmT3_T4_T5_mT6_P12ihipStream_tbENKUlT_T0_E_clISt17integral_constantIbLb0EESY_EEDaST_SU_EUlST_E_NS1_11comp_targetILNS1_3genE0ELNS1_11target_archE4294967295ELNS1_3gpuE0ELNS1_3repE0EEENS1_30default_config_static_selectorELNS0_4arch9wavefront6targetE0EEEvT1_,"axG",@progbits,_ZN7rocprim17ROCPRIM_400000_NS6detail17trampoline_kernelINS0_14default_configENS1_20scan_config_selectorIN3c104HalfEEEZZNS1_9scan_implILNS1_25lookback_scan_determinismE0ELb0ELb0ES3_PKS6_PS6_S6_ZZZN2at6native31launch_logcumsumexp_cuda_kernelERKNSD_10TensorBaseESH_lENKUlvE_clEvENKUlvE3_clEvEUlS6_S6_E_S6_EEDaPvRmT3_T4_T5_mT6_P12ihipStream_tbENKUlT_T0_E_clISt17integral_constantIbLb0EESY_EEDaST_SU_EUlST_E_NS1_11comp_targetILNS1_3genE0ELNS1_11target_archE4294967295ELNS1_3gpuE0ELNS1_3repE0EEENS1_30default_config_static_selectorELNS0_4arch9wavefront6targetE0EEEvT1_,comdat
	.globl	_ZN7rocprim17ROCPRIM_400000_NS6detail17trampoline_kernelINS0_14default_configENS1_20scan_config_selectorIN3c104HalfEEEZZNS1_9scan_implILNS1_25lookback_scan_determinismE0ELb0ELb0ES3_PKS6_PS6_S6_ZZZN2at6native31launch_logcumsumexp_cuda_kernelERKNSD_10TensorBaseESH_lENKUlvE_clEvENKUlvE3_clEvEUlS6_S6_E_S6_EEDaPvRmT3_T4_T5_mT6_P12ihipStream_tbENKUlT_T0_E_clISt17integral_constantIbLb0EESY_EEDaST_SU_EUlST_E_NS1_11comp_targetILNS1_3genE0ELNS1_11target_archE4294967295ELNS1_3gpuE0ELNS1_3repE0EEENS1_30default_config_static_selectorELNS0_4arch9wavefront6targetE0EEEvT1_ ; -- Begin function _ZN7rocprim17ROCPRIM_400000_NS6detail17trampoline_kernelINS0_14default_configENS1_20scan_config_selectorIN3c104HalfEEEZZNS1_9scan_implILNS1_25lookback_scan_determinismE0ELb0ELb0ES3_PKS6_PS6_S6_ZZZN2at6native31launch_logcumsumexp_cuda_kernelERKNSD_10TensorBaseESH_lENKUlvE_clEvENKUlvE3_clEvEUlS6_S6_E_S6_EEDaPvRmT3_T4_T5_mT6_P12ihipStream_tbENKUlT_T0_E_clISt17integral_constantIbLb0EESY_EEDaST_SU_EUlST_E_NS1_11comp_targetILNS1_3genE0ELNS1_11target_archE4294967295ELNS1_3gpuE0ELNS1_3repE0EEENS1_30default_config_static_selectorELNS0_4arch9wavefront6targetE0EEEvT1_
	.p2align	8
	.type	_ZN7rocprim17ROCPRIM_400000_NS6detail17trampoline_kernelINS0_14default_configENS1_20scan_config_selectorIN3c104HalfEEEZZNS1_9scan_implILNS1_25lookback_scan_determinismE0ELb0ELb0ES3_PKS6_PS6_S6_ZZZN2at6native31launch_logcumsumexp_cuda_kernelERKNSD_10TensorBaseESH_lENKUlvE_clEvENKUlvE3_clEvEUlS6_S6_E_S6_EEDaPvRmT3_T4_T5_mT6_P12ihipStream_tbENKUlT_T0_E_clISt17integral_constantIbLb0EESY_EEDaST_SU_EUlST_E_NS1_11comp_targetILNS1_3genE0ELNS1_11target_archE4294967295ELNS1_3gpuE0ELNS1_3repE0EEENS1_30default_config_static_selectorELNS0_4arch9wavefront6targetE0EEEvT1_,@function
_ZN7rocprim17ROCPRIM_400000_NS6detail17trampoline_kernelINS0_14default_configENS1_20scan_config_selectorIN3c104HalfEEEZZNS1_9scan_implILNS1_25lookback_scan_determinismE0ELb0ELb0ES3_PKS6_PS6_S6_ZZZN2at6native31launch_logcumsumexp_cuda_kernelERKNSD_10TensorBaseESH_lENKUlvE_clEvENKUlvE3_clEvEUlS6_S6_E_S6_EEDaPvRmT3_T4_T5_mT6_P12ihipStream_tbENKUlT_T0_E_clISt17integral_constantIbLb0EESY_EEDaST_SU_EUlST_E_NS1_11comp_targetILNS1_3genE0ELNS1_11target_archE4294967295ELNS1_3gpuE0ELNS1_3repE0EEENS1_30default_config_static_selectorELNS0_4arch9wavefront6targetE0EEEvT1_: ; @_ZN7rocprim17ROCPRIM_400000_NS6detail17trampoline_kernelINS0_14default_configENS1_20scan_config_selectorIN3c104HalfEEEZZNS1_9scan_implILNS1_25lookback_scan_determinismE0ELb0ELb0ES3_PKS6_PS6_S6_ZZZN2at6native31launch_logcumsumexp_cuda_kernelERKNSD_10TensorBaseESH_lENKUlvE_clEvENKUlvE3_clEvEUlS6_S6_E_S6_EEDaPvRmT3_T4_T5_mT6_P12ihipStream_tbENKUlT_T0_E_clISt17integral_constantIbLb0EESY_EEDaST_SU_EUlST_E_NS1_11comp_targetILNS1_3genE0ELNS1_11target_archE4294967295ELNS1_3gpuE0ELNS1_3repE0EEENS1_30default_config_static_selectorELNS0_4arch9wavefront6targetE0EEEvT1_
; %bb.0:
	.section	.rodata,"a",@progbits
	.p2align	6, 0x0
	.amdhsa_kernel _ZN7rocprim17ROCPRIM_400000_NS6detail17trampoline_kernelINS0_14default_configENS1_20scan_config_selectorIN3c104HalfEEEZZNS1_9scan_implILNS1_25lookback_scan_determinismE0ELb0ELb0ES3_PKS6_PS6_S6_ZZZN2at6native31launch_logcumsumexp_cuda_kernelERKNSD_10TensorBaseESH_lENKUlvE_clEvENKUlvE3_clEvEUlS6_S6_E_S6_EEDaPvRmT3_T4_T5_mT6_P12ihipStream_tbENKUlT_T0_E_clISt17integral_constantIbLb0EESY_EEDaST_SU_EUlST_E_NS1_11comp_targetILNS1_3genE0ELNS1_11target_archE4294967295ELNS1_3gpuE0ELNS1_3repE0EEENS1_30default_config_static_selectorELNS0_4arch9wavefront6targetE0EEEvT1_
		.amdhsa_group_segment_fixed_size 0
		.amdhsa_private_segment_fixed_size 0
		.amdhsa_kernarg_size 96
		.amdhsa_user_sgpr_count 6
		.amdhsa_user_sgpr_private_segment_buffer 1
		.amdhsa_user_sgpr_dispatch_ptr 0
		.amdhsa_user_sgpr_queue_ptr 0
		.amdhsa_user_sgpr_kernarg_segment_ptr 1
		.amdhsa_user_sgpr_dispatch_id 0
		.amdhsa_user_sgpr_flat_scratch_init 0
		.amdhsa_user_sgpr_private_segment_size 0
		.amdhsa_wavefront_size32 1
		.amdhsa_uses_dynamic_stack 0
		.amdhsa_system_sgpr_private_segment_wavefront_offset 0
		.amdhsa_system_sgpr_workgroup_id_x 1
		.amdhsa_system_sgpr_workgroup_id_y 0
		.amdhsa_system_sgpr_workgroup_id_z 0
		.amdhsa_system_sgpr_workgroup_info 0
		.amdhsa_system_vgpr_workitem_id 0
		.amdhsa_next_free_vgpr 1
		.amdhsa_next_free_sgpr 1
		.amdhsa_reserve_vcc 0
		.amdhsa_reserve_flat_scratch 0
		.amdhsa_float_round_mode_32 0
		.amdhsa_float_round_mode_16_64 0
		.amdhsa_float_denorm_mode_32 3
		.amdhsa_float_denorm_mode_16_64 3
		.amdhsa_dx10_clamp 1
		.amdhsa_ieee_mode 1
		.amdhsa_fp16_overflow 0
		.amdhsa_workgroup_processor_mode 1
		.amdhsa_memory_ordered 1
		.amdhsa_forward_progress 1
		.amdhsa_shared_vgpr_count 0
		.amdhsa_exception_fp_ieee_invalid_op 0
		.amdhsa_exception_fp_denorm_src 0
		.amdhsa_exception_fp_ieee_div_zero 0
		.amdhsa_exception_fp_ieee_overflow 0
		.amdhsa_exception_fp_ieee_underflow 0
		.amdhsa_exception_fp_ieee_inexact 0
		.amdhsa_exception_int_div_zero 0
	.end_amdhsa_kernel
	.section	.text._ZN7rocprim17ROCPRIM_400000_NS6detail17trampoline_kernelINS0_14default_configENS1_20scan_config_selectorIN3c104HalfEEEZZNS1_9scan_implILNS1_25lookback_scan_determinismE0ELb0ELb0ES3_PKS6_PS6_S6_ZZZN2at6native31launch_logcumsumexp_cuda_kernelERKNSD_10TensorBaseESH_lENKUlvE_clEvENKUlvE3_clEvEUlS6_S6_E_S6_EEDaPvRmT3_T4_T5_mT6_P12ihipStream_tbENKUlT_T0_E_clISt17integral_constantIbLb0EESY_EEDaST_SU_EUlST_E_NS1_11comp_targetILNS1_3genE0ELNS1_11target_archE4294967295ELNS1_3gpuE0ELNS1_3repE0EEENS1_30default_config_static_selectorELNS0_4arch9wavefront6targetE0EEEvT1_,"axG",@progbits,_ZN7rocprim17ROCPRIM_400000_NS6detail17trampoline_kernelINS0_14default_configENS1_20scan_config_selectorIN3c104HalfEEEZZNS1_9scan_implILNS1_25lookback_scan_determinismE0ELb0ELb0ES3_PKS6_PS6_S6_ZZZN2at6native31launch_logcumsumexp_cuda_kernelERKNSD_10TensorBaseESH_lENKUlvE_clEvENKUlvE3_clEvEUlS6_S6_E_S6_EEDaPvRmT3_T4_T5_mT6_P12ihipStream_tbENKUlT_T0_E_clISt17integral_constantIbLb0EESY_EEDaST_SU_EUlST_E_NS1_11comp_targetILNS1_3genE0ELNS1_11target_archE4294967295ELNS1_3gpuE0ELNS1_3repE0EEENS1_30default_config_static_selectorELNS0_4arch9wavefront6targetE0EEEvT1_,comdat
.Lfunc_end351:
	.size	_ZN7rocprim17ROCPRIM_400000_NS6detail17trampoline_kernelINS0_14default_configENS1_20scan_config_selectorIN3c104HalfEEEZZNS1_9scan_implILNS1_25lookback_scan_determinismE0ELb0ELb0ES3_PKS6_PS6_S6_ZZZN2at6native31launch_logcumsumexp_cuda_kernelERKNSD_10TensorBaseESH_lENKUlvE_clEvENKUlvE3_clEvEUlS6_S6_E_S6_EEDaPvRmT3_T4_T5_mT6_P12ihipStream_tbENKUlT_T0_E_clISt17integral_constantIbLb0EESY_EEDaST_SU_EUlST_E_NS1_11comp_targetILNS1_3genE0ELNS1_11target_archE4294967295ELNS1_3gpuE0ELNS1_3repE0EEENS1_30default_config_static_selectorELNS0_4arch9wavefront6targetE0EEEvT1_, .Lfunc_end351-_ZN7rocprim17ROCPRIM_400000_NS6detail17trampoline_kernelINS0_14default_configENS1_20scan_config_selectorIN3c104HalfEEEZZNS1_9scan_implILNS1_25lookback_scan_determinismE0ELb0ELb0ES3_PKS6_PS6_S6_ZZZN2at6native31launch_logcumsumexp_cuda_kernelERKNSD_10TensorBaseESH_lENKUlvE_clEvENKUlvE3_clEvEUlS6_S6_E_S6_EEDaPvRmT3_T4_T5_mT6_P12ihipStream_tbENKUlT_T0_E_clISt17integral_constantIbLb0EESY_EEDaST_SU_EUlST_E_NS1_11comp_targetILNS1_3genE0ELNS1_11target_archE4294967295ELNS1_3gpuE0ELNS1_3repE0EEENS1_30default_config_static_selectorELNS0_4arch9wavefront6targetE0EEEvT1_
                                        ; -- End function
	.set _ZN7rocprim17ROCPRIM_400000_NS6detail17trampoline_kernelINS0_14default_configENS1_20scan_config_selectorIN3c104HalfEEEZZNS1_9scan_implILNS1_25lookback_scan_determinismE0ELb0ELb0ES3_PKS6_PS6_S6_ZZZN2at6native31launch_logcumsumexp_cuda_kernelERKNSD_10TensorBaseESH_lENKUlvE_clEvENKUlvE3_clEvEUlS6_S6_E_S6_EEDaPvRmT3_T4_T5_mT6_P12ihipStream_tbENKUlT_T0_E_clISt17integral_constantIbLb0EESY_EEDaST_SU_EUlST_E_NS1_11comp_targetILNS1_3genE0ELNS1_11target_archE4294967295ELNS1_3gpuE0ELNS1_3repE0EEENS1_30default_config_static_selectorELNS0_4arch9wavefront6targetE0EEEvT1_.num_vgpr, 0
	.set _ZN7rocprim17ROCPRIM_400000_NS6detail17trampoline_kernelINS0_14default_configENS1_20scan_config_selectorIN3c104HalfEEEZZNS1_9scan_implILNS1_25lookback_scan_determinismE0ELb0ELb0ES3_PKS6_PS6_S6_ZZZN2at6native31launch_logcumsumexp_cuda_kernelERKNSD_10TensorBaseESH_lENKUlvE_clEvENKUlvE3_clEvEUlS6_S6_E_S6_EEDaPvRmT3_T4_T5_mT6_P12ihipStream_tbENKUlT_T0_E_clISt17integral_constantIbLb0EESY_EEDaST_SU_EUlST_E_NS1_11comp_targetILNS1_3genE0ELNS1_11target_archE4294967295ELNS1_3gpuE0ELNS1_3repE0EEENS1_30default_config_static_selectorELNS0_4arch9wavefront6targetE0EEEvT1_.num_agpr, 0
	.set _ZN7rocprim17ROCPRIM_400000_NS6detail17trampoline_kernelINS0_14default_configENS1_20scan_config_selectorIN3c104HalfEEEZZNS1_9scan_implILNS1_25lookback_scan_determinismE0ELb0ELb0ES3_PKS6_PS6_S6_ZZZN2at6native31launch_logcumsumexp_cuda_kernelERKNSD_10TensorBaseESH_lENKUlvE_clEvENKUlvE3_clEvEUlS6_S6_E_S6_EEDaPvRmT3_T4_T5_mT6_P12ihipStream_tbENKUlT_T0_E_clISt17integral_constantIbLb0EESY_EEDaST_SU_EUlST_E_NS1_11comp_targetILNS1_3genE0ELNS1_11target_archE4294967295ELNS1_3gpuE0ELNS1_3repE0EEENS1_30default_config_static_selectorELNS0_4arch9wavefront6targetE0EEEvT1_.numbered_sgpr, 0
	.set _ZN7rocprim17ROCPRIM_400000_NS6detail17trampoline_kernelINS0_14default_configENS1_20scan_config_selectorIN3c104HalfEEEZZNS1_9scan_implILNS1_25lookback_scan_determinismE0ELb0ELb0ES3_PKS6_PS6_S6_ZZZN2at6native31launch_logcumsumexp_cuda_kernelERKNSD_10TensorBaseESH_lENKUlvE_clEvENKUlvE3_clEvEUlS6_S6_E_S6_EEDaPvRmT3_T4_T5_mT6_P12ihipStream_tbENKUlT_T0_E_clISt17integral_constantIbLb0EESY_EEDaST_SU_EUlST_E_NS1_11comp_targetILNS1_3genE0ELNS1_11target_archE4294967295ELNS1_3gpuE0ELNS1_3repE0EEENS1_30default_config_static_selectorELNS0_4arch9wavefront6targetE0EEEvT1_.num_named_barrier, 0
	.set _ZN7rocprim17ROCPRIM_400000_NS6detail17trampoline_kernelINS0_14default_configENS1_20scan_config_selectorIN3c104HalfEEEZZNS1_9scan_implILNS1_25lookback_scan_determinismE0ELb0ELb0ES3_PKS6_PS6_S6_ZZZN2at6native31launch_logcumsumexp_cuda_kernelERKNSD_10TensorBaseESH_lENKUlvE_clEvENKUlvE3_clEvEUlS6_S6_E_S6_EEDaPvRmT3_T4_T5_mT6_P12ihipStream_tbENKUlT_T0_E_clISt17integral_constantIbLb0EESY_EEDaST_SU_EUlST_E_NS1_11comp_targetILNS1_3genE0ELNS1_11target_archE4294967295ELNS1_3gpuE0ELNS1_3repE0EEENS1_30default_config_static_selectorELNS0_4arch9wavefront6targetE0EEEvT1_.private_seg_size, 0
	.set _ZN7rocprim17ROCPRIM_400000_NS6detail17trampoline_kernelINS0_14default_configENS1_20scan_config_selectorIN3c104HalfEEEZZNS1_9scan_implILNS1_25lookback_scan_determinismE0ELb0ELb0ES3_PKS6_PS6_S6_ZZZN2at6native31launch_logcumsumexp_cuda_kernelERKNSD_10TensorBaseESH_lENKUlvE_clEvENKUlvE3_clEvEUlS6_S6_E_S6_EEDaPvRmT3_T4_T5_mT6_P12ihipStream_tbENKUlT_T0_E_clISt17integral_constantIbLb0EESY_EEDaST_SU_EUlST_E_NS1_11comp_targetILNS1_3genE0ELNS1_11target_archE4294967295ELNS1_3gpuE0ELNS1_3repE0EEENS1_30default_config_static_selectorELNS0_4arch9wavefront6targetE0EEEvT1_.uses_vcc, 0
	.set _ZN7rocprim17ROCPRIM_400000_NS6detail17trampoline_kernelINS0_14default_configENS1_20scan_config_selectorIN3c104HalfEEEZZNS1_9scan_implILNS1_25lookback_scan_determinismE0ELb0ELb0ES3_PKS6_PS6_S6_ZZZN2at6native31launch_logcumsumexp_cuda_kernelERKNSD_10TensorBaseESH_lENKUlvE_clEvENKUlvE3_clEvEUlS6_S6_E_S6_EEDaPvRmT3_T4_T5_mT6_P12ihipStream_tbENKUlT_T0_E_clISt17integral_constantIbLb0EESY_EEDaST_SU_EUlST_E_NS1_11comp_targetILNS1_3genE0ELNS1_11target_archE4294967295ELNS1_3gpuE0ELNS1_3repE0EEENS1_30default_config_static_selectorELNS0_4arch9wavefront6targetE0EEEvT1_.uses_flat_scratch, 0
	.set _ZN7rocprim17ROCPRIM_400000_NS6detail17trampoline_kernelINS0_14default_configENS1_20scan_config_selectorIN3c104HalfEEEZZNS1_9scan_implILNS1_25lookback_scan_determinismE0ELb0ELb0ES3_PKS6_PS6_S6_ZZZN2at6native31launch_logcumsumexp_cuda_kernelERKNSD_10TensorBaseESH_lENKUlvE_clEvENKUlvE3_clEvEUlS6_S6_E_S6_EEDaPvRmT3_T4_T5_mT6_P12ihipStream_tbENKUlT_T0_E_clISt17integral_constantIbLb0EESY_EEDaST_SU_EUlST_E_NS1_11comp_targetILNS1_3genE0ELNS1_11target_archE4294967295ELNS1_3gpuE0ELNS1_3repE0EEENS1_30default_config_static_selectorELNS0_4arch9wavefront6targetE0EEEvT1_.has_dyn_sized_stack, 0
	.set _ZN7rocprim17ROCPRIM_400000_NS6detail17trampoline_kernelINS0_14default_configENS1_20scan_config_selectorIN3c104HalfEEEZZNS1_9scan_implILNS1_25lookback_scan_determinismE0ELb0ELb0ES3_PKS6_PS6_S6_ZZZN2at6native31launch_logcumsumexp_cuda_kernelERKNSD_10TensorBaseESH_lENKUlvE_clEvENKUlvE3_clEvEUlS6_S6_E_S6_EEDaPvRmT3_T4_T5_mT6_P12ihipStream_tbENKUlT_T0_E_clISt17integral_constantIbLb0EESY_EEDaST_SU_EUlST_E_NS1_11comp_targetILNS1_3genE0ELNS1_11target_archE4294967295ELNS1_3gpuE0ELNS1_3repE0EEENS1_30default_config_static_selectorELNS0_4arch9wavefront6targetE0EEEvT1_.has_recursion, 0
	.set _ZN7rocprim17ROCPRIM_400000_NS6detail17trampoline_kernelINS0_14default_configENS1_20scan_config_selectorIN3c104HalfEEEZZNS1_9scan_implILNS1_25lookback_scan_determinismE0ELb0ELb0ES3_PKS6_PS6_S6_ZZZN2at6native31launch_logcumsumexp_cuda_kernelERKNSD_10TensorBaseESH_lENKUlvE_clEvENKUlvE3_clEvEUlS6_S6_E_S6_EEDaPvRmT3_T4_T5_mT6_P12ihipStream_tbENKUlT_T0_E_clISt17integral_constantIbLb0EESY_EEDaST_SU_EUlST_E_NS1_11comp_targetILNS1_3genE0ELNS1_11target_archE4294967295ELNS1_3gpuE0ELNS1_3repE0EEENS1_30default_config_static_selectorELNS0_4arch9wavefront6targetE0EEEvT1_.has_indirect_call, 0
	.section	.AMDGPU.csdata,"",@progbits
; Kernel info:
; codeLenInByte = 0
; TotalNumSgprs: 0
; NumVgprs: 0
; ScratchSize: 0
; MemoryBound: 0
; FloatMode: 240
; IeeeMode: 1
; LDSByteSize: 0 bytes/workgroup (compile time only)
; SGPRBlocks: 0
; VGPRBlocks: 0
; NumSGPRsForWavesPerEU: 1
; NumVGPRsForWavesPerEU: 1
; Occupancy: 16
; WaveLimiterHint : 0
; COMPUTE_PGM_RSRC2:SCRATCH_EN: 0
; COMPUTE_PGM_RSRC2:USER_SGPR: 6
; COMPUTE_PGM_RSRC2:TRAP_HANDLER: 0
; COMPUTE_PGM_RSRC2:TGID_X_EN: 1
; COMPUTE_PGM_RSRC2:TGID_Y_EN: 0
; COMPUTE_PGM_RSRC2:TGID_Z_EN: 0
; COMPUTE_PGM_RSRC2:TIDIG_COMP_CNT: 0
	.section	.text._ZN7rocprim17ROCPRIM_400000_NS6detail17trampoline_kernelINS0_14default_configENS1_20scan_config_selectorIN3c104HalfEEEZZNS1_9scan_implILNS1_25lookback_scan_determinismE0ELb0ELb0ES3_PKS6_PS6_S6_ZZZN2at6native31launch_logcumsumexp_cuda_kernelERKNSD_10TensorBaseESH_lENKUlvE_clEvENKUlvE3_clEvEUlS6_S6_E_S6_EEDaPvRmT3_T4_T5_mT6_P12ihipStream_tbENKUlT_T0_E_clISt17integral_constantIbLb0EESY_EEDaST_SU_EUlST_E_NS1_11comp_targetILNS1_3genE5ELNS1_11target_archE942ELNS1_3gpuE9ELNS1_3repE0EEENS1_30default_config_static_selectorELNS0_4arch9wavefront6targetE0EEEvT1_,"axG",@progbits,_ZN7rocprim17ROCPRIM_400000_NS6detail17trampoline_kernelINS0_14default_configENS1_20scan_config_selectorIN3c104HalfEEEZZNS1_9scan_implILNS1_25lookback_scan_determinismE0ELb0ELb0ES3_PKS6_PS6_S6_ZZZN2at6native31launch_logcumsumexp_cuda_kernelERKNSD_10TensorBaseESH_lENKUlvE_clEvENKUlvE3_clEvEUlS6_S6_E_S6_EEDaPvRmT3_T4_T5_mT6_P12ihipStream_tbENKUlT_T0_E_clISt17integral_constantIbLb0EESY_EEDaST_SU_EUlST_E_NS1_11comp_targetILNS1_3genE5ELNS1_11target_archE942ELNS1_3gpuE9ELNS1_3repE0EEENS1_30default_config_static_selectorELNS0_4arch9wavefront6targetE0EEEvT1_,comdat
	.globl	_ZN7rocprim17ROCPRIM_400000_NS6detail17trampoline_kernelINS0_14default_configENS1_20scan_config_selectorIN3c104HalfEEEZZNS1_9scan_implILNS1_25lookback_scan_determinismE0ELb0ELb0ES3_PKS6_PS6_S6_ZZZN2at6native31launch_logcumsumexp_cuda_kernelERKNSD_10TensorBaseESH_lENKUlvE_clEvENKUlvE3_clEvEUlS6_S6_E_S6_EEDaPvRmT3_T4_T5_mT6_P12ihipStream_tbENKUlT_T0_E_clISt17integral_constantIbLb0EESY_EEDaST_SU_EUlST_E_NS1_11comp_targetILNS1_3genE5ELNS1_11target_archE942ELNS1_3gpuE9ELNS1_3repE0EEENS1_30default_config_static_selectorELNS0_4arch9wavefront6targetE0EEEvT1_ ; -- Begin function _ZN7rocprim17ROCPRIM_400000_NS6detail17trampoline_kernelINS0_14default_configENS1_20scan_config_selectorIN3c104HalfEEEZZNS1_9scan_implILNS1_25lookback_scan_determinismE0ELb0ELb0ES3_PKS6_PS6_S6_ZZZN2at6native31launch_logcumsumexp_cuda_kernelERKNSD_10TensorBaseESH_lENKUlvE_clEvENKUlvE3_clEvEUlS6_S6_E_S6_EEDaPvRmT3_T4_T5_mT6_P12ihipStream_tbENKUlT_T0_E_clISt17integral_constantIbLb0EESY_EEDaST_SU_EUlST_E_NS1_11comp_targetILNS1_3genE5ELNS1_11target_archE942ELNS1_3gpuE9ELNS1_3repE0EEENS1_30default_config_static_selectorELNS0_4arch9wavefront6targetE0EEEvT1_
	.p2align	8
	.type	_ZN7rocprim17ROCPRIM_400000_NS6detail17trampoline_kernelINS0_14default_configENS1_20scan_config_selectorIN3c104HalfEEEZZNS1_9scan_implILNS1_25lookback_scan_determinismE0ELb0ELb0ES3_PKS6_PS6_S6_ZZZN2at6native31launch_logcumsumexp_cuda_kernelERKNSD_10TensorBaseESH_lENKUlvE_clEvENKUlvE3_clEvEUlS6_S6_E_S6_EEDaPvRmT3_T4_T5_mT6_P12ihipStream_tbENKUlT_T0_E_clISt17integral_constantIbLb0EESY_EEDaST_SU_EUlST_E_NS1_11comp_targetILNS1_3genE5ELNS1_11target_archE942ELNS1_3gpuE9ELNS1_3repE0EEENS1_30default_config_static_selectorELNS0_4arch9wavefront6targetE0EEEvT1_,@function
_ZN7rocprim17ROCPRIM_400000_NS6detail17trampoline_kernelINS0_14default_configENS1_20scan_config_selectorIN3c104HalfEEEZZNS1_9scan_implILNS1_25lookback_scan_determinismE0ELb0ELb0ES3_PKS6_PS6_S6_ZZZN2at6native31launch_logcumsumexp_cuda_kernelERKNSD_10TensorBaseESH_lENKUlvE_clEvENKUlvE3_clEvEUlS6_S6_E_S6_EEDaPvRmT3_T4_T5_mT6_P12ihipStream_tbENKUlT_T0_E_clISt17integral_constantIbLb0EESY_EEDaST_SU_EUlST_E_NS1_11comp_targetILNS1_3genE5ELNS1_11target_archE942ELNS1_3gpuE9ELNS1_3repE0EEENS1_30default_config_static_selectorELNS0_4arch9wavefront6targetE0EEEvT1_: ; @_ZN7rocprim17ROCPRIM_400000_NS6detail17trampoline_kernelINS0_14default_configENS1_20scan_config_selectorIN3c104HalfEEEZZNS1_9scan_implILNS1_25lookback_scan_determinismE0ELb0ELb0ES3_PKS6_PS6_S6_ZZZN2at6native31launch_logcumsumexp_cuda_kernelERKNSD_10TensorBaseESH_lENKUlvE_clEvENKUlvE3_clEvEUlS6_S6_E_S6_EEDaPvRmT3_T4_T5_mT6_P12ihipStream_tbENKUlT_T0_E_clISt17integral_constantIbLb0EESY_EEDaST_SU_EUlST_E_NS1_11comp_targetILNS1_3genE5ELNS1_11target_archE942ELNS1_3gpuE9ELNS1_3repE0EEENS1_30default_config_static_selectorELNS0_4arch9wavefront6targetE0EEEvT1_
; %bb.0:
	.section	.rodata,"a",@progbits
	.p2align	6, 0x0
	.amdhsa_kernel _ZN7rocprim17ROCPRIM_400000_NS6detail17trampoline_kernelINS0_14default_configENS1_20scan_config_selectorIN3c104HalfEEEZZNS1_9scan_implILNS1_25lookback_scan_determinismE0ELb0ELb0ES3_PKS6_PS6_S6_ZZZN2at6native31launch_logcumsumexp_cuda_kernelERKNSD_10TensorBaseESH_lENKUlvE_clEvENKUlvE3_clEvEUlS6_S6_E_S6_EEDaPvRmT3_T4_T5_mT6_P12ihipStream_tbENKUlT_T0_E_clISt17integral_constantIbLb0EESY_EEDaST_SU_EUlST_E_NS1_11comp_targetILNS1_3genE5ELNS1_11target_archE942ELNS1_3gpuE9ELNS1_3repE0EEENS1_30default_config_static_selectorELNS0_4arch9wavefront6targetE0EEEvT1_
		.amdhsa_group_segment_fixed_size 0
		.amdhsa_private_segment_fixed_size 0
		.amdhsa_kernarg_size 96
		.amdhsa_user_sgpr_count 6
		.amdhsa_user_sgpr_private_segment_buffer 1
		.amdhsa_user_sgpr_dispatch_ptr 0
		.amdhsa_user_sgpr_queue_ptr 0
		.amdhsa_user_sgpr_kernarg_segment_ptr 1
		.amdhsa_user_sgpr_dispatch_id 0
		.amdhsa_user_sgpr_flat_scratch_init 0
		.amdhsa_user_sgpr_private_segment_size 0
		.amdhsa_wavefront_size32 1
		.amdhsa_uses_dynamic_stack 0
		.amdhsa_system_sgpr_private_segment_wavefront_offset 0
		.amdhsa_system_sgpr_workgroup_id_x 1
		.amdhsa_system_sgpr_workgroup_id_y 0
		.amdhsa_system_sgpr_workgroup_id_z 0
		.amdhsa_system_sgpr_workgroup_info 0
		.amdhsa_system_vgpr_workitem_id 0
		.amdhsa_next_free_vgpr 1
		.amdhsa_next_free_sgpr 1
		.amdhsa_reserve_vcc 0
		.amdhsa_reserve_flat_scratch 0
		.amdhsa_float_round_mode_32 0
		.amdhsa_float_round_mode_16_64 0
		.amdhsa_float_denorm_mode_32 3
		.amdhsa_float_denorm_mode_16_64 3
		.amdhsa_dx10_clamp 1
		.amdhsa_ieee_mode 1
		.amdhsa_fp16_overflow 0
		.amdhsa_workgroup_processor_mode 1
		.amdhsa_memory_ordered 1
		.amdhsa_forward_progress 1
		.amdhsa_shared_vgpr_count 0
		.amdhsa_exception_fp_ieee_invalid_op 0
		.amdhsa_exception_fp_denorm_src 0
		.amdhsa_exception_fp_ieee_div_zero 0
		.amdhsa_exception_fp_ieee_overflow 0
		.amdhsa_exception_fp_ieee_underflow 0
		.amdhsa_exception_fp_ieee_inexact 0
		.amdhsa_exception_int_div_zero 0
	.end_amdhsa_kernel
	.section	.text._ZN7rocprim17ROCPRIM_400000_NS6detail17trampoline_kernelINS0_14default_configENS1_20scan_config_selectorIN3c104HalfEEEZZNS1_9scan_implILNS1_25lookback_scan_determinismE0ELb0ELb0ES3_PKS6_PS6_S6_ZZZN2at6native31launch_logcumsumexp_cuda_kernelERKNSD_10TensorBaseESH_lENKUlvE_clEvENKUlvE3_clEvEUlS6_S6_E_S6_EEDaPvRmT3_T4_T5_mT6_P12ihipStream_tbENKUlT_T0_E_clISt17integral_constantIbLb0EESY_EEDaST_SU_EUlST_E_NS1_11comp_targetILNS1_3genE5ELNS1_11target_archE942ELNS1_3gpuE9ELNS1_3repE0EEENS1_30default_config_static_selectorELNS0_4arch9wavefront6targetE0EEEvT1_,"axG",@progbits,_ZN7rocprim17ROCPRIM_400000_NS6detail17trampoline_kernelINS0_14default_configENS1_20scan_config_selectorIN3c104HalfEEEZZNS1_9scan_implILNS1_25lookback_scan_determinismE0ELb0ELb0ES3_PKS6_PS6_S6_ZZZN2at6native31launch_logcumsumexp_cuda_kernelERKNSD_10TensorBaseESH_lENKUlvE_clEvENKUlvE3_clEvEUlS6_S6_E_S6_EEDaPvRmT3_T4_T5_mT6_P12ihipStream_tbENKUlT_T0_E_clISt17integral_constantIbLb0EESY_EEDaST_SU_EUlST_E_NS1_11comp_targetILNS1_3genE5ELNS1_11target_archE942ELNS1_3gpuE9ELNS1_3repE0EEENS1_30default_config_static_selectorELNS0_4arch9wavefront6targetE0EEEvT1_,comdat
.Lfunc_end352:
	.size	_ZN7rocprim17ROCPRIM_400000_NS6detail17trampoline_kernelINS0_14default_configENS1_20scan_config_selectorIN3c104HalfEEEZZNS1_9scan_implILNS1_25lookback_scan_determinismE0ELb0ELb0ES3_PKS6_PS6_S6_ZZZN2at6native31launch_logcumsumexp_cuda_kernelERKNSD_10TensorBaseESH_lENKUlvE_clEvENKUlvE3_clEvEUlS6_S6_E_S6_EEDaPvRmT3_T4_T5_mT6_P12ihipStream_tbENKUlT_T0_E_clISt17integral_constantIbLb0EESY_EEDaST_SU_EUlST_E_NS1_11comp_targetILNS1_3genE5ELNS1_11target_archE942ELNS1_3gpuE9ELNS1_3repE0EEENS1_30default_config_static_selectorELNS0_4arch9wavefront6targetE0EEEvT1_, .Lfunc_end352-_ZN7rocprim17ROCPRIM_400000_NS6detail17trampoline_kernelINS0_14default_configENS1_20scan_config_selectorIN3c104HalfEEEZZNS1_9scan_implILNS1_25lookback_scan_determinismE0ELb0ELb0ES3_PKS6_PS6_S6_ZZZN2at6native31launch_logcumsumexp_cuda_kernelERKNSD_10TensorBaseESH_lENKUlvE_clEvENKUlvE3_clEvEUlS6_S6_E_S6_EEDaPvRmT3_T4_T5_mT6_P12ihipStream_tbENKUlT_T0_E_clISt17integral_constantIbLb0EESY_EEDaST_SU_EUlST_E_NS1_11comp_targetILNS1_3genE5ELNS1_11target_archE942ELNS1_3gpuE9ELNS1_3repE0EEENS1_30default_config_static_selectorELNS0_4arch9wavefront6targetE0EEEvT1_
                                        ; -- End function
	.set _ZN7rocprim17ROCPRIM_400000_NS6detail17trampoline_kernelINS0_14default_configENS1_20scan_config_selectorIN3c104HalfEEEZZNS1_9scan_implILNS1_25lookback_scan_determinismE0ELb0ELb0ES3_PKS6_PS6_S6_ZZZN2at6native31launch_logcumsumexp_cuda_kernelERKNSD_10TensorBaseESH_lENKUlvE_clEvENKUlvE3_clEvEUlS6_S6_E_S6_EEDaPvRmT3_T4_T5_mT6_P12ihipStream_tbENKUlT_T0_E_clISt17integral_constantIbLb0EESY_EEDaST_SU_EUlST_E_NS1_11comp_targetILNS1_3genE5ELNS1_11target_archE942ELNS1_3gpuE9ELNS1_3repE0EEENS1_30default_config_static_selectorELNS0_4arch9wavefront6targetE0EEEvT1_.num_vgpr, 0
	.set _ZN7rocprim17ROCPRIM_400000_NS6detail17trampoline_kernelINS0_14default_configENS1_20scan_config_selectorIN3c104HalfEEEZZNS1_9scan_implILNS1_25lookback_scan_determinismE0ELb0ELb0ES3_PKS6_PS6_S6_ZZZN2at6native31launch_logcumsumexp_cuda_kernelERKNSD_10TensorBaseESH_lENKUlvE_clEvENKUlvE3_clEvEUlS6_S6_E_S6_EEDaPvRmT3_T4_T5_mT6_P12ihipStream_tbENKUlT_T0_E_clISt17integral_constantIbLb0EESY_EEDaST_SU_EUlST_E_NS1_11comp_targetILNS1_3genE5ELNS1_11target_archE942ELNS1_3gpuE9ELNS1_3repE0EEENS1_30default_config_static_selectorELNS0_4arch9wavefront6targetE0EEEvT1_.num_agpr, 0
	.set _ZN7rocprim17ROCPRIM_400000_NS6detail17trampoline_kernelINS0_14default_configENS1_20scan_config_selectorIN3c104HalfEEEZZNS1_9scan_implILNS1_25lookback_scan_determinismE0ELb0ELb0ES3_PKS6_PS6_S6_ZZZN2at6native31launch_logcumsumexp_cuda_kernelERKNSD_10TensorBaseESH_lENKUlvE_clEvENKUlvE3_clEvEUlS6_S6_E_S6_EEDaPvRmT3_T4_T5_mT6_P12ihipStream_tbENKUlT_T0_E_clISt17integral_constantIbLb0EESY_EEDaST_SU_EUlST_E_NS1_11comp_targetILNS1_3genE5ELNS1_11target_archE942ELNS1_3gpuE9ELNS1_3repE0EEENS1_30default_config_static_selectorELNS0_4arch9wavefront6targetE0EEEvT1_.numbered_sgpr, 0
	.set _ZN7rocprim17ROCPRIM_400000_NS6detail17trampoline_kernelINS0_14default_configENS1_20scan_config_selectorIN3c104HalfEEEZZNS1_9scan_implILNS1_25lookback_scan_determinismE0ELb0ELb0ES3_PKS6_PS6_S6_ZZZN2at6native31launch_logcumsumexp_cuda_kernelERKNSD_10TensorBaseESH_lENKUlvE_clEvENKUlvE3_clEvEUlS6_S6_E_S6_EEDaPvRmT3_T4_T5_mT6_P12ihipStream_tbENKUlT_T0_E_clISt17integral_constantIbLb0EESY_EEDaST_SU_EUlST_E_NS1_11comp_targetILNS1_3genE5ELNS1_11target_archE942ELNS1_3gpuE9ELNS1_3repE0EEENS1_30default_config_static_selectorELNS0_4arch9wavefront6targetE0EEEvT1_.num_named_barrier, 0
	.set _ZN7rocprim17ROCPRIM_400000_NS6detail17trampoline_kernelINS0_14default_configENS1_20scan_config_selectorIN3c104HalfEEEZZNS1_9scan_implILNS1_25lookback_scan_determinismE0ELb0ELb0ES3_PKS6_PS6_S6_ZZZN2at6native31launch_logcumsumexp_cuda_kernelERKNSD_10TensorBaseESH_lENKUlvE_clEvENKUlvE3_clEvEUlS6_S6_E_S6_EEDaPvRmT3_T4_T5_mT6_P12ihipStream_tbENKUlT_T0_E_clISt17integral_constantIbLb0EESY_EEDaST_SU_EUlST_E_NS1_11comp_targetILNS1_3genE5ELNS1_11target_archE942ELNS1_3gpuE9ELNS1_3repE0EEENS1_30default_config_static_selectorELNS0_4arch9wavefront6targetE0EEEvT1_.private_seg_size, 0
	.set _ZN7rocprim17ROCPRIM_400000_NS6detail17trampoline_kernelINS0_14default_configENS1_20scan_config_selectorIN3c104HalfEEEZZNS1_9scan_implILNS1_25lookback_scan_determinismE0ELb0ELb0ES3_PKS6_PS6_S6_ZZZN2at6native31launch_logcumsumexp_cuda_kernelERKNSD_10TensorBaseESH_lENKUlvE_clEvENKUlvE3_clEvEUlS6_S6_E_S6_EEDaPvRmT3_T4_T5_mT6_P12ihipStream_tbENKUlT_T0_E_clISt17integral_constantIbLb0EESY_EEDaST_SU_EUlST_E_NS1_11comp_targetILNS1_3genE5ELNS1_11target_archE942ELNS1_3gpuE9ELNS1_3repE0EEENS1_30default_config_static_selectorELNS0_4arch9wavefront6targetE0EEEvT1_.uses_vcc, 0
	.set _ZN7rocprim17ROCPRIM_400000_NS6detail17trampoline_kernelINS0_14default_configENS1_20scan_config_selectorIN3c104HalfEEEZZNS1_9scan_implILNS1_25lookback_scan_determinismE0ELb0ELb0ES3_PKS6_PS6_S6_ZZZN2at6native31launch_logcumsumexp_cuda_kernelERKNSD_10TensorBaseESH_lENKUlvE_clEvENKUlvE3_clEvEUlS6_S6_E_S6_EEDaPvRmT3_T4_T5_mT6_P12ihipStream_tbENKUlT_T0_E_clISt17integral_constantIbLb0EESY_EEDaST_SU_EUlST_E_NS1_11comp_targetILNS1_3genE5ELNS1_11target_archE942ELNS1_3gpuE9ELNS1_3repE0EEENS1_30default_config_static_selectorELNS0_4arch9wavefront6targetE0EEEvT1_.uses_flat_scratch, 0
	.set _ZN7rocprim17ROCPRIM_400000_NS6detail17trampoline_kernelINS0_14default_configENS1_20scan_config_selectorIN3c104HalfEEEZZNS1_9scan_implILNS1_25lookback_scan_determinismE0ELb0ELb0ES3_PKS6_PS6_S6_ZZZN2at6native31launch_logcumsumexp_cuda_kernelERKNSD_10TensorBaseESH_lENKUlvE_clEvENKUlvE3_clEvEUlS6_S6_E_S6_EEDaPvRmT3_T4_T5_mT6_P12ihipStream_tbENKUlT_T0_E_clISt17integral_constantIbLb0EESY_EEDaST_SU_EUlST_E_NS1_11comp_targetILNS1_3genE5ELNS1_11target_archE942ELNS1_3gpuE9ELNS1_3repE0EEENS1_30default_config_static_selectorELNS0_4arch9wavefront6targetE0EEEvT1_.has_dyn_sized_stack, 0
	.set _ZN7rocprim17ROCPRIM_400000_NS6detail17trampoline_kernelINS0_14default_configENS1_20scan_config_selectorIN3c104HalfEEEZZNS1_9scan_implILNS1_25lookback_scan_determinismE0ELb0ELb0ES3_PKS6_PS6_S6_ZZZN2at6native31launch_logcumsumexp_cuda_kernelERKNSD_10TensorBaseESH_lENKUlvE_clEvENKUlvE3_clEvEUlS6_S6_E_S6_EEDaPvRmT3_T4_T5_mT6_P12ihipStream_tbENKUlT_T0_E_clISt17integral_constantIbLb0EESY_EEDaST_SU_EUlST_E_NS1_11comp_targetILNS1_3genE5ELNS1_11target_archE942ELNS1_3gpuE9ELNS1_3repE0EEENS1_30default_config_static_selectorELNS0_4arch9wavefront6targetE0EEEvT1_.has_recursion, 0
	.set _ZN7rocprim17ROCPRIM_400000_NS6detail17trampoline_kernelINS0_14default_configENS1_20scan_config_selectorIN3c104HalfEEEZZNS1_9scan_implILNS1_25lookback_scan_determinismE0ELb0ELb0ES3_PKS6_PS6_S6_ZZZN2at6native31launch_logcumsumexp_cuda_kernelERKNSD_10TensorBaseESH_lENKUlvE_clEvENKUlvE3_clEvEUlS6_S6_E_S6_EEDaPvRmT3_T4_T5_mT6_P12ihipStream_tbENKUlT_T0_E_clISt17integral_constantIbLb0EESY_EEDaST_SU_EUlST_E_NS1_11comp_targetILNS1_3genE5ELNS1_11target_archE942ELNS1_3gpuE9ELNS1_3repE0EEENS1_30default_config_static_selectorELNS0_4arch9wavefront6targetE0EEEvT1_.has_indirect_call, 0
	.section	.AMDGPU.csdata,"",@progbits
; Kernel info:
; codeLenInByte = 0
; TotalNumSgprs: 0
; NumVgprs: 0
; ScratchSize: 0
; MemoryBound: 0
; FloatMode: 240
; IeeeMode: 1
; LDSByteSize: 0 bytes/workgroup (compile time only)
; SGPRBlocks: 0
; VGPRBlocks: 0
; NumSGPRsForWavesPerEU: 1
; NumVGPRsForWavesPerEU: 1
; Occupancy: 16
; WaveLimiterHint : 0
; COMPUTE_PGM_RSRC2:SCRATCH_EN: 0
; COMPUTE_PGM_RSRC2:USER_SGPR: 6
; COMPUTE_PGM_RSRC2:TRAP_HANDLER: 0
; COMPUTE_PGM_RSRC2:TGID_X_EN: 1
; COMPUTE_PGM_RSRC2:TGID_Y_EN: 0
; COMPUTE_PGM_RSRC2:TGID_Z_EN: 0
; COMPUTE_PGM_RSRC2:TIDIG_COMP_CNT: 0
	.section	.text._ZN7rocprim17ROCPRIM_400000_NS6detail17trampoline_kernelINS0_14default_configENS1_20scan_config_selectorIN3c104HalfEEEZZNS1_9scan_implILNS1_25lookback_scan_determinismE0ELb0ELb0ES3_PKS6_PS6_S6_ZZZN2at6native31launch_logcumsumexp_cuda_kernelERKNSD_10TensorBaseESH_lENKUlvE_clEvENKUlvE3_clEvEUlS6_S6_E_S6_EEDaPvRmT3_T4_T5_mT6_P12ihipStream_tbENKUlT_T0_E_clISt17integral_constantIbLb0EESY_EEDaST_SU_EUlST_E_NS1_11comp_targetILNS1_3genE4ELNS1_11target_archE910ELNS1_3gpuE8ELNS1_3repE0EEENS1_30default_config_static_selectorELNS0_4arch9wavefront6targetE0EEEvT1_,"axG",@progbits,_ZN7rocprim17ROCPRIM_400000_NS6detail17trampoline_kernelINS0_14default_configENS1_20scan_config_selectorIN3c104HalfEEEZZNS1_9scan_implILNS1_25lookback_scan_determinismE0ELb0ELb0ES3_PKS6_PS6_S6_ZZZN2at6native31launch_logcumsumexp_cuda_kernelERKNSD_10TensorBaseESH_lENKUlvE_clEvENKUlvE3_clEvEUlS6_S6_E_S6_EEDaPvRmT3_T4_T5_mT6_P12ihipStream_tbENKUlT_T0_E_clISt17integral_constantIbLb0EESY_EEDaST_SU_EUlST_E_NS1_11comp_targetILNS1_3genE4ELNS1_11target_archE910ELNS1_3gpuE8ELNS1_3repE0EEENS1_30default_config_static_selectorELNS0_4arch9wavefront6targetE0EEEvT1_,comdat
	.globl	_ZN7rocprim17ROCPRIM_400000_NS6detail17trampoline_kernelINS0_14default_configENS1_20scan_config_selectorIN3c104HalfEEEZZNS1_9scan_implILNS1_25lookback_scan_determinismE0ELb0ELb0ES3_PKS6_PS6_S6_ZZZN2at6native31launch_logcumsumexp_cuda_kernelERKNSD_10TensorBaseESH_lENKUlvE_clEvENKUlvE3_clEvEUlS6_S6_E_S6_EEDaPvRmT3_T4_T5_mT6_P12ihipStream_tbENKUlT_T0_E_clISt17integral_constantIbLb0EESY_EEDaST_SU_EUlST_E_NS1_11comp_targetILNS1_3genE4ELNS1_11target_archE910ELNS1_3gpuE8ELNS1_3repE0EEENS1_30default_config_static_selectorELNS0_4arch9wavefront6targetE0EEEvT1_ ; -- Begin function _ZN7rocprim17ROCPRIM_400000_NS6detail17trampoline_kernelINS0_14default_configENS1_20scan_config_selectorIN3c104HalfEEEZZNS1_9scan_implILNS1_25lookback_scan_determinismE0ELb0ELb0ES3_PKS6_PS6_S6_ZZZN2at6native31launch_logcumsumexp_cuda_kernelERKNSD_10TensorBaseESH_lENKUlvE_clEvENKUlvE3_clEvEUlS6_S6_E_S6_EEDaPvRmT3_T4_T5_mT6_P12ihipStream_tbENKUlT_T0_E_clISt17integral_constantIbLb0EESY_EEDaST_SU_EUlST_E_NS1_11comp_targetILNS1_3genE4ELNS1_11target_archE910ELNS1_3gpuE8ELNS1_3repE0EEENS1_30default_config_static_selectorELNS0_4arch9wavefront6targetE0EEEvT1_
	.p2align	8
	.type	_ZN7rocprim17ROCPRIM_400000_NS6detail17trampoline_kernelINS0_14default_configENS1_20scan_config_selectorIN3c104HalfEEEZZNS1_9scan_implILNS1_25lookback_scan_determinismE0ELb0ELb0ES3_PKS6_PS6_S6_ZZZN2at6native31launch_logcumsumexp_cuda_kernelERKNSD_10TensorBaseESH_lENKUlvE_clEvENKUlvE3_clEvEUlS6_S6_E_S6_EEDaPvRmT3_T4_T5_mT6_P12ihipStream_tbENKUlT_T0_E_clISt17integral_constantIbLb0EESY_EEDaST_SU_EUlST_E_NS1_11comp_targetILNS1_3genE4ELNS1_11target_archE910ELNS1_3gpuE8ELNS1_3repE0EEENS1_30default_config_static_selectorELNS0_4arch9wavefront6targetE0EEEvT1_,@function
_ZN7rocprim17ROCPRIM_400000_NS6detail17trampoline_kernelINS0_14default_configENS1_20scan_config_selectorIN3c104HalfEEEZZNS1_9scan_implILNS1_25lookback_scan_determinismE0ELb0ELb0ES3_PKS6_PS6_S6_ZZZN2at6native31launch_logcumsumexp_cuda_kernelERKNSD_10TensorBaseESH_lENKUlvE_clEvENKUlvE3_clEvEUlS6_S6_E_S6_EEDaPvRmT3_T4_T5_mT6_P12ihipStream_tbENKUlT_T0_E_clISt17integral_constantIbLb0EESY_EEDaST_SU_EUlST_E_NS1_11comp_targetILNS1_3genE4ELNS1_11target_archE910ELNS1_3gpuE8ELNS1_3repE0EEENS1_30default_config_static_selectorELNS0_4arch9wavefront6targetE0EEEvT1_: ; @_ZN7rocprim17ROCPRIM_400000_NS6detail17trampoline_kernelINS0_14default_configENS1_20scan_config_selectorIN3c104HalfEEEZZNS1_9scan_implILNS1_25lookback_scan_determinismE0ELb0ELb0ES3_PKS6_PS6_S6_ZZZN2at6native31launch_logcumsumexp_cuda_kernelERKNSD_10TensorBaseESH_lENKUlvE_clEvENKUlvE3_clEvEUlS6_S6_E_S6_EEDaPvRmT3_T4_T5_mT6_P12ihipStream_tbENKUlT_T0_E_clISt17integral_constantIbLb0EESY_EEDaST_SU_EUlST_E_NS1_11comp_targetILNS1_3genE4ELNS1_11target_archE910ELNS1_3gpuE8ELNS1_3repE0EEENS1_30default_config_static_selectorELNS0_4arch9wavefront6targetE0EEEvT1_
; %bb.0:
	.section	.rodata,"a",@progbits
	.p2align	6, 0x0
	.amdhsa_kernel _ZN7rocprim17ROCPRIM_400000_NS6detail17trampoline_kernelINS0_14default_configENS1_20scan_config_selectorIN3c104HalfEEEZZNS1_9scan_implILNS1_25lookback_scan_determinismE0ELb0ELb0ES3_PKS6_PS6_S6_ZZZN2at6native31launch_logcumsumexp_cuda_kernelERKNSD_10TensorBaseESH_lENKUlvE_clEvENKUlvE3_clEvEUlS6_S6_E_S6_EEDaPvRmT3_T4_T5_mT6_P12ihipStream_tbENKUlT_T0_E_clISt17integral_constantIbLb0EESY_EEDaST_SU_EUlST_E_NS1_11comp_targetILNS1_3genE4ELNS1_11target_archE910ELNS1_3gpuE8ELNS1_3repE0EEENS1_30default_config_static_selectorELNS0_4arch9wavefront6targetE0EEEvT1_
		.amdhsa_group_segment_fixed_size 0
		.amdhsa_private_segment_fixed_size 0
		.amdhsa_kernarg_size 96
		.amdhsa_user_sgpr_count 6
		.amdhsa_user_sgpr_private_segment_buffer 1
		.amdhsa_user_sgpr_dispatch_ptr 0
		.amdhsa_user_sgpr_queue_ptr 0
		.amdhsa_user_sgpr_kernarg_segment_ptr 1
		.amdhsa_user_sgpr_dispatch_id 0
		.amdhsa_user_sgpr_flat_scratch_init 0
		.amdhsa_user_sgpr_private_segment_size 0
		.amdhsa_wavefront_size32 1
		.amdhsa_uses_dynamic_stack 0
		.amdhsa_system_sgpr_private_segment_wavefront_offset 0
		.amdhsa_system_sgpr_workgroup_id_x 1
		.amdhsa_system_sgpr_workgroup_id_y 0
		.amdhsa_system_sgpr_workgroup_id_z 0
		.amdhsa_system_sgpr_workgroup_info 0
		.amdhsa_system_vgpr_workitem_id 0
		.amdhsa_next_free_vgpr 1
		.amdhsa_next_free_sgpr 1
		.amdhsa_reserve_vcc 0
		.amdhsa_reserve_flat_scratch 0
		.amdhsa_float_round_mode_32 0
		.amdhsa_float_round_mode_16_64 0
		.amdhsa_float_denorm_mode_32 3
		.amdhsa_float_denorm_mode_16_64 3
		.amdhsa_dx10_clamp 1
		.amdhsa_ieee_mode 1
		.amdhsa_fp16_overflow 0
		.amdhsa_workgroup_processor_mode 1
		.amdhsa_memory_ordered 1
		.amdhsa_forward_progress 1
		.amdhsa_shared_vgpr_count 0
		.amdhsa_exception_fp_ieee_invalid_op 0
		.amdhsa_exception_fp_denorm_src 0
		.amdhsa_exception_fp_ieee_div_zero 0
		.amdhsa_exception_fp_ieee_overflow 0
		.amdhsa_exception_fp_ieee_underflow 0
		.amdhsa_exception_fp_ieee_inexact 0
		.amdhsa_exception_int_div_zero 0
	.end_amdhsa_kernel
	.section	.text._ZN7rocprim17ROCPRIM_400000_NS6detail17trampoline_kernelINS0_14default_configENS1_20scan_config_selectorIN3c104HalfEEEZZNS1_9scan_implILNS1_25lookback_scan_determinismE0ELb0ELb0ES3_PKS6_PS6_S6_ZZZN2at6native31launch_logcumsumexp_cuda_kernelERKNSD_10TensorBaseESH_lENKUlvE_clEvENKUlvE3_clEvEUlS6_S6_E_S6_EEDaPvRmT3_T4_T5_mT6_P12ihipStream_tbENKUlT_T0_E_clISt17integral_constantIbLb0EESY_EEDaST_SU_EUlST_E_NS1_11comp_targetILNS1_3genE4ELNS1_11target_archE910ELNS1_3gpuE8ELNS1_3repE0EEENS1_30default_config_static_selectorELNS0_4arch9wavefront6targetE0EEEvT1_,"axG",@progbits,_ZN7rocprim17ROCPRIM_400000_NS6detail17trampoline_kernelINS0_14default_configENS1_20scan_config_selectorIN3c104HalfEEEZZNS1_9scan_implILNS1_25lookback_scan_determinismE0ELb0ELb0ES3_PKS6_PS6_S6_ZZZN2at6native31launch_logcumsumexp_cuda_kernelERKNSD_10TensorBaseESH_lENKUlvE_clEvENKUlvE3_clEvEUlS6_S6_E_S6_EEDaPvRmT3_T4_T5_mT6_P12ihipStream_tbENKUlT_T0_E_clISt17integral_constantIbLb0EESY_EEDaST_SU_EUlST_E_NS1_11comp_targetILNS1_3genE4ELNS1_11target_archE910ELNS1_3gpuE8ELNS1_3repE0EEENS1_30default_config_static_selectorELNS0_4arch9wavefront6targetE0EEEvT1_,comdat
.Lfunc_end353:
	.size	_ZN7rocprim17ROCPRIM_400000_NS6detail17trampoline_kernelINS0_14default_configENS1_20scan_config_selectorIN3c104HalfEEEZZNS1_9scan_implILNS1_25lookback_scan_determinismE0ELb0ELb0ES3_PKS6_PS6_S6_ZZZN2at6native31launch_logcumsumexp_cuda_kernelERKNSD_10TensorBaseESH_lENKUlvE_clEvENKUlvE3_clEvEUlS6_S6_E_S6_EEDaPvRmT3_T4_T5_mT6_P12ihipStream_tbENKUlT_T0_E_clISt17integral_constantIbLb0EESY_EEDaST_SU_EUlST_E_NS1_11comp_targetILNS1_3genE4ELNS1_11target_archE910ELNS1_3gpuE8ELNS1_3repE0EEENS1_30default_config_static_selectorELNS0_4arch9wavefront6targetE0EEEvT1_, .Lfunc_end353-_ZN7rocprim17ROCPRIM_400000_NS6detail17trampoline_kernelINS0_14default_configENS1_20scan_config_selectorIN3c104HalfEEEZZNS1_9scan_implILNS1_25lookback_scan_determinismE0ELb0ELb0ES3_PKS6_PS6_S6_ZZZN2at6native31launch_logcumsumexp_cuda_kernelERKNSD_10TensorBaseESH_lENKUlvE_clEvENKUlvE3_clEvEUlS6_S6_E_S6_EEDaPvRmT3_T4_T5_mT6_P12ihipStream_tbENKUlT_T0_E_clISt17integral_constantIbLb0EESY_EEDaST_SU_EUlST_E_NS1_11comp_targetILNS1_3genE4ELNS1_11target_archE910ELNS1_3gpuE8ELNS1_3repE0EEENS1_30default_config_static_selectorELNS0_4arch9wavefront6targetE0EEEvT1_
                                        ; -- End function
	.set _ZN7rocprim17ROCPRIM_400000_NS6detail17trampoline_kernelINS0_14default_configENS1_20scan_config_selectorIN3c104HalfEEEZZNS1_9scan_implILNS1_25lookback_scan_determinismE0ELb0ELb0ES3_PKS6_PS6_S6_ZZZN2at6native31launch_logcumsumexp_cuda_kernelERKNSD_10TensorBaseESH_lENKUlvE_clEvENKUlvE3_clEvEUlS6_S6_E_S6_EEDaPvRmT3_T4_T5_mT6_P12ihipStream_tbENKUlT_T0_E_clISt17integral_constantIbLb0EESY_EEDaST_SU_EUlST_E_NS1_11comp_targetILNS1_3genE4ELNS1_11target_archE910ELNS1_3gpuE8ELNS1_3repE0EEENS1_30default_config_static_selectorELNS0_4arch9wavefront6targetE0EEEvT1_.num_vgpr, 0
	.set _ZN7rocprim17ROCPRIM_400000_NS6detail17trampoline_kernelINS0_14default_configENS1_20scan_config_selectorIN3c104HalfEEEZZNS1_9scan_implILNS1_25lookback_scan_determinismE0ELb0ELb0ES3_PKS6_PS6_S6_ZZZN2at6native31launch_logcumsumexp_cuda_kernelERKNSD_10TensorBaseESH_lENKUlvE_clEvENKUlvE3_clEvEUlS6_S6_E_S6_EEDaPvRmT3_T4_T5_mT6_P12ihipStream_tbENKUlT_T0_E_clISt17integral_constantIbLb0EESY_EEDaST_SU_EUlST_E_NS1_11comp_targetILNS1_3genE4ELNS1_11target_archE910ELNS1_3gpuE8ELNS1_3repE0EEENS1_30default_config_static_selectorELNS0_4arch9wavefront6targetE0EEEvT1_.num_agpr, 0
	.set _ZN7rocprim17ROCPRIM_400000_NS6detail17trampoline_kernelINS0_14default_configENS1_20scan_config_selectorIN3c104HalfEEEZZNS1_9scan_implILNS1_25lookback_scan_determinismE0ELb0ELb0ES3_PKS6_PS6_S6_ZZZN2at6native31launch_logcumsumexp_cuda_kernelERKNSD_10TensorBaseESH_lENKUlvE_clEvENKUlvE3_clEvEUlS6_S6_E_S6_EEDaPvRmT3_T4_T5_mT6_P12ihipStream_tbENKUlT_T0_E_clISt17integral_constantIbLb0EESY_EEDaST_SU_EUlST_E_NS1_11comp_targetILNS1_3genE4ELNS1_11target_archE910ELNS1_3gpuE8ELNS1_3repE0EEENS1_30default_config_static_selectorELNS0_4arch9wavefront6targetE0EEEvT1_.numbered_sgpr, 0
	.set _ZN7rocprim17ROCPRIM_400000_NS6detail17trampoline_kernelINS0_14default_configENS1_20scan_config_selectorIN3c104HalfEEEZZNS1_9scan_implILNS1_25lookback_scan_determinismE0ELb0ELb0ES3_PKS6_PS6_S6_ZZZN2at6native31launch_logcumsumexp_cuda_kernelERKNSD_10TensorBaseESH_lENKUlvE_clEvENKUlvE3_clEvEUlS6_S6_E_S6_EEDaPvRmT3_T4_T5_mT6_P12ihipStream_tbENKUlT_T0_E_clISt17integral_constantIbLb0EESY_EEDaST_SU_EUlST_E_NS1_11comp_targetILNS1_3genE4ELNS1_11target_archE910ELNS1_3gpuE8ELNS1_3repE0EEENS1_30default_config_static_selectorELNS0_4arch9wavefront6targetE0EEEvT1_.num_named_barrier, 0
	.set _ZN7rocprim17ROCPRIM_400000_NS6detail17trampoline_kernelINS0_14default_configENS1_20scan_config_selectorIN3c104HalfEEEZZNS1_9scan_implILNS1_25lookback_scan_determinismE0ELb0ELb0ES3_PKS6_PS6_S6_ZZZN2at6native31launch_logcumsumexp_cuda_kernelERKNSD_10TensorBaseESH_lENKUlvE_clEvENKUlvE3_clEvEUlS6_S6_E_S6_EEDaPvRmT3_T4_T5_mT6_P12ihipStream_tbENKUlT_T0_E_clISt17integral_constantIbLb0EESY_EEDaST_SU_EUlST_E_NS1_11comp_targetILNS1_3genE4ELNS1_11target_archE910ELNS1_3gpuE8ELNS1_3repE0EEENS1_30default_config_static_selectorELNS0_4arch9wavefront6targetE0EEEvT1_.private_seg_size, 0
	.set _ZN7rocprim17ROCPRIM_400000_NS6detail17trampoline_kernelINS0_14default_configENS1_20scan_config_selectorIN3c104HalfEEEZZNS1_9scan_implILNS1_25lookback_scan_determinismE0ELb0ELb0ES3_PKS6_PS6_S6_ZZZN2at6native31launch_logcumsumexp_cuda_kernelERKNSD_10TensorBaseESH_lENKUlvE_clEvENKUlvE3_clEvEUlS6_S6_E_S6_EEDaPvRmT3_T4_T5_mT6_P12ihipStream_tbENKUlT_T0_E_clISt17integral_constantIbLb0EESY_EEDaST_SU_EUlST_E_NS1_11comp_targetILNS1_3genE4ELNS1_11target_archE910ELNS1_3gpuE8ELNS1_3repE0EEENS1_30default_config_static_selectorELNS0_4arch9wavefront6targetE0EEEvT1_.uses_vcc, 0
	.set _ZN7rocprim17ROCPRIM_400000_NS6detail17trampoline_kernelINS0_14default_configENS1_20scan_config_selectorIN3c104HalfEEEZZNS1_9scan_implILNS1_25lookback_scan_determinismE0ELb0ELb0ES3_PKS6_PS6_S6_ZZZN2at6native31launch_logcumsumexp_cuda_kernelERKNSD_10TensorBaseESH_lENKUlvE_clEvENKUlvE3_clEvEUlS6_S6_E_S6_EEDaPvRmT3_T4_T5_mT6_P12ihipStream_tbENKUlT_T0_E_clISt17integral_constantIbLb0EESY_EEDaST_SU_EUlST_E_NS1_11comp_targetILNS1_3genE4ELNS1_11target_archE910ELNS1_3gpuE8ELNS1_3repE0EEENS1_30default_config_static_selectorELNS0_4arch9wavefront6targetE0EEEvT1_.uses_flat_scratch, 0
	.set _ZN7rocprim17ROCPRIM_400000_NS6detail17trampoline_kernelINS0_14default_configENS1_20scan_config_selectorIN3c104HalfEEEZZNS1_9scan_implILNS1_25lookback_scan_determinismE0ELb0ELb0ES3_PKS6_PS6_S6_ZZZN2at6native31launch_logcumsumexp_cuda_kernelERKNSD_10TensorBaseESH_lENKUlvE_clEvENKUlvE3_clEvEUlS6_S6_E_S6_EEDaPvRmT3_T4_T5_mT6_P12ihipStream_tbENKUlT_T0_E_clISt17integral_constantIbLb0EESY_EEDaST_SU_EUlST_E_NS1_11comp_targetILNS1_3genE4ELNS1_11target_archE910ELNS1_3gpuE8ELNS1_3repE0EEENS1_30default_config_static_selectorELNS0_4arch9wavefront6targetE0EEEvT1_.has_dyn_sized_stack, 0
	.set _ZN7rocprim17ROCPRIM_400000_NS6detail17trampoline_kernelINS0_14default_configENS1_20scan_config_selectorIN3c104HalfEEEZZNS1_9scan_implILNS1_25lookback_scan_determinismE0ELb0ELb0ES3_PKS6_PS6_S6_ZZZN2at6native31launch_logcumsumexp_cuda_kernelERKNSD_10TensorBaseESH_lENKUlvE_clEvENKUlvE3_clEvEUlS6_S6_E_S6_EEDaPvRmT3_T4_T5_mT6_P12ihipStream_tbENKUlT_T0_E_clISt17integral_constantIbLb0EESY_EEDaST_SU_EUlST_E_NS1_11comp_targetILNS1_3genE4ELNS1_11target_archE910ELNS1_3gpuE8ELNS1_3repE0EEENS1_30default_config_static_selectorELNS0_4arch9wavefront6targetE0EEEvT1_.has_recursion, 0
	.set _ZN7rocprim17ROCPRIM_400000_NS6detail17trampoline_kernelINS0_14default_configENS1_20scan_config_selectorIN3c104HalfEEEZZNS1_9scan_implILNS1_25lookback_scan_determinismE0ELb0ELb0ES3_PKS6_PS6_S6_ZZZN2at6native31launch_logcumsumexp_cuda_kernelERKNSD_10TensorBaseESH_lENKUlvE_clEvENKUlvE3_clEvEUlS6_S6_E_S6_EEDaPvRmT3_T4_T5_mT6_P12ihipStream_tbENKUlT_T0_E_clISt17integral_constantIbLb0EESY_EEDaST_SU_EUlST_E_NS1_11comp_targetILNS1_3genE4ELNS1_11target_archE910ELNS1_3gpuE8ELNS1_3repE0EEENS1_30default_config_static_selectorELNS0_4arch9wavefront6targetE0EEEvT1_.has_indirect_call, 0
	.section	.AMDGPU.csdata,"",@progbits
; Kernel info:
; codeLenInByte = 0
; TotalNumSgprs: 0
; NumVgprs: 0
; ScratchSize: 0
; MemoryBound: 0
; FloatMode: 240
; IeeeMode: 1
; LDSByteSize: 0 bytes/workgroup (compile time only)
; SGPRBlocks: 0
; VGPRBlocks: 0
; NumSGPRsForWavesPerEU: 1
; NumVGPRsForWavesPerEU: 1
; Occupancy: 16
; WaveLimiterHint : 0
; COMPUTE_PGM_RSRC2:SCRATCH_EN: 0
; COMPUTE_PGM_RSRC2:USER_SGPR: 6
; COMPUTE_PGM_RSRC2:TRAP_HANDLER: 0
; COMPUTE_PGM_RSRC2:TGID_X_EN: 1
; COMPUTE_PGM_RSRC2:TGID_Y_EN: 0
; COMPUTE_PGM_RSRC2:TGID_Z_EN: 0
; COMPUTE_PGM_RSRC2:TIDIG_COMP_CNT: 0
	.section	.text._ZN7rocprim17ROCPRIM_400000_NS6detail17trampoline_kernelINS0_14default_configENS1_20scan_config_selectorIN3c104HalfEEEZZNS1_9scan_implILNS1_25lookback_scan_determinismE0ELb0ELb0ES3_PKS6_PS6_S6_ZZZN2at6native31launch_logcumsumexp_cuda_kernelERKNSD_10TensorBaseESH_lENKUlvE_clEvENKUlvE3_clEvEUlS6_S6_E_S6_EEDaPvRmT3_T4_T5_mT6_P12ihipStream_tbENKUlT_T0_E_clISt17integral_constantIbLb0EESY_EEDaST_SU_EUlST_E_NS1_11comp_targetILNS1_3genE3ELNS1_11target_archE908ELNS1_3gpuE7ELNS1_3repE0EEENS1_30default_config_static_selectorELNS0_4arch9wavefront6targetE0EEEvT1_,"axG",@progbits,_ZN7rocprim17ROCPRIM_400000_NS6detail17trampoline_kernelINS0_14default_configENS1_20scan_config_selectorIN3c104HalfEEEZZNS1_9scan_implILNS1_25lookback_scan_determinismE0ELb0ELb0ES3_PKS6_PS6_S6_ZZZN2at6native31launch_logcumsumexp_cuda_kernelERKNSD_10TensorBaseESH_lENKUlvE_clEvENKUlvE3_clEvEUlS6_S6_E_S6_EEDaPvRmT3_T4_T5_mT6_P12ihipStream_tbENKUlT_T0_E_clISt17integral_constantIbLb0EESY_EEDaST_SU_EUlST_E_NS1_11comp_targetILNS1_3genE3ELNS1_11target_archE908ELNS1_3gpuE7ELNS1_3repE0EEENS1_30default_config_static_selectorELNS0_4arch9wavefront6targetE0EEEvT1_,comdat
	.globl	_ZN7rocprim17ROCPRIM_400000_NS6detail17trampoline_kernelINS0_14default_configENS1_20scan_config_selectorIN3c104HalfEEEZZNS1_9scan_implILNS1_25lookback_scan_determinismE0ELb0ELb0ES3_PKS6_PS6_S6_ZZZN2at6native31launch_logcumsumexp_cuda_kernelERKNSD_10TensorBaseESH_lENKUlvE_clEvENKUlvE3_clEvEUlS6_S6_E_S6_EEDaPvRmT3_T4_T5_mT6_P12ihipStream_tbENKUlT_T0_E_clISt17integral_constantIbLb0EESY_EEDaST_SU_EUlST_E_NS1_11comp_targetILNS1_3genE3ELNS1_11target_archE908ELNS1_3gpuE7ELNS1_3repE0EEENS1_30default_config_static_selectorELNS0_4arch9wavefront6targetE0EEEvT1_ ; -- Begin function _ZN7rocprim17ROCPRIM_400000_NS6detail17trampoline_kernelINS0_14default_configENS1_20scan_config_selectorIN3c104HalfEEEZZNS1_9scan_implILNS1_25lookback_scan_determinismE0ELb0ELb0ES3_PKS6_PS6_S6_ZZZN2at6native31launch_logcumsumexp_cuda_kernelERKNSD_10TensorBaseESH_lENKUlvE_clEvENKUlvE3_clEvEUlS6_S6_E_S6_EEDaPvRmT3_T4_T5_mT6_P12ihipStream_tbENKUlT_T0_E_clISt17integral_constantIbLb0EESY_EEDaST_SU_EUlST_E_NS1_11comp_targetILNS1_3genE3ELNS1_11target_archE908ELNS1_3gpuE7ELNS1_3repE0EEENS1_30default_config_static_selectorELNS0_4arch9wavefront6targetE0EEEvT1_
	.p2align	8
	.type	_ZN7rocprim17ROCPRIM_400000_NS6detail17trampoline_kernelINS0_14default_configENS1_20scan_config_selectorIN3c104HalfEEEZZNS1_9scan_implILNS1_25lookback_scan_determinismE0ELb0ELb0ES3_PKS6_PS6_S6_ZZZN2at6native31launch_logcumsumexp_cuda_kernelERKNSD_10TensorBaseESH_lENKUlvE_clEvENKUlvE3_clEvEUlS6_S6_E_S6_EEDaPvRmT3_T4_T5_mT6_P12ihipStream_tbENKUlT_T0_E_clISt17integral_constantIbLb0EESY_EEDaST_SU_EUlST_E_NS1_11comp_targetILNS1_3genE3ELNS1_11target_archE908ELNS1_3gpuE7ELNS1_3repE0EEENS1_30default_config_static_selectorELNS0_4arch9wavefront6targetE0EEEvT1_,@function
_ZN7rocprim17ROCPRIM_400000_NS6detail17trampoline_kernelINS0_14default_configENS1_20scan_config_selectorIN3c104HalfEEEZZNS1_9scan_implILNS1_25lookback_scan_determinismE0ELb0ELb0ES3_PKS6_PS6_S6_ZZZN2at6native31launch_logcumsumexp_cuda_kernelERKNSD_10TensorBaseESH_lENKUlvE_clEvENKUlvE3_clEvEUlS6_S6_E_S6_EEDaPvRmT3_T4_T5_mT6_P12ihipStream_tbENKUlT_T0_E_clISt17integral_constantIbLb0EESY_EEDaST_SU_EUlST_E_NS1_11comp_targetILNS1_3genE3ELNS1_11target_archE908ELNS1_3gpuE7ELNS1_3repE0EEENS1_30default_config_static_selectorELNS0_4arch9wavefront6targetE0EEEvT1_: ; @_ZN7rocprim17ROCPRIM_400000_NS6detail17trampoline_kernelINS0_14default_configENS1_20scan_config_selectorIN3c104HalfEEEZZNS1_9scan_implILNS1_25lookback_scan_determinismE0ELb0ELb0ES3_PKS6_PS6_S6_ZZZN2at6native31launch_logcumsumexp_cuda_kernelERKNSD_10TensorBaseESH_lENKUlvE_clEvENKUlvE3_clEvEUlS6_S6_E_S6_EEDaPvRmT3_T4_T5_mT6_P12ihipStream_tbENKUlT_T0_E_clISt17integral_constantIbLb0EESY_EEDaST_SU_EUlST_E_NS1_11comp_targetILNS1_3genE3ELNS1_11target_archE908ELNS1_3gpuE7ELNS1_3repE0EEENS1_30default_config_static_selectorELNS0_4arch9wavefront6targetE0EEEvT1_
; %bb.0:
	.section	.rodata,"a",@progbits
	.p2align	6, 0x0
	.amdhsa_kernel _ZN7rocprim17ROCPRIM_400000_NS6detail17trampoline_kernelINS0_14default_configENS1_20scan_config_selectorIN3c104HalfEEEZZNS1_9scan_implILNS1_25lookback_scan_determinismE0ELb0ELb0ES3_PKS6_PS6_S6_ZZZN2at6native31launch_logcumsumexp_cuda_kernelERKNSD_10TensorBaseESH_lENKUlvE_clEvENKUlvE3_clEvEUlS6_S6_E_S6_EEDaPvRmT3_T4_T5_mT6_P12ihipStream_tbENKUlT_T0_E_clISt17integral_constantIbLb0EESY_EEDaST_SU_EUlST_E_NS1_11comp_targetILNS1_3genE3ELNS1_11target_archE908ELNS1_3gpuE7ELNS1_3repE0EEENS1_30default_config_static_selectorELNS0_4arch9wavefront6targetE0EEEvT1_
		.amdhsa_group_segment_fixed_size 0
		.amdhsa_private_segment_fixed_size 0
		.amdhsa_kernarg_size 96
		.amdhsa_user_sgpr_count 6
		.amdhsa_user_sgpr_private_segment_buffer 1
		.amdhsa_user_sgpr_dispatch_ptr 0
		.amdhsa_user_sgpr_queue_ptr 0
		.amdhsa_user_sgpr_kernarg_segment_ptr 1
		.amdhsa_user_sgpr_dispatch_id 0
		.amdhsa_user_sgpr_flat_scratch_init 0
		.amdhsa_user_sgpr_private_segment_size 0
		.amdhsa_wavefront_size32 1
		.amdhsa_uses_dynamic_stack 0
		.amdhsa_system_sgpr_private_segment_wavefront_offset 0
		.amdhsa_system_sgpr_workgroup_id_x 1
		.amdhsa_system_sgpr_workgroup_id_y 0
		.amdhsa_system_sgpr_workgroup_id_z 0
		.amdhsa_system_sgpr_workgroup_info 0
		.amdhsa_system_vgpr_workitem_id 0
		.amdhsa_next_free_vgpr 1
		.amdhsa_next_free_sgpr 1
		.amdhsa_reserve_vcc 0
		.amdhsa_reserve_flat_scratch 0
		.amdhsa_float_round_mode_32 0
		.amdhsa_float_round_mode_16_64 0
		.amdhsa_float_denorm_mode_32 3
		.amdhsa_float_denorm_mode_16_64 3
		.amdhsa_dx10_clamp 1
		.amdhsa_ieee_mode 1
		.amdhsa_fp16_overflow 0
		.amdhsa_workgroup_processor_mode 1
		.amdhsa_memory_ordered 1
		.amdhsa_forward_progress 1
		.amdhsa_shared_vgpr_count 0
		.amdhsa_exception_fp_ieee_invalid_op 0
		.amdhsa_exception_fp_denorm_src 0
		.amdhsa_exception_fp_ieee_div_zero 0
		.amdhsa_exception_fp_ieee_overflow 0
		.amdhsa_exception_fp_ieee_underflow 0
		.amdhsa_exception_fp_ieee_inexact 0
		.amdhsa_exception_int_div_zero 0
	.end_amdhsa_kernel
	.section	.text._ZN7rocprim17ROCPRIM_400000_NS6detail17trampoline_kernelINS0_14default_configENS1_20scan_config_selectorIN3c104HalfEEEZZNS1_9scan_implILNS1_25lookback_scan_determinismE0ELb0ELb0ES3_PKS6_PS6_S6_ZZZN2at6native31launch_logcumsumexp_cuda_kernelERKNSD_10TensorBaseESH_lENKUlvE_clEvENKUlvE3_clEvEUlS6_S6_E_S6_EEDaPvRmT3_T4_T5_mT6_P12ihipStream_tbENKUlT_T0_E_clISt17integral_constantIbLb0EESY_EEDaST_SU_EUlST_E_NS1_11comp_targetILNS1_3genE3ELNS1_11target_archE908ELNS1_3gpuE7ELNS1_3repE0EEENS1_30default_config_static_selectorELNS0_4arch9wavefront6targetE0EEEvT1_,"axG",@progbits,_ZN7rocprim17ROCPRIM_400000_NS6detail17trampoline_kernelINS0_14default_configENS1_20scan_config_selectorIN3c104HalfEEEZZNS1_9scan_implILNS1_25lookback_scan_determinismE0ELb0ELb0ES3_PKS6_PS6_S6_ZZZN2at6native31launch_logcumsumexp_cuda_kernelERKNSD_10TensorBaseESH_lENKUlvE_clEvENKUlvE3_clEvEUlS6_S6_E_S6_EEDaPvRmT3_T4_T5_mT6_P12ihipStream_tbENKUlT_T0_E_clISt17integral_constantIbLb0EESY_EEDaST_SU_EUlST_E_NS1_11comp_targetILNS1_3genE3ELNS1_11target_archE908ELNS1_3gpuE7ELNS1_3repE0EEENS1_30default_config_static_selectorELNS0_4arch9wavefront6targetE0EEEvT1_,comdat
.Lfunc_end354:
	.size	_ZN7rocprim17ROCPRIM_400000_NS6detail17trampoline_kernelINS0_14default_configENS1_20scan_config_selectorIN3c104HalfEEEZZNS1_9scan_implILNS1_25lookback_scan_determinismE0ELb0ELb0ES3_PKS6_PS6_S6_ZZZN2at6native31launch_logcumsumexp_cuda_kernelERKNSD_10TensorBaseESH_lENKUlvE_clEvENKUlvE3_clEvEUlS6_S6_E_S6_EEDaPvRmT3_T4_T5_mT6_P12ihipStream_tbENKUlT_T0_E_clISt17integral_constantIbLb0EESY_EEDaST_SU_EUlST_E_NS1_11comp_targetILNS1_3genE3ELNS1_11target_archE908ELNS1_3gpuE7ELNS1_3repE0EEENS1_30default_config_static_selectorELNS0_4arch9wavefront6targetE0EEEvT1_, .Lfunc_end354-_ZN7rocprim17ROCPRIM_400000_NS6detail17trampoline_kernelINS0_14default_configENS1_20scan_config_selectorIN3c104HalfEEEZZNS1_9scan_implILNS1_25lookback_scan_determinismE0ELb0ELb0ES3_PKS6_PS6_S6_ZZZN2at6native31launch_logcumsumexp_cuda_kernelERKNSD_10TensorBaseESH_lENKUlvE_clEvENKUlvE3_clEvEUlS6_S6_E_S6_EEDaPvRmT3_T4_T5_mT6_P12ihipStream_tbENKUlT_T0_E_clISt17integral_constantIbLb0EESY_EEDaST_SU_EUlST_E_NS1_11comp_targetILNS1_3genE3ELNS1_11target_archE908ELNS1_3gpuE7ELNS1_3repE0EEENS1_30default_config_static_selectorELNS0_4arch9wavefront6targetE0EEEvT1_
                                        ; -- End function
	.set _ZN7rocprim17ROCPRIM_400000_NS6detail17trampoline_kernelINS0_14default_configENS1_20scan_config_selectorIN3c104HalfEEEZZNS1_9scan_implILNS1_25lookback_scan_determinismE0ELb0ELb0ES3_PKS6_PS6_S6_ZZZN2at6native31launch_logcumsumexp_cuda_kernelERKNSD_10TensorBaseESH_lENKUlvE_clEvENKUlvE3_clEvEUlS6_S6_E_S6_EEDaPvRmT3_T4_T5_mT6_P12ihipStream_tbENKUlT_T0_E_clISt17integral_constantIbLb0EESY_EEDaST_SU_EUlST_E_NS1_11comp_targetILNS1_3genE3ELNS1_11target_archE908ELNS1_3gpuE7ELNS1_3repE0EEENS1_30default_config_static_selectorELNS0_4arch9wavefront6targetE0EEEvT1_.num_vgpr, 0
	.set _ZN7rocprim17ROCPRIM_400000_NS6detail17trampoline_kernelINS0_14default_configENS1_20scan_config_selectorIN3c104HalfEEEZZNS1_9scan_implILNS1_25lookback_scan_determinismE0ELb0ELb0ES3_PKS6_PS6_S6_ZZZN2at6native31launch_logcumsumexp_cuda_kernelERKNSD_10TensorBaseESH_lENKUlvE_clEvENKUlvE3_clEvEUlS6_S6_E_S6_EEDaPvRmT3_T4_T5_mT6_P12ihipStream_tbENKUlT_T0_E_clISt17integral_constantIbLb0EESY_EEDaST_SU_EUlST_E_NS1_11comp_targetILNS1_3genE3ELNS1_11target_archE908ELNS1_3gpuE7ELNS1_3repE0EEENS1_30default_config_static_selectorELNS0_4arch9wavefront6targetE0EEEvT1_.num_agpr, 0
	.set _ZN7rocprim17ROCPRIM_400000_NS6detail17trampoline_kernelINS0_14default_configENS1_20scan_config_selectorIN3c104HalfEEEZZNS1_9scan_implILNS1_25lookback_scan_determinismE0ELb0ELb0ES3_PKS6_PS6_S6_ZZZN2at6native31launch_logcumsumexp_cuda_kernelERKNSD_10TensorBaseESH_lENKUlvE_clEvENKUlvE3_clEvEUlS6_S6_E_S6_EEDaPvRmT3_T4_T5_mT6_P12ihipStream_tbENKUlT_T0_E_clISt17integral_constantIbLb0EESY_EEDaST_SU_EUlST_E_NS1_11comp_targetILNS1_3genE3ELNS1_11target_archE908ELNS1_3gpuE7ELNS1_3repE0EEENS1_30default_config_static_selectorELNS0_4arch9wavefront6targetE0EEEvT1_.numbered_sgpr, 0
	.set _ZN7rocprim17ROCPRIM_400000_NS6detail17trampoline_kernelINS0_14default_configENS1_20scan_config_selectorIN3c104HalfEEEZZNS1_9scan_implILNS1_25lookback_scan_determinismE0ELb0ELb0ES3_PKS6_PS6_S6_ZZZN2at6native31launch_logcumsumexp_cuda_kernelERKNSD_10TensorBaseESH_lENKUlvE_clEvENKUlvE3_clEvEUlS6_S6_E_S6_EEDaPvRmT3_T4_T5_mT6_P12ihipStream_tbENKUlT_T0_E_clISt17integral_constantIbLb0EESY_EEDaST_SU_EUlST_E_NS1_11comp_targetILNS1_3genE3ELNS1_11target_archE908ELNS1_3gpuE7ELNS1_3repE0EEENS1_30default_config_static_selectorELNS0_4arch9wavefront6targetE0EEEvT1_.num_named_barrier, 0
	.set _ZN7rocprim17ROCPRIM_400000_NS6detail17trampoline_kernelINS0_14default_configENS1_20scan_config_selectorIN3c104HalfEEEZZNS1_9scan_implILNS1_25lookback_scan_determinismE0ELb0ELb0ES3_PKS6_PS6_S6_ZZZN2at6native31launch_logcumsumexp_cuda_kernelERKNSD_10TensorBaseESH_lENKUlvE_clEvENKUlvE3_clEvEUlS6_S6_E_S6_EEDaPvRmT3_T4_T5_mT6_P12ihipStream_tbENKUlT_T0_E_clISt17integral_constantIbLb0EESY_EEDaST_SU_EUlST_E_NS1_11comp_targetILNS1_3genE3ELNS1_11target_archE908ELNS1_3gpuE7ELNS1_3repE0EEENS1_30default_config_static_selectorELNS0_4arch9wavefront6targetE0EEEvT1_.private_seg_size, 0
	.set _ZN7rocprim17ROCPRIM_400000_NS6detail17trampoline_kernelINS0_14default_configENS1_20scan_config_selectorIN3c104HalfEEEZZNS1_9scan_implILNS1_25lookback_scan_determinismE0ELb0ELb0ES3_PKS6_PS6_S6_ZZZN2at6native31launch_logcumsumexp_cuda_kernelERKNSD_10TensorBaseESH_lENKUlvE_clEvENKUlvE3_clEvEUlS6_S6_E_S6_EEDaPvRmT3_T4_T5_mT6_P12ihipStream_tbENKUlT_T0_E_clISt17integral_constantIbLb0EESY_EEDaST_SU_EUlST_E_NS1_11comp_targetILNS1_3genE3ELNS1_11target_archE908ELNS1_3gpuE7ELNS1_3repE0EEENS1_30default_config_static_selectorELNS0_4arch9wavefront6targetE0EEEvT1_.uses_vcc, 0
	.set _ZN7rocprim17ROCPRIM_400000_NS6detail17trampoline_kernelINS0_14default_configENS1_20scan_config_selectorIN3c104HalfEEEZZNS1_9scan_implILNS1_25lookback_scan_determinismE0ELb0ELb0ES3_PKS6_PS6_S6_ZZZN2at6native31launch_logcumsumexp_cuda_kernelERKNSD_10TensorBaseESH_lENKUlvE_clEvENKUlvE3_clEvEUlS6_S6_E_S6_EEDaPvRmT3_T4_T5_mT6_P12ihipStream_tbENKUlT_T0_E_clISt17integral_constantIbLb0EESY_EEDaST_SU_EUlST_E_NS1_11comp_targetILNS1_3genE3ELNS1_11target_archE908ELNS1_3gpuE7ELNS1_3repE0EEENS1_30default_config_static_selectorELNS0_4arch9wavefront6targetE0EEEvT1_.uses_flat_scratch, 0
	.set _ZN7rocprim17ROCPRIM_400000_NS6detail17trampoline_kernelINS0_14default_configENS1_20scan_config_selectorIN3c104HalfEEEZZNS1_9scan_implILNS1_25lookback_scan_determinismE0ELb0ELb0ES3_PKS6_PS6_S6_ZZZN2at6native31launch_logcumsumexp_cuda_kernelERKNSD_10TensorBaseESH_lENKUlvE_clEvENKUlvE3_clEvEUlS6_S6_E_S6_EEDaPvRmT3_T4_T5_mT6_P12ihipStream_tbENKUlT_T0_E_clISt17integral_constantIbLb0EESY_EEDaST_SU_EUlST_E_NS1_11comp_targetILNS1_3genE3ELNS1_11target_archE908ELNS1_3gpuE7ELNS1_3repE0EEENS1_30default_config_static_selectorELNS0_4arch9wavefront6targetE0EEEvT1_.has_dyn_sized_stack, 0
	.set _ZN7rocprim17ROCPRIM_400000_NS6detail17trampoline_kernelINS0_14default_configENS1_20scan_config_selectorIN3c104HalfEEEZZNS1_9scan_implILNS1_25lookback_scan_determinismE0ELb0ELb0ES3_PKS6_PS6_S6_ZZZN2at6native31launch_logcumsumexp_cuda_kernelERKNSD_10TensorBaseESH_lENKUlvE_clEvENKUlvE3_clEvEUlS6_S6_E_S6_EEDaPvRmT3_T4_T5_mT6_P12ihipStream_tbENKUlT_T0_E_clISt17integral_constantIbLb0EESY_EEDaST_SU_EUlST_E_NS1_11comp_targetILNS1_3genE3ELNS1_11target_archE908ELNS1_3gpuE7ELNS1_3repE0EEENS1_30default_config_static_selectorELNS0_4arch9wavefront6targetE0EEEvT1_.has_recursion, 0
	.set _ZN7rocprim17ROCPRIM_400000_NS6detail17trampoline_kernelINS0_14default_configENS1_20scan_config_selectorIN3c104HalfEEEZZNS1_9scan_implILNS1_25lookback_scan_determinismE0ELb0ELb0ES3_PKS6_PS6_S6_ZZZN2at6native31launch_logcumsumexp_cuda_kernelERKNSD_10TensorBaseESH_lENKUlvE_clEvENKUlvE3_clEvEUlS6_S6_E_S6_EEDaPvRmT3_T4_T5_mT6_P12ihipStream_tbENKUlT_T0_E_clISt17integral_constantIbLb0EESY_EEDaST_SU_EUlST_E_NS1_11comp_targetILNS1_3genE3ELNS1_11target_archE908ELNS1_3gpuE7ELNS1_3repE0EEENS1_30default_config_static_selectorELNS0_4arch9wavefront6targetE0EEEvT1_.has_indirect_call, 0
	.section	.AMDGPU.csdata,"",@progbits
; Kernel info:
; codeLenInByte = 0
; TotalNumSgprs: 0
; NumVgprs: 0
; ScratchSize: 0
; MemoryBound: 0
; FloatMode: 240
; IeeeMode: 1
; LDSByteSize: 0 bytes/workgroup (compile time only)
; SGPRBlocks: 0
; VGPRBlocks: 0
; NumSGPRsForWavesPerEU: 1
; NumVGPRsForWavesPerEU: 1
; Occupancy: 16
; WaveLimiterHint : 0
; COMPUTE_PGM_RSRC2:SCRATCH_EN: 0
; COMPUTE_PGM_RSRC2:USER_SGPR: 6
; COMPUTE_PGM_RSRC2:TRAP_HANDLER: 0
; COMPUTE_PGM_RSRC2:TGID_X_EN: 1
; COMPUTE_PGM_RSRC2:TGID_Y_EN: 0
; COMPUTE_PGM_RSRC2:TGID_Z_EN: 0
; COMPUTE_PGM_RSRC2:TIDIG_COMP_CNT: 0
	.section	.text._ZN7rocprim17ROCPRIM_400000_NS6detail17trampoline_kernelINS0_14default_configENS1_20scan_config_selectorIN3c104HalfEEEZZNS1_9scan_implILNS1_25lookback_scan_determinismE0ELb0ELb0ES3_PKS6_PS6_S6_ZZZN2at6native31launch_logcumsumexp_cuda_kernelERKNSD_10TensorBaseESH_lENKUlvE_clEvENKUlvE3_clEvEUlS6_S6_E_S6_EEDaPvRmT3_T4_T5_mT6_P12ihipStream_tbENKUlT_T0_E_clISt17integral_constantIbLb0EESY_EEDaST_SU_EUlST_E_NS1_11comp_targetILNS1_3genE2ELNS1_11target_archE906ELNS1_3gpuE6ELNS1_3repE0EEENS1_30default_config_static_selectorELNS0_4arch9wavefront6targetE0EEEvT1_,"axG",@progbits,_ZN7rocprim17ROCPRIM_400000_NS6detail17trampoline_kernelINS0_14default_configENS1_20scan_config_selectorIN3c104HalfEEEZZNS1_9scan_implILNS1_25lookback_scan_determinismE0ELb0ELb0ES3_PKS6_PS6_S6_ZZZN2at6native31launch_logcumsumexp_cuda_kernelERKNSD_10TensorBaseESH_lENKUlvE_clEvENKUlvE3_clEvEUlS6_S6_E_S6_EEDaPvRmT3_T4_T5_mT6_P12ihipStream_tbENKUlT_T0_E_clISt17integral_constantIbLb0EESY_EEDaST_SU_EUlST_E_NS1_11comp_targetILNS1_3genE2ELNS1_11target_archE906ELNS1_3gpuE6ELNS1_3repE0EEENS1_30default_config_static_selectorELNS0_4arch9wavefront6targetE0EEEvT1_,comdat
	.globl	_ZN7rocprim17ROCPRIM_400000_NS6detail17trampoline_kernelINS0_14default_configENS1_20scan_config_selectorIN3c104HalfEEEZZNS1_9scan_implILNS1_25lookback_scan_determinismE0ELb0ELb0ES3_PKS6_PS6_S6_ZZZN2at6native31launch_logcumsumexp_cuda_kernelERKNSD_10TensorBaseESH_lENKUlvE_clEvENKUlvE3_clEvEUlS6_S6_E_S6_EEDaPvRmT3_T4_T5_mT6_P12ihipStream_tbENKUlT_T0_E_clISt17integral_constantIbLb0EESY_EEDaST_SU_EUlST_E_NS1_11comp_targetILNS1_3genE2ELNS1_11target_archE906ELNS1_3gpuE6ELNS1_3repE0EEENS1_30default_config_static_selectorELNS0_4arch9wavefront6targetE0EEEvT1_ ; -- Begin function _ZN7rocprim17ROCPRIM_400000_NS6detail17trampoline_kernelINS0_14default_configENS1_20scan_config_selectorIN3c104HalfEEEZZNS1_9scan_implILNS1_25lookback_scan_determinismE0ELb0ELb0ES3_PKS6_PS6_S6_ZZZN2at6native31launch_logcumsumexp_cuda_kernelERKNSD_10TensorBaseESH_lENKUlvE_clEvENKUlvE3_clEvEUlS6_S6_E_S6_EEDaPvRmT3_T4_T5_mT6_P12ihipStream_tbENKUlT_T0_E_clISt17integral_constantIbLb0EESY_EEDaST_SU_EUlST_E_NS1_11comp_targetILNS1_3genE2ELNS1_11target_archE906ELNS1_3gpuE6ELNS1_3repE0EEENS1_30default_config_static_selectorELNS0_4arch9wavefront6targetE0EEEvT1_
	.p2align	8
	.type	_ZN7rocprim17ROCPRIM_400000_NS6detail17trampoline_kernelINS0_14default_configENS1_20scan_config_selectorIN3c104HalfEEEZZNS1_9scan_implILNS1_25lookback_scan_determinismE0ELb0ELb0ES3_PKS6_PS6_S6_ZZZN2at6native31launch_logcumsumexp_cuda_kernelERKNSD_10TensorBaseESH_lENKUlvE_clEvENKUlvE3_clEvEUlS6_S6_E_S6_EEDaPvRmT3_T4_T5_mT6_P12ihipStream_tbENKUlT_T0_E_clISt17integral_constantIbLb0EESY_EEDaST_SU_EUlST_E_NS1_11comp_targetILNS1_3genE2ELNS1_11target_archE906ELNS1_3gpuE6ELNS1_3repE0EEENS1_30default_config_static_selectorELNS0_4arch9wavefront6targetE0EEEvT1_,@function
_ZN7rocprim17ROCPRIM_400000_NS6detail17trampoline_kernelINS0_14default_configENS1_20scan_config_selectorIN3c104HalfEEEZZNS1_9scan_implILNS1_25lookback_scan_determinismE0ELb0ELb0ES3_PKS6_PS6_S6_ZZZN2at6native31launch_logcumsumexp_cuda_kernelERKNSD_10TensorBaseESH_lENKUlvE_clEvENKUlvE3_clEvEUlS6_S6_E_S6_EEDaPvRmT3_T4_T5_mT6_P12ihipStream_tbENKUlT_T0_E_clISt17integral_constantIbLb0EESY_EEDaST_SU_EUlST_E_NS1_11comp_targetILNS1_3genE2ELNS1_11target_archE906ELNS1_3gpuE6ELNS1_3repE0EEENS1_30default_config_static_selectorELNS0_4arch9wavefront6targetE0EEEvT1_: ; @_ZN7rocprim17ROCPRIM_400000_NS6detail17trampoline_kernelINS0_14default_configENS1_20scan_config_selectorIN3c104HalfEEEZZNS1_9scan_implILNS1_25lookback_scan_determinismE0ELb0ELb0ES3_PKS6_PS6_S6_ZZZN2at6native31launch_logcumsumexp_cuda_kernelERKNSD_10TensorBaseESH_lENKUlvE_clEvENKUlvE3_clEvEUlS6_S6_E_S6_EEDaPvRmT3_T4_T5_mT6_P12ihipStream_tbENKUlT_T0_E_clISt17integral_constantIbLb0EESY_EEDaST_SU_EUlST_E_NS1_11comp_targetILNS1_3genE2ELNS1_11target_archE906ELNS1_3gpuE6ELNS1_3repE0EEENS1_30default_config_static_selectorELNS0_4arch9wavefront6targetE0EEEvT1_
; %bb.0:
	.section	.rodata,"a",@progbits
	.p2align	6, 0x0
	.amdhsa_kernel _ZN7rocprim17ROCPRIM_400000_NS6detail17trampoline_kernelINS0_14default_configENS1_20scan_config_selectorIN3c104HalfEEEZZNS1_9scan_implILNS1_25lookback_scan_determinismE0ELb0ELb0ES3_PKS6_PS6_S6_ZZZN2at6native31launch_logcumsumexp_cuda_kernelERKNSD_10TensorBaseESH_lENKUlvE_clEvENKUlvE3_clEvEUlS6_S6_E_S6_EEDaPvRmT3_T4_T5_mT6_P12ihipStream_tbENKUlT_T0_E_clISt17integral_constantIbLb0EESY_EEDaST_SU_EUlST_E_NS1_11comp_targetILNS1_3genE2ELNS1_11target_archE906ELNS1_3gpuE6ELNS1_3repE0EEENS1_30default_config_static_selectorELNS0_4arch9wavefront6targetE0EEEvT1_
		.amdhsa_group_segment_fixed_size 0
		.amdhsa_private_segment_fixed_size 0
		.amdhsa_kernarg_size 96
		.amdhsa_user_sgpr_count 6
		.amdhsa_user_sgpr_private_segment_buffer 1
		.amdhsa_user_sgpr_dispatch_ptr 0
		.amdhsa_user_sgpr_queue_ptr 0
		.amdhsa_user_sgpr_kernarg_segment_ptr 1
		.amdhsa_user_sgpr_dispatch_id 0
		.amdhsa_user_sgpr_flat_scratch_init 0
		.amdhsa_user_sgpr_private_segment_size 0
		.amdhsa_wavefront_size32 1
		.amdhsa_uses_dynamic_stack 0
		.amdhsa_system_sgpr_private_segment_wavefront_offset 0
		.amdhsa_system_sgpr_workgroup_id_x 1
		.amdhsa_system_sgpr_workgroup_id_y 0
		.amdhsa_system_sgpr_workgroup_id_z 0
		.amdhsa_system_sgpr_workgroup_info 0
		.amdhsa_system_vgpr_workitem_id 0
		.amdhsa_next_free_vgpr 1
		.amdhsa_next_free_sgpr 1
		.amdhsa_reserve_vcc 0
		.amdhsa_reserve_flat_scratch 0
		.amdhsa_float_round_mode_32 0
		.amdhsa_float_round_mode_16_64 0
		.amdhsa_float_denorm_mode_32 3
		.amdhsa_float_denorm_mode_16_64 3
		.amdhsa_dx10_clamp 1
		.amdhsa_ieee_mode 1
		.amdhsa_fp16_overflow 0
		.amdhsa_workgroup_processor_mode 1
		.amdhsa_memory_ordered 1
		.amdhsa_forward_progress 1
		.amdhsa_shared_vgpr_count 0
		.amdhsa_exception_fp_ieee_invalid_op 0
		.amdhsa_exception_fp_denorm_src 0
		.amdhsa_exception_fp_ieee_div_zero 0
		.amdhsa_exception_fp_ieee_overflow 0
		.amdhsa_exception_fp_ieee_underflow 0
		.amdhsa_exception_fp_ieee_inexact 0
		.amdhsa_exception_int_div_zero 0
	.end_amdhsa_kernel
	.section	.text._ZN7rocprim17ROCPRIM_400000_NS6detail17trampoline_kernelINS0_14default_configENS1_20scan_config_selectorIN3c104HalfEEEZZNS1_9scan_implILNS1_25lookback_scan_determinismE0ELb0ELb0ES3_PKS6_PS6_S6_ZZZN2at6native31launch_logcumsumexp_cuda_kernelERKNSD_10TensorBaseESH_lENKUlvE_clEvENKUlvE3_clEvEUlS6_S6_E_S6_EEDaPvRmT3_T4_T5_mT6_P12ihipStream_tbENKUlT_T0_E_clISt17integral_constantIbLb0EESY_EEDaST_SU_EUlST_E_NS1_11comp_targetILNS1_3genE2ELNS1_11target_archE906ELNS1_3gpuE6ELNS1_3repE0EEENS1_30default_config_static_selectorELNS0_4arch9wavefront6targetE0EEEvT1_,"axG",@progbits,_ZN7rocprim17ROCPRIM_400000_NS6detail17trampoline_kernelINS0_14default_configENS1_20scan_config_selectorIN3c104HalfEEEZZNS1_9scan_implILNS1_25lookback_scan_determinismE0ELb0ELb0ES3_PKS6_PS6_S6_ZZZN2at6native31launch_logcumsumexp_cuda_kernelERKNSD_10TensorBaseESH_lENKUlvE_clEvENKUlvE3_clEvEUlS6_S6_E_S6_EEDaPvRmT3_T4_T5_mT6_P12ihipStream_tbENKUlT_T0_E_clISt17integral_constantIbLb0EESY_EEDaST_SU_EUlST_E_NS1_11comp_targetILNS1_3genE2ELNS1_11target_archE906ELNS1_3gpuE6ELNS1_3repE0EEENS1_30default_config_static_selectorELNS0_4arch9wavefront6targetE0EEEvT1_,comdat
.Lfunc_end355:
	.size	_ZN7rocprim17ROCPRIM_400000_NS6detail17trampoline_kernelINS0_14default_configENS1_20scan_config_selectorIN3c104HalfEEEZZNS1_9scan_implILNS1_25lookback_scan_determinismE0ELb0ELb0ES3_PKS6_PS6_S6_ZZZN2at6native31launch_logcumsumexp_cuda_kernelERKNSD_10TensorBaseESH_lENKUlvE_clEvENKUlvE3_clEvEUlS6_S6_E_S6_EEDaPvRmT3_T4_T5_mT6_P12ihipStream_tbENKUlT_T0_E_clISt17integral_constantIbLb0EESY_EEDaST_SU_EUlST_E_NS1_11comp_targetILNS1_3genE2ELNS1_11target_archE906ELNS1_3gpuE6ELNS1_3repE0EEENS1_30default_config_static_selectorELNS0_4arch9wavefront6targetE0EEEvT1_, .Lfunc_end355-_ZN7rocprim17ROCPRIM_400000_NS6detail17trampoline_kernelINS0_14default_configENS1_20scan_config_selectorIN3c104HalfEEEZZNS1_9scan_implILNS1_25lookback_scan_determinismE0ELb0ELb0ES3_PKS6_PS6_S6_ZZZN2at6native31launch_logcumsumexp_cuda_kernelERKNSD_10TensorBaseESH_lENKUlvE_clEvENKUlvE3_clEvEUlS6_S6_E_S6_EEDaPvRmT3_T4_T5_mT6_P12ihipStream_tbENKUlT_T0_E_clISt17integral_constantIbLb0EESY_EEDaST_SU_EUlST_E_NS1_11comp_targetILNS1_3genE2ELNS1_11target_archE906ELNS1_3gpuE6ELNS1_3repE0EEENS1_30default_config_static_selectorELNS0_4arch9wavefront6targetE0EEEvT1_
                                        ; -- End function
	.set _ZN7rocprim17ROCPRIM_400000_NS6detail17trampoline_kernelINS0_14default_configENS1_20scan_config_selectorIN3c104HalfEEEZZNS1_9scan_implILNS1_25lookback_scan_determinismE0ELb0ELb0ES3_PKS6_PS6_S6_ZZZN2at6native31launch_logcumsumexp_cuda_kernelERKNSD_10TensorBaseESH_lENKUlvE_clEvENKUlvE3_clEvEUlS6_S6_E_S6_EEDaPvRmT3_T4_T5_mT6_P12ihipStream_tbENKUlT_T0_E_clISt17integral_constantIbLb0EESY_EEDaST_SU_EUlST_E_NS1_11comp_targetILNS1_3genE2ELNS1_11target_archE906ELNS1_3gpuE6ELNS1_3repE0EEENS1_30default_config_static_selectorELNS0_4arch9wavefront6targetE0EEEvT1_.num_vgpr, 0
	.set _ZN7rocprim17ROCPRIM_400000_NS6detail17trampoline_kernelINS0_14default_configENS1_20scan_config_selectorIN3c104HalfEEEZZNS1_9scan_implILNS1_25lookback_scan_determinismE0ELb0ELb0ES3_PKS6_PS6_S6_ZZZN2at6native31launch_logcumsumexp_cuda_kernelERKNSD_10TensorBaseESH_lENKUlvE_clEvENKUlvE3_clEvEUlS6_S6_E_S6_EEDaPvRmT3_T4_T5_mT6_P12ihipStream_tbENKUlT_T0_E_clISt17integral_constantIbLb0EESY_EEDaST_SU_EUlST_E_NS1_11comp_targetILNS1_3genE2ELNS1_11target_archE906ELNS1_3gpuE6ELNS1_3repE0EEENS1_30default_config_static_selectorELNS0_4arch9wavefront6targetE0EEEvT1_.num_agpr, 0
	.set _ZN7rocprim17ROCPRIM_400000_NS6detail17trampoline_kernelINS0_14default_configENS1_20scan_config_selectorIN3c104HalfEEEZZNS1_9scan_implILNS1_25lookback_scan_determinismE0ELb0ELb0ES3_PKS6_PS6_S6_ZZZN2at6native31launch_logcumsumexp_cuda_kernelERKNSD_10TensorBaseESH_lENKUlvE_clEvENKUlvE3_clEvEUlS6_S6_E_S6_EEDaPvRmT3_T4_T5_mT6_P12ihipStream_tbENKUlT_T0_E_clISt17integral_constantIbLb0EESY_EEDaST_SU_EUlST_E_NS1_11comp_targetILNS1_3genE2ELNS1_11target_archE906ELNS1_3gpuE6ELNS1_3repE0EEENS1_30default_config_static_selectorELNS0_4arch9wavefront6targetE0EEEvT1_.numbered_sgpr, 0
	.set _ZN7rocprim17ROCPRIM_400000_NS6detail17trampoline_kernelINS0_14default_configENS1_20scan_config_selectorIN3c104HalfEEEZZNS1_9scan_implILNS1_25lookback_scan_determinismE0ELb0ELb0ES3_PKS6_PS6_S6_ZZZN2at6native31launch_logcumsumexp_cuda_kernelERKNSD_10TensorBaseESH_lENKUlvE_clEvENKUlvE3_clEvEUlS6_S6_E_S6_EEDaPvRmT3_T4_T5_mT6_P12ihipStream_tbENKUlT_T0_E_clISt17integral_constantIbLb0EESY_EEDaST_SU_EUlST_E_NS1_11comp_targetILNS1_3genE2ELNS1_11target_archE906ELNS1_3gpuE6ELNS1_3repE0EEENS1_30default_config_static_selectorELNS0_4arch9wavefront6targetE0EEEvT1_.num_named_barrier, 0
	.set _ZN7rocprim17ROCPRIM_400000_NS6detail17trampoline_kernelINS0_14default_configENS1_20scan_config_selectorIN3c104HalfEEEZZNS1_9scan_implILNS1_25lookback_scan_determinismE0ELb0ELb0ES3_PKS6_PS6_S6_ZZZN2at6native31launch_logcumsumexp_cuda_kernelERKNSD_10TensorBaseESH_lENKUlvE_clEvENKUlvE3_clEvEUlS6_S6_E_S6_EEDaPvRmT3_T4_T5_mT6_P12ihipStream_tbENKUlT_T0_E_clISt17integral_constantIbLb0EESY_EEDaST_SU_EUlST_E_NS1_11comp_targetILNS1_3genE2ELNS1_11target_archE906ELNS1_3gpuE6ELNS1_3repE0EEENS1_30default_config_static_selectorELNS0_4arch9wavefront6targetE0EEEvT1_.private_seg_size, 0
	.set _ZN7rocprim17ROCPRIM_400000_NS6detail17trampoline_kernelINS0_14default_configENS1_20scan_config_selectorIN3c104HalfEEEZZNS1_9scan_implILNS1_25lookback_scan_determinismE0ELb0ELb0ES3_PKS6_PS6_S6_ZZZN2at6native31launch_logcumsumexp_cuda_kernelERKNSD_10TensorBaseESH_lENKUlvE_clEvENKUlvE3_clEvEUlS6_S6_E_S6_EEDaPvRmT3_T4_T5_mT6_P12ihipStream_tbENKUlT_T0_E_clISt17integral_constantIbLb0EESY_EEDaST_SU_EUlST_E_NS1_11comp_targetILNS1_3genE2ELNS1_11target_archE906ELNS1_3gpuE6ELNS1_3repE0EEENS1_30default_config_static_selectorELNS0_4arch9wavefront6targetE0EEEvT1_.uses_vcc, 0
	.set _ZN7rocprim17ROCPRIM_400000_NS6detail17trampoline_kernelINS0_14default_configENS1_20scan_config_selectorIN3c104HalfEEEZZNS1_9scan_implILNS1_25lookback_scan_determinismE0ELb0ELb0ES3_PKS6_PS6_S6_ZZZN2at6native31launch_logcumsumexp_cuda_kernelERKNSD_10TensorBaseESH_lENKUlvE_clEvENKUlvE3_clEvEUlS6_S6_E_S6_EEDaPvRmT3_T4_T5_mT6_P12ihipStream_tbENKUlT_T0_E_clISt17integral_constantIbLb0EESY_EEDaST_SU_EUlST_E_NS1_11comp_targetILNS1_3genE2ELNS1_11target_archE906ELNS1_3gpuE6ELNS1_3repE0EEENS1_30default_config_static_selectorELNS0_4arch9wavefront6targetE0EEEvT1_.uses_flat_scratch, 0
	.set _ZN7rocprim17ROCPRIM_400000_NS6detail17trampoline_kernelINS0_14default_configENS1_20scan_config_selectorIN3c104HalfEEEZZNS1_9scan_implILNS1_25lookback_scan_determinismE0ELb0ELb0ES3_PKS6_PS6_S6_ZZZN2at6native31launch_logcumsumexp_cuda_kernelERKNSD_10TensorBaseESH_lENKUlvE_clEvENKUlvE3_clEvEUlS6_S6_E_S6_EEDaPvRmT3_T4_T5_mT6_P12ihipStream_tbENKUlT_T0_E_clISt17integral_constantIbLb0EESY_EEDaST_SU_EUlST_E_NS1_11comp_targetILNS1_3genE2ELNS1_11target_archE906ELNS1_3gpuE6ELNS1_3repE0EEENS1_30default_config_static_selectorELNS0_4arch9wavefront6targetE0EEEvT1_.has_dyn_sized_stack, 0
	.set _ZN7rocprim17ROCPRIM_400000_NS6detail17trampoline_kernelINS0_14default_configENS1_20scan_config_selectorIN3c104HalfEEEZZNS1_9scan_implILNS1_25lookback_scan_determinismE0ELb0ELb0ES3_PKS6_PS6_S6_ZZZN2at6native31launch_logcumsumexp_cuda_kernelERKNSD_10TensorBaseESH_lENKUlvE_clEvENKUlvE3_clEvEUlS6_S6_E_S6_EEDaPvRmT3_T4_T5_mT6_P12ihipStream_tbENKUlT_T0_E_clISt17integral_constantIbLb0EESY_EEDaST_SU_EUlST_E_NS1_11comp_targetILNS1_3genE2ELNS1_11target_archE906ELNS1_3gpuE6ELNS1_3repE0EEENS1_30default_config_static_selectorELNS0_4arch9wavefront6targetE0EEEvT1_.has_recursion, 0
	.set _ZN7rocprim17ROCPRIM_400000_NS6detail17trampoline_kernelINS0_14default_configENS1_20scan_config_selectorIN3c104HalfEEEZZNS1_9scan_implILNS1_25lookback_scan_determinismE0ELb0ELb0ES3_PKS6_PS6_S6_ZZZN2at6native31launch_logcumsumexp_cuda_kernelERKNSD_10TensorBaseESH_lENKUlvE_clEvENKUlvE3_clEvEUlS6_S6_E_S6_EEDaPvRmT3_T4_T5_mT6_P12ihipStream_tbENKUlT_T0_E_clISt17integral_constantIbLb0EESY_EEDaST_SU_EUlST_E_NS1_11comp_targetILNS1_3genE2ELNS1_11target_archE906ELNS1_3gpuE6ELNS1_3repE0EEENS1_30default_config_static_selectorELNS0_4arch9wavefront6targetE0EEEvT1_.has_indirect_call, 0
	.section	.AMDGPU.csdata,"",@progbits
; Kernel info:
; codeLenInByte = 0
; TotalNumSgprs: 0
; NumVgprs: 0
; ScratchSize: 0
; MemoryBound: 0
; FloatMode: 240
; IeeeMode: 1
; LDSByteSize: 0 bytes/workgroup (compile time only)
; SGPRBlocks: 0
; VGPRBlocks: 0
; NumSGPRsForWavesPerEU: 1
; NumVGPRsForWavesPerEU: 1
; Occupancy: 16
; WaveLimiterHint : 0
; COMPUTE_PGM_RSRC2:SCRATCH_EN: 0
; COMPUTE_PGM_RSRC2:USER_SGPR: 6
; COMPUTE_PGM_RSRC2:TRAP_HANDLER: 0
; COMPUTE_PGM_RSRC2:TGID_X_EN: 1
; COMPUTE_PGM_RSRC2:TGID_Y_EN: 0
; COMPUTE_PGM_RSRC2:TGID_Z_EN: 0
; COMPUTE_PGM_RSRC2:TIDIG_COMP_CNT: 0
	.section	.text._ZN7rocprim17ROCPRIM_400000_NS6detail17trampoline_kernelINS0_14default_configENS1_20scan_config_selectorIN3c104HalfEEEZZNS1_9scan_implILNS1_25lookback_scan_determinismE0ELb0ELb0ES3_PKS6_PS6_S6_ZZZN2at6native31launch_logcumsumexp_cuda_kernelERKNSD_10TensorBaseESH_lENKUlvE_clEvENKUlvE3_clEvEUlS6_S6_E_S6_EEDaPvRmT3_T4_T5_mT6_P12ihipStream_tbENKUlT_T0_E_clISt17integral_constantIbLb0EESY_EEDaST_SU_EUlST_E_NS1_11comp_targetILNS1_3genE10ELNS1_11target_archE1201ELNS1_3gpuE5ELNS1_3repE0EEENS1_30default_config_static_selectorELNS0_4arch9wavefront6targetE0EEEvT1_,"axG",@progbits,_ZN7rocprim17ROCPRIM_400000_NS6detail17trampoline_kernelINS0_14default_configENS1_20scan_config_selectorIN3c104HalfEEEZZNS1_9scan_implILNS1_25lookback_scan_determinismE0ELb0ELb0ES3_PKS6_PS6_S6_ZZZN2at6native31launch_logcumsumexp_cuda_kernelERKNSD_10TensorBaseESH_lENKUlvE_clEvENKUlvE3_clEvEUlS6_S6_E_S6_EEDaPvRmT3_T4_T5_mT6_P12ihipStream_tbENKUlT_T0_E_clISt17integral_constantIbLb0EESY_EEDaST_SU_EUlST_E_NS1_11comp_targetILNS1_3genE10ELNS1_11target_archE1201ELNS1_3gpuE5ELNS1_3repE0EEENS1_30default_config_static_selectorELNS0_4arch9wavefront6targetE0EEEvT1_,comdat
	.globl	_ZN7rocprim17ROCPRIM_400000_NS6detail17trampoline_kernelINS0_14default_configENS1_20scan_config_selectorIN3c104HalfEEEZZNS1_9scan_implILNS1_25lookback_scan_determinismE0ELb0ELb0ES3_PKS6_PS6_S6_ZZZN2at6native31launch_logcumsumexp_cuda_kernelERKNSD_10TensorBaseESH_lENKUlvE_clEvENKUlvE3_clEvEUlS6_S6_E_S6_EEDaPvRmT3_T4_T5_mT6_P12ihipStream_tbENKUlT_T0_E_clISt17integral_constantIbLb0EESY_EEDaST_SU_EUlST_E_NS1_11comp_targetILNS1_3genE10ELNS1_11target_archE1201ELNS1_3gpuE5ELNS1_3repE0EEENS1_30default_config_static_selectorELNS0_4arch9wavefront6targetE0EEEvT1_ ; -- Begin function _ZN7rocprim17ROCPRIM_400000_NS6detail17trampoline_kernelINS0_14default_configENS1_20scan_config_selectorIN3c104HalfEEEZZNS1_9scan_implILNS1_25lookback_scan_determinismE0ELb0ELb0ES3_PKS6_PS6_S6_ZZZN2at6native31launch_logcumsumexp_cuda_kernelERKNSD_10TensorBaseESH_lENKUlvE_clEvENKUlvE3_clEvEUlS6_S6_E_S6_EEDaPvRmT3_T4_T5_mT6_P12ihipStream_tbENKUlT_T0_E_clISt17integral_constantIbLb0EESY_EEDaST_SU_EUlST_E_NS1_11comp_targetILNS1_3genE10ELNS1_11target_archE1201ELNS1_3gpuE5ELNS1_3repE0EEENS1_30default_config_static_selectorELNS0_4arch9wavefront6targetE0EEEvT1_
	.p2align	8
	.type	_ZN7rocprim17ROCPRIM_400000_NS6detail17trampoline_kernelINS0_14default_configENS1_20scan_config_selectorIN3c104HalfEEEZZNS1_9scan_implILNS1_25lookback_scan_determinismE0ELb0ELb0ES3_PKS6_PS6_S6_ZZZN2at6native31launch_logcumsumexp_cuda_kernelERKNSD_10TensorBaseESH_lENKUlvE_clEvENKUlvE3_clEvEUlS6_S6_E_S6_EEDaPvRmT3_T4_T5_mT6_P12ihipStream_tbENKUlT_T0_E_clISt17integral_constantIbLb0EESY_EEDaST_SU_EUlST_E_NS1_11comp_targetILNS1_3genE10ELNS1_11target_archE1201ELNS1_3gpuE5ELNS1_3repE0EEENS1_30default_config_static_selectorELNS0_4arch9wavefront6targetE0EEEvT1_,@function
_ZN7rocprim17ROCPRIM_400000_NS6detail17trampoline_kernelINS0_14default_configENS1_20scan_config_selectorIN3c104HalfEEEZZNS1_9scan_implILNS1_25lookback_scan_determinismE0ELb0ELb0ES3_PKS6_PS6_S6_ZZZN2at6native31launch_logcumsumexp_cuda_kernelERKNSD_10TensorBaseESH_lENKUlvE_clEvENKUlvE3_clEvEUlS6_S6_E_S6_EEDaPvRmT3_T4_T5_mT6_P12ihipStream_tbENKUlT_T0_E_clISt17integral_constantIbLb0EESY_EEDaST_SU_EUlST_E_NS1_11comp_targetILNS1_3genE10ELNS1_11target_archE1201ELNS1_3gpuE5ELNS1_3repE0EEENS1_30default_config_static_selectorELNS0_4arch9wavefront6targetE0EEEvT1_: ; @_ZN7rocprim17ROCPRIM_400000_NS6detail17trampoline_kernelINS0_14default_configENS1_20scan_config_selectorIN3c104HalfEEEZZNS1_9scan_implILNS1_25lookback_scan_determinismE0ELb0ELb0ES3_PKS6_PS6_S6_ZZZN2at6native31launch_logcumsumexp_cuda_kernelERKNSD_10TensorBaseESH_lENKUlvE_clEvENKUlvE3_clEvEUlS6_S6_E_S6_EEDaPvRmT3_T4_T5_mT6_P12ihipStream_tbENKUlT_T0_E_clISt17integral_constantIbLb0EESY_EEDaST_SU_EUlST_E_NS1_11comp_targetILNS1_3genE10ELNS1_11target_archE1201ELNS1_3gpuE5ELNS1_3repE0EEENS1_30default_config_static_selectorELNS0_4arch9wavefront6targetE0EEEvT1_
; %bb.0:
	.section	.rodata,"a",@progbits
	.p2align	6, 0x0
	.amdhsa_kernel _ZN7rocprim17ROCPRIM_400000_NS6detail17trampoline_kernelINS0_14default_configENS1_20scan_config_selectorIN3c104HalfEEEZZNS1_9scan_implILNS1_25lookback_scan_determinismE0ELb0ELb0ES3_PKS6_PS6_S6_ZZZN2at6native31launch_logcumsumexp_cuda_kernelERKNSD_10TensorBaseESH_lENKUlvE_clEvENKUlvE3_clEvEUlS6_S6_E_S6_EEDaPvRmT3_T4_T5_mT6_P12ihipStream_tbENKUlT_T0_E_clISt17integral_constantIbLb0EESY_EEDaST_SU_EUlST_E_NS1_11comp_targetILNS1_3genE10ELNS1_11target_archE1201ELNS1_3gpuE5ELNS1_3repE0EEENS1_30default_config_static_selectorELNS0_4arch9wavefront6targetE0EEEvT1_
		.amdhsa_group_segment_fixed_size 0
		.amdhsa_private_segment_fixed_size 0
		.amdhsa_kernarg_size 96
		.amdhsa_user_sgpr_count 6
		.amdhsa_user_sgpr_private_segment_buffer 1
		.amdhsa_user_sgpr_dispatch_ptr 0
		.amdhsa_user_sgpr_queue_ptr 0
		.amdhsa_user_sgpr_kernarg_segment_ptr 1
		.amdhsa_user_sgpr_dispatch_id 0
		.amdhsa_user_sgpr_flat_scratch_init 0
		.amdhsa_user_sgpr_private_segment_size 0
		.amdhsa_wavefront_size32 1
		.amdhsa_uses_dynamic_stack 0
		.amdhsa_system_sgpr_private_segment_wavefront_offset 0
		.amdhsa_system_sgpr_workgroup_id_x 1
		.amdhsa_system_sgpr_workgroup_id_y 0
		.amdhsa_system_sgpr_workgroup_id_z 0
		.amdhsa_system_sgpr_workgroup_info 0
		.amdhsa_system_vgpr_workitem_id 0
		.amdhsa_next_free_vgpr 1
		.amdhsa_next_free_sgpr 1
		.amdhsa_reserve_vcc 0
		.amdhsa_reserve_flat_scratch 0
		.amdhsa_float_round_mode_32 0
		.amdhsa_float_round_mode_16_64 0
		.amdhsa_float_denorm_mode_32 3
		.amdhsa_float_denorm_mode_16_64 3
		.amdhsa_dx10_clamp 1
		.amdhsa_ieee_mode 1
		.amdhsa_fp16_overflow 0
		.amdhsa_workgroup_processor_mode 1
		.amdhsa_memory_ordered 1
		.amdhsa_forward_progress 1
		.amdhsa_shared_vgpr_count 0
		.amdhsa_exception_fp_ieee_invalid_op 0
		.amdhsa_exception_fp_denorm_src 0
		.amdhsa_exception_fp_ieee_div_zero 0
		.amdhsa_exception_fp_ieee_overflow 0
		.amdhsa_exception_fp_ieee_underflow 0
		.amdhsa_exception_fp_ieee_inexact 0
		.amdhsa_exception_int_div_zero 0
	.end_amdhsa_kernel
	.section	.text._ZN7rocprim17ROCPRIM_400000_NS6detail17trampoline_kernelINS0_14default_configENS1_20scan_config_selectorIN3c104HalfEEEZZNS1_9scan_implILNS1_25lookback_scan_determinismE0ELb0ELb0ES3_PKS6_PS6_S6_ZZZN2at6native31launch_logcumsumexp_cuda_kernelERKNSD_10TensorBaseESH_lENKUlvE_clEvENKUlvE3_clEvEUlS6_S6_E_S6_EEDaPvRmT3_T4_T5_mT6_P12ihipStream_tbENKUlT_T0_E_clISt17integral_constantIbLb0EESY_EEDaST_SU_EUlST_E_NS1_11comp_targetILNS1_3genE10ELNS1_11target_archE1201ELNS1_3gpuE5ELNS1_3repE0EEENS1_30default_config_static_selectorELNS0_4arch9wavefront6targetE0EEEvT1_,"axG",@progbits,_ZN7rocprim17ROCPRIM_400000_NS6detail17trampoline_kernelINS0_14default_configENS1_20scan_config_selectorIN3c104HalfEEEZZNS1_9scan_implILNS1_25lookback_scan_determinismE0ELb0ELb0ES3_PKS6_PS6_S6_ZZZN2at6native31launch_logcumsumexp_cuda_kernelERKNSD_10TensorBaseESH_lENKUlvE_clEvENKUlvE3_clEvEUlS6_S6_E_S6_EEDaPvRmT3_T4_T5_mT6_P12ihipStream_tbENKUlT_T0_E_clISt17integral_constantIbLb0EESY_EEDaST_SU_EUlST_E_NS1_11comp_targetILNS1_3genE10ELNS1_11target_archE1201ELNS1_3gpuE5ELNS1_3repE0EEENS1_30default_config_static_selectorELNS0_4arch9wavefront6targetE0EEEvT1_,comdat
.Lfunc_end356:
	.size	_ZN7rocprim17ROCPRIM_400000_NS6detail17trampoline_kernelINS0_14default_configENS1_20scan_config_selectorIN3c104HalfEEEZZNS1_9scan_implILNS1_25lookback_scan_determinismE0ELb0ELb0ES3_PKS6_PS6_S6_ZZZN2at6native31launch_logcumsumexp_cuda_kernelERKNSD_10TensorBaseESH_lENKUlvE_clEvENKUlvE3_clEvEUlS6_S6_E_S6_EEDaPvRmT3_T4_T5_mT6_P12ihipStream_tbENKUlT_T0_E_clISt17integral_constantIbLb0EESY_EEDaST_SU_EUlST_E_NS1_11comp_targetILNS1_3genE10ELNS1_11target_archE1201ELNS1_3gpuE5ELNS1_3repE0EEENS1_30default_config_static_selectorELNS0_4arch9wavefront6targetE0EEEvT1_, .Lfunc_end356-_ZN7rocprim17ROCPRIM_400000_NS6detail17trampoline_kernelINS0_14default_configENS1_20scan_config_selectorIN3c104HalfEEEZZNS1_9scan_implILNS1_25lookback_scan_determinismE0ELb0ELb0ES3_PKS6_PS6_S6_ZZZN2at6native31launch_logcumsumexp_cuda_kernelERKNSD_10TensorBaseESH_lENKUlvE_clEvENKUlvE3_clEvEUlS6_S6_E_S6_EEDaPvRmT3_T4_T5_mT6_P12ihipStream_tbENKUlT_T0_E_clISt17integral_constantIbLb0EESY_EEDaST_SU_EUlST_E_NS1_11comp_targetILNS1_3genE10ELNS1_11target_archE1201ELNS1_3gpuE5ELNS1_3repE0EEENS1_30default_config_static_selectorELNS0_4arch9wavefront6targetE0EEEvT1_
                                        ; -- End function
	.set _ZN7rocprim17ROCPRIM_400000_NS6detail17trampoline_kernelINS0_14default_configENS1_20scan_config_selectorIN3c104HalfEEEZZNS1_9scan_implILNS1_25lookback_scan_determinismE0ELb0ELb0ES3_PKS6_PS6_S6_ZZZN2at6native31launch_logcumsumexp_cuda_kernelERKNSD_10TensorBaseESH_lENKUlvE_clEvENKUlvE3_clEvEUlS6_S6_E_S6_EEDaPvRmT3_T4_T5_mT6_P12ihipStream_tbENKUlT_T0_E_clISt17integral_constantIbLb0EESY_EEDaST_SU_EUlST_E_NS1_11comp_targetILNS1_3genE10ELNS1_11target_archE1201ELNS1_3gpuE5ELNS1_3repE0EEENS1_30default_config_static_selectorELNS0_4arch9wavefront6targetE0EEEvT1_.num_vgpr, 0
	.set _ZN7rocprim17ROCPRIM_400000_NS6detail17trampoline_kernelINS0_14default_configENS1_20scan_config_selectorIN3c104HalfEEEZZNS1_9scan_implILNS1_25lookback_scan_determinismE0ELb0ELb0ES3_PKS6_PS6_S6_ZZZN2at6native31launch_logcumsumexp_cuda_kernelERKNSD_10TensorBaseESH_lENKUlvE_clEvENKUlvE3_clEvEUlS6_S6_E_S6_EEDaPvRmT3_T4_T5_mT6_P12ihipStream_tbENKUlT_T0_E_clISt17integral_constantIbLb0EESY_EEDaST_SU_EUlST_E_NS1_11comp_targetILNS1_3genE10ELNS1_11target_archE1201ELNS1_3gpuE5ELNS1_3repE0EEENS1_30default_config_static_selectorELNS0_4arch9wavefront6targetE0EEEvT1_.num_agpr, 0
	.set _ZN7rocprim17ROCPRIM_400000_NS6detail17trampoline_kernelINS0_14default_configENS1_20scan_config_selectorIN3c104HalfEEEZZNS1_9scan_implILNS1_25lookback_scan_determinismE0ELb0ELb0ES3_PKS6_PS6_S6_ZZZN2at6native31launch_logcumsumexp_cuda_kernelERKNSD_10TensorBaseESH_lENKUlvE_clEvENKUlvE3_clEvEUlS6_S6_E_S6_EEDaPvRmT3_T4_T5_mT6_P12ihipStream_tbENKUlT_T0_E_clISt17integral_constantIbLb0EESY_EEDaST_SU_EUlST_E_NS1_11comp_targetILNS1_3genE10ELNS1_11target_archE1201ELNS1_3gpuE5ELNS1_3repE0EEENS1_30default_config_static_selectorELNS0_4arch9wavefront6targetE0EEEvT1_.numbered_sgpr, 0
	.set _ZN7rocprim17ROCPRIM_400000_NS6detail17trampoline_kernelINS0_14default_configENS1_20scan_config_selectorIN3c104HalfEEEZZNS1_9scan_implILNS1_25lookback_scan_determinismE0ELb0ELb0ES3_PKS6_PS6_S6_ZZZN2at6native31launch_logcumsumexp_cuda_kernelERKNSD_10TensorBaseESH_lENKUlvE_clEvENKUlvE3_clEvEUlS6_S6_E_S6_EEDaPvRmT3_T4_T5_mT6_P12ihipStream_tbENKUlT_T0_E_clISt17integral_constantIbLb0EESY_EEDaST_SU_EUlST_E_NS1_11comp_targetILNS1_3genE10ELNS1_11target_archE1201ELNS1_3gpuE5ELNS1_3repE0EEENS1_30default_config_static_selectorELNS0_4arch9wavefront6targetE0EEEvT1_.num_named_barrier, 0
	.set _ZN7rocprim17ROCPRIM_400000_NS6detail17trampoline_kernelINS0_14default_configENS1_20scan_config_selectorIN3c104HalfEEEZZNS1_9scan_implILNS1_25lookback_scan_determinismE0ELb0ELb0ES3_PKS6_PS6_S6_ZZZN2at6native31launch_logcumsumexp_cuda_kernelERKNSD_10TensorBaseESH_lENKUlvE_clEvENKUlvE3_clEvEUlS6_S6_E_S6_EEDaPvRmT3_T4_T5_mT6_P12ihipStream_tbENKUlT_T0_E_clISt17integral_constantIbLb0EESY_EEDaST_SU_EUlST_E_NS1_11comp_targetILNS1_3genE10ELNS1_11target_archE1201ELNS1_3gpuE5ELNS1_3repE0EEENS1_30default_config_static_selectorELNS0_4arch9wavefront6targetE0EEEvT1_.private_seg_size, 0
	.set _ZN7rocprim17ROCPRIM_400000_NS6detail17trampoline_kernelINS0_14default_configENS1_20scan_config_selectorIN3c104HalfEEEZZNS1_9scan_implILNS1_25lookback_scan_determinismE0ELb0ELb0ES3_PKS6_PS6_S6_ZZZN2at6native31launch_logcumsumexp_cuda_kernelERKNSD_10TensorBaseESH_lENKUlvE_clEvENKUlvE3_clEvEUlS6_S6_E_S6_EEDaPvRmT3_T4_T5_mT6_P12ihipStream_tbENKUlT_T0_E_clISt17integral_constantIbLb0EESY_EEDaST_SU_EUlST_E_NS1_11comp_targetILNS1_3genE10ELNS1_11target_archE1201ELNS1_3gpuE5ELNS1_3repE0EEENS1_30default_config_static_selectorELNS0_4arch9wavefront6targetE0EEEvT1_.uses_vcc, 0
	.set _ZN7rocprim17ROCPRIM_400000_NS6detail17trampoline_kernelINS0_14default_configENS1_20scan_config_selectorIN3c104HalfEEEZZNS1_9scan_implILNS1_25lookback_scan_determinismE0ELb0ELb0ES3_PKS6_PS6_S6_ZZZN2at6native31launch_logcumsumexp_cuda_kernelERKNSD_10TensorBaseESH_lENKUlvE_clEvENKUlvE3_clEvEUlS6_S6_E_S6_EEDaPvRmT3_T4_T5_mT6_P12ihipStream_tbENKUlT_T0_E_clISt17integral_constantIbLb0EESY_EEDaST_SU_EUlST_E_NS1_11comp_targetILNS1_3genE10ELNS1_11target_archE1201ELNS1_3gpuE5ELNS1_3repE0EEENS1_30default_config_static_selectorELNS0_4arch9wavefront6targetE0EEEvT1_.uses_flat_scratch, 0
	.set _ZN7rocprim17ROCPRIM_400000_NS6detail17trampoline_kernelINS0_14default_configENS1_20scan_config_selectorIN3c104HalfEEEZZNS1_9scan_implILNS1_25lookback_scan_determinismE0ELb0ELb0ES3_PKS6_PS6_S6_ZZZN2at6native31launch_logcumsumexp_cuda_kernelERKNSD_10TensorBaseESH_lENKUlvE_clEvENKUlvE3_clEvEUlS6_S6_E_S6_EEDaPvRmT3_T4_T5_mT6_P12ihipStream_tbENKUlT_T0_E_clISt17integral_constantIbLb0EESY_EEDaST_SU_EUlST_E_NS1_11comp_targetILNS1_3genE10ELNS1_11target_archE1201ELNS1_3gpuE5ELNS1_3repE0EEENS1_30default_config_static_selectorELNS0_4arch9wavefront6targetE0EEEvT1_.has_dyn_sized_stack, 0
	.set _ZN7rocprim17ROCPRIM_400000_NS6detail17trampoline_kernelINS0_14default_configENS1_20scan_config_selectorIN3c104HalfEEEZZNS1_9scan_implILNS1_25lookback_scan_determinismE0ELb0ELb0ES3_PKS6_PS6_S6_ZZZN2at6native31launch_logcumsumexp_cuda_kernelERKNSD_10TensorBaseESH_lENKUlvE_clEvENKUlvE3_clEvEUlS6_S6_E_S6_EEDaPvRmT3_T4_T5_mT6_P12ihipStream_tbENKUlT_T0_E_clISt17integral_constantIbLb0EESY_EEDaST_SU_EUlST_E_NS1_11comp_targetILNS1_3genE10ELNS1_11target_archE1201ELNS1_3gpuE5ELNS1_3repE0EEENS1_30default_config_static_selectorELNS0_4arch9wavefront6targetE0EEEvT1_.has_recursion, 0
	.set _ZN7rocprim17ROCPRIM_400000_NS6detail17trampoline_kernelINS0_14default_configENS1_20scan_config_selectorIN3c104HalfEEEZZNS1_9scan_implILNS1_25lookback_scan_determinismE0ELb0ELb0ES3_PKS6_PS6_S6_ZZZN2at6native31launch_logcumsumexp_cuda_kernelERKNSD_10TensorBaseESH_lENKUlvE_clEvENKUlvE3_clEvEUlS6_S6_E_S6_EEDaPvRmT3_T4_T5_mT6_P12ihipStream_tbENKUlT_T0_E_clISt17integral_constantIbLb0EESY_EEDaST_SU_EUlST_E_NS1_11comp_targetILNS1_3genE10ELNS1_11target_archE1201ELNS1_3gpuE5ELNS1_3repE0EEENS1_30default_config_static_selectorELNS0_4arch9wavefront6targetE0EEEvT1_.has_indirect_call, 0
	.section	.AMDGPU.csdata,"",@progbits
; Kernel info:
; codeLenInByte = 0
; TotalNumSgprs: 0
; NumVgprs: 0
; ScratchSize: 0
; MemoryBound: 0
; FloatMode: 240
; IeeeMode: 1
; LDSByteSize: 0 bytes/workgroup (compile time only)
; SGPRBlocks: 0
; VGPRBlocks: 0
; NumSGPRsForWavesPerEU: 1
; NumVGPRsForWavesPerEU: 1
; Occupancy: 16
; WaveLimiterHint : 0
; COMPUTE_PGM_RSRC2:SCRATCH_EN: 0
; COMPUTE_PGM_RSRC2:USER_SGPR: 6
; COMPUTE_PGM_RSRC2:TRAP_HANDLER: 0
; COMPUTE_PGM_RSRC2:TGID_X_EN: 1
; COMPUTE_PGM_RSRC2:TGID_Y_EN: 0
; COMPUTE_PGM_RSRC2:TGID_Z_EN: 0
; COMPUTE_PGM_RSRC2:TIDIG_COMP_CNT: 0
	.section	.text._ZN7rocprim17ROCPRIM_400000_NS6detail17trampoline_kernelINS0_14default_configENS1_20scan_config_selectorIN3c104HalfEEEZZNS1_9scan_implILNS1_25lookback_scan_determinismE0ELb0ELb0ES3_PKS6_PS6_S6_ZZZN2at6native31launch_logcumsumexp_cuda_kernelERKNSD_10TensorBaseESH_lENKUlvE_clEvENKUlvE3_clEvEUlS6_S6_E_S6_EEDaPvRmT3_T4_T5_mT6_P12ihipStream_tbENKUlT_T0_E_clISt17integral_constantIbLb0EESY_EEDaST_SU_EUlST_E_NS1_11comp_targetILNS1_3genE10ELNS1_11target_archE1200ELNS1_3gpuE4ELNS1_3repE0EEENS1_30default_config_static_selectorELNS0_4arch9wavefront6targetE0EEEvT1_,"axG",@progbits,_ZN7rocprim17ROCPRIM_400000_NS6detail17trampoline_kernelINS0_14default_configENS1_20scan_config_selectorIN3c104HalfEEEZZNS1_9scan_implILNS1_25lookback_scan_determinismE0ELb0ELb0ES3_PKS6_PS6_S6_ZZZN2at6native31launch_logcumsumexp_cuda_kernelERKNSD_10TensorBaseESH_lENKUlvE_clEvENKUlvE3_clEvEUlS6_S6_E_S6_EEDaPvRmT3_T4_T5_mT6_P12ihipStream_tbENKUlT_T0_E_clISt17integral_constantIbLb0EESY_EEDaST_SU_EUlST_E_NS1_11comp_targetILNS1_3genE10ELNS1_11target_archE1200ELNS1_3gpuE4ELNS1_3repE0EEENS1_30default_config_static_selectorELNS0_4arch9wavefront6targetE0EEEvT1_,comdat
	.globl	_ZN7rocprim17ROCPRIM_400000_NS6detail17trampoline_kernelINS0_14default_configENS1_20scan_config_selectorIN3c104HalfEEEZZNS1_9scan_implILNS1_25lookback_scan_determinismE0ELb0ELb0ES3_PKS6_PS6_S6_ZZZN2at6native31launch_logcumsumexp_cuda_kernelERKNSD_10TensorBaseESH_lENKUlvE_clEvENKUlvE3_clEvEUlS6_S6_E_S6_EEDaPvRmT3_T4_T5_mT6_P12ihipStream_tbENKUlT_T0_E_clISt17integral_constantIbLb0EESY_EEDaST_SU_EUlST_E_NS1_11comp_targetILNS1_3genE10ELNS1_11target_archE1200ELNS1_3gpuE4ELNS1_3repE0EEENS1_30default_config_static_selectorELNS0_4arch9wavefront6targetE0EEEvT1_ ; -- Begin function _ZN7rocprim17ROCPRIM_400000_NS6detail17trampoline_kernelINS0_14default_configENS1_20scan_config_selectorIN3c104HalfEEEZZNS1_9scan_implILNS1_25lookback_scan_determinismE0ELb0ELb0ES3_PKS6_PS6_S6_ZZZN2at6native31launch_logcumsumexp_cuda_kernelERKNSD_10TensorBaseESH_lENKUlvE_clEvENKUlvE3_clEvEUlS6_S6_E_S6_EEDaPvRmT3_T4_T5_mT6_P12ihipStream_tbENKUlT_T0_E_clISt17integral_constantIbLb0EESY_EEDaST_SU_EUlST_E_NS1_11comp_targetILNS1_3genE10ELNS1_11target_archE1200ELNS1_3gpuE4ELNS1_3repE0EEENS1_30default_config_static_selectorELNS0_4arch9wavefront6targetE0EEEvT1_
	.p2align	8
	.type	_ZN7rocprim17ROCPRIM_400000_NS6detail17trampoline_kernelINS0_14default_configENS1_20scan_config_selectorIN3c104HalfEEEZZNS1_9scan_implILNS1_25lookback_scan_determinismE0ELb0ELb0ES3_PKS6_PS6_S6_ZZZN2at6native31launch_logcumsumexp_cuda_kernelERKNSD_10TensorBaseESH_lENKUlvE_clEvENKUlvE3_clEvEUlS6_S6_E_S6_EEDaPvRmT3_T4_T5_mT6_P12ihipStream_tbENKUlT_T0_E_clISt17integral_constantIbLb0EESY_EEDaST_SU_EUlST_E_NS1_11comp_targetILNS1_3genE10ELNS1_11target_archE1200ELNS1_3gpuE4ELNS1_3repE0EEENS1_30default_config_static_selectorELNS0_4arch9wavefront6targetE0EEEvT1_,@function
_ZN7rocprim17ROCPRIM_400000_NS6detail17trampoline_kernelINS0_14default_configENS1_20scan_config_selectorIN3c104HalfEEEZZNS1_9scan_implILNS1_25lookback_scan_determinismE0ELb0ELb0ES3_PKS6_PS6_S6_ZZZN2at6native31launch_logcumsumexp_cuda_kernelERKNSD_10TensorBaseESH_lENKUlvE_clEvENKUlvE3_clEvEUlS6_S6_E_S6_EEDaPvRmT3_T4_T5_mT6_P12ihipStream_tbENKUlT_T0_E_clISt17integral_constantIbLb0EESY_EEDaST_SU_EUlST_E_NS1_11comp_targetILNS1_3genE10ELNS1_11target_archE1200ELNS1_3gpuE4ELNS1_3repE0EEENS1_30default_config_static_selectorELNS0_4arch9wavefront6targetE0EEEvT1_: ; @_ZN7rocprim17ROCPRIM_400000_NS6detail17trampoline_kernelINS0_14default_configENS1_20scan_config_selectorIN3c104HalfEEEZZNS1_9scan_implILNS1_25lookback_scan_determinismE0ELb0ELb0ES3_PKS6_PS6_S6_ZZZN2at6native31launch_logcumsumexp_cuda_kernelERKNSD_10TensorBaseESH_lENKUlvE_clEvENKUlvE3_clEvEUlS6_S6_E_S6_EEDaPvRmT3_T4_T5_mT6_P12ihipStream_tbENKUlT_T0_E_clISt17integral_constantIbLb0EESY_EEDaST_SU_EUlST_E_NS1_11comp_targetILNS1_3genE10ELNS1_11target_archE1200ELNS1_3gpuE4ELNS1_3repE0EEENS1_30default_config_static_selectorELNS0_4arch9wavefront6targetE0EEEvT1_
; %bb.0:
	.section	.rodata,"a",@progbits
	.p2align	6, 0x0
	.amdhsa_kernel _ZN7rocprim17ROCPRIM_400000_NS6detail17trampoline_kernelINS0_14default_configENS1_20scan_config_selectorIN3c104HalfEEEZZNS1_9scan_implILNS1_25lookback_scan_determinismE0ELb0ELb0ES3_PKS6_PS6_S6_ZZZN2at6native31launch_logcumsumexp_cuda_kernelERKNSD_10TensorBaseESH_lENKUlvE_clEvENKUlvE3_clEvEUlS6_S6_E_S6_EEDaPvRmT3_T4_T5_mT6_P12ihipStream_tbENKUlT_T0_E_clISt17integral_constantIbLb0EESY_EEDaST_SU_EUlST_E_NS1_11comp_targetILNS1_3genE10ELNS1_11target_archE1200ELNS1_3gpuE4ELNS1_3repE0EEENS1_30default_config_static_selectorELNS0_4arch9wavefront6targetE0EEEvT1_
		.amdhsa_group_segment_fixed_size 0
		.amdhsa_private_segment_fixed_size 0
		.amdhsa_kernarg_size 96
		.amdhsa_user_sgpr_count 6
		.amdhsa_user_sgpr_private_segment_buffer 1
		.amdhsa_user_sgpr_dispatch_ptr 0
		.amdhsa_user_sgpr_queue_ptr 0
		.amdhsa_user_sgpr_kernarg_segment_ptr 1
		.amdhsa_user_sgpr_dispatch_id 0
		.amdhsa_user_sgpr_flat_scratch_init 0
		.amdhsa_user_sgpr_private_segment_size 0
		.amdhsa_wavefront_size32 1
		.amdhsa_uses_dynamic_stack 0
		.amdhsa_system_sgpr_private_segment_wavefront_offset 0
		.amdhsa_system_sgpr_workgroup_id_x 1
		.amdhsa_system_sgpr_workgroup_id_y 0
		.amdhsa_system_sgpr_workgroup_id_z 0
		.amdhsa_system_sgpr_workgroup_info 0
		.amdhsa_system_vgpr_workitem_id 0
		.amdhsa_next_free_vgpr 1
		.amdhsa_next_free_sgpr 1
		.amdhsa_reserve_vcc 0
		.amdhsa_reserve_flat_scratch 0
		.amdhsa_float_round_mode_32 0
		.amdhsa_float_round_mode_16_64 0
		.amdhsa_float_denorm_mode_32 3
		.amdhsa_float_denorm_mode_16_64 3
		.amdhsa_dx10_clamp 1
		.amdhsa_ieee_mode 1
		.amdhsa_fp16_overflow 0
		.amdhsa_workgroup_processor_mode 1
		.amdhsa_memory_ordered 1
		.amdhsa_forward_progress 1
		.amdhsa_shared_vgpr_count 0
		.amdhsa_exception_fp_ieee_invalid_op 0
		.amdhsa_exception_fp_denorm_src 0
		.amdhsa_exception_fp_ieee_div_zero 0
		.amdhsa_exception_fp_ieee_overflow 0
		.amdhsa_exception_fp_ieee_underflow 0
		.amdhsa_exception_fp_ieee_inexact 0
		.amdhsa_exception_int_div_zero 0
	.end_amdhsa_kernel
	.section	.text._ZN7rocprim17ROCPRIM_400000_NS6detail17trampoline_kernelINS0_14default_configENS1_20scan_config_selectorIN3c104HalfEEEZZNS1_9scan_implILNS1_25lookback_scan_determinismE0ELb0ELb0ES3_PKS6_PS6_S6_ZZZN2at6native31launch_logcumsumexp_cuda_kernelERKNSD_10TensorBaseESH_lENKUlvE_clEvENKUlvE3_clEvEUlS6_S6_E_S6_EEDaPvRmT3_T4_T5_mT6_P12ihipStream_tbENKUlT_T0_E_clISt17integral_constantIbLb0EESY_EEDaST_SU_EUlST_E_NS1_11comp_targetILNS1_3genE10ELNS1_11target_archE1200ELNS1_3gpuE4ELNS1_3repE0EEENS1_30default_config_static_selectorELNS0_4arch9wavefront6targetE0EEEvT1_,"axG",@progbits,_ZN7rocprim17ROCPRIM_400000_NS6detail17trampoline_kernelINS0_14default_configENS1_20scan_config_selectorIN3c104HalfEEEZZNS1_9scan_implILNS1_25lookback_scan_determinismE0ELb0ELb0ES3_PKS6_PS6_S6_ZZZN2at6native31launch_logcumsumexp_cuda_kernelERKNSD_10TensorBaseESH_lENKUlvE_clEvENKUlvE3_clEvEUlS6_S6_E_S6_EEDaPvRmT3_T4_T5_mT6_P12ihipStream_tbENKUlT_T0_E_clISt17integral_constantIbLb0EESY_EEDaST_SU_EUlST_E_NS1_11comp_targetILNS1_3genE10ELNS1_11target_archE1200ELNS1_3gpuE4ELNS1_3repE0EEENS1_30default_config_static_selectorELNS0_4arch9wavefront6targetE0EEEvT1_,comdat
.Lfunc_end357:
	.size	_ZN7rocprim17ROCPRIM_400000_NS6detail17trampoline_kernelINS0_14default_configENS1_20scan_config_selectorIN3c104HalfEEEZZNS1_9scan_implILNS1_25lookback_scan_determinismE0ELb0ELb0ES3_PKS6_PS6_S6_ZZZN2at6native31launch_logcumsumexp_cuda_kernelERKNSD_10TensorBaseESH_lENKUlvE_clEvENKUlvE3_clEvEUlS6_S6_E_S6_EEDaPvRmT3_T4_T5_mT6_P12ihipStream_tbENKUlT_T0_E_clISt17integral_constantIbLb0EESY_EEDaST_SU_EUlST_E_NS1_11comp_targetILNS1_3genE10ELNS1_11target_archE1200ELNS1_3gpuE4ELNS1_3repE0EEENS1_30default_config_static_selectorELNS0_4arch9wavefront6targetE0EEEvT1_, .Lfunc_end357-_ZN7rocprim17ROCPRIM_400000_NS6detail17trampoline_kernelINS0_14default_configENS1_20scan_config_selectorIN3c104HalfEEEZZNS1_9scan_implILNS1_25lookback_scan_determinismE0ELb0ELb0ES3_PKS6_PS6_S6_ZZZN2at6native31launch_logcumsumexp_cuda_kernelERKNSD_10TensorBaseESH_lENKUlvE_clEvENKUlvE3_clEvEUlS6_S6_E_S6_EEDaPvRmT3_T4_T5_mT6_P12ihipStream_tbENKUlT_T0_E_clISt17integral_constantIbLb0EESY_EEDaST_SU_EUlST_E_NS1_11comp_targetILNS1_3genE10ELNS1_11target_archE1200ELNS1_3gpuE4ELNS1_3repE0EEENS1_30default_config_static_selectorELNS0_4arch9wavefront6targetE0EEEvT1_
                                        ; -- End function
	.set _ZN7rocprim17ROCPRIM_400000_NS6detail17trampoline_kernelINS0_14default_configENS1_20scan_config_selectorIN3c104HalfEEEZZNS1_9scan_implILNS1_25lookback_scan_determinismE0ELb0ELb0ES3_PKS6_PS6_S6_ZZZN2at6native31launch_logcumsumexp_cuda_kernelERKNSD_10TensorBaseESH_lENKUlvE_clEvENKUlvE3_clEvEUlS6_S6_E_S6_EEDaPvRmT3_T4_T5_mT6_P12ihipStream_tbENKUlT_T0_E_clISt17integral_constantIbLb0EESY_EEDaST_SU_EUlST_E_NS1_11comp_targetILNS1_3genE10ELNS1_11target_archE1200ELNS1_3gpuE4ELNS1_3repE0EEENS1_30default_config_static_selectorELNS0_4arch9wavefront6targetE0EEEvT1_.num_vgpr, 0
	.set _ZN7rocprim17ROCPRIM_400000_NS6detail17trampoline_kernelINS0_14default_configENS1_20scan_config_selectorIN3c104HalfEEEZZNS1_9scan_implILNS1_25lookback_scan_determinismE0ELb0ELb0ES3_PKS6_PS6_S6_ZZZN2at6native31launch_logcumsumexp_cuda_kernelERKNSD_10TensorBaseESH_lENKUlvE_clEvENKUlvE3_clEvEUlS6_S6_E_S6_EEDaPvRmT3_T4_T5_mT6_P12ihipStream_tbENKUlT_T0_E_clISt17integral_constantIbLb0EESY_EEDaST_SU_EUlST_E_NS1_11comp_targetILNS1_3genE10ELNS1_11target_archE1200ELNS1_3gpuE4ELNS1_3repE0EEENS1_30default_config_static_selectorELNS0_4arch9wavefront6targetE0EEEvT1_.num_agpr, 0
	.set _ZN7rocprim17ROCPRIM_400000_NS6detail17trampoline_kernelINS0_14default_configENS1_20scan_config_selectorIN3c104HalfEEEZZNS1_9scan_implILNS1_25lookback_scan_determinismE0ELb0ELb0ES3_PKS6_PS6_S6_ZZZN2at6native31launch_logcumsumexp_cuda_kernelERKNSD_10TensorBaseESH_lENKUlvE_clEvENKUlvE3_clEvEUlS6_S6_E_S6_EEDaPvRmT3_T4_T5_mT6_P12ihipStream_tbENKUlT_T0_E_clISt17integral_constantIbLb0EESY_EEDaST_SU_EUlST_E_NS1_11comp_targetILNS1_3genE10ELNS1_11target_archE1200ELNS1_3gpuE4ELNS1_3repE0EEENS1_30default_config_static_selectorELNS0_4arch9wavefront6targetE0EEEvT1_.numbered_sgpr, 0
	.set _ZN7rocprim17ROCPRIM_400000_NS6detail17trampoline_kernelINS0_14default_configENS1_20scan_config_selectorIN3c104HalfEEEZZNS1_9scan_implILNS1_25lookback_scan_determinismE0ELb0ELb0ES3_PKS6_PS6_S6_ZZZN2at6native31launch_logcumsumexp_cuda_kernelERKNSD_10TensorBaseESH_lENKUlvE_clEvENKUlvE3_clEvEUlS6_S6_E_S6_EEDaPvRmT3_T4_T5_mT6_P12ihipStream_tbENKUlT_T0_E_clISt17integral_constantIbLb0EESY_EEDaST_SU_EUlST_E_NS1_11comp_targetILNS1_3genE10ELNS1_11target_archE1200ELNS1_3gpuE4ELNS1_3repE0EEENS1_30default_config_static_selectorELNS0_4arch9wavefront6targetE0EEEvT1_.num_named_barrier, 0
	.set _ZN7rocprim17ROCPRIM_400000_NS6detail17trampoline_kernelINS0_14default_configENS1_20scan_config_selectorIN3c104HalfEEEZZNS1_9scan_implILNS1_25lookback_scan_determinismE0ELb0ELb0ES3_PKS6_PS6_S6_ZZZN2at6native31launch_logcumsumexp_cuda_kernelERKNSD_10TensorBaseESH_lENKUlvE_clEvENKUlvE3_clEvEUlS6_S6_E_S6_EEDaPvRmT3_T4_T5_mT6_P12ihipStream_tbENKUlT_T0_E_clISt17integral_constantIbLb0EESY_EEDaST_SU_EUlST_E_NS1_11comp_targetILNS1_3genE10ELNS1_11target_archE1200ELNS1_3gpuE4ELNS1_3repE0EEENS1_30default_config_static_selectorELNS0_4arch9wavefront6targetE0EEEvT1_.private_seg_size, 0
	.set _ZN7rocprim17ROCPRIM_400000_NS6detail17trampoline_kernelINS0_14default_configENS1_20scan_config_selectorIN3c104HalfEEEZZNS1_9scan_implILNS1_25lookback_scan_determinismE0ELb0ELb0ES3_PKS6_PS6_S6_ZZZN2at6native31launch_logcumsumexp_cuda_kernelERKNSD_10TensorBaseESH_lENKUlvE_clEvENKUlvE3_clEvEUlS6_S6_E_S6_EEDaPvRmT3_T4_T5_mT6_P12ihipStream_tbENKUlT_T0_E_clISt17integral_constantIbLb0EESY_EEDaST_SU_EUlST_E_NS1_11comp_targetILNS1_3genE10ELNS1_11target_archE1200ELNS1_3gpuE4ELNS1_3repE0EEENS1_30default_config_static_selectorELNS0_4arch9wavefront6targetE0EEEvT1_.uses_vcc, 0
	.set _ZN7rocprim17ROCPRIM_400000_NS6detail17trampoline_kernelINS0_14default_configENS1_20scan_config_selectorIN3c104HalfEEEZZNS1_9scan_implILNS1_25lookback_scan_determinismE0ELb0ELb0ES3_PKS6_PS6_S6_ZZZN2at6native31launch_logcumsumexp_cuda_kernelERKNSD_10TensorBaseESH_lENKUlvE_clEvENKUlvE3_clEvEUlS6_S6_E_S6_EEDaPvRmT3_T4_T5_mT6_P12ihipStream_tbENKUlT_T0_E_clISt17integral_constantIbLb0EESY_EEDaST_SU_EUlST_E_NS1_11comp_targetILNS1_3genE10ELNS1_11target_archE1200ELNS1_3gpuE4ELNS1_3repE0EEENS1_30default_config_static_selectorELNS0_4arch9wavefront6targetE0EEEvT1_.uses_flat_scratch, 0
	.set _ZN7rocprim17ROCPRIM_400000_NS6detail17trampoline_kernelINS0_14default_configENS1_20scan_config_selectorIN3c104HalfEEEZZNS1_9scan_implILNS1_25lookback_scan_determinismE0ELb0ELb0ES3_PKS6_PS6_S6_ZZZN2at6native31launch_logcumsumexp_cuda_kernelERKNSD_10TensorBaseESH_lENKUlvE_clEvENKUlvE3_clEvEUlS6_S6_E_S6_EEDaPvRmT3_T4_T5_mT6_P12ihipStream_tbENKUlT_T0_E_clISt17integral_constantIbLb0EESY_EEDaST_SU_EUlST_E_NS1_11comp_targetILNS1_3genE10ELNS1_11target_archE1200ELNS1_3gpuE4ELNS1_3repE0EEENS1_30default_config_static_selectorELNS0_4arch9wavefront6targetE0EEEvT1_.has_dyn_sized_stack, 0
	.set _ZN7rocprim17ROCPRIM_400000_NS6detail17trampoline_kernelINS0_14default_configENS1_20scan_config_selectorIN3c104HalfEEEZZNS1_9scan_implILNS1_25lookback_scan_determinismE0ELb0ELb0ES3_PKS6_PS6_S6_ZZZN2at6native31launch_logcumsumexp_cuda_kernelERKNSD_10TensorBaseESH_lENKUlvE_clEvENKUlvE3_clEvEUlS6_S6_E_S6_EEDaPvRmT3_T4_T5_mT6_P12ihipStream_tbENKUlT_T0_E_clISt17integral_constantIbLb0EESY_EEDaST_SU_EUlST_E_NS1_11comp_targetILNS1_3genE10ELNS1_11target_archE1200ELNS1_3gpuE4ELNS1_3repE0EEENS1_30default_config_static_selectorELNS0_4arch9wavefront6targetE0EEEvT1_.has_recursion, 0
	.set _ZN7rocprim17ROCPRIM_400000_NS6detail17trampoline_kernelINS0_14default_configENS1_20scan_config_selectorIN3c104HalfEEEZZNS1_9scan_implILNS1_25lookback_scan_determinismE0ELb0ELb0ES3_PKS6_PS6_S6_ZZZN2at6native31launch_logcumsumexp_cuda_kernelERKNSD_10TensorBaseESH_lENKUlvE_clEvENKUlvE3_clEvEUlS6_S6_E_S6_EEDaPvRmT3_T4_T5_mT6_P12ihipStream_tbENKUlT_T0_E_clISt17integral_constantIbLb0EESY_EEDaST_SU_EUlST_E_NS1_11comp_targetILNS1_3genE10ELNS1_11target_archE1200ELNS1_3gpuE4ELNS1_3repE0EEENS1_30default_config_static_selectorELNS0_4arch9wavefront6targetE0EEEvT1_.has_indirect_call, 0
	.section	.AMDGPU.csdata,"",@progbits
; Kernel info:
; codeLenInByte = 0
; TotalNumSgprs: 0
; NumVgprs: 0
; ScratchSize: 0
; MemoryBound: 0
; FloatMode: 240
; IeeeMode: 1
; LDSByteSize: 0 bytes/workgroup (compile time only)
; SGPRBlocks: 0
; VGPRBlocks: 0
; NumSGPRsForWavesPerEU: 1
; NumVGPRsForWavesPerEU: 1
; Occupancy: 16
; WaveLimiterHint : 0
; COMPUTE_PGM_RSRC2:SCRATCH_EN: 0
; COMPUTE_PGM_RSRC2:USER_SGPR: 6
; COMPUTE_PGM_RSRC2:TRAP_HANDLER: 0
; COMPUTE_PGM_RSRC2:TGID_X_EN: 1
; COMPUTE_PGM_RSRC2:TGID_Y_EN: 0
; COMPUTE_PGM_RSRC2:TGID_Z_EN: 0
; COMPUTE_PGM_RSRC2:TIDIG_COMP_CNT: 0
	.section	.text._ZN7rocprim17ROCPRIM_400000_NS6detail17trampoline_kernelINS0_14default_configENS1_20scan_config_selectorIN3c104HalfEEEZZNS1_9scan_implILNS1_25lookback_scan_determinismE0ELb0ELb0ES3_PKS6_PS6_S6_ZZZN2at6native31launch_logcumsumexp_cuda_kernelERKNSD_10TensorBaseESH_lENKUlvE_clEvENKUlvE3_clEvEUlS6_S6_E_S6_EEDaPvRmT3_T4_T5_mT6_P12ihipStream_tbENKUlT_T0_E_clISt17integral_constantIbLb0EESY_EEDaST_SU_EUlST_E_NS1_11comp_targetILNS1_3genE9ELNS1_11target_archE1100ELNS1_3gpuE3ELNS1_3repE0EEENS1_30default_config_static_selectorELNS0_4arch9wavefront6targetE0EEEvT1_,"axG",@progbits,_ZN7rocprim17ROCPRIM_400000_NS6detail17trampoline_kernelINS0_14default_configENS1_20scan_config_selectorIN3c104HalfEEEZZNS1_9scan_implILNS1_25lookback_scan_determinismE0ELb0ELb0ES3_PKS6_PS6_S6_ZZZN2at6native31launch_logcumsumexp_cuda_kernelERKNSD_10TensorBaseESH_lENKUlvE_clEvENKUlvE3_clEvEUlS6_S6_E_S6_EEDaPvRmT3_T4_T5_mT6_P12ihipStream_tbENKUlT_T0_E_clISt17integral_constantIbLb0EESY_EEDaST_SU_EUlST_E_NS1_11comp_targetILNS1_3genE9ELNS1_11target_archE1100ELNS1_3gpuE3ELNS1_3repE0EEENS1_30default_config_static_selectorELNS0_4arch9wavefront6targetE0EEEvT1_,comdat
	.globl	_ZN7rocprim17ROCPRIM_400000_NS6detail17trampoline_kernelINS0_14default_configENS1_20scan_config_selectorIN3c104HalfEEEZZNS1_9scan_implILNS1_25lookback_scan_determinismE0ELb0ELb0ES3_PKS6_PS6_S6_ZZZN2at6native31launch_logcumsumexp_cuda_kernelERKNSD_10TensorBaseESH_lENKUlvE_clEvENKUlvE3_clEvEUlS6_S6_E_S6_EEDaPvRmT3_T4_T5_mT6_P12ihipStream_tbENKUlT_T0_E_clISt17integral_constantIbLb0EESY_EEDaST_SU_EUlST_E_NS1_11comp_targetILNS1_3genE9ELNS1_11target_archE1100ELNS1_3gpuE3ELNS1_3repE0EEENS1_30default_config_static_selectorELNS0_4arch9wavefront6targetE0EEEvT1_ ; -- Begin function _ZN7rocprim17ROCPRIM_400000_NS6detail17trampoline_kernelINS0_14default_configENS1_20scan_config_selectorIN3c104HalfEEEZZNS1_9scan_implILNS1_25lookback_scan_determinismE0ELb0ELb0ES3_PKS6_PS6_S6_ZZZN2at6native31launch_logcumsumexp_cuda_kernelERKNSD_10TensorBaseESH_lENKUlvE_clEvENKUlvE3_clEvEUlS6_S6_E_S6_EEDaPvRmT3_T4_T5_mT6_P12ihipStream_tbENKUlT_T0_E_clISt17integral_constantIbLb0EESY_EEDaST_SU_EUlST_E_NS1_11comp_targetILNS1_3genE9ELNS1_11target_archE1100ELNS1_3gpuE3ELNS1_3repE0EEENS1_30default_config_static_selectorELNS0_4arch9wavefront6targetE0EEEvT1_
	.p2align	8
	.type	_ZN7rocprim17ROCPRIM_400000_NS6detail17trampoline_kernelINS0_14default_configENS1_20scan_config_selectorIN3c104HalfEEEZZNS1_9scan_implILNS1_25lookback_scan_determinismE0ELb0ELb0ES3_PKS6_PS6_S6_ZZZN2at6native31launch_logcumsumexp_cuda_kernelERKNSD_10TensorBaseESH_lENKUlvE_clEvENKUlvE3_clEvEUlS6_S6_E_S6_EEDaPvRmT3_T4_T5_mT6_P12ihipStream_tbENKUlT_T0_E_clISt17integral_constantIbLb0EESY_EEDaST_SU_EUlST_E_NS1_11comp_targetILNS1_3genE9ELNS1_11target_archE1100ELNS1_3gpuE3ELNS1_3repE0EEENS1_30default_config_static_selectorELNS0_4arch9wavefront6targetE0EEEvT1_,@function
_ZN7rocprim17ROCPRIM_400000_NS6detail17trampoline_kernelINS0_14default_configENS1_20scan_config_selectorIN3c104HalfEEEZZNS1_9scan_implILNS1_25lookback_scan_determinismE0ELb0ELb0ES3_PKS6_PS6_S6_ZZZN2at6native31launch_logcumsumexp_cuda_kernelERKNSD_10TensorBaseESH_lENKUlvE_clEvENKUlvE3_clEvEUlS6_S6_E_S6_EEDaPvRmT3_T4_T5_mT6_P12ihipStream_tbENKUlT_T0_E_clISt17integral_constantIbLb0EESY_EEDaST_SU_EUlST_E_NS1_11comp_targetILNS1_3genE9ELNS1_11target_archE1100ELNS1_3gpuE3ELNS1_3repE0EEENS1_30default_config_static_selectorELNS0_4arch9wavefront6targetE0EEEvT1_: ; @_ZN7rocprim17ROCPRIM_400000_NS6detail17trampoline_kernelINS0_14default_configENS1_20scan_config_selectorIN3c104HalfEEEZZNS1_9scan_implILNS1_25lookback_scan_determinismE0ELb0ELb0ES3_PKS6_PS6_S6_ZZZN2at6native31launch_logcumsumexp_cuda_kernelERKNSD_10TensorBaseESH_lENKUlvE_clEvENKUlvE3_clEvEUlS6_S6_E_S6_EEDaPvRmT3_T4_T5_mT6_P12ihipStream_tbENKUlT_T0_E_clISt17integral_constantIbLb0EESY_EEDaST_SU_EUlST_E_NS1_11comp_targetILNS1_3genE9ELNS1_11target_archE1100ELNS1_3gpuE3ELNS1_3repE0EEENS1_30default_config_static_selectorELNS0_4arch9wavefront6targetE0EEEvT1_
; %bb.0:
	.section	.rodata,"a",@progbits
	.p2align	6, 0x0
	.amdhsa_kernel _ZN7rocprim17ROCPRIM_400000_NS6detail17trampoline_kernelINS0_14default_configENS1_20scan_config_selectorIN3c104HalfEEEZZNS1_9scan_implILNS1_25lookback_scan_determinismE0ELb0ELb0ES3_PKS6_PS6_S6_ZZZN2at6native31launch_logcumsumexp_cuda_kernelERKNSD_10TensorBaseESH_lENKUlvE_clEvENKUlvE3_clEvEUlS6_S6_E_S6_EEDaPvRmT3_T4_T5_mT6_P12ihipStream_tbENKUlT_T0_E_clISt17integral_constantIbLb0EESY_EEDaST_SU_EUlST_E_NS1_11comp_targetILNS1_3genE9ELNS1_11target_archE1100ELNS1_3gpuE3ELNS1_3repE0EEENS1_30default_config_static_selectorELNS0_4arch9wavefront6targetE0EEEvT1_
		.amdhsa_group_segment_fixed_size 0
		.amdhsa_private_segment_fixed_size 0
		.amdhsa_kernarg_size 96
		.amdhsa_user_sgpr_count 6
		.amdhsa_user_sgpr_private_segment_buffer 1
		.amdhsa_user_sgpr_dispatch_ptr 0
		.amdhsa_user_sgpr_queue_ptr 0
		.amdhsa_user_sgpr_kernarg_segment_ptr 1
		.amdhsa_user_sgpr_dispatch_id 0
		.amdhsa_user_sgpr_flat_scratch_init 0
		.amdhsa_user_sgpr_private_segment_size 0
		.amdhsa_wavefront_size32 1
		.amdhsa_uses_dynamic_stack 0
		.amdhsa_system_sgpr_private_segment_wavefront_offset 0
		.amdhsa_system_sgpr_workgroup_id_x 1
		.amdhsa_system_sgpr_workgroup_id_y 0
		.amdhsa_system_sgpr_workgroup_id_z 0
		.amdhsa_system_sgpr_workgroup_info 0
		.amdhsa_system_vgpr_workitem_id 0
		.amdhsa_next_free_vgpr 1
		.amdhsa_next_free_sgpr 1
		.amdhsa_reserve_vcc 0
		.amdhsa_reserve_flat_scratch 0
		.amdhsa_float_round_mode_32 0
		.amdhsa_float_round_mode_16_64 0
		.amdhsa_float_denorm_mode_32 3
		.amdhsa_float_denorm_mode_16_64 3
		.amdhsa_dx10_clamp 1
		.amdhsa_ieee_mode 1
		.amdhsa_fp16_overflow 0
		.amdhsa_workgroup_processor_mode 1
		.amdhsa_memory_ordered 1
		.amdhsa_forward_progress 1
		.amdhsa_shared_vgpr_count 0
		.amdhsa_exception_fp_ieee_invalid_op 0
		.amdhsa_exception_fp_denorm_src 0
		.amdhsa_exception_fp_ieee_div_zero 0
		.amdhsa_exception_fp_ieee_overflow 0
		.amdhsa_exception_fp_ieee_underflow 0
		.amdhsa_exception_fp_ieee_inexact 0
		.amdhsa_exception_int_div_zero 0
	.end_amdhsa_kernel
	.section	.text._ZN7rocprim17ROCPRIM_400000_NS6detail17trampoline_kernelINS0_14default_configENS1_20scan_config_selectorIN3c104HalfEEEZZNS1_9scan_implILNS1_25lookback_scan_determinismE0ELb0ELb0ES3_PKS6_PS6_S6_ZZZN2at6native31launch_logcumsumexp_cuda_kernelERKNSD_10TensorBaseESH_lENKUlvE_clEvENKUlvE3_clEvEUlS6_S6_E_S6_EEDaPvRmT3_T4_T5_mT6_P12ihipStream_tbENKUlT_T0_E_clISt17integral_constantIbLb0EESY_EEDaST_SU_EUlST_E_NS1_11comp_targetILNS1_3genE9ELNS1_11target_archE1100ELNS1_3gpuE3ELNS1_3repE0EEENS1_30default_config_static_selectorELNS0_4arch9wavefront6targetE0EEEvT1_,"axG",@progbits,_ZN7rocprim17ROCPRIM_400000_NS6detail17trampoline_kernelINS0_14default_configENS1_20scan_config_selectorIN3c104HalfEEEZZNS1_9scan_implILNS1_25lookback_scan_determinismE0ELb0ELb0ES3_PKS6_PS6_S6_ZZZN2at6native31launch_logcumsumexp_cuda_kernelERKNSD_10TensorBaseESH_lENKUlvE_clEvENKUlvE3_clEvEUlS6_S6_E_S6_EEDaPvRmT3_T4_T5_mT6_P12ihipStream_tbENKUlT_T0_E_clISt17integral_constantIbLb0EESY_EEDaST_SU_EUlST_E_NS1_11comp_targetILNS1_3genE9ELNS1_11target_archE1100ELNS1_3gpuE3ELNS1_3repE0EEENS1_30default_config_static_selectorELNS0_4arch9wavefront6targetE0EEEvT1_,comdat
.Lfunc_end358:
	.size	_ZN7rocprim17ROCPRIM_400000_NS6detail17trampoline_kernelINS0_14default_configENS1_20scan_config_selectorIN3c104HalfEEEZZNS1_9scan_implILNS1_25lookback_scan_determinismE0ELb0ELb0ES3_PKS6_PS6_S6_ZZZN2at6native31launch_logcumsumexp_cuda_kernelERKNSD_10TensorBaseESH_lENKUlvE_clEvENKUlvE3_clEvEUlS6_S6_E_S6_EEDaPvRmT3_T4_T5_mT6_P12ihipStream_tbENKUlT_T0_E_clISt17integral_constantIbLb0EESY_EEDaST_SU_EUlST_E_NS1_11comp_targetILNS1_3genE9ELNS1_11target_archE1100ELNS1_3gpuE3ELNS1_3repE0EEENS1_30default_config_static_selectorELNS0_4arch9wavefront6targetE0EEEvT1_, .Lfunc_end358-_ZN7rocprim17ROCPRIM_400000_NS6detail17trampoline_kernelINS0_14default_configENS1_20scan_config_selectorIN3c104HalfEEEZZNS1_9scan_implILNS1_25lookback_scan_determinismE0ELb0ELb0ES3_PKS6_PS6_S6_ZZZN2at6native31launch_logcumsumexp_cuda_kernelERKNSD_10TensorBaseESH_lENKUlvE_clEvENKUlvE3_clEvEUlS6_S6_E_S6_EEDaPvRmT3_T4_T5_mT6_P12ihipStream_tbENKUlT_T0_E_clISt17integral_constantIbLb0EESY_EEDaST_SU_EUlST_E_NS1_11comp_targetILNS1_3genE9ELNS1_11target_archE1100ELNS1_3gpuE3ELNS1_3repE0EEENS1_30default_config_static_selectorELNS0_4arch9wavefront6targetE0EEEvT1_
                                        ; -- End function
	.set _ZN7rocprim17ROCPRIM_400000_NS6detail17trampoline_kernelINS0_14default_configENS1_20scan_config_selectorIN3c104HalfEEEZZNS1_9scan_implILNS1_25lookback_scan_determinismE0ELb0ELb0ES3_PKS6_PS6_S6_ZZZN2at6native31launch_logcumsumexp_cuda_kernelERKNSD_10TensorBaseESH_lENKUlvE_clEvENKUlvE3_clEvEUlS6_S6_E_S6_EEDaPvRmT3_T4_T5_mT6_P12ihipStream_tbENKUlT_T0_E_clISt17integral_constantIbLb0EESY_EEDaST_SU_EUlST_E_NS1_11comp_targetILNS1_3genE9ELNS1_11target_archE1100ELNS1_3gpuE3ELNS1_3repE0EEENS1_30default_config_static_selectorELNS0_4arch9wavefront6targetE0EEEvT1_.num_vgpr, 0
	.set _ZN7rocprim17ROCPRIM_400000_NS6detail17trampoline_kernelINS0_14default_configENS1_20scan_config_selectorIN3c104HalfEEEZZNS1_9scan_implILNS1_25lookback_scan_determinismE0ELb0ELb0ES3_PKS6_PS6_S6_ZZZN2at6native31launch_logcumsumexp_cuda_kernelERKNSD_10TensorBaseESH_lENKUlvE_clEvENKUlvE3_clEvEUlS6_S6_E_S6_EEDaPvRmT3_T4_T5_mT6_P12ihipStream_tbENKUlT_T0_E_clISt17integral_constantIbLb0EESY_EEDaST_SU_EUlST_E_NS1_11comp_targetILNS1_3genE9ELNS1_11target_archE1100ELNS1_3gpuE3ELNS1_3repE0EEENS1_30default_config_static_selectorELNS0_4arch9wavefront6targetE0EEEvT1_.num_agpr, 0
	.set _ZN7rocprim17ROCPRIM_400000_NS6detail17trampoline_kernelINS0_14default_configENS1_20scan_config_selectorIN3c104HalfEEEZZNS1_9scan_implILNS1_25lookback_scan_determinismE0ELb0ELb0ES3_PKS6_PS6_S6_ZZZN2at6native31launch_logcumsumexp_cuda_kernelERKNSD_10TensorBaseESH_lENKUlvE_clEvENKUlvE3_clEvEUlS6_S6_E_S6_EEDaPvRmT3_T4_T5_mT6_P12ihipStream_tbENKUlT_T0_E_clISt17integral_constantIbLb0EESY_EEDaST_SU_EUlST_E_NS1_11comp_targetILNS1_3genE9ELNS1_11target_archE1100ELNS1_3gpuE3ELNS1_3repE0EEENS1_30default_config_static_selectorELNS0_4arch9wavefront6targetE0EEEvT1_.numbered_sgpr, 0
	.set _ZN7rocprim17ROCPRIM_400000_NS6detail17trampoline_kernelINS0_14default_configENS1_20scan_config_selectorIN3c104HalfEEEZZNS1_9scan_implILNS1_25lookback_scan_determinismE0ELb0ELb0ES3_PKS6_PS6_S6_ZZZN2at6native31launch_logcumsumexp_cuda_kernelERKNSD_10TensorBaseESH_lENKUlvE_clEvENKUlvE3_clEvEUlS6_S6_E_S6_EEDaPvRmT3_T4_T5_mT6_P12ihipStream_tbENKUlT_T0_E_clISt17integral_constantIbLb0EESY_EEDaST_SU_EUlST_E_NS1_11comp_targetILNS1_3genE9ELNS1_11target_archE1100ELNS1_3gpuE3ELNS1_3repE0EEENS1_30default_config_static_selectorELNS0_4arch9wavefront6targetE0EEEvT1_.num_named_barrier, 0
	.set _ZN7rocprim17ROCPRIM_400000_NS6detail17trampoline_kernelINS0_14default_configENS1_20scan_config_selectorIN3c104HalfEEEZZNS1_9scan_implILNS1_25lookback_scan_determinismE0ELb0ELb0ES3_PKS6_PS6_S6_ZZZN2at6native31launch_logcumsumexp_cuda_kernelERKNSD_10TensorBaseESH_lENKUlvE_clEvENKUlvE3_clEvEUlS6_S6_E_S6_EEDaPvRmT3_T4_T5_mT6_P12ihipStream_tbENKUlT_T0_E_clISt17integral_constantIbLb0EESY_EEDaST_SU_EUlST_E_NS1_11comp_targetILNS1_3genE9ELNS1_11target_archE1100ELNS1_3gpuE3ELNS1_3repE0EEENS1_30default_config_static_selectorELNS0_4arch9wavefront6targetE0EEEvT1_.private_seg_size, 0
	.set _ZN7rocprim17ROCPRIM_400000_NS6detail17trampoline_kernelINS0_14default_configENS1_20scan_config_selectorIN3c104HalfEEEZZNS1_9scan_implILNS1_25lookback_scan_determinismE0ELb0ELb0ES3_PKS6_PS6_S6_ZZZN2at6native31launch_logcumsumexp_cuda_kernelERKNSD_10TensorBaseESH_lENKUlvE_clEvENKUlvE3_clEvEUlS6_S6_E_S6_EEDaPvRmT3_T4_T5_mT6_P12ihipStream_tbENKUlT_T0_E_clISt17integral_constantIbLb0EESY_EEDaST_SU_EUlST_E_NS1_11comp_targetILNS1_3genE9ELNS1_11target_archE1100ELNS1_3gpuE3ELNS1_3repE0EEENS1_30default_config_static_selectorELNS0_4arch9wavefront6targetE0EEEvT1_.uses_vcc, 0
	.set _ZN7rocprim17ROCPRIM_400000_NS6detail17trampoline_kernelINS0_14default_configENS1_20scan_config_selectorIN3c104HalfEEEZZNS1_9scan_implILNS1_25lookback_scan_determinismE0ELb0ELb0ES3_PKS6_PS6_S6_ZZZN2at6native31launch_logcumsumexp_cuda_kernelERKNSD_10TensorBaseESH_lENKUlvE_clEvENKUlvE3_clEvEUlS6_S6_E_S6_EEDaPvRmT3_T4_T5_mT6_P12ihipStream_tbENKUlT_T0_E_clISt17integral_constantIbLb0EESY_EEDaST_SU_EUlST_E_NS1_11comp_targetILNS1_3genE9ELNS1_11target_archE1100ELNS1_3gpuE3ELNS1_3repE0EEENS1_30default_config_static_selectorELNS0_4arch9wavefront6targetE0EEEvT1_.uses_flat_scratch, 0
	.set _ZN7rocprim17ROCPRIM_400000_NS6detail17trampoline_kernelINS0_14default_configENS1_20scan_config_selectorIN3c104HalfEEEZZNS1_9scan_implILNS1_25lookback_scan_determinismE0ELb0ELb0ES3_PKS6_PS6_S6_ZZZN2at6native31launch_logcumsumexp_cuda_kernelERKNSD_10TensorBaseESH_lENKUlvE_clEvENKUlvE3_clEvEUlS6_S6_E_S6_EEDaPvRmT3_T4_T5_mT6_P12ihipStream_tbENKUlT_T0_E_clISt17integral_constantIbLb0EESY_EEDaST_SU_EUlST_E_NS1_11comp_targetILNS1_3genE9ELNS1_11target_archE1100ELNS1_3gpuE3ELNS1_3repE0EEENS1_30default_config_static_selectorELNS0_4arch9wavefront6targetE0EEEvT1_.has_dyn_sized_stack, 0
	.set _ZN7rocprim17ROCPRIM_400000_NS6detail17trampoline_kernelINS0_14default_configENS1_20scan_config_selectorIN3c104HalfEEEZZNS1_9scan_implILNS1_25lookback_scan_determinismE0ELb0ELb0ES3_PKS6_PS6_S6_ZZZN2at6native31launch_logcumsumexp_cuda_kernelERKNSD_10TensorBaseESH_lENKUlvE_clEvENKUlvE3_clEvEUlS6_S6_E_S6_EEDaPvRmT3_T4_T5_mT6_P12ihipStream_tbENKUlT_T0_E_clISt17integral_constantIbLb0EESY_EEDaST_SU_EUlST_E_NS1_11comp_targetILNS1_3genE9ELNS1_11target_archE1100ELNS1_3gpuE3ELNS1_3repE0EEENS1_30default_config_static_selectorELNS0_4arch9wavefront6targetE0EEEvT1_.has_recursion, 0
	.set _ZN7rocprim17ROCPRIM_400000_NS6detail17trampoline_kernelINS0_14default_configENS1_20scan_config_selectorIN3c104HalfEEEZZNS1_9scan_implILNS1_25lookback_scan_determinismE0ELb0ELb0ES3_PKS6_PS6_S6_ZZZN2at6native31launch_logcumsumexp_cuda_kernelERKNSD_10TensorBaseESH_lENKUlvE_clEvENKUlvE3_clEvEUlS6_S6_E_S6_EEDaPvRmT3_T4_T5_mT6_P12ihipStream_tbENKUlT_T0_E_clISt17integral_constantIbLb0EESY_EEDaST_SU_EUlST_E_NS1_11comp_targetILNS1_3genE9ELNS1_11target_archE1100ELNS1_3gpuE3ELNS1_3repE0EEENS1_30default_config_static_selectorELNS0_4arch9wavefront6targetE0EEEvT1_.has_indirect_call, 0
	.section	.AMDGPU.csdata,"",@progbits
; Kernel info:
; codeLenInByte = 0
; TotalNumSgprs: 0
; NumVgprs: 0
; ScratchSize: 0
; MemoryBound: 0
; FloatMode: 240
; IeeeMode: 1
; LDSByteSize: 0 bytes/workgroup (compile time only)
; SGPRBlocks: 0
; VGPRBlocks: 0
; NumSGPRsForWavesPerEU: 1
; NumVGPRsForWavesPerEU: 1
; Occupancy: 16
; WaveLimiterHint : 0
; COMPUTE_PGM_RSRC2:SCRATCH_EN: 0
; COMPUTE_PGM_RSRC2:USER_SGPR: 6
; COMPUTE_PGM_RSRC2:TRAP_HANDLER: 0
; COMPUTE_PGM_RSRC2:TGID_X_EN: 1
; COMPUTE_PGM_RSRC2:TGID_Y_EN: 0
; COMPUTE_PGM_RSRC2:TGID_Z_EN: 0
; COMPUTE_PGM_RSRC2:TIDIG_COMP_CNT: 0
	.section	.text._ZN7rocprim17ROCPRIM_400000_NS6detail17trampoline_kernelINS0_14default_configENS1_20scan_config_selectorIN3c104HalfEEEZZNS1_9scan_implILNS1_25lookback_scan_determinismE0ELb0ELb0ES3_PKS6_PS6_S6_ZZZN2at6native31launch_logcumsumexp_cuda_kernelERKNSD_10TensorBaseESH_lENKUlvE_clEvENKUlvE3_clEvEUlS6_S6_E_S6_EEDaPvRmT3_T4_T5_mT6_P12ihipStream_tbENKUlT_T0_E_clISt17integral_constantIbLb0EESY_EEDaST_SU_EUlST_E_NS1_11comp_targetILNS1_3genE8ELNS1_11target_archE1030ELNS1_3gpuE2ELNS1_3repE0EEENS1_30default_config_static_selectorELNS0_4arch9wavefront6targetE0EEEvT1_,"axG",@progbits,_ZN7rocprim17ROCPRIM_400000_NS6detail17trampoline_kernelINS0_14default_configENS1_20scan_config_selectorIN3c104HalfEEEZZNS1_9scan_implILNS1_25lookback_scan_determinismE0ELb0ELb0ES3_PKS6_PS6_S6_ZZZN2at6native31launch_logcumsumexp_cuda_kernelERKNSD_10TensorBaseESH_lENKUlvE_clEvENKUlvE3_clEvEUlS6_S6_E_S6_EEDaPvRmT3_T4_T5_mT6_P12ihipStream_tbENKUlT_T0_E_clISt17integral_constantIbLb0EESY_EEDaST_SU_EUlST_E_NS1_11comp_targetILNS1_3genE8ELNS1_11target_archE1030ELNS1_3gpuE2ELNS1_3repE0EEENS1_30default_config_static_selectorELNS0_4arch9wavefront6targetE0EEEvT1_,comdat
	.globl	_ZN7rocprim17ROCPRIM_400000_NS6detail17trampoline_kernelINS0_14default_configENS1_20scan_config_selectorIN3c104HalfEEEZZNS1_9scan_implILNS1_25lookback_scan_determinismE0ELb0ELb0ES3_PKS6_PS6_S6_ZZZN2at6native31launch_logcumsumexp_cuda_kernelERKNSD_10TensorBaseESH_lENKUlvE_clEvENKUlvE3_clEvEUlS6_S6_E_S6_EEDaPvRmT3_T4_T5_mT6_P12ihipStream_tbENKUlT_T0_E_clISt17integral_constantIbLb0EESY_EEDaST_SU_EUlST_E_NS1_11comp_targetILNS1_3genE8ELNS1_11target_archE1030ELNS1_3gpuE2ELNS1_3repE0EEENS1_30default_config_static_selectorELNS0_4arch9wavefront6targetE0EEEvT1_ ; -- Begin function _ZN7rocprim17ROCPRIM_400000_NS6detail17trampoline_kernelINS0_14default_configENS1_20scan_config_selectorIN3c104HalfEEEZZNS1_9scan_implILNS1_25lookback_scan_determinismE0ELb0ELb0ES3_PKS6_PS6_S6_ZZZN2at6native31launch_logcumsumexp_cuda_kernelERKNSD_10TensorBaseESH_lENKUlvE_clEvENKUlvE3_clEvEUlS6_S6_E_S6_EEDaPvRmT3_T4_T5_mT6_P12ihipStream_tbENKUlT_T0_E_clISt17integral_constantIbLb0EESY_EEDaST_SU_EUlST_E_NS1_11comp_targetILNS1_3genE8ELNS1_11target_archE1030ELNS1_3gpuE2ELNS1_3repE0EEENS1_30default_config_static_selectorELNS0_4arch9wavefront6targetE0EEEvT1_
	.p2align	8
	.type	_ZN7rocprim17ROCPRIM_400000_NS6detail17trampoline_kernelINS0_14default_configENS1_20scan_config_selectorIN3c104HalfEEEZZNS1_9scan_implILNS1_25lookback_scan_determinismE0ELb0ELb0ES3_PKS6_PS6_S6_ZZZN2at6native31launch_logcumsumexp_cuda_kernelERKNSD_10TensorBaseESH_lENKUlvE_clEvENKUlvE3_clEvEUlS6_S6_E_S6_EEDaPvRmT3_T4_T5_mT6_P12ihipStream_tbENKUlT_T0_E_clISt17integral_constantIbLb0EESY_EEDaST_SU_EUlST_E_NS1_11comp_targetILNS1_3genE8ELNS1_11target_archE1030ELNS1_3gpuE2ELNS1_3repE0EEENS1_30default_config_static_selectorELNS0_4arch9wavefront6targetE0EEEvT1_,@function
_ZN7rocprim17ROCPRIM_400000_NS6detail17trampoline_kernelINS0_14default_configENS1_20scan_config_selectorIN3c104HalfEEEZZNS1_9scan_implILNS1_25lookback_scan_determinismE0ELb0ELb0ES3_PKS6_PS6_S6_ZZZN2at6native31launch_logcumsumexp_cuda_kernelERKNSD_10TensorBaseESH_lENKUlvE_clEvENKUlvE3_clEvEUlS6_S6_E_S6_EEDaPvRmT3_T4_T5_mT6_P12ihipStream_tbENKUlT_T0_E_clISt17integral_constantIbLb0EESY_EEDaST_SU_EUlST_E_NS1_11comp_targetILNS1_3genE8ELNS1_11target_archE1030ELNS1_3gpuE2ELNS1_3repE0EEENS1_30default_config_static_selectorELNS0_4arch9wavefront6targetE0EEEvT1_: ; @_ZN7rocprim17ROCPRIM_400000_NS6detail17trampoline_kernelINS0_14default_configENS1_20scan_config_selectorIN3c104HalfEEEZZNS1_9scan_implILNS1_25lookback_scan_determinismE0ELb0ELb0ES3_PKS6_PS6_S6_ZZZN2at6native31launch_logcumsumexp_cuda_kernelERKNSD_10TensorBaseESH_lENKUlvE_clEvENKUlvE3_clEvEUlS6_S6_E_S6_EEDaPvRmT3_T4_T5_mT6_P12ihipStream_tbENKUlT_T0_E_clISt17integral_constantIbLb0EESY_EEDaST_SU_EUlST_E_NS1_11comp_targetILNS1_3genE8ELNS1_11target_archE1030ELNS1_3gpuE2ELNS1_3repE0EEENS1_30default_config_static_selectorELNS0_4arch9wavefront6targetE0EEEvT1_
; %bb.0:
	s_clause 0x1
	s_load_dwordx8 s[16:23], s[4:5], 0x0
	s_load_dword s0, s[4:5], 0x30
	s_mov_b32 s1, 0
	v_lshlrev_b32_e32 v12, 1, v0
	s_waitcnt lgkmcnt(0)
	s_lshl_b64 s[18:19], s[18:19], 1
	s_add_u32 s2, s16, s18
	s_addc_u32 s3, s17, s19
	s_add_i32 s0, s0, -1
	s_mul_i32 s7, s0, 0x300
	s_sub_u32 s33, s22, s7
	s_subb_u32 s36, s23, 0
	s_cmp_lg_u32 s6, s0
	s_mul_i32 s0, s6, 0x300
	s_cselect_b32 s37, -1, 0
	s_lshl_b64 s[22:23], s[0:1], 1
	s_mov_b32 s1, -1
	s_add_u32 s2, s2, s22
	s_addc_u32 s3, s3, s23
	s_and_b32 vcc_lo, exec_lo, s37
	s_cbranch_vccz .LBB359_2
; %bb.1:
	s_clause 0xb
	global_load_ushort v1, v12, s[2:3]
	global_load_ushort v2, v12, s[2:3] offset:128
	global_load_ushort v3, v12, s[2:3] offset:256
	;; [unrolled: 1-line block ×11, first 2 shown]
	s_mov_b32 s1, 0
	s_waitcnt vmcnt(11)
	ds_write_b16 v12, v1
	s_waitcnt vmcnt(10)
	ds_write_b16 v12, v2 offset:128
	s_waitcnt vmcnt(9)
	ds_write_b16 v12, v3 offset:256
	;; [unrolled: 2-line block ×11, first 2 shown]
	s_waitcnt lgkmcnt(0)
	s_barrier
.LBB359_2:
	s_load_dwordx2 s[34:35], s[4:5], 0x28
	v_cmp_gt_u32_e64 s0, s33, v0
	s_andn2_b32 vcc_lo, exec_lo, s1
	s_cbranch_vccnz .LBB359_28
; %bb.3:
	v_mov_b32_e32 v1, 0
	global_load_ushort v1, v1, s[2:3]
	s_waitcnt vmcnt(0)
	v_mov_b32_e32 v2, v1
	s_and_saveexec_b32 s1, s0
	s_cbranch_execz .LBB359_5
; %bb.4:
	global_load_ushort v2, v12, s[2:3]
.LBB359_5:
	s_or_b32 exec_lo, exec_lo, s1
	v_or_b32_e32 v3, 64, v0
	v_cmp_gt_u32_e32 vcc_lo, s33, v3
	v_mov_b32_e32 v3, v1
	s_and_saveexec_b32 s0, vcc_lo
	s_cbranch_execz .LBB359_7
; %bb.6:
	global_load_ushort v3, v12, s[2:3] offset:128
.LBB359_7:
	s_or_b32 exec_lo, exec_lo, s0
	v_or_b32_e32 v4, 0x80, v0
	v_cmp_gt_u32_e32 vcc_lo, s33, v4
	v_mov_b32_e32 v4, v1
	s_and_saveexec_b32 s0, vcc_lo
	s_cbranch_execz .LBB359_9
; %bb.8:
	global_load_ushort v4, v12, s[2:3] offset:256
.LBB359_9:
	s_or_b32 exec_lo, exec_lo, s0
	v_or_b32_e32 v5, 0xc0, v0
	v_cmp_gt_u32_e32 vcc_lo, s33, v5
	v_mov_b32_e32 v5, v1
	s_and_saveexec_b32 s0, vcc_lo
	s_cbranch_execz .LBB359_11
; %bb.10:
	global_load_ushort v5, v12, s[2:3] offset:384
.LBB359_11:
	s_or_b32 exec_lo, exec_lo, s0
	v_or_b32_e32 v6, 0x100, v0
	v_cmp_gt_u32_e32 vcc_lo, s33, v6
	v_mov_b32_e32 v6, v1
	s_and_saveexec_b32 s0, vcc_lo
	s_cbranch_execz .LBB359_13
; %bb.12:
	global_load_ushort v6, v12, s[2:3] offset:512
.LBB359_13:
	s_or_b32 exec_lo, exec_lo, s0
	v_or_b32_e32 v7, 0x140, v0
	v_cmp_gt_u32_e32 vcc_lo, s33, v7
	v_mov_b32_e32 v7, v1
	s_and_saveexec_b32 s0, vcc_lo
	s_cbranch_execz .LBB359_15
; %bb.14:
	global_load_ushort v7, v12, s[2:3] offset:640
.LBB359_15:
	s_or_b32 exec_lo, exec_lo, s0
	v_or_b32_e32 v8, 0x180, v0
	v_cmp_gt_u32_e32 vcc_lo, s33, v8
	v_mov_b32_e32 v8, v1
	s_and_saveexec_b32 s0, vcc_lo
	s_cbranch_execz .LBB359_17
; %bb.16:
	global_load_ushort v8, v12, s[2:3] offset:768
.LBB359_17:
	s_or_b32 exec_lo, exec_lo, s0
	v_or_b32_e32 v9, 0x1c0, v0
	v_cmp_gt_u32_e32 vcc_lo, s33, v9
	v_mov_b32_e32 v9, v1
	s_and_saveexec_b32 s0, vcc_lo
	s_cbranch_execz .LBB359_19
; %bb.18:
	global_load_ushort v9, v12, s[2:3] offset:896
.LBB359_19:
	s_or_b32 exec_lo, exec_lo, s0
	v_or_b32_e32 v10, 0x200, v0
	v_cmp_gt_u32_e32 vcc_lo, s33, v10
	v_mov_b32_e32 v10, v1
	s_and_saveexec_b32 s0, vcc_lo
	s_cbranch_execz .LBB359_21
; %bb.20:
	global_load_ushort v10, v12, s[2:3] offset:1024
.LBB359_21:
	s_or_b32 exec_lo, exec_lo, s0
	v_or_b32_e32 v11, 0x240, v0
	v_cmp_gt_u32_e32 vcc_lo, s33, v11
	v_mov_b32_e32 v11, v1
	s_and_saveexec_b32 s0, vcc_lo
	s_cbranch_execz .LBB359_23
; %bb.22:
	global_load_ushort v11, v12, s[2:3] offset:1152
.LBB359_23:
	s_or_b32 exec_lo, exec_lo, s0
	v_or_b32_e32 v13, 0x280, v0
	v_cmp_gt_u32_e32 vcc_lo, s33, v13
	v_mov_b32_e32 v13, v1
	s_and_saveexec_b32 s0, vcc_lo
	s_cbranch_execz .LBB359_25
; %bb.24:
	global_load_ushort v13, v12, s[2:3] offset:1280
.LBB359_25:
	s_or_b32 exec_lo, exec_lo, s0
	v_or_b32_e32 v14, 0x2c0, v0
	s_mov_b32 s0, exec_lo
	v_cmpx_gt_u32_e64 s33, v14
	s_cbranch_execz .LBB359_27
; %bb.26:
	global_load_ushort v1, v12, s[2:3] offset:1408
.LBB359_27:
	s_or_b32 exec_lo, exec_lo, s0
	s_waitcnt vmcnt(0)
	ds_write_b16 v12, v2
	ds_write_b16 v12, v3 offset:128
	ds_write_b16 v12, v4 offset:256
	;; [unrolled: 1-line block ×11, first 2 shown]
	s_waitcnt lgkmcnt(0)
	s_barrier
.LBB359_28:
	v_mul_u32_u24_e32 v13, 24, v0
	s_waitcnt lgkmcnt(0)
	buffer_gl0_inv
	s_cmp_lg_u32 s6, 0
	ds_read2_b64 v[1:4], v13 offset1:1
	ds_read_b64 v[5:6], v13 offset:16
	s_waitcnt lgkmcnt(0)
	s_barrier
	buffer_gl0_inv
	v_cvt_f32_f16_sdwa v14, v1 dst_sel:DWORD dst_unused:UNUSED_PAD src0_sel:WORD_1
	v_cmp_u_f16_sdwa s0, v1, v1 src0_sel:WORD_1 src1_sel:WORD_1
	s_cbranch_scc0 .LBB359_138
; %bb.29:
	v_cvt_f32_f16_e32 v25, v1
	v_cmp_u_f16_e64 s14, v1, v1
	v_mov_b32_e32 v26, v1
	v_min_f32_e32 v7, v25, v14
	v_max_f32_e32 v8, v25, v14
	v_cndmask_b32_e64 v7, v7, v25, s14
	v_cndmask_b32_e64 v8, v8, v25, s14
	;; [unrolled: 1-line block ×4, first 2 shown]
	v_mov_b32_e32 v8, v25
	v_mov_b32_e32 v7, v1
	v_cmp_class_f32_e64 s1, v10, 0x1f8
	v_cmp_neq_f32_e32 vcc_lo, v10, v9
	s_or_b32 s2, vcc_lo, s1
	s_and_saveexec_b32 s1, s2
	s_cbranch_execz .LBB359_31
; %bb.30:
	v_sub_f32_e32 v7, v10, v9
	s_mov_b32 s2, 0x3e9b6dac
	v_mul_f32_e32 v8, 0x3fb8aa3b, v7
	v_cmp_ngt_f32_e32 vcc_lo, 0xc2ce8ed0, v7
	v_fma_f32 v10, 0x3fb8aa3b, v7, -v8
	v_rndne_f32_e32 v11, v8
	v_fmamk_f32 v10, v7, 0x32a5705f, v10
	v_sub_f32_e32 v8, v8, v11
	v_add_f32_e32 v8, v8, v10
	v_cvt_i32_f32_e32 v10, v11
	v_exp_f32_e32 v8, v8
	v_ldexp_f32 v8, v8, v10
	v_cndmask_b32_e32 v8, 0, v8, vcc_lo
	v_cmp_nlt_f32_e32 vcc_lo, 0x42b17218, v7
	v_cndmask_b32_e32 v10, 0x7f800000, v8, vcc_lo
	v_add_f32_e32 v11, 1.0, v10
	v_cvt_f64_f32_e32 v[7:8], v11
	v_frexp_exp_i32_f64_e32 v7, v[7:8]
	v_frexp_mant_f32_e32 v8, v11
	v_cmp_gt_f32_e32 vcc_lo, 0x3f2aaaab, v8
	v_add_f32_e32 v8, -1.0, v11
	v_sub_f32_e32 v16, v8, v11
	v_sub_f32_e32 v8, v10, v8
	v_add_f32_e32 v16, 1.0, v16
	v_add_f32_e32 v8, v8, v16
	v_subrev_co_ci_u32_e64 v7, null, 0, v7, vcc_lo
	v_cmp_neq_f32_e32 vcc_lo, 0x7f800000, v10
	v_sub_nc_u32_e32 v15, 0, v7
	v_cvt_f32_i32_e32 v7, v7
	v_ldexp_f32 v11, v11, v15
	v_ldexp_f32 v8, v8, v15
	v_add_f32_e32 v17, 1.0, v11
	v_add_f32_e32 v15, -1.0, v11
	v_add_f32_e32 v16, -1.0, v17
	v_add_f32_e32 v18, 1.0, v15
	v_sub_f32_e32 v16, v11, v16
	v_sub_f32_e32 v11, v11, v18
	v_add_f32_e32 v16, v8, v16
	v_add_f32_e32 v8, v8, v11
	;; [unrolled: 1-line block ×4, first 2 shown]
	v_rcp_f32_e32 v11, v18
	v_sub_f32_e32 v17, v17, v18
	v_sub_f32_e32 v15, v15, v19
	v_add_f32_e32 v16, v16, v17
	v_add_f32_e32 v8, v8, v15
	v_mul_f32_e32 v20, v19, v11
	v_mul_f32_e32 v21, v18, v20
	v_fma_f32 v17, v20, v18, -v21
	v_fmac_f32_e32 v17, v20, v16
	v_add_f32_e32 v22, v21, v17
	v_sub_f32_e32 v23, v19, v22
	v_sub_f32_e32 v15, v22, v21
	;; [unrolled: 1-line block ×5, first 2 shown]
	v_add_f32_e32 v8, v8, v19
	v_add_f32_e32 v8, v15, v8
	;; [unrolled: 1-line block ×3, first 2 shown]
	v_mul_f32_e32 v17, v11, v15
	v_sub_f32_e32 v22, v23, v15
	v_mul_f32_e32 v19, v18, v17
	v_add_f32_e32 v8, v8, v22
	v_fma_f32 v18, v17, v18, -v19
	v_fmac_f32_e32 v18, v17, v16
	v_add_f32_e32 v16, v19, v18
	v_sub_f32_e32 v21, v15, v16
	v_sub_f32_e32 v19, v16, v19
	;; [unrolled: 1-line block ×5, first 2 shown]
	v_add_f32_e32 v8, v8, v15
	v_add_f32_e32 v15, v20, v17
	;; [unrolled: 1-line block ×3, first 2 shown]
	v_sub_f32_e32 v16, v15, v20
	v_add_f32_e32 v8, v21, v8
	v_sub_f32_e32 v16, v17, v16
	v_mul_f32_e32 v8, v11, v8
	v_add_f32_e32 v8, v16, v8
	v_add_f32_e32 v11, v15, v8
	v_mul_f32_e32 v16, v11, v11
	v_fmaak_f32 v17, s2, v16, 0x3ecc95a3
	v_mul_f32_e32 v18, v11, v16
	v_fmaak_f32 v16, v16, v17, 0x3f2aaada
	v_ldexp_f32 v17, v11, 1
	v_sub_f32_e32 v11, v11, v15
	v_mul_f32_e32 v16, v18, v16
	v_mul_f32_e32 v18, 0x3f317218, v7
	v_sub_f32_e32 v8, v8, v11
	v_add_f32_e32 v15, v17, v16
	v_ldexp_f32 v8, v8, 1
	v_sub_f32_e32 v11, v15, v17
	v_fma_f32 v17, 0x3f317218, v7, -v18
	v_sub_f32_e32 v11, v16, v11
	v_fmamk_f32 v7, v7, 0xb102e308, v17
	v_add_f32_e32 v8, v8, v11
	v_add_f32_e32 v11, v18, v7
	;; [unrolled: 1-line block ×3, first 2 shown]
	v_sub_f32_e32 v18, v11, v18
	v_add_f32_e32 v17, v11, v16
	v_sub_f32_e32 v15, v16, v15
	v_sub_f32_e32 v7, v7, v18
	;; [unrolled: 1-line block ×6, first 2 shown]
	v_add_f32_e32 v16, v7, v8
	v_sub_f32_e32 v11, v11, v20
	v_add_f32_e32 v11, v15, v11
	v_sub_f32_e32 v15, v16, v7
	;; [unrolled: 2-line block ×3, first 2 shown]
	v_sub_f32_e32 v8, v8, v15
	v_add_f32_e32 v18, v17, v11
	v_sub_f32_e32 v7, v7, v16
	v_sub_f32_e32 v15, v18, v17
	v_add_f32_e32 v7, v8, v7
	v_sub_f32_e32 v8, v11, v15
	v_add_f32_e32 v7, v7, v8
	v_add_f32_e32 v7, v18, v7
	v_cndmask_b32_e32 v7, 0x7f800000, v7, vcc_lo
	v_cmp_gt_f32_e64 vcc_lo, 0x33800000, |v10|
	v_cndmask_b32_e32 v7, v7, v10, vcc_lo
	v_add_f32_e32 v7, v9, v7
	v_cvt_f16_f32_e32 v7, v7
	v_cvt_f32_f16_e32 v8, v7
	v_mov_b32_e32 v26, v7
.LBB359_31:
	s_or_b32 exec_lo, exec_lo, s1
	v_cvt_f32_f16_e32 v15, v2
	v_max_f32_e32 v9, v8, v8
	v_cmp_u_f16_e32 vcc_lo, v7, v7
	v_cmp_u_f16_e64 s1, v2, v2
	v_min_f32_e32 v10, v9, v15
	v_max_f32_e32 v9, v9, v15
	v_cndmask_b32_e32 v10, v10, v8, vcc_lo
	v_cndmask_b32_e32 v9, v9, v8, vcc_lo
	v_cndmask_b32_e64 v10, v10, v15, s1
	v_cndmask_b32_e64 v9, v9, v15, s1
	v_cmp_class_f32_e64 s2, v10, 0x1f8
	v_cmp_neq_f32_e32 vcc_lo, v10, v9
	s_or_b32 s3, vcc_lo, s2
	s_and_saveexec_b32 s2, s3
	s_cbranch_execz .LBB359_33
; %bb.32:
	v_sub_f32_e32 v7, v10, v9
	s_mov_b32 s3, 0x3e9b6dac
	v_mul_f32_e32 v8, 0x3fb8aa3b, v7
	v_cmp_ngt_f32_e32 vcc_lo, 0xc2ce8ed0, v7
	v_fma_f32 v10, 0x3fb8aa3b, v7, -v8
	v_rndne_f32_e32 v11, v8
	v_fmamk_f32 v10, v7, 0x32a5705f, v10
	v_sub_f32_e32 v8, v8, v11
	v_add_f32_e32 v8, v8, v10
	v_cvt_i32_f32_e32 v10, v11
	v_exp_f32_e32 v8, v8
	v_ldexp_f32 v8, v8, v10
	v_cndmask_b32_e32 v8, 0, v8, vcc_lo
	v_cmp_nlt_f32_e32 vcc_lo, 0x42b17218, v7
	v_cndmask_b32_e32 v10, 0x7f800000, v8, vcc_lo
	v_add_f32_e32 v11, 1.0, v10
	v_cvt_f64_f32_e32 v[7:8], v11
	v_frexp_exp_i32_f64_e32 v7, v[7:8]
	v_frexp_mant_f32_e32 v8, v11
	v_cmp_gt_f32_e32 vcc_lo, 0x3f2aaaab, v8
	v_add_f32_e32 v8, -1.0, v11
	v_sub_f32_e32 v17, v8, v11
	v_sub_f32_e32 v8, v10, v8
	v_add_f32_e32 v17, 1.0, v17
	v_add_f32_e32 v8, v8, v17
	v_subrev_co_ci_u32_e64 v7, null, 0, v7, vcc_lo
	v_cmp_neq_f32_e32 vcc_lo, 0x7f800000, v10
	v_sub_nc_u32_e32 v16, 0, v7
	v_cvt_f32_i32_e32 v7, v7
	v_ldexp_f32 v11, v11, v16
	v_ldexp_f32 v8, v8, v16
	v_add_f32_e32 v18, 1.0, v11
	v_add_f32_e32 v16, -1.0, v11
	v_add_f32_e32 v17, -1.0, v18
	v_add_f32_e32 v19, 1.0, v16
	v_sub_f32_e32 v17, v11, v17
	v_sub_f32_e32 v11, v11, v19
	v_add_f32_e32 v17, v8, v17
	v_add_f32_e32 v8, v8, v11
	v_add_f32_e32 v19, v18, v17
	v_add_f32_e32 v20, v16, v8
	v_rcp_f32_e32 v11, v19
	v_sub_f32_e32 v18, v18, v19
	v_sub_f32_e32 v16, v16, v20
	v_add_f32_e32 v17, v17, v18
	v_add_f32_e32 v8, v8, v16
	v_mul_f32_e32 v21, v20, v11
	v_mul_f32_e32 v22, v19, v21
	v_fma_f32 v18, v21, v19, -v22
	v_fmac_f32_e32 v18, v21, v17
	v_add_f32_e32 v23, v22, v18
	v_sub_f32_e32 v24, v20, v23
	v_sub_f32_e32 v16, v23, v22
	;; [unrolled: 1-line block ×5, first 2 shown]
	v_add_f32_e32 v8, v8, v20
	v_add_f32_e32 v8, v16, v8
	;; [unrolled: 1-line block ×3, first 2 shown]
	v_mul_f32_e32 v18, v11, v16
	v_sub_f32_e32 v23, v24, v16
	v_mul_f32_e32 v20, v19, v18
	v_add_f32_e32 v8, v8, v23
	v_fma_f32 v19, v18, v19, -v20
	v_fmac_f32_e32 v19, v18, v17
	v_add_f32_e32 v17, v20, v19
	v_sub_f32_e32 v22, v16, v17
	v_sub_f32_e32 v20, v17, v20
	;; [unrolled: 1-line block ×5, first 2 shown]
	v_add_f32_e32 v8, v8, v16
	v_add_f32_e32 v16, v21, v18
	;; [unrolled: 1-line block ×3, first 2 shown]
	v_sub_f32_e32 v17, v16, v21
	v_add_f32_e32 v8, v22, v8
	v_sub_f32_e32 v17, v18, v17
	v_mul_f32_e32 v8, v11, v8
	v_add_f32_e32 v8, v17, v8
	v_add_f32_e32 v11, v16, v8
	v_mul_f32_e32 v17, v11, v11
	v_fmaak_f32 v18, s3, v17, 0x3ecc95a3
	v_mul_f32_e32 v19, v11, v17
	v_fmaak_f32 v17, v17, v18, 0x3f2aaada
	v_ldexp_f32 v18, v11, 1
	v_sub_f32_e32 v11, v11, v16
	v_mul_f32_e32 v17, v19, v17
	v_mul_f32_e32 v19, 0x3f317218, v7
	v_sub_f32_e32 v8, v8, v11
	v_add_f32_e32 v16, v18, v17
	v_ldexp_f32 v8, v8, 1
	v_sub_f32_e32 v11, v16, v18
	v_fma_f32 v18, 0x3f317218, v7, -v19
	v_sub_f32_e32 v11, v17, v11
	v_fmamk_f32 v7, v7, 0xb102e308, v18
	v_add_f32_e32 v8, v8, v11
	v_add_f32_e32 v11, v19, v7
	v_add_f32_e32 v17, v16, v8
	v_sub_f32_e32 v19, v11, v19
	v_add_f32_e32 v18, v11, v17
	v_sub_f32_e32 v16, v17, v16
	v_sub_f32_e32 v7, v7, v19
	;; [unrolled: 1-line block ×6, first 2 shown]
	v_add_f32_e32 v17, v7, v8
	v_sub_f32_e32 v11, v11, v21
	v_add_f32_e32 v11, v16, v11
	v_sub_f32_e32 v16, v17, v7
	;; [unrolled: 2-line block ×3, first 2 shown]
	v_sub_f32_e32 v8, v8, v16
	v_add_f32_e32 v19, v18, v11
	v_sub_f32_e32 v7, v7, v17
	v_sub_f32_e32 v16, v19, v18
	v_add_f32_e32 v7, v8, v7
	v_sub_f32_e32 v8, v11, v16
	v_add_f32_e32 v7, v7, v8
	v_add_f32_e32 v7, v19, v7
	v_cndmask_b32_e32 v7, 0x7f800000, v7, vcc_lo
	v_cmp_gt_f32_e64 vcc_lo, 0x33800000, |v10|
	v_cndmask_b32_e32 v7, v7, v10, vcc_lo
	v_add_f32_e32 v7, v9, v7
	v_cvt_f16_f32_e32 v7, v7
	v_cvt_f32_f16_e32 v8, v7
	v_mov_b32_e32 v26, v7
.LBB359_33:
	s_or_b32 exec_lo, exec_lo, s2
	v_cvt_f32_f16_sdwa v16, v2 dst_sel:DWORD dst_unused:UNUSED_PAD src0_sel:WORD_1
	v_max_f32_e32 v9, v8, v8
	v_cmp_u_f16_e32 vcc_lo, v7, v7
	v_cmp_u_f16_sdwa s2, v2, v2 src0_sel:WORD_1 src1_sel:WORD_1
	v_min_f32_e32 v10, v9, v16
	v_max_f32_e32 v9, v9, v16
	v_cndmask_b32_e32 v10, v10, v8, vcc_lo
	v_cndmask_b32_e32 v9, v9, v8, vcc_lo
	v_cndmask_b32_e64 v10, v10, v16, s2
	v_cndmask_b32_e64 v9, v9, v16, s2
	v_cmp_class_f32_e64 s3, v10, 0x1f8
	v_cmp_neq_f32_e32 vcc_lo, v10, v9
	s_or_b32 s7, vcc_lo, s3
	s_and_saveexec_b32 s3, s7
	s_cbranch_execz .LBB359_35
; %bb.34:
	v_sub_f32_e32 v7, v10, v9
	s_mov_b32 s7, 0x3e9b6dac
	v_mul_f32_e32 v8, 0x3fb8aa3b, v7
	v_cmp_ngt_f32_e32 vcc_lo, 0xc2ce8ed0, v7
	v_fma_f32 v10, 0x3fb8aa3b, v7, -v8
	v_rndne_f32_e32 v11, v8
	v_fmamk_f32 v10, v7, 0x32a5705f, v10
	v_sub_f32_e32 v8, v8, v11
	v_add_f32_e32 v8, v8, v10
	v_cvt_i32_f32_e32 v10, v11
	v_exp_f32_e32 v8, v8
	v_ldexp_f32 v8, v8, v10
	v_cndmask_b32_e32 v8, 0, v8, vcc_lo
	v_cmp_nlt_f32_e32 vcc_lo, 0x42b17218, v7
	v_cndmask_b32_e32 v10, 0x7f800000, v8, vcc_lo
	v_add_f32_e32 v11, 1.0, v10
	v_cvt_f64_f32_e32 v[7:8], v11
	v_frexp_exp_i32_f64_e32 v7, v[7:8]
	v_frexp_mant_f32_e32 v8, v11
	v_cmp_gt_f32_e32 vcc_lo, 0x3f2aaaab, v8
	v_add_f32_e32 v8, -1.0, v11
	v_sub_f32_e32 v18, v8, v11
	v_sub_f32_e32 v8, v10, v8
	v_add_f32_e32 v18, 1.0, v18
	v_add_f32_e32 v8, v8, v18
	v_subrev_co_ci_u32_e64 v7, null, 0, v7, vcc_lo
	v_cmp_neq_f32_e32 vcc_lo, 0x7f800000, v10
	v_sub_nc_u32_e32 v17, 0, v7
	v_cvt_f32_i32_e32 v7, v7
	v_ldexp_f32 v11, v11, v17
	v_ldexp_f32 v8, v8, v17
	v_add_f32_e32 v19, 1.0, v11
	v_add_f32_e32 v17, -1.0, v11
	v_add_f32_e32 v18, -1.0, v19
	v_add_f32_e32 v20, 1.0, v17
	v_sub_f32_e32 v18, v11, v18
	v_sub_f32_e32 v11, v11, v20
	v_add_f32_e32 v18, v8, v18
	v_add_f32_e32 v8, v8, v11
	;; [unrolled: 1-line block ×4, first 2 shown]
	v_rcp_f32_e32 v11, v20
	v_sub_f32_e32 v19, v19, v20
	v_sub_f32_e32 v17, v17, v21
	v_add_f32_e32 v18, v18, v19
	v_add_f32_e32 v8, v8, v17
	v_mul_f32_e32 v22, v21, v11
	v_mul_f32_e32 v23, v20, v22
	v_fma_f32 v19, v22, v20, -v23
	v_fmac_f32_e32 v19, v22, v18
	v_add_f32_e32 v24, v23, v19
	v_sub_f32_e32 v26, v21, v24
	v_sub_f32_e32 v17, v24, v23
	;; [unrolled: 1-line block ×5, first 2 shown]
	v_add_f32_e32 v8, v8, v21
	v_add_f32_e32 v8, v17, v8
	v_add_f32_e32 v17, v26, v8
	v_mul_f32_e32 v19, v11, v17
	v_sub_f32_e32 v24, v26, v17
	v_mul_f32_e32 v21, v20, v19
	v_add_f32_e32 v8, v8, v24
	v_fma_f32 v20, v19, v20, -v21
	v_fmac_f32_e32 v20, v19, v18
	v_add_f32_e32 v18, v21, v20
	v_sub_f32_e32 v23, v17, v18
	v_sub_f32_e32 v21, v18, v21
	;; [unrolled: 1-line block ×5, first 2 shown]
	v_add_f32_e32 v8, v8, v17
	v_add_f32_e32 v17, v22, v19
	;; [unrolled: 1-line block ×3, first 2 shown]
	v_sub_f32_e32 v18, v17, v22
	v_add_f32_e32 v8, v23, v8
	v_sub_f32_e32 v18, v19, v18
	v_mul_f32_e32 v8, v11, v8
	v_add_f32_e32 v8, v18, v8
	v_add_f32_e32 v11, v17, v8
	v_mul_f32_e32 v18, v11, v11
	v_fmaak_f32 v19, s7, v18, 0x3ecc95a3
	v_mul_f32_e32 v20, v11, v18
	v_fmaak_f32 v18, v18, v19, 0x3f2aaada
	v_ldexp_f32 v19, v11, 1
	v_sub_f32_e32 v11, v11, v17
	v_mul_f32_e32 v18, v20, v18
	v_mul_f32_e32 v20, 0x3f317218, v7
	v_sub_f32_e32 v8, v8, v11
	v_add_f32_e32 v17, v19, v18
	v_ldexp_f32 v8, v8, 1
	v_sub_f32_e32 v11, v17, v19
	v_fma_f32 v19, 0x3f317218, v7, -v20
	v_sub_f32_e32 v11, v18, v11
	v_fmamk_f32 v7, v7, 0xb102e308, v19
	v_add_f32_e32 v8, v8, v11
	v_add_f32_e32 v11, v20, v7
	;; [unrolled: 1-line block ×3, first 2 shown]
	v_sub_f32_e32 v20, v11, v20
	v_add_f32_e32 v19, v11, v18
	v_sub_f32_e32 v17, v18, v17
	v_sub_f32_e32 v7, v7, v20
	;; [unrolled: 1-line block ×6, first 2 shown]
	v_add_f32_e32 v18, v7, v8
	v_sub_f32_e32 v11, v11, v22
	v_add_f32_e32 v11, v17, v11
	v_sub_f32_e32 v17, v18, v7
	;; [unrolled: 2-line block ×3, first 2 shown]
	v_sub_f32_e32 v8, v8, v17
	v_add_f32_e32 v20, v19, v11
	v_sub_f32_e32 v7, v7, v18
	v_sub_f32_e32 v17, v20, v19
	v_add_f32_e32 v7, v8, v7
	v_sub_f32_e32 v8, v11, v17
	v_add_f32_e32 v7, v7, v8
	v_add_f32_e32 v7, v20, v7
	v_cndmask_b32_e32 v7, 0x7f800000, v7, vcc_lo
	v_cmp_gt_f32_e64 vcc_lo, 0x33800000, |v10|
	v_cndmask_b32_e32 v7, v7, v10, vcc_lo
	v_add_f32_e32 v7, v9, v7
	v_cvt_f16_f32_e32 v7, v7
	v_cvt_f32_f16_e32 v8, v7
	v_mov_b32_e32 v26, v7
.LBB359_35:
	s_or_b32 exec_lo, exec_lo, s3
	v_cvt_f32_f16_e32 v17, v3
	v_max_f32_e32 v9, v8, v8
	v_cmp_u_f16_e32 vcc_lo, v7, v7
	v_cmp_u_f16_e64 s3, v3, v3
	v_min_f32_e32 v10, v9, v17
	v_max_f32_e32 v9, v9, v17
	v_cndmask_b32_e32 v10, v10, v8, vcc_lo
	v_cndmask_b32_e32 v9, v9, v8, vcc_lo
	v_cndmask_b32_e64 v10, v10, v17, s3
	v_cndmask_b32_e64 v9, v9, v17, s3
	v_cmp_class_f32_e64 s7, v10, 0x1f8
	v_cmp_neq_f32_e32 vcc_lo, v10, v9
	s_or_b32 s8, vcc_lo, s7
	s_and_saveexec_b32 s7, s8
	s_cbranch_execz .LBB359_37
; %bb.36:
	v_sub_f32_e32 v7, v10, v9
	s_mov_b32 s8, 0x3e9b6dac
	v_mul_f32_e32 v8, 0x3fb8aa3b, v7
	v_cmp_ngt_f32_e32 vcc_lo, 0xc2ce8ed0, v7
	v_fma_f32 v10, 0x3fb8aa3b, v7, -v8
	v_rndne_f32_e32 v11, v8
	v_fmamk_f32 v10, v7, 0x32a5705f, v10
	v_sub_f32_e32 v8, v8, v11
	v_add_f32_e32 v8, v8, v10
	v_cvt_i32_f32_e32 v10, v11
	v_exp_f32_e32 v8, v8
	v_ldexp_f32 v8, v8, v10
	v_cndmask_b32_e32 v8, 0, v8, vcc_lo
	v_cmp_nlt_f32_e32 vcc_lo, 0x42b17218, v7
	v_cndmask_b32_e32 v10, 0x7f800000, v8, vcc_lo
	v_add_f32_e32 v11, 1.0, v10
	v_cvt_f64_f32_e32 v[7:8], v11
	v_frexp_exp_i32_f64_e32 v7, v[7:8]
	v_frexp_mant_f32_e32 v8, v11
	v_cmp_gt_f32_e32 vcc_lo, 0x3f2aaaab, v8
	v_add_f32_e32 v8, -1.0, v11
	v_sub_f32_e32 v19, v8, v11
	v_sub_f32_e32 v8, v10, v8
	v_add_f32_e32 v19, 1.0, v19
	v_add_f32_e32 v8, v8, v19
	v_subrev_co_ci_u32_e64 v7, null, 0, v7, vcc_lo
	v_cmp_neq_f32_e32 vcc_lo, 0x7f800000, v10
	v_sub_nc_u32_e32 v18, 0, v7
	v_cvt_f32_i32_e32 v7, v7
	v_ldexp_f32 v11, v11, v18
	v_ldexp_f32 v8, v8, v18
	v_add_f32_e32 v20, 1.0, v11
	v_add_f32_e32 v18, -1.0, v11
	v_add_f32_e32 v19, -1.0, v20
	v_add_f32_e32 v21, 1.0, v18
	v_sub_f32_e32 v19, v11, v19
	v_sub_f32_e32 v11, v11, v21
	v_add_f32_e32 v19, v8, v19
	v_add_f32_e32 v8, v8, v11
	;; [unrolled: 1-line block ×4, first 2 shown]
	v_rcp_f32_e32 v11, v21
	v_sub_f32_e32 v20, v20, v21
	v_sub_f32_e32 v18, v18, v22
	v_add_f32_e32 v19, v19, v20
	v_add_f32_e32 v8, v8, v18
	v_mul_f32_e32 v23, v22, v11
	v_mul_f32_e32 v24, v21, v23
	v_fma_f32 v20, v23, v21, -v24
	v_fmac_f32_e32 v20, v23, v19
	v_add_f32_e32 v26, v24, v20
	v_sub_f32_e32 v27, v22, v26
	v_sub_f32_e32 v18, v26, v24
	;; [unrolled: 1-line block ×5, first 2 shown]
	v_add_f32_e32 v8, v8, v22
	v_add_f32_e32 v8, v18, v8
	;; [unrolled: 1-line block ×3, first 2 shown]
	v_mul_f32_e32 v20, v11, v18
	v_sub_f32_e32 v26, v27, v18
	v_mul_f32_e32 v22, v21, v20
	v_add_f32_e32 v8, v8, v26
	v_fma_f32 v21, v20, v21, -v22
	v_fmac_f32_e32 v21, v20, v19
	v_add_f32_e32 v19, v22, v21
	v_sub_f32_e32 v24, v18, v19
	v_sub_f32_e32 v22, v19, v22
	;; [unrolled: 1-line block ×5, first 2 shown]
	v_add_f32_e32 v8, v8, v18
	v_add_f32_e32 v18, v23, v20
	;; [unrolled: 1-line block ×3, first 2 shown]
	v_sub_f32_e32 v19, v18, v23
	v_add_f32_e32 v8, v24, v8
	v_sub_f32_e32 v19, v20, v19
	v_mul_f32_e32 v8, v11, v8
	v_add_f32_e32 v8, v19, v8
	v_add_f32_e32 v11, v18, v8
	v_mul_f32_e32 v19, v11, v11
	v_fmaak_f32 v20, s8, v19, 0x3ecc95a3
	v_mul_f32_e32 v21, v11, v19
	v_fmaak_f32 v19, v19, v20, 0x3f2aaada
	v_ldexp_f32 v20, v11, 1
	v_sub_f32_e32 v11, v11, v18
	v_mul_f32_e32 v19, v21, v19
	v_mul_f32_e32 v21, 0x3f317218, v7
	v_sub_f32_e32 v8, v8, v11
	v_add_f32_e32 v18, v20, v19
	v_ldexp_f32 v8, v8, 1
	v_sub_f32_e32 v11, v18, v20
	v_fma_f32 v20, 0x3f317218, v7, -v21
	v_sub_f32_e32 v11, v19, v11
	v_fmamk_f32 v7, v7, 0xb102e308, v20
	v_add_f32_e32 v8, v8, v11
	v_add_f32_e32 v11, v21, v7
	;; [unrolled: 1-line block ×3, first 2 shown]
	v_sub_f32_e32 v21, v11, v21
	v_add_f32_e32 v20, v11, v19
	v_sub_f32_e32 v18, v19, v18
	v_sub_f32_e32 v7, v7, v21
	;; [unrolled: 1-line block ×6, first 2 shown]
	v_add_f32_e32 v19, v7, v8
	v_sub_f32_e32 v11, v11, v23
	v_add_f32_e32 v11, v18, v11
	v_sub_f32_e32 v18, v19, v7
	;; [unrolled: 2-line block ×3, first 2 shown]
	v_sub_f32_e32 v8, v8, v18
	v_add_f32_e32 v21, v20, v11
	v_sub_f32_e32 v7, v7, v19
	v_sub_f32_e32 v18, v21, v20
	v_add_f32_e32 v7, v8, v7
	v_sub_f32_e32 v8, v11, v18
	v_add_f32_e32 v7, v7, v8
	v_add_f32_e32 v7, v21, v7
	v_cndmask_b32_e32 v7, 0x7f800000, v7, vcc_lo
	v_cmp_gt_f32_e64 vcc_lo, 0x33800000, |v10|
	v_cndmask_b32_e32 v7, v7, v10, vcc_lo
	v_add_f32_e32 v7, v9, v7
	v_cvt_f16_f32_e32 v7, v7
	v_cvt_f32_f16_e32 v8, v7
	v_mov_b32_e32 v26, v7
.LBB359_37:
	s_or_b32 exec_lo, exec_lo, s7
	v_cvt_f32_f16_sdwa v18, v3 dst_sel:DWORD dst_unused:UNUSED_PAD src0_sel:WORD_1
	v_max_f32_e32 v9, v8, v8
	v_cmp_u_f16_e32 vcc_lo, v7, v7
	v_cmp_u_f16_sdwa s13, v3, v3 src0_sel:WORD_1 src1_sel:WORD_1
	v_min_f32_e32 v10, v9, v18
	v_max_f32_e32 v9, v9, v18
	v_cndmask_b32_e32 v10, v10, v8, vcc_lo
	v_cndmask_b32_e32 v9, v9, v8, vcc_lo
	v_cndmask_b32_e64 v10, v10, v18, s13
	v_cndmask_b32_e64 v9, v9, v18, s13
	v_cmp_class_f32_e64 s7, v10, 0x1f8
	v_cmp_neq_f32_e32 vcc_lo, v10, v9
	s_or_b32 s8, vcc_lo, s7
	s_and_saveexec_b32 s7, s8
	s_cbranch_execz .LBB359_39
; %bb.38:
	v_sub_f32_e32 v7, v10, v9
	s_mov_b32 s8, 0x3e9b6dac
	v_mul_f32_e32 v8, 0x3fb8aa3b, v7
	v_cmp_ngt_f32_e32 vcc_lo, 0xc2ce8ed0, v7
	v_fma_f32 v10, 0x3fb8aa3b, v7, -v8
	v_rndne_f32_e32 v11, v8
	v_fmamk_f32 v10, v7, 0x32a5705f, v10
	v_sub_f32_e32 v8, v8, v11
	v_add_f32_e32 v8, v8, v10
	v_cvt_i32_f32_e32 v10, v11
	v_exp_f32_e32 v8, v8
	v_ldexp_f32 v8, v8, v10
	v_cndmask_b32_e32 v8, 0, v8, vcc_lo
	v_cmp_nlt_f32_e32 vcc_lo, 0x42b17218, v7
	v_cndmask_b32_e32 v10, 0x7f800000, v8, vcc_lo
	v_add_f32_e32 v11, 1.0, v10
	v_cvt_f64_f32_e32 v[7:8], v11
	v_frexp_exp_i32_f64_e32 v7, v[7:8]
	v_frexp_mant_f32_e32 v8, v11
	v_cmp_gt_f32_e32 vcc_lo, 0x3f2aaaab, v8
	v_add_f32_e32 v8, -1.0, v11
	v_sub_f32_e32 v20, v8, v11
	v_sub_f32_e32 v8, v10, v8
	v_add_f32_e32 v20, 1.0, v20
	v_add_f32_e32 v8, v8, v20
	v_subrev_co_ci_u32_e64 v7, null, 0, v7, vcc_lo
	v_cmp_neq_f32_e32 vcc_lo, 0x7f800000, v10
	v_sub_nc_u32_e32 v19, 0, v7
	v_cvt_f32_i32_e32 v7, v7
	v_ldexp_f32 v11, v11, v19
	v_ldexp_f32 v8, v8, v19
	v_add_f32_e32 v21, 1.0, v11
	v_add_f32_e32 v19, -1.0, v11
	v_add_f32_e32 v20, -1.0, v21
	v_add_f32_e32 v22, 1.0, v19
	v_sub_f32_e32 v20, v11, v20
	v_sub_f32_e32 v11, v11, v22
	v_add_f32_e32 v20, v8, v20
	v_add_f32_e32 v8, v8, v11
	;; [unrolled: 1-line block ×4, first 2 shown]
	v_rcp_f32_e32 v11, v22
	v_sub_f32_e32 v21, v21, v22
	v_sub_f32_e32 v19, v19, v23
	v_add_f32_e32 v20, v20, v21
	v_add_f32_e32 v8, v8, v19
	v_mul_f32_e32 v24, v23, v11
	v_mul_f32_e32 v26, v22, v24
	v_fma_f32 v21, v24, v22, -v26
	v_fmac_f32_e32 v21, v24, v20
	v_add_f32_e32 v27, v26, v21
	v_sub_f32_e32 v28, v23, v27
	v_sub_f32_e32 v19, v27, v26
	;; [unrolled: 1-line block ×5, first 2 shown]
	v_add_f32_e32 v8, v8, v23
	v_add_f32_e32 v8, v19, v8
	;; [unrolled: 1-line block ×3, first 2 shown]
	v_mul_f32_e32 v21, v11, v19
	v_sub_f32_e32 v27, v28, v19
	v_mul_f32_e32 v23, v22, v21
	v_add_f32_e32 v8, v8, v27
	v_fma_f32 v22, v21, v22, -v23
	v_fmac_f32_e32 v22, v21, v20
	v_add_f32_e32 v20, v23, v22
	v_sub_f32_e32 v26, v19, v20
	v_sub_f32_e32 v23, v20, v23
	;; [unrolled: 1-line block ×5, first 2 shown]
	v_add_f32_e32 v8, v8, v19
	v_add_f32_e32 v19, v24, v21
	;; [unrolled: 1-line block ×3, first 2 shown]
	v_sub_f32_e32 v20, v19, v24
	v_add_f32_e32 v8, v26, v8
	v_sub_f32_e32 v20, v21, v20
	v_mul_f32_e32 v8, v11, v8
	v_add_f32_e32 v8, v20, v8
	v_add_f32_e32 v11, v19, v8
	v_mul_f32_e32 v20, v11, v11
	v_fmaak_f32 v21, s8, v20, 0x3ecc95a3
	v_mul_f32_e32 v22, v11, v20
	v_fmaak_f32 v20, v20, v21, 0x3f2aaada
	v_ldexp_f32 v21, v11, 1
	v_sub_f32_e32 v11, v11, v19
	v_mul_f32_e32 v20, v22, v20
	v_mul_f32_e32 v22, 0x3f317218, v7
	v_sub_f32_e32 v8, v8, v11
	v_add_f32_e32 v19, v21, v20
	v_ldexp_f32 v8, v8, 1
	v_sub_f32_e32 v11, v19, v21
	v_fma_f32 v21, 0x3f317218, v7, -v22
	v_sub_f32_e32 v11, v20, v11
	v_fmamk_f32 v7, v7, 0xb102e308, v21
	v_add_f32_e32 v8, v8, v11
	v_add_f32_e32 v11, v22, v7
	;; [unrolled: 1-line block ×3, first 2 shown]
	v_sub_f32_e32 v22, v11, v22
	v_add_f32_e32 v21, v11, v20
	v_sub_f32_e32 v19, v20, v19
	v_sub_f32_e32 v7, v7, v22
	;; [unrolled: 1-line block ×6, first 2 shown]
	v_add_f32_e32 v20, v7, v8
	v_sub_f32_e32 v11, v11, v24
	v_add_f32_e32 v11, v19, v11
	v_sub_f32_e32 v19, v20, v7
	;; [unrolled: 2-line block ×3, first 2 shown]
	v_sub_f32_e32 v8, v8, v19
	v_add_f32_e32 v22, v21, v11
	v_sub_f32_e32 v7, v7, v20
	v_sub_f32_e32 v19, v22, v21
	v_add_f32_e32 v7, v8, v7
	v_sub_f32_e32 v8, v11, v19
	v_add_f32_e32 v7, v7, v8
	v_add_f32_e32 v7, v22, v7
	v_cndmask_b32_e32 v7, 0x7f800000, v7, vcc_lo
	v_cmp_gt_f32_e64 vcc_lo, 0x33800000, |v10|
	v_cndmask_b32_e32 v7, v7, v10, vcc_lo
	v_add_f32_e32 v7, v9, v7
	v_cvt_f16_f32_e32 v7, v7
	v_cvt_f32_f16_e32 v8, v7
	v_mov_b32_e32 v26, v7
.LBB359_39:
	s_or_b32 exec_lo, exec_lo, s7
	v_cvt_f32_f16_e32 v19, v4
	v_max_f32_e32 v9, v8, v8
	v_cmp_u_f16_e32 vcc_lo, v7, v7
	v_cmp_u_f16_e64 s7, v4, v4
	v_min_f32_e32 v10, v9, v19
	v_max_f32_e32 v9, v9, v19
	v_cndmask_b32_e32 v10, v10, v8, vcc_lo
	v_cndmask_b32_e32 v9, v9, v8, vcc_lo
	v_cndmask_b32_e64 v10, v10, v19, s7
	v_cndmask_b32_e64 v9, v9, v19, s7
	v_cmp_class_f32_e64 s8, v10, 0x1f8
	v_cmp_neq_f32_e32 vcc_lo, v10, v9
	s_or_b32 s9, vcc_lo, s8
	s_and_saveexec_b32 s8, s9
	s_cbranch_execz .LBB359_41
; %bb.40:
	v_sub_f32_e32 v7, v10, v9
	s_mov_b32 s9, 0x3e9b6dac
	v_mul_f32_e32 v8, 0x3fb8aa3b, v7
	v_cmp_ngt_f32_e32 vcc_lo, 0xc2ce8ed0, v7
	v_fma_f32 v10, 0x3fb8aa3b, v7, -v8
	v_rndne_f32_e32 v11, v8
	v_fmamk_f32 v10, v7, 0x32a5705f, v10
	v_sub_f32_e32 v8, v8, v11
	v_add_f32_e32 v8, v8, v10
	v_cvt_i32_f32_e32 v10, v11
	v_exp_f32_e32 v8, v8
	v_ldexp_f32 v8, v8, v10
	v_cndmask_b32_e32 v8, 0, v8, vcc_lo
	v_cmp_nlt_f32_e32 vcc_lo, 0x42b17218, v7
	v_cndmask_b32_e32 v10, 0x7f800000, v8, vcc_lo
	v_add_f32_e32 v11, 1.0, v10
	v_cvt_f64_f32_e32 v[7:8], v11
	v_frexp_exp_i32_f64_e32 v7, v[7:8]
	v_frexp_mant_f32_e32 v8, v11
	v_cmp_gt_f32_e32 vcc_lo, 0x3f2aaaab, v8
	v_add_f32_e32 v8, -1.0, v11
	v_sub_f32_e32 v21, v8, v11
	v_sub_f32_e32 v8, v10, v8
	v_add_f32_e32 v21, 1.0, v21
	v_add_f32_e32 v8, v8, v21
	v_subrev_co_ci_u32_e64 v7, null, 0, v7, vcc_lo
	v_cmp_neq_f32_e32 vcc_lo, 0x7f800000, v10
	v_sub_nc_u32_e32 v20, 0, v7
	v_cvt_f32_i32_e32 v7, v7
	v_ldexp_f32 v11, v11, v20
	v_ldexp_f32 v8, v8, v20
	v_add_f32_e32 v22, 1.0, v11
	v_add_f32_e32 v20, -1.0, v11
	v_add_f32_e32 v21, -1.0, v22
	v_add_f32_e32 v23, 1.0, v20
	v_sub_f32_e32 v21, v11, v21
	v_sub_f32_e32 v11, v11, v23
	v_add_f32_e32 v21, v8, v21
	v_add_f32_e32 v8, v8, v11
	;; [unrolled: 1-line block ×4, first 2 shown]
	v_rcp_f32_e32 v11, v23
	v_sub_f32_e32 v22, v22, v23
	v_sub_f32_e32 v20, v20, v24
	v_add_f32_e32 v21, v21, v22
	v_add_f32_e32 v8, v8, v20
	v_mul_f32_e32 v26, v24, v11
	v_mul_f32_e32 v27, v23, v26
	v_fma_f32 v22, v26, v23, -v27
	v_fmac_f32_e32 v22, v26, v21
	v_add_f32_e32 v28, v27, v22
	v_sub_f32_e32 v29, v24, v28
	v_sub_f32_e32 v20, v28, v27
	;; [unrolled: 1-line block ×5, first 2 shown]
	v_add_f32_e32 v8, v8, v24
	v_add_f32_e32 v8, v20, v8
	;; [unrolled: 1-line block ×3, first 2 shown]
	v_mul_f32_e32 v22, v11, v20
	v_sub_f32_e32 v28, v29, v20
	v_mul_f32_e32 v24, v23, v22
	v_add_f32_e32 v8, v8, v28
	v_fma_f32 v23, v22, v23, -v24
	v_fmac_f32_e32 v23, v22, v21
	v_add_f32_e32 v21, v24, v23
	v_sub_f32_e32 v27, v20, v21
	v_sub_f32_e32 v24, v21, v24
	;; [unrolled: 1-line block ×5, first 2 shown]
	v_add_f32_e32 v8, v8, v20
	v_add_f32_e32 v20, v26, v22
	;; [unrolled: 1-line block ×3, first 2 shown]
	v_sub_f32_e32 v21, v20, v26
	v_add_f32_e32 v8, v27, v8
	v_sub_f32_e32 v21, v22, v21
	v_mul_f32_e32 v8, v11, v8
	v_add_f32_e32 v8, v21, v8
	v_add_f32_e32 v11, v20, v8
	v_mul_f32_e32 v21, v11, v11
	v_fmaak_f32 v22, s9, v21, 0x3ecc95a3
	v_mul_f32_e32 v23, v11, v21
	v_fmaak_f32 v21, v21, v22, 0x3f2aaada
	v_ldexp_f32 v22, v11, 1
	v_sub_f32_e32 v11, v11, v20
	v_mul_f32_e32 v21, v23, v21
	v_mul_f32_e32 v23, 0x3f317218, v7
	v_sub_f32_e32 v8, v8, v11
	v_add_f32_e32 v20, v22, v21
	v_ldexp_f32 v8, v8, 1
	v_sub_f32_e32 v11, v20, v22
	v_fma_f32 v22, 0x3f317218, v7, -v23
	v_sub_f32_e32 v11, v21, v11
	v_fmamk_f32 v7, v7, 0xb102e308, v22
	v_add_f32_e32 v8, v8, v11
	v_add_f32_e32 v11, v23, v7
	;; [unrolled: 1-line block ×3, first 2 shown]
	v_sub_f32_e32 v23, v11, v23
	v_add_f32_e32 v22, v11, v21
	v_sub_f32_e32 v20, v21, v20
	v_sub_f32_e32 v7, v7, v23
	;; [unrolled: 1-line block ×6, first 2 shown]
	v_add_f32_e32 v21, v7, v8
	v_sub_f32_e32 v11, v11, v26
	v_add_f32_e32 v11, v20, v11
	v_sub_f32_e32 v20, v21, v7
	;; [unrolled: 2-line block ×3, first 2 shown]
	v_sub_f32_e32 v8, v8, v20
	v_add_f32_e32 v23, v22, v11
	v_sub_f32_e32 v7, v7, v21
	v_sub_f32_e32 v20, v23, v22
	v_add_f32_e32 v7, v8, v7
	v_sub_f32_e32 v8, v11, v20
	v_add_f32_e32 v7, v7, v8
	v_add_f32_e32 v7, v23, v7
	v_cndmask_b32_e32 v7, 0x7f800000, v7, vcc_lo
	v_cmp_gt_f32_e64 vcc_lo, 0x33800000, |v10|
	v_cndmask_b32_e32 v7, v7, v10, vcc_lo
	v_add_f32_e32 v7, v9, v7
	v_cvt_f16_f32_e32 v7, v7
	v_cvt_f32_f16_e32 v8, v7
	v_mov_b32_e32 v26, v7
.LBB359_41:
	s_or_b32 exec_lo, exec_lo, s8
	v_cvt_f32_f16_sdwa v20, v4 dst_sel:DWORD dst_unused:UNUSED_PAD src0_sel:WORD_1
	v_max_f32_e32 v9, v8, v8
	v_cmp_u_f16_e32 vcc_lo, v7, v7
	v_cmp_u_f16_sdwa s8, v4, v4 src0_sel:WORD_1 src1_sel:WORD_1
	v_min_f32_e32 v10, v9, v20
	v_max_f32_e32 v9, v9, v20
	v_cndmask_b32_e32 v10, v10, v8, vcc_lo
	v_cndmask_b32_e32 v9, v9, v8, vcc_lo
	v_cndmask_b32_e64 v10, v10, v20, s8
	v_cndmask_b32_e64 v9, v9, v20, s8
	v_cmp_class_f32_e64 s9, v10, 0x1f8
	v_cmp_neq_f32_e32 vcc_lo, v10, v9
	s_or_b32 s10, vcc_lo, s9
	s_and_saveexec_b32 s9, s10
	s_cbranch_execz .LBB359_43
; %bb.42:
	v_sub_f32_e32 v7, v10, v9
	s_mov_b32 s10, 0x3e9b6dac
	v_mul_f32_e32 v8, 0x3fb8aa3b, v7
	v_cmp_ngt_f32_e32 vcc_lo, 0xc2ce8ed0, v7
	v_fma_f32 v10, 0x3fb8aa3b, v7, -v8
	v_rndne_f32_e32 v11, v8
	v_fmamk_f32 v10, v7, 0x32a5705f, v10
	v_sub_f32_e32 v8, v8, v11
	v_add_f32_e32 v8, v8, v10
	v_cvt_i32_f32_e32 v10, v11
	v_exp_f32_e32 v8, v8
	v_ldexp_f32 v8, v8, v10
	v_cndmask_b32_e32 v8, 0, v8, vcc_lo
	v_cmp_nlt_f32_e32 vcc_lo, 0x42b17218, v7
	v_cndmask_b32_e32 v10, 0x7f800000, v8, vcc_lo
	v_add_f32_e32 v11, 1.0, v10
	v_cvt_f64_f32_e32 v[7:8], v11
	v_frexp_exp_i32_f64_e32 v7, v[7:8]
	v_frexp_mant_f32_e32 v8, v11
	v_cmp_gt_f32_e32 vcc_lo, 0x3f2aaaab, v8
	v_add_f32_e32 v8, -1.0, v11
	v_sub_f32_e32 v22, v8, v11
	v_sub_f32_e32 v8, v10, v8
	v_add_f32_e32 v22, 1.0, v22
	v_add_f32_e32 v8, v8, v22
	v_subrev_co_ci_u32_e64 v7, null, 0, v7, vcc_lo
	v_cmp_neq_f32_e32 vcc_lo, 0x7f800000, v10
	v_sub_nc_u32_e32 v21, 0, v7
	v_cvt_f32_i32_e32 v7, v7
	v_ldexp_f32 v11, v11, v21
	v_ldexp_f32 v8, v8, v21
	v_add_f32_e32 v23, 1.0, v11
	v_add_f32_e32 v21, -1.0, v11
	v_add_f32_e32 v22, -1.0, v23
	v_add_f32_e32 v24, 1.0, v21
	v_sub_f32_e32 v22, v11, v22
	v_sub_f32_e32 v11, v11, v24
	v_add_f32_e32 v22, v8, v22
	v_add_f32_e32 v8, v8, v11
	;; [unrolled: 1-line block ×4, first 2 shown]
	v_rcp_f32_e32 v11, v24
	v_sub_f32_e32 v23, v23, v24
	v_sub_f32_e32 v21, v21, v26
	v_add_f32_e32 v22, v22, v23
	v_add_f32_e32 v8, v8, v21
	v_mul_f32_e32 v27, v26, v11
	v_mul_f32_e32 v28, v24, v27
	v_fma_f32 v23, v27, v24, -v28
	v_fmac_f32_e32 v23, v27, v22
	v_add_f32_e32 v29, v28, v23
	v_sub_f32_e32 v30, v26, v29
	v_sub_f32_e32 v21, v29, v28
	;; [unrolled: 1-line block ×5, first 2 shown]
	v_add_f32_e32 v8, v8, v26
	v_add_f32_e32 v8, v21, v8
	;; [unrolled: 1-line block ×3, first 2 shown]
	v_mul_f32_e32 v23, v11, v21
	v_sub_f32_e32 v29, v30, v21
	v_mul_f32_e32 v26, v24, v23
	v_add_f32_e32 v8, v8, v29
	v_fma_f32 v24, v23, v24, -v26
	v_fmac_f32_e32 v24, v23, v22
	v_add_f32_e32 v22, v26, v24
	v_sub_f32_e32 v28, v21, v22
	v_sub_f32_e32 v26, v22, v26
	;; [unrolled: 1-line block ×5, first 2 shown]
	v_add_f32_e32 v8, v8, v21
	v_add_f32_e32 v21, v27, v23
	;; [unrolled: 1-line block ×3, first 2 shown]
	v_sub_f32_e32 v22, v21, v27
	v_add_f32_e32 v8, v28, v8
	v_sub_f32_e32 v22, v23, v22
	v_mul_f32_e32 v8, v11, v8
	v_add_f32_e32 v8, v22, v8
	v_add_f32_e32 v11, v21, v8
	v_mul_f32_e32 v22, v11, v11
	v_fmaak_f32 v23, s10, v22, 0x3ecc95a3
	v_mul_f32_e32 v24, v11, v22
	v_fmaak_f32 v22, v22, v23, 0x3f2aaada
	v_ldexp_f32 v23, v11, 1
	v_sub_f32_e32 v11, v11, v21
	v_mul_f32_e32 v22, v24, v22
	v_mul_f32_e32 v24, 0x3f317218, v7
	v_sub_f32_e32 v8, v8, v11
	v_add_f32_e32 v21, v23, v22
	v_ldexp_f32 v8, v8, 1
	v_sub_f32_e32 v11, v21, v23
	v_fma_f32 v23, 0x3f317218, v7, -v24
	v_sub_f32_e32 v11, v22, v11
	v_fmamk_f32 v7, v7, 0xb102e308, v23
	v_add_f32_e32 v8, v8, v11
	v_add_f32_e32 v11, v24, v7
	v_add_f32_e32 v22, v21, v8
	v_sub_f32_e32 v24, v11, v24
	v_add_f32_e32 v23, v11, v22
	v_sub_f32_e32 v21, v22, v21
	v_sub_f32_e32 v7, v7, v24
	;; [unrolled: 1-line block ×6, first 2 shown]
	v_add_f32_e32 v22, v7, v8
	v_sub_f32_e32 v11, v11, v27
	v_add_f32_e32 v11, v21, v11
	v_sub_f32_e32 v21, v22, v7
	;; [unrolled: 2-line block ×3, first 2 shown]
	v_sub_f32_e32 v8, v8, v21
	v_add_f32_e32 v24, v23, v11
	v_sub_f32_e32 v7, v7, v22
	v_sub_f32_e32 v21, v24, v23
	v_add_f32_e32 v7, v8, v7
	v_sub_f32_e32 v8, v11, v21
	v_add_f32_e32 v7, v7, v8
	v_add_f32_e32 v7, v24, v7
	v_cndmask_b32_e32 v7, 0x7f800000, v7, vcc_lo
	v_cmp_gt_f32_e64 vcc_lo, 0x33800000, |v10|
	v_cndmask_b32_e32 v7, v7, v10, vcc_lo
	v_add_f32_e32 v7, v9, v7
	v_cvt_f16_f32_e32 v7, v7
	v_cvt_f32_f16_e32 v8, v7
	v_mov_b32_e32 v26, v7
.LBB359_43:
	s_or_b32 exec_lo, exec_lo, s9
	v_cvt_f32_f16_e32 v21, v5
	v_max_f32_e32 v9, v8, v8
	v_cmp_u_f16_e32 vcc_lo, v7, v7
	v_cmp_u_f16_e64 s9, v5, v5
	v_min_f32_e32 v10, v9, v21
	v_max_f32_e32 v9, v9, v21
	v_cndmask_b32_e32 v10, v10, v8, vcc_lo
	v_cndmask_b32_e32 v9, v9, v8, vcc_lo
	v_cndmask_b32_e64 v10, v10, v21, s9
	v_cndmask_b32_e64 v9, v9, v21, s9
	v_cmp_class_f32_e64 s10, v10, 0x1f8
	v_cmp_neq_f32_e32 vcc_lo, v10, v9
	s_or_b32 s11, vcc_lo, s10
	s_and_saveexec_b32 s10, s11
	s_cbranch_execz .LBB359_45
; %bb.44:
	v_sub_f32_e32 v7, v10, v9
	s_mov_b32 s11, 0x3e9b6dac
	v_mul_f32_e32 v8, 0x3fb8aa3b, v7
	v_cmp_ngt_f32_e32 vcc_lo, 0xc2ce8ed0, v7
	v_fma_f32 v10, 0x3fb8aa3b, v7, -v8
	v_rndne_f32_e32 v11, v8
	v_fmamk_f32 v10, v7, 0x32a5705f, v10
	v_sub_f32_e32 v8, v8, v11
	v_add_f32_e32 v8, v8, v10
	v_cvt_i32_f32_e32 v10, v11
	v_exp_f32_e32 v8, v8
	v_ldexp_f32 v8, v8, v10
	v_cndmask_b32_e32 v8, 0, v8, vcc_lo
	v_cmp_nlt_f32_e32 vcc_lo, 0x42b17218, v7
	v_cndmask_b32_e32 v10, 0x7f800000, v8, vcc_lo
	v_add_f32_e32 v11, 1.0, v10
	v_cvt_f64_f32_e32 v[7:8], v11
	v_frexp_exp_i32_f64_e32 v7, v[7:8]
	v_frexp_mant_f32_e32 v8, v11
	v_cmp_gt_f32_e32 vcc_lo, 0x3f2aaaab, v8
	v_add_f32_e32 v8, -1.0, v11
	v_sub_f32_e32 v23, v8, v11
	v_sub_f32_e32 v8, v10, v8
	v_add_f32_e32 v23, 1.0, v23
	v_add_f32_e32 v8, v8, v23
	v_subrev_co_ci_u32_e64 v7, null, 0, v7, vcc_lo
	v_cmp_neq_f32_e32 vcc_lo, 0x7f800000, v10
	v_sub_nc_u32_e32 v22, 0, v7
	v_cvt_f32_i32_e32 v7, v7
	v_ldexp_f32 v11, v11, v22
	v_ldexp_f32 v8, v8, v22
	v_add_f32_e32 v24, 1.0, v11
	v_add_f32_e32 v22, -1.0, v11
	v_add_f32_e32 v23, -1.0, v24
	v_add_f32_e32 v26, 1.0, v22
	v_sub_f32_e32 v23, v11, v23
	v_sub_f32_e32 v11, v11, v26
	v_add_f32_e32 v23, v8, v23
	v_add_f32_e32 v8, v8, v11
	;; [unrolled: 1-line block ×4, first 2 shown]
	v_rcp_f32_e32 v11, v26
	v_sub_f32_e32 v24, v24, v26
	v_sub_f32_e32 v22, v22, v27
	v_add_f32_e32 v23, v23, v24
	v_add_f32_e32 v8, v8, v22
	v_mul_f32_e32 v28, v27, v11
	v_mul_f32_e32 v29, v26, v28
	v_fma_f32 v24, v28, v26, -v29
	v_fmac_f32_e32 v24, v28, v23
	v_add_f32_e32 v30, v29, v24
	v_sub_f32_e32 v31, v27, v30
	v_sub_f32_e32 v22, v30, v29
	;; [unrolled: 1-line block ×5, first 2 shown]
	v_add_f32_e32 v8, v8, v27
	v_add_f32_e32 v8, v22, v8
	;; [unrolled: 1-line block ×3, first 2 shown]
	v_mul_f32_e32 v24, v11, v22
	v_sub_f32_e32 v30, v31, v22
	v_mul_f32_e32 v27, v26, v24
	v_add_f32_e32 v8, v8, v30
	v_fma_f32 v26, v24, v26, -v27
	v_fmac_f32_e32 v26, v24, v23
	v_add_f32_e32 v23, v27, v26
	v_sub_f32_e32 v29, v22, v23
	v_sub_f32_e32 v27, v23, v27
	;; [unrolled: 1-line block ×5, first 2 shown]
	v_add_f32_e32 v8, v8, v22
	v_add_f32_e32 v22, v28, v24
	;; [unrolled: 1-line block ×3, first 2 shown]
	v_sub_f32_e32 v23, v22, v28
	v_add_f32_e32 v8, v29, v8
	v_sub_f32_e32 v23, v24, v23
	v_mul_f32_e32 v8, v11, v8
	v_add_f32_e32 v8, v23, v8
	v_add_f32_e32 v11, v22, v8
	v_mul_f32_e32 v23, v11, v11
	v_fmaak_f32 v24, s11, v23, 0x3ecc95a3
	v_mul_f32_e32 v26, v11, v23
	v_fmaak_f32 v23, v23, v24, 0x3f2aaada
	v_ldexp_f32 v24, v11, 1
	v_sub_f32_e32 v11, v11, v22
	v_mul_f32_e32 v23, v26, v23
	v_mul_f32_e32 v26, 0x3f317218, v7
	v_sub_f32_e32 v8, v8, v11
	v_add_f32_e32 v22, v24, v23
	v_ldexp_f32 v8, v8, 1
	v_sub_f32_e32 v11, v22, v24
	v_fma_f32 v24, 0x3f317218, v7, -v26
	v_sub_f32_e32 v11, v23, v11
	v_fmamk_f32 v7, v7, 0xb102e308, v24
	v_add_f32_e32 v8, v8, v11
	v_add_f32_e32 v11, v26, v7
	;; [unrolled: 1-line block ×3, first 2 shown]
	v_sub_f32_e32 v26, v11, v26
	v_add_f32_e32 v24, v11, v23
	v_sub_f32_e32 v22, v23, v22
	v_sub_f32_e32 v7, v7, v26
	;; [unrolled: 1-line block ×6, first 2 shown]
	v_add_f32_e32 v23, v7, v8
	v_sub_f32_e32 v11, v11, v28
	v_add_f32_e32 v11, v22, v11
	v_sub_f32_e32 v22, v23, v7
	;; [unrolled: 2-line block ×3, first 2 shown]
	v_sub_f32_e32 v8, v8, v22
	v_add_f32_e32 v26, v24, v11
	v_sub_f32_e32 v7, v7, v23
	v_sub_f32_e32 v22, v26, v24
	v_add_f32_e32 v7, v8, v7
	v_sub_f32_e32 v8, v11, v22
	v_add_f32_e32 v7, v7, v8
	v_add_f32_e32 v7, v26, v7
	v_cndmask_b32_e32 v7, 0x7f800000, v7, vcc_lo
	v_cmp_gt_f32_e64 vcc_lo, 0x33800000, |v10|
	v_cndmask_b32_e32 v7, v7, v10, vcc_lo
	v_add_f32_e32 v7, v9, v7
	v_cvt_f16_f32_e32 v7, v7
	v_cvt_f32_f16_e32 v8, v7
	v_mov_b32_e32 v26, v7
.LBB359_45:
	s_or_b32 exec_lo, exec_lo, s10
	v_cvt_f32_f16_sdwa v22, v5 dst_sel:DWORD dst_unused:UNUSED_PAD src0_sel:WORD_1
	v_max_f32_e32 v9, v8, v8
	v_cmp_u_f16_e32 vcc_lo, v7, v7
	v_cmp_u_f16_sdwa s10, v5, v5 src0_sel:WORD_1 src1_sel:WORD_1
	v_min_f32_e32 v10, v9, v22
	v_max_f32_e32 v9, v9, v22
	v_cndmask_b32_e32 v10, v10, v8, vcc_lo
	v_cndmask_b32_e32 v9, v9, v8, vcc_lo
	v_cndmask_b32_e64 v10, v10, v22, s10
	v_cndmask_b32_e64 v9, v9, v22, s10
	v_cmp_class_f32_e64 s11, v10, 0x1f8
	v_cmp_neq_f32_e32 vcc_lo, v10, v9
	s_or_b32 s12, vcc_lo, s11
	s_and_saveexec_b32 s11, s12
	s_cbranch_execz .LBB359_47
; %bb.46:
	v_sub_f32_e32 v7, v10, v9
	s_mov_b32 s12, 0x3e9b6dac
	v_mul_f32_e32 v8, 0x3fb8aa3b, v7
	v_cmp_ngt_f32_e32 vcc_lo, 0xc2ce8ed0, v7
	v_fma_f32 v10, 0x3fb8aa3b, v7, -v8
	v_rndne_f32_e32 v11, v8
	v_fmamk_f32 v10, v7, 0x32a5705f, v10
	v_sub_f32_e32 v8, v8, v11
	v_add_f32_e32 v8, v8, v10
	v_cvt_i32_f32_e32 v10, v11
	v_exp_f32_e32 v8, v8
	v_ldexp_f32 v8, v8, v10
	v_cndmask_b32_e32 v8, 0, v8, vcc_lo
	v_cmp_nlt_f32_e32 vcc_lo, 0x42b17218, v7
	v_cndmask_b32_e32 v10, 0x7f800000, v8, vcc_lo
	v_add_f32_e32 v11, 1.0, v10
	v_cvt_f64_f32_e32 v[7:8], v11
	v_frexp_exp_i32_f64_e32 v7, v[7:8]
	v_frexp_mant_f32_e32 v8, v11
	v_cmp_gt_f32_e32 vcc_lo, 0x3f2aaaab, v8
	v_add_f32_e32 v8, -1.0, v11
	v_sub_f32_e32 v24, v8, v11
	v_sub_f32_e32 v8, v10, v8
	v_add_f32_e32 v24, 1.0, v24
	v_add_f32_e32 v8, v8, v24
	v_subrev_co_ci_u32_e64 v7, null, 0, v7, vcc_lo
	v_cmp_neq_f32_e32 vcc_lo, 0x7f800000, v10
	v_sub_nc_u32_e32 v23, 0, v7
	v_cvt_f32_i32_e32 v7, v7
	v_ldexp_f32 v11, v11, v23
	v_ldexp_f32 v8, v8, v23
	v_add_f32_e32 v26, 1.0, v11
	v_add_f32_e32 v23, -1.0, v11
	v_add_f32_e32 v24, -1.0, v26
	v_add_f32_e32 v27, 1.0, v23
	v_sub_f32_e32 v24, v11, v24
	v_sub_f32_e32 v11, v11, v27
	v_add_f32_e32 v24, v8, v24
	v_add_f32_e32 v8, v8, v11
	;; [unrolled: 1-line block ×4, first 2 shown]
	v_rcp_f32_e32 v11, v27
	v_sub_f32_e32 v26, v26, v27
	v_sub_f32_e32 v23, v23, v28
	v_add_f32_e32 v24, v24, v26
	v_add_f32_e32 v8, v8, v23
	v_mul_f32_e32 v29, v28, v11
	v_mul_f32_e32 v30, v27, v29
	v_fma_f32 v26, v29, v27, -v30
	v_fmac_f32_e32 v26, v29, v24
	v_add_f32_e32 v31, v30, v26
	v_sub_f32_e32 v32, v28, v31
	v_sub_f32_e32 v23, v31, v30
	;; [unrolled: 1-line block ×5, first 2 shown]
	v_add_f32_e32 v8, v8, v28
	v_add_f32_e32 v8, v23, v8
	;; [unrolled: 1-line block ×3, first 2 shown]
	v_mul_f32_e32 v26, v11, v23
	v_sub_f32_e32 v31, v32, v23
	v_mul_f32_e32 v28, v27, v26
	v_add_f32_e32 v8, v8, v31
	v_fma_f32 v27, v26, v27, -v28
	v_fmac_f32_e32 v27, v26, v24
	v_add_f32_e32 v24, v28, v27
	v_sub_f32_e32 v30, v23, v24
	v_sub_f32_e32 v28, v24, v28
	v_sub_f32_e32 v23, v23, v30
	v_sub_f32_e32 v23, v23, v24
	v_sub_f32_e32 v24, v28, v27
	v_add_f32_e32 v8, v8, v23
	v_add_f32_e32 v23, v29, v26
	;; [unrolled: 1-line block ×3, first 2 shown]
	v_sub_f32_e32 v24, v23, v29
	v_add_f32_e32 v8, v30, v8
	v_sub_f32_e32 v24, v26, v24
	v_mul_f32_e32 v8, v11, v8
	v_add_f32_e32 v8, v24, v8
	v_add_f32_e32 v11, v23, v8
	v_mul_f32_e32 v24, v11, v11
	v_fmaak_f32 v26, s12, v24, 0x3ecc95a3
	v_mul_f32_e32 v27, v11, v24
	v_fmaak_f32 v24, v24, v26, 0x3f2aaada
	v_ldexp_f32 v26, v11, 1
	v_sub_f32_e32 v11, v11, v23
	v_mul_f32_e32 v24, v27, v24
	v_mul_f32_e32 v27, 0x3f317218, v7
	v_sub_f32_e32 v8, v8, v11
	v_add_f32_e32 v23, v26, v24
	v_ldexp_f32 v8, v8, 1
	v_sub_f32_e32 v11, v23, v26
	v_fma_f32 v26, 0x3f317218, v7, -v27
	v_sub_f32_e32 v11, v24, v11
	v_fmamk_f32 v7, v7, 0xb102e308, v26
	v_add_f32_e32 v8, v8, v11
	v_add_f32_e32 v11, v27, v7
	v_add_f32_e32 v24, v23, v8
	v_sub_f32_e32 v27, v11, v27
	v_add_f32_e32 v26, v11, v24
	v_sub_f32_e32 v23, v24, v23
	v_sub_f32_e32 v7, v7, v27
	;; [unrolled: 1-line block ×6, first 2 shown]
	v_add_f32_e32 v24, v7, v8
	v_sub_f32_e32 v11, v11, v29
	v_add_f32_e32 v11, v23, v11
	v_sub_f32_e32 v23, v24, v7
	;; [unrolled: 2-line block ×3, first 2 shown]
	v_sub_f32_e32 v8, v8, v23
	v_add_f32_e32 v27, v26, v11
	v_sub_f32_e32 v7, v7, v24
	v_sub_f32_e32 v23, v27, v26
	v_add_f32_e32 v7, v8, v7
	v_sub_f32_e32 v8, v11, v23
	v_add_f32_e32 v7, v7, v8
	v_add_f32_e32 v7, v27, v7
	v_cndmask_b32_e32 v7, 0x7f800000, v7, vcc_lo
	v_cmp_gt_f32_e64 vcc_lo, 0x33800000, |v10|
	v_cndmask_b32_e32 v7, v7, v10, vcc_lo
	v_add_f32_e32 v7, v9, v7
	v_cvt_f16_f32_e32 v7, v7
	v_cvt_f32_f16_e32 v8, v7
	v_mov_b32_e32 v26, v7
.LBB359_47:
	s_or_b32 exec_lo, exec_lo, s11
	v_cvt_f32_f16_e32 v23, v6
	v_max_f32_e32 v9, v8, v8
	v_cmp_u_f16_e32 vcc_lo, v7, v7
	v_cmp_u_f16_e64 s11, v6, v6
	v_min_f32_e32 v10, v9, v23
	v_max_f32_e32 v9, v9, v23
	v_cndmask_b32_e32 v10, v10, v8, vcc_lo
	v_cndmask_b32_e32 v9, v9, v8, vcc_lo
	v_cndmask_b32_e64 v10, v10, v23, s11
	v_cndmask_b32_e64 v9, v9, v23, s11
	v_cmp_class_f32_e64 s12, v10, 0x1f8
	v_cmp_neq_f32_e32 vcc_lo, v10, v9
	s_or_b32 s15, vcc_lo, s12
	s_and_saveexec_b32 s12, s15
	s_cbranch_execz .LBB359_49
; %bb.48:
	v_sub_f32_e32 v7, v10, v9
	s_mov_b32 s15, 0x3e9b6dac
	v_mul_f32_e32 v8, 0x3fb8aa3b, v7
	v_cmp_ngt_f32_e32 vcc_lo, 0xc2ce8ed0, v7
	v_fma_f32 v10, 0x3fb8aa3b, v7, -v8
	v_rndne_f32_e32 v11, v8
	v_fmamk_f32 v10, v7, 0x32a5705f, v10
	v_sub_f32_e32 v8, v8, v11
	v_add_f32_e32 v8, v8, v10
	v_cvt_i32_f32_e32 v10, v11
	v_exp_f32_e32 v8, v8
	v_ldexp_f32 v8, v8, v10
	v_cndmask_b32_e32 v8, 0, v8, vcc_lo
	v_cmp_nlt_f32_e32 vcc_lo, 0x42b17218, v7
	v_cndmask_b32_e32 v10, 0x7f800000, v8, vcc_lo
	v_add_f32_e32 v11, 1.0, v10
	v_cvt_f64_f32_e32 v[7:8], v11
	v_frexp_exp_i32_f64_e32 v7, v[7:8]
	v_frexp_mant_f32_e32 v8, v11
	v_cmp_gt_f32_e32 vcc_lo, 0x3f2aaaab, v8
	v_add_f32_e32 v8, -1.0, v11
	v_sub_f32_e32 v26, v8, v11
	v_sub_f32_e32 v8, v10, v8
	v_add_f32_e32 v26, 1.0, v26
	v_add_f32_e32 v8, v8, v26
	v_subrev_co_ci_u32_e64 v7, null, 0, v7, vcc_lo
	v_cmp_neq_f32_e32 vcc_lo, 0x7f800000, v10
	v_sub_nc_u32_e32 v24, 0, v7
	v_cvt_f32_i32_e32 v7, v7
	v_ldexp_f32 v11, v11, v24
	v_ldexp_f32 v8, v8, v24
	v_add_f32_e32 v27, 1.0, v11
	v_add_f32_e32 v24, -1.0, v11
	v_add_f32_e32 v26, -1.0, v27
	v_add_f32_e32 v28, 1.0, v24
	v_sub_f32_e32 v26, v11, v26
	v_sub_f32_e32 v11, v11, v28
	v_add_f32_e32 v26, v8, v26
	v_add_f32_e32 v8, v8, v11
	;; [unrolled: 1-line block ×4, first 2 shown]
	v_rcp_f32_e32 v11, v28
	v_sub_f32_e32 v27, v27, v28
	v_sub_f32_e32 v24, v24, v29
	v_add_f32_e32 v26, v26, v27
	v_add_f32_e32 v8, v8, v24
	v_mul_f32_e32 v30, v29, v11
	v_mul_f32_e32 v31, v28, v30
	v_fma_f32 v27, v30, v28, -v31
	v_fmac_f32_e32 v27, v30, v26
	v_add_f32_e32 v32, v31, v27
	v_sub_f32_e32 v33, v29, v32
	v_sub_f32_e32 v24, v32, v31
	;; [unrolled: 1-line block ×5, first 2 shown]
	v_add_f32_e32 v8, v8, v29
	v_add_f32_e32 v8, v24, v8
	;; [unrolled: 1-line block ×3, first 2 shown]
	v_mul_f32_e32 v27, v11, v24
	v_sub_f32_e32 v32, v33, v24
	v_mul_f32_e32 v29, v28, v27
	v_add_f32_e32 v8, v8, v32
	v_fma_f32 v28, v27, v28, -v29
	v_fmac_f32_e32 v28, v27, v26
	v_add_f32_e32 v26, v29, v28
	v_sub_f32_e32 v31, v24, v26
	v_sub_f32_e32 v29, v26, v29
	;; [unrolled: 1-line block ×5, first 2 shown]
	v_add_f32_e32 v8, v8, v24
	v_add_f32_e32 v24, v30, v27
	;; [unrolled: 1-line block ×3, first 2 shown]
	v_sub_f32_e32 v26, v24, v30
	v_add_f32_e32 v8, v31, v8
	v_sub_f32_e32 v26, v27, v26
	v_mul_f32_e32 v8, v11, v8
	v_add_f32_e32 v8, v26, v8
	v_add_f32_e32 v11, v24, v8
	v_mul_f32_e32 v26, v11, v11
	v_fmaak_f32 v27, s15, v26, 0x3ecc95a3
	v_mul_f32_e32 v28, v11, v26
	v_fmaak_f32 v26, v26, v27, 0x3f2aaada
	v_ldexp_f32 v27, v11, 1
	v_sub_f32_e32 v11, v11, v24
	v_mul_f32_e32 v26, v28, v26
	v_mul_f32_e32 v28, 0x3f317218, v7
	v_sub_f32_e32 v8, v8, v11
	v_add_f32_e32 v24, v27, v26
	v_ldexp_f32 v8, v8, 1
	v_sub_f32_e32 v11, v24, v27
	v_fma_f32 v27, 0x3f317218, v7, -v28
	v_sub_f32_e32 v11, v26, v11
	v_fmamk_f32 v7, v7, 0xb102e308, v27
	v_add_f32_e32 v8, v8, v11
	v_add_f32_e32 v11, v28, v7
	;; [unrolled: 1-line block ×3, first 2 shown]
	v_sub_f32_e32 v28, v11, v28
	v_add_f32_e32 v27, v11, v26
	v_sub_f32_e32 v24, v26, v24
	v_sub_f32_e32 v7, v7, v28
	;; [unrolled: 1-line block ×6, first 2 shown]
	v_add_f32_e32 v26, v7, v8
	v_sub_f32_e32 v11, v11, v30
	v_add_f32_e32 v11, v24, v11
	v_sub_f32_e32 v24, v26, v7
	;; [unrolled: 2-line block ×3, first 2 shown]
	v_sub_f32_e32 v8, v8, v24
	v_add_f32_e32 v28, v27, v11
	v_sub_f32_e32 v7, v7, v26
	v_sub_f32_e32 v24, v28, v27
	v_add_f32_e32 v7, v8, v7
	v_sub_f32_e32 v8, v11, v24
	v_add_f32_e32 v7, v7, v8
	v_add_f32_e32 v7, v28, v7
	v_cndmask_b32_e32 v7, 0x7f800000, v7, vcc_lo
	v_cmp_gt_f32_e64 vcc_lo, 0x33800000, |v10|
	v_cndmask_b32_e32 v7, v7, v10, vcc_lo
	v_add_f32_e32 v7, v9, v7
	v_cvt_f16_f32_e32 v7, v7
	v_cvt_f32_f16_e32 v8, v7
	v_mov_b32_e32 v26, v7
.LBB359_49:
	s_or_b32 exec_lo, exec_lo, s12
	v_cvt_f32_f16_sdwa v24, v6 dst_sel:DWORD dst_unused:UNUSED_PAD src0_sel:WORD_1
	v_max_f32_e32 v9, v8, v8
	v_cmp_u_f16_e32 vcc_lo, v7, v7
	v_cmp_u_f16_sdwa s12, v6, v6 src0_sel:WORD_1 src1_sel:WORD_1
	v_min_f32_e32 v10, v9, v24
	v_max_f32_e32 v9, v9, v24
	v_cndmask_b32_e32 v7, v10, v8, vcc_lo
	v_cndmask_b32_e32 v9, v9, v8, vcc_lo
	v_cndmask_b32_e64 v8, v7, v24, s12
	v_cndmask_b32_e64 v7, v9, v24, s12
	v_cmp_class_f32_e64 s15, v8, 0x1f8
	v_cmp_neq_f32_e32 vcc_lo, v8, v7
	s_or_b32 s16, vcc_lo, s15
	s_and_saveexec_b32 s15, s16
	s_cbranch_execz .LBB359_51
; %bb.50:
	v_sub_f32_e32 v8, v8, v7
	s_mov_b32 s16, 0x3e9b6dac
	v_mul_f32_e32 v9, 0x3fb8aa3b, v8
	v_cmp_ngt_f32_e32 vcc_lo, 0xc2ce8ed0, v8
	v_fma_f32 v10, 0x3fb8aa3b, v8, -v9
	v_rndne_f32_e32 v11, v9
	v_fmamk_f32 v10, v8, 0x32a5705f, v10
	v_sub_f32_e32 v9, v9, v11
	v_add_f32_e32 v9, v9, v10
	v_cvt_i32_f32_e32 v10, v11
	v_exp_f32_e32 v9, v9
	v_ldexp_f32 v9, v9, v10
	v_cndmask_b32_e32 v9, 0, v9, vcc_lo
	v_cmp_nlt_f32_e32 vcc_lo, 0x42b17218, v8
	v_cndmask_b32_e32 v10, 0x7f800000, v9, vcc_lo
	v_add_f32_e32 v11, 1.0, v10
	v_cvt_f64_f32_e32 v[8:9], v11
	v_frexp_exp_i32_f64_e32 v8, v[8:9]
	v_frexp_mant_f32_e32 v9, v11
	v_cmp_gt_f32_e32 vcc_lo, 0x3f2aaaab, v9
	v_add_f32_e32 v9, -1.0, v11
	v_sub_f32_e32 v27, v9, v11
	v_sub_f32_e32 v9, v10, v9
	v_add_f32_e32 v27, 1.0, v27
	v_add_f32_e32 v9, v9, v27
	v_subrev_co_ci_u32_e64 v8, null, 0, v8, vcc_lo
	v_cmp_neq_f32_e32 vcc_lo, 0x7f800000, v10
	v_sub_nc_u32_e32 v26, 0, v8
	v_cvt_f32_i32_e32 v8, v8
	v_ldexp_f32 v11, v11, v26
	v_ldexp_f32 v9, v9, v26
	v_add_f32_e32 v28, 1.0, v11
	v_add_f32_e32 v26, -1.0, v11
	v_add_f32_e32 v27, -1.0, v28
	v_add_f32_e32 v29, 1.0, v26
	v_sub_f32_e32 v27, v11, v27
	v_sub_f32_e32 v11, v11, v29
	v_add_f32_e32 v27, v9, v27
	v_add_f32_e32 v9, v9, v11
	;; [unrolled: 1-line block ×4, first 2 shown]
	v_rcp_f32_e32 v11, v29
	v_sub_f32_e32 v28, v28, v29
	v_sub_f32_e32 v26, v26, v30
	v_add_f32_e32 v27, v27, v28
	v_add_f32_e32 v9, v9, v26
	v_mul_f32_e32 v31, v30, v11
	v_mul_f32_e32 v32, v29, v31
	v_fma_f32 v28, v31, v29, -v32
	v_fmac_f32_e32 v28, v31, v27
	v_add_f32_e32 v33, v32, v28
	v_sub_f32_e32 v34, v30, v33
	v_sub_f32_e32 v26, v33, v32
	;; [unrolled: 1-line block ×5, first 2 shown]
	v_add_f32_e32 v9, v9, v30
	v_add_f32_e32 v9, v26, v9
	;; [unrolled: 1-line block ×3, first 2 shown]
	v_mul_f32_e32 v28, v11, v26
	v_sub_f32_e32 v33, v34, v26
	v_mul_f32_e32 v30, v29, v28
	v_add_f32_e32 v9, v9, v33
	v_fma_f32 v29, v28, v29, -v30
	v_fmac_f32_e32 v29, v28, v27
	v_add_f32_e32 v27, v30, v29
	v_sub_f32_e32 v32, v26, v27
	v_sub_f32_e32 v30, v27, v30
	;; [unrolled: 1-line block ×5, first 2 shown]
	v_add_f32_e32 v9, v9, v26
	v_add_f32_e32 v26, v31, v28
	;; [unrolled: 1-line block ×3, first 2 shown]
	v_sub_f32_e32 v27, v26, v31
	v_add_f32_e32 v9, v32, v9
	v_sub_f32_e32 v27, v28, v27
	v_mul_f32_e32 v9, v11, v9
	v_add_f32_e32 v9, v27, v9
	v_add_f32_e32 v11, v26, v9
	v_mul_f32_e32 v27, v11, v11
	v_fmaak_f32 v28, s16, v27, 0x3ecc95a3
	v_mul_f32_e32 v29, v11, v27
	v_fmaak_f32 v27, v27, v28, 0x3f2aaada
	v_ldexp_f32 v28, v11, 1
	v_sub_f32_e32 v11, v11, v26
	v_mul_f32_e32 v27, v29, v27
	v_mul_f32_e32 v29, 0x3f317218, v8
	v_sub_f32_e32 v9, v9, v11
	v_add_f32_e32 v26, v28, v27
	v_ldexp_f32 v9, v9, 1
	v_sub_f32_e32 v11, v26, v28
	v_fma_f32 v28, 0x3f317218, v8, -v29
	v_sub_f32_e32 v11, v27, v11
	v_fmamk_f32 v8, v8, 0xb102e308, v28
	v_add_f32_e32 v9, v9, v11
	v_add_f32_e32 v11, v29, v8
	;; [unrolled: 1-line block ×3, first 2 shown]
	v_sub_f32_e32 v29, v11, v29
	v_add_f32_e32 v28, v11, v27
	v_sub_f32_e32 v26, v27, v26
	v_sub_f32_e32 v8, v8, v29
	v_sub_f32_e32 v30, v28, v11
	v_sub_f32_e32 v9, v9, v26
	v_sub_f32_e32 v31, v28, v30
	v_sub_f32_e32 v26, v27, v30
	v_add_f32_e32 v27, v8, v9
	v_sub_f32_e32 v11, v11, v31
	v_add_f32_e32 v11, v26, v11
	v_sub_f32_e32 v26, v27, v8
	;; [unrolled: 2-line block ×3, first 2 shown]
	v_sub_f32_e32 v9, v9, v26
	v_add_f32_e32 v29, v28, v11
	v_sub_f32_e32 v8, v8, v27
	v_sub_f32_e32 v26, v29, v28
	v_add_f32_e32 v8, v9, v8
	v_sub_f32_e32 v9, v11, v26
	v_add_f32_e32 v8, v8, v9
	v_add_f32_e32 v8, v29, v8
	v_cndmask_b32_e32 v8, 0x7f800000, v8, vcc_lo
	v_cmp_gt_f32_e64 vcc_lo, 0x33800000, |v10|
	v_cndmask_b32_e32 v8, v8, v10, vcc_lo
	v_add_f32_e32 v7, v7, v8
	v_cvt_f16_f32_e32 v26, v7
.LBB359_51:
	s_or_b32 exec_lo, exec_lo, s15
	v_lshrrev_b32_e32 v7, 4, v0
	v_cmp_gt_u32_e32 vcc_lo, 32, v0
	v_and_b32_e32 v7, 2, v7
	v_lshl_add_u32 v7, v0, 1, v7
	ds_write_b16 v7, v26
	s_waitcnt lgkmcnt(0)
	s_barrier
	buffer_gl0_inv
	s_and_saveexec_b32 s17, vcc_lo
	s_cbranch_execz .LBB359_79
; %bb.52:
	v_lshrrev_b32_e32 v7, 3, v0
	v_lshlrev_b32_e32 v8, 2, v0
	v_and_b32_e32 v7, 6, v7
	v_add_nc_u32_e32 v7, v7, v8
	ds_read_u16 v9, v7 offset:2
	ds_read_u16 v11, v7
	s_waitcnt lgkmcnt(1)
	v_cvt_f32_f16_e32 v27, v9
	s_waitcnt lgkmcnt(0)
	v_cvt_f32_f16_e32 v8, v11
	v_cmp_u_f16_e64 s15, v11, v11
	v_cmp_u_f16_e64 s16, v9, v9
	v_min_f32_e32 v10, v8, v27
	v_max_f32_e32 v28, v8, v27
	v_cndmask_b32_e64 v10, v10, v8, s15
	v_cndmask_b32_e64 v28, v28, v8, s15
	v_cndmask_b32_e64 v10, v10, v27, s16
	v_cndmask_b32_e64 v9, v28, v27, s16
	v_cmp_class_f32_e64 s24, v10, 0x1f8
	v_cmp_neq_f32_e64 s16, v10, v9
	s_or_b32 s16, s16, s24
	s_and_saveexec_b32 s24, s16
	s_cbranch_execz .LBB359_54
; %bb.53:
	v_sub_f32_e32 v10, v10, v9
	v_mul_f32_e32 v11, 0x3fb8aa3b, v10
	v_cmp_ngt_f32_e64 s16, 0xc2ce8ed0, v10
	v_fma_f32 v27, 0x3fb8aa3b, v10, -v11
	v_rndne_f32_e32 v28, v11
	v_fmamk_f32 v27, v10, 0x32a5705f, v27
	v_sub_f32_e32 v11, v11, v28
	v_add_f32_e32 v11, v11, v27
	v_cvt_i32_f32_e32 v27, v28
	v_exp_f32_e32 v11, v11
	v_ldexp_f32 v11, v11, v27
	v_cndmask_b32_e64 v11, 0, v11, s16
	v_cmp_nlt_f32_e64 s16, 0x42b17218, v10
	v_cndmask_b32_e64 v27, 0x7f800000, v11, s16
	v_add_f32_e32 v28, 1.0, v27
	v_cvt_f64_f32_e32 v[10:11], v28
	v_frexp_exp_i32_f64_e32 v10, v[10:11]
	v_frexp_mant_f32_e32 v11, v28
	v_cmp_gt_f32_e64 s16, 0x3f2aaaab, v11
	v_add_f32_e32 v11, -1.0, v28
	v_sub_f32_e32 v30, v11, v28
	v_sub_f32_e32 v11, v27, v11
	v_add_f32_e32 v30, 1.0, v30
	v_add_f32_e32 v11, v11, v30
	v_subrev_co_ci_u32_e64 v10, null, 0, v10, s16
	s_mov_b32 s16, 0x3e9b6dac
	v_sub_nc_u32_e32 v29, 0, v10
	v_cvt_f32_i32_e32 v10, v10
	v_ldexp_f32 v28, v28, v29
	v_ldexp_f32 v11, v11, v29
	v_add_f32_e32 v31, 1.0, v28
	v_add_f32_e32 v29, -1.0, v28
	v_add_f32_e32 v30, -1.0, v31
	v_add_f32_e32 v32, 1.0, v29
	v_sub_f32_e32 v30, v28, v30
	v_sub_f32_e32 v28, v28, v32
	v_add_f32_e32 v30, v11, v30
	v_add_f32_e32 v11, v11, v28
	;; [unrolled: 1-line block ×4, first 2 shown]
	v_rcp_f32_e32 v28, v32
	v_sub_f32_e32 v31, v31, v32
	v_sub_f32_e32 v29, v29, v33
	v_add_f32_e32 v30, v30, v31
	v_add_f32_e32 v11, v11, v29
	v_mul_f32_e32 v34, v33, v28
	v_mul_f32_e32 v35, v32, v34
	v_fma_f32 v31, v34, v32, -v35
	v_fmac_f32_e32 v31, v34, v30
	v_add_f32_e32 v36, v35, v31
	v_sub_f32_e32 v37, v33, v36
	v_sub_f32_e32 v29, v36, v35
	;; [unrolled: 1-line block ×5, first 2 shown]
	v_add_f32_e32 v11, v11, v33
	v_add_f32_e32 v11, v29, v11
	;; [unrolled: 1-line block ×3, first 2 shown]
	v_mul_f32_e32 v31, v28, v29
	v_sub_f32_e32 v36, v37, v29
	v_mul_f32_e32 v33, v32, v31
	v_add_f32_e32 v11, v11, v36
	v_fma_f32 v32, v31, v32, -v33
	v_fmac_f32_e32 v32, v31, v30
	v_add_f32_e32 v30, v33, v32
	v_sub_f32_e32 v35, v29, v30
	v_sub_f32_e32 v33, v30, v33
	;; [unrolled: 1-line block ×5, first 2 shown]
	v_add_f32_e32 v11, v11, v29
	v_add_f32_e32 v29, v34, v31
	v_add_f32_e32 v11, v30, v11
	v_sub_f32_e32 v30, v29, v34
	v_add_f32_e32 v11, v35, v11
	v_sub_f32_e32 v30, v31, v30
	v_mul_f32_e32 v11, v28, v11
	v_add_f32_e32 v11, v30, v11
	v_add_f32_e32 v28, v29, v11
	v_mul_f32_e32 v30, v28, v28
	v_fmaak_f32 v31, s16, v30, 0x3ecc95a3
	v_mul_f32_e32 v32, v28, v30
	v_cmp_neq_f32_e64 s16, 0x7f800000, v27
	v_fmaak_f32 v30, v30, v31, 0x3f2aaada
	v_ldexp_f32 v31, v28, 1
	v_sub_f32_e32 v28, v28, v29
	v_mul_f32_e32 v30, v32, v30
	v_mul_f32_e32 v32, 0x3f317218, v10
	v_sub_f32_e32 v11, v11, v28
	v_add_f32_e32 v29, v31, v30
	v_ldexp_f32 v11, v11, 1
	v_sub_f32_e32 v28, v29, v31
	v_fma_f32 v31, 0x3f317218, v10, -v32
	v_sub_f32_e32 v28, v30, v28
	v_fmamk_f32 v10, v10, 0xb102e308, v31
	v_add_f32_e32 v11, v11, v28
	v_add_f32_e32 v28, v32, v10
	;; [unrolled: 1-line block ×3, first 2 shown]
	v_sub_f32_e32 v32, v28, v32
	v_add_f32_e32 v31, v28, v30
	v_sub_f32_e32 v29, v30, v29
	v_sub_f32_e32 v10, v10, v32
	;; [unrolled: 1-line block ×6, first 2 shown]
	v_add_f32_e32 v30, v10, v11
	v_sub_f32_e32 v28, v28, v34
	v_add_f32_e32 v28, v29, v28
	v_sub_f32_e32 v29, v30, v10
	;; [unrolled: 2-line block ×3, first 2 shown]
	v_sub_f32_e32 v11, v11, v29
	v_add_f32_e32 v32, v31, v28
	v_sub_f32_e32 v10, v10, v30
	v_sub_f32_e32 v29, v32, v31
	v_add_f32_e32 v10, v11, v10
	v_sub_f32_e32 v11, v28, v29
	v_add_f32_e32 v10, v10, v11
	v_add_f32_e32 v10, v32, v10
	v_cndmask_b32_e64 v10, 0x7f800000, v10, s16
	v_cmp_gt_f32_e64 s16, 0x33800000, |v27|
	v_cndmask_b32_e64 v10, v10, v27, s16
	v_add_f32_e32 v9, v9, v10
	v_cvt_f16_f32_e32 v11, v9
.LBB359_54:
	s_or_b32 exec_lo, exec_lo, s24
	v_mbcnt_lo_u32_b32 v9, -1, 0
	v_and_b32_e32 v27, 0xffff, v11
	s_mov_b32 s24, exec_lo
	v_and_b32_e32 v10, 15, v9
	v_mov_b32_dpp v28, v27 row_shr:1 row_mask:0xf bank_mask:0xf
	v_cmpx_ne_u32_e32 0, v10
	s_xor_b32 s24, exec_lo, s24
	s_cbranch_execz .LBB359_58
; %bb.55:
	v_cvt_f32_f16_e32 v27, v28
	v_cvt_f32_f16_e32 v29, v11
	v_cmp_u_f16_e64 s16, v28, v28
	v_min_f32_e32 v30, v27, v29
	v_max_f32_e32 v31, v27, v29
	v_cndmask_b32_e64 v30, v30, v27, s16
	v_cndmask_b32_e64 v31, v31, v27, s16
	v_cmp_u_f16_e64 s16, v11, v11
	v_cndmask_b32_e64 v27, v30, v29, s16
	v_cndmask_b32_e64 v11, v31, v29, s16
	v_cmp_class_f32_e64 s25, v27, 0x1f8
	v_cmp_neq_f32_e64 s16, v27, v11
	s_or_b32 s16, s16, s25
	s_and_saveexec_b32 s25, s16
	s_cbranch_execz .LBB359_57
; %bb.56:
	v_sub_f32_e32 v27, v27, v11
	v_mul_f32_e32 v28, 0x3fb8aa3b, v27
	v_cmp_ngt_f32_e64 s16, 0xc2ce8ed0, v27
	v_fma_f32 v29, 0x3fb8aa3b, v27, -v28
	v_rndne_f32_e32 v30, v28
	v_fmamk_f32 v29, v27, 0x32a5705f, v29
	v_sub_f32_e32 v28, v28, v30
	v_add_f32_e32 v28, v28, v29
	v_cvt_i32_f32_e32 v29, v30
	v_exp_f32_e32 v28, v28
	v_ldexp_f32 v28, v28, v29
	v_cndmask_b32_e64 v28, 0, v28, s16
	v_cmp_nlt_f32_e64 s16, 0x42b17218, v27
	v_cndmask_b32_e64 v29, 0x7f800000, v28, s16
	v_add_f32_e32 v30, 1.0, v29
	v_cvt_f64_f32_e32 v[27:28], v30
	v_frexp_exp_i32_f64_e32 v27, v[27:28]
	v_frexp_mant_f32_e32 v28, v30
	v_cmp_gt_f32_e64 s16, 0x3f2aaaab, v28
	v_add_f32_e32 v28, -1.0, v30
	v_sub_f32_e32 v32, v28, v30
	v_sub_f32_e32 v28, v29, v28
	v_add_f32_e32 v32, 1.0, v32
	v_add_f32_e32 v28, v28, v32
	v_subrev_co_ci_u32_e64 v27, null, 0, v27, s16
	s_mov_b32 s16, 0x3e9b6dac
	v_sub_nc_u32_e32 v31, 0, v27
	v_cvt_f32_i32_e32 v27, v27
	v_ldexp_f32 v30, v30, v31
	v_ldexp_f32 v28, v28, v31
	v_add_f32_e32 v33, 1.0, v30
	v_add_f32_e32 v31, -1.0, v30
	v_add_f32_e32 v32, -1.0, v33
	v_add_f32_e32 v34, 1.0, v31
	v_sub_f32_e32 v32, v30, v32
	v_sub_f32_e32 v30, v30, v34
	v_add_f32_e32 v32, v28, v32
	v_add_f32_e32 v28, v28, v30
	;; [unrolled: 1-line block ×4, first 2 shown]
	v_rcp_f32_e32 v30, v34
	v_sub_f32_e32 v33, v33, v34
	v_sub_f32_e32 v31, v31, v35
	v_add_f32_e32 v32, v32, v33
	v_add_f32_e32 v28, v28, v31
	v_mul_f32_e32 v36, v35, v30
	v_mul_f32_e32 v37, v34, v36
	v_fma_f32 v33, v36, v34, -v37
	v_fmac_f32_e32 v33, v36, v32
	v_add_f32_e32 v38, v37, v33
	v_sub_f32_e32 v39, v35, v38
	v_sub_f32_e32 v31, v38, v37
	v_sub_f32_e32 v35, v35, v39
	v_sub_f32_e32 v31, v31, v33
	v_sub_f32_e32 v35, v35, v38
	v_add_f32_e32 v28, v28, v35
	v_add_f32_e32 v28, v31, v28
	;; [unrolled: 1-line block ×3, first 2 shown]
	v_mul_f32_e32 v33, v30, v31
	v_sub_f32_e32 v38, v39, v31
	v_mul_f32_e32 v35, v34, v33
	v_add_f32_e32 v28, v28, v38
	v_fma_f32 v34, v33, v34, -v35
	v_fmac_f32_e32 v34, v33, v32
	v_add_f32_e32 v32, v35, v34
	v_sub_f32_e32 v37, v31, v32
	v_sub_f32_e32 v35, v32, v35
	;; [unrolled: 1-line block ×5, first 2 shown]
	v_add_f32_e32 v28, v28, v31
	v_add_f32_e32 v31, v36, v33
	;; [unrolled: 1-line block ×3, first 2 shown]
	v_sub_f32_e32 v32, v31, v36
	v_add_f32_e32 v28, v37, v28
	v_sub_f32_e32 v32, v33, v32
	v_mul_f32_e32 v28, v30, v28
	v_add_f32_e32 v28, v32, v28
	v_add_f32_e32 v30, v31, v28
	v_mul_f32_e32 v32, v30, v30
	v_fmaak_f32 v33, s16, v32, 0x3ecc95a3
	v_mul_f32_e32 v34, v30, v32
	v_cmp_neq_f32_e64 s16, 0x7f800000, v29
	v_fmaak_f32 v32, v32, v33, 0x3f2aaada
	v_ldexp_f32 v33, v30, 1
	v_sub_f32_e32 v30, v30, v31
	v_mul_f32_e32 v32, v34, v32
	v_mul_f32_e32 v34, 0x3f317218, v27
	v_sub_f32_e32 v28, v28, v30
	v_add_f32_e32 v31, v33, v32
	v_ldexp_f32 v28, v28, 1
	v_sub_f32_e32 v30, v31, v33
	v_fma_f32 v33, 0x3f317218, v27, -v34
	v_sub_f32_e32 v30, v32, v30
	v_fmamk_f32 v27, v27, 0xb102e308, v33
	v_add_f32_e32 v28, v28, v30
	v_add_f32_e32 v30, v34, v27
	;; [unrolled: 1-line block ×3, first 2 shown]
	v_sub_f32_e32 v34, v30, v34
	v_add_f32_e32 v33, v30, v32
	v_sub_f32_e32 v31, v32, v31
	v_sub_f32_e32 v27, v27, v34
	;; [unrolled: 1-line block ×6, first 2 shown]
	v_add_f32_e32 v32, v27, v28
	v_sub_f32_e32 v30, v30, v36
	v_add_f32_e32 v30, v31, v30
	v_sub_f32_e32 v31, v32, v27
	;; [unrolled: 2-line block ×3, first 2 shown]
	v_sub_f32_e32 v28, v28, v31
	v_add_f32_e32 v34, v33, v30
	v_sub_f32_e32 v27, v27, v32
	v_sub_f32_e32 v31, v34, v33
	v_add_f32_e32 v27, v28, v27
	v_sub_f32_e32 v28, v30, v31
	v_add_f32_e32 v27, v27, v28
	v_add_f32_e32 v27, v34, v27
	v_cndmask_b32_e64 v27, 0x7f800000, v27, s16
	v_cmp_gt_f32_e64 s16, 0x33800000, |v29|
	v_cndmask_b32_e64 v27, v27, v29, s16
	v_add_f32_e32 v11, v11, v27
	v_cvt_f16_f32_e32 v28, v11
.LBB359_57:
	s_or_b32 exec_lo, exec_lo, s25
	v_and_b32_e32 v27, 0xffff, v28
	v_mov_b32_e32 v11, v28
.LBB359_58:
	s_or_b32 exec_lo, exec_lo, s24
	v_mov_b32_dpp v28, v27 row_shr:2 row_mask:0xf bank_mask:0xf
	s_mov_b32 s24, exec_lo
	v_cmpx_lt_u32_e32 1, v10
	s_cbranch_execz .LBB359_62
; %bb.59:
	v_cvt_f32_f16_e32 v27, v28
	v_cvt_f32_f16_e32 v29, v11
	v_cmp_u_f16_e64 s16, v28, v28
	v_min_f32_e32 v30, v27, v29
	v_max_f32_e32 v31, v27, v29
	v_cndmask_b32_e64 v30, v30, v27, s16
	v_cndmask_b32_e64 v31, v31, v27, s16
	v_cmp_u_f16_e64 s16, v11, v11
	v_cndmask_b32_e64 v27, v30, v29, s16
	v_cndmask_b32_e64 v11, v31, v29, s16
	v_cmp_class_f32_e64 s25, v27, 0x1f8
	v_cmp_neq_f32_e64 s16, v27, v11
	s_or_b32 s16, s16, s25
	s_and_saveexec_b32 s25, s16
	s_cbranch_execz .LBB359_61
; %bb.60:
	v_sub_f32_e32 v27, v27, v11
	v_mul_f32_e32 v28, 0x3fb8aa3b, v27
	v_cmp_ngt_f32_e64 s16, 0xc2ce8ed0, v27
	v_fma_f32 v29, 0x3fb8aa3b, v27, -v28
	v_rndne_f32_e32 v30, v28
	v_fmamk_f32 v29, v27, 0x32a5705f, v29
	v_sub_f32_e32 v28, v28, v30
	v_add_f32_e32 v28, v28, v29
	v_cvt_i32_f32_e32 v29, v30
	v_exp_f32_e32 v28, v28
	v_ldexp_f32 v28, v28, v29
	v_cndmask_b32_e64 v28, 0, v28, s16
	v_cmp_nlt_f32_e64 s16, 0x42b17218, v27
	v_cndmask_b32_e64 v29, 0x7f800000, v28, s16
	v_add_f32_e32 v30, 1.0, v29
	v_cvt_f64_f32_e32 v[27:28], v30
	v_frexp_exp_i32_f64_e32 v27, v[27:28]
	v_frexp_mant_f32_e32 v28, v30
	v_cmp_gt_f32_e64 s16, 0x3f2aaaab, v28
	v_add_f32_e32 v28, -1.0, v30
	v_sub_f32_e32 v32, v28, v30
	v_sub_f32_e32 v28, v29, v28
	v_add_f32_e32 v32, 1.0, v32
	v_add_f32_e32 v28, v28, v32
	v_subrev_co_ci_u32_e64 v27, null, 0, v27, s16
	s_mov_b32 s16, 0x3e9b6dac
	v_sub_nc_u32_e32 v31, 0, v27
	v_cvt_f32_i32_e32 v27, v27
	v_ldexp_f32 v30, v30, v31
	v_ldexp_f32 v28, v28, v31
	v_add_f32_e32 v33, 1.0, v30
	v_add_f32_e32 v31, -1.0, v30
	v_add_f32_e32 v32, -1.0, v33
	v_add_f32_e32 v34, 1.0, v31
	v_sub_f32_e32 v32, v30, v32
	v_sub_f32_e32 v30, v30, v34
	v_add_f32_e32 v32, v28, v32
	v_add_f32_e32 v28, v28, v30
	v_add_f32_e32 v34, v33, v32
	v_add_f32_e32 v35, v31, v28
	v_rcp_f32_e32 v30, v34
	v_sub_f32_e32 v33, v33, v34
	v_sub_f32_e32 v31, v31, v35
	v_add_f32_e32 v32, v32, v33
	v_add_f32_e32 v28, v28, v31
	v_mul_f32_e32 v36, v35, v30
	v_mul_f32_e32 v37, v34, v36
	v_fma_f32 v33, v36, v34, -v37
	v_fmac_f32_e32 v33, v36, v32
	v_add_f32_e32 v38, v37, v33
	v_sub_f32_e32 v39, v35, v38
	v_sub_f32_e32 v31, v38, v37
	;; [unrolled: 1-line block ×5, first 2 shown]
	v_add_f32_e32 v28, v28, v35
	v_add_f32_e32 v28, v31, v28
	;; [unrolled: 1-line block ×3, first 2 shown]
	v_mul_f32_e32 v33, v30, v31
	v_sub_f32_e32 v38, v39, v31
	v_mul_f32_e32 v35, v34, v33
	v_add_f32_e32 v28, v28, v38
	v_fma_f32 v34, v33, v34, -v35
	v_fmac_f32_e32 v34, v33, v32
	v_add_f32_e32 v32, v35, v34
	v_sub_f32_e32 v37, v31, v32
	v_sub_f32_e32 v35, v32, v35
	;; [unrolled: 1-line block ×5, first 2 shown]
	v_add_f32_e32 v28, v28, v31
	v_add_f32_e32 v31, v36, v33
	;; [unrolled: 1-line block ×3, first 2 shown]
	v_sub_f32_e32 v32, v31, v36
	v_add_f32_e32 v28, v37, v28
	v_sub_f32_e32 v32, v33, v32
	v_mul_f32_e32 v28, v30, v28
	v_add_f32_e32 v28, v32, v28
	v_add_f32_e32 v30, v31, v28
	v_mul_f32_e32 v32, v30, v30
	v_fmaak_f32 v33, s16, v32, 0x3ecc95a3
	v_mul_f32_e32 v34, v30, v32
	v_cmp_neq_f32_e64 s16, 0x7f800000, v29
	v_fmaak_f32 v32, v32, v33, 0x3f2aaada
	v_ldexp_f32 v33, v30, 1
	v_sub_f32_e32 v30, v30, v31
	v_mul_f32_e32 v32, v34, v32
	v_mul_f32_e32 v34, 0x3f317218, v27
	v_sub_f32_e32 v28, v28, v30
	v_add_f32_e32 v31, v33, v32
	v_ldexp_f32 v28, v28, 1
	v_sub_f32_e32 v30, v31, v33
	v_fma_f32 v33, 0x3f317218, v27, -v34
	v_sub_f32_e32 v30, v32, v30
	v_fmamk_f32 v27, v27, 0xb102e308, v33
	v_add_f32_e32 v28, v28, v30
	v_add_f32_e32 v30, v34, v27
	;; [unrolled: 1-line block ×3, first 2 shown]
	v_sub_f32_e32 v34, v30, v34
	v_add_f32_e32 v33, v30, v32
	v_sub_f32_e32 v31, v32, v31
	v_sub_f32_e32 v27, v27, v34
	;; [unrolled: 1-line block ×6, first 2 shown]
	v_add_f32_e32 v32, v27, v28
	v_sub_f32_e32 v30, v30, v36
	v_add_f32_e32 v30, v31, v30
	v_sub_f32_e32 v31, v32, v27
	;; [unrolled: 2-line block ×3, first 2 shown]
	v_sub_f32_e32 v28, v28, v31
	v_add_f32_e32 v34, v33, v30
	v_sub_f32_e32 v27, v27, v32
	v_sub_f32_e32 v31, v34, v33
	v_add_f32_e32 v27, v28, v27
	v_sub_f32_e32 v28, v30, v31
	v_add_f32_e32 v27, v27, v28
	v_add_f32_e32 v27, v34, v27
	v_cndmask_b32_e64 v27, 0x7f800000, v27, s16
	v_cmp_gt_f32_e64 s16, 0x33800000, |v29|
	v_cndmask_b32_e64 v27, v27, v29, s16
	v_add_f32_e32 v11, v11, v27
	v_cvt_f16_f32_e32 v28, v11
.LBB359_61:
	s_or_b32 exec_lo, exec_lo, s25
	v_and_b32_e32 v27, 0xffff, v28
	v_mov_b32_e32 v11, v28
.LBB359_62:
	s_or_b32 exec_lo, exec_lo, s24
	v_mov_b32_dpp v28, v27 row_shr:4 row_mask:0xf bank_mask:0xf
	s_mov_b32 s24, exec_lo
	v_cmpx_lt_u32_e32 3, v10
	s_cbranch_execz .LBB359_66
; %bb.63:
	v_cvt_f32_f16_e32 v27, v28
	v_cvt_f32_f16_e32 v29, v11
	v_cmp_u_f16_e64 s16, v28, v28
	v_min_f32_e32 v30, v27, v29
	v_max_f32_e32 v31, v27, v29
	v_cndmask_b32_e64 v30, v30, v27, s16
	v_cndmask_b32_e64 v31, v31, v27, s16
	v_cmp_u_f16_e64 s16, v11, v11
	v_cndmask_b32_e64 v27, v30, v29, s16
	v_cndmask_b32_e64 v11, v31, v29, s16
	v_cmp_class_f32_e64 s25, v27, 0x1f8
	v_cmp_neq_f32_e64 s16, v27, v11
	s_or_b32 s16, s16, s25
	s_and_saveexec_b32 s25, s16
	s_cbranch_execz .LBB359_65
; %bb.64:
	v_sub_f32_e32 v27, v27, v11
	v_mul_f32_e32 v28, 0x3fb8aa3b, v27
	v_cmp_ngt_f32_e64 s16, 0xc2ce8ed0, v27
	v_fma_f32 v29, 0x3fb8aa3b, v27, -v28
	v_rndne_f32_e32 v30, v28
	v_fmamk_f32 v29, v27, 0x32a5705f, v29
	v_sub_f32_e32 v28, v28, v30
	v_add_f32_e32 v28, v28, v29
	v_cvt_i32_f32_e32 v29, v30
	v_exp_f32_e32 v28, v28
	v_ldexp_f32 v28, v28, v29
	v_cndmask_b32_e64 v28, 0, v28, s16
	v_cmp_nlt_f32_e64 s16, 0x42b17218, v27
	v_cndmask_b32_e64 v29, 0x7f800000, v28, s16
	v_add_f32_e32 v30, 1.0, v29
	v_cvt_f64_f32_e32 v[27:28], v30
	v_frexp_exp_i32_f64_e32 v27, v[27:28]
	v_frexp_mant_f32_e32 v28, v30
	v_cmp_gt_f32_e64 s16, 0x3f2aaaab, v28
	v_add_f32_e32 v28, -1.0, v30
	v_sub_f32_e32 v32, v28, v30
	v_sub_f32_e32 v28, v29, v28
	v_add_f32_e32 v32, 1.0, v32
	v_add_f32_e32 v28, v28, v32
	v_subrev_co_ci_u32_e64 v27, null, 0, v27, s16
	s_mov_b32 s16, 0x3e9b6dac
	v_sub_nc_u32_e32 v31, 0, v27
	v_cvt_f32_i32_e32 v27, v27
	v_ldexp_f32 v30, v30, v31
	v_ldexp_f32 v28, v28, v31
	v_add_f32_e32 v33, 1.0, v30
	v_add_f32_e32 v31, -1.0, v30
	v_add_f32_e32 v32, -1.0, v33
	v_add_f32_e32 v34, 1.0, v31
	v_sub_f32_e32 v32, v30, v32
	v_sub_f32_e32 v30, v30, v34
	v_add_f32_e32 v32, v28, v32
	v_add_f32_e32 v28, v28, v30
	;; [unrolled: 1-line block ×4, first 2 shown]
	v_rcp_f32_e32 v30, v34
	v_sub_f32_e32 v33, v33, v34
	v_sub_f32_e32 v31, v31, v35
	v_add_f32_e32 v32, v32, v33
	v_add_f32_e32 v28, v28, v31
	v_mul_f32_e32 v36, v35, v30
	v_mul_f32_e32 v37, v34, v36
	v_fma_f32 v33, v36, v34, -v37
	v_fmac_f32_e32 v33, v36, v32
	v_add_f32_e32 v38, v37, v33
	v_sub_f32_e32 v39, v35, v38
	v_sub_f32_e32 v31, v38, v37
	;; [unrolled: 1-line block ×5, first 2 shown]
	v_add_f32_e32 v28, v28, v35
	v_add_f32_e32 v28, v31, v28
	;; [unrolled: 1-line block ×3, first 2 shown]
	v_mul_f32_e32 v33, v30, v31
	v_sub_f32_e32 v38, v39, v31
	v_mul_f32_e32 v35, v34, v33
	v_add_f32_e32 v28, v28, v38
	v_fma_f32 v34, v33, v34, -v35
	v_fmac_f32_e32 v34, v33, v32
	v_add_f32_e32 v32, v35, v34
	v_sub_f32_e32 v37, v31, v32
	v_sub_f32_e32 v35, v32, v35
	;; [unrolled: 1-line block ×5, first 2 shown]
	v_add_f32_e32 v28, v28, v31
	v_add_f32_e32 v31, v36, v33
	;; [unrolled: 1-line block ×3, first 2 shown]
	v_sub_f32_e32 v32, v31, v36
	v_add_f32_e32 v28, v37, v28
	v_sub_f32_e32 v32, v33, v32
	v_mul_f32_e32 v28, v30, v28
	v_add_f32_e32 v28, v32, v28
	v_add_f32_e32 v30, v31, v28
	v_mul_f32_e32 v32, v30, v30
	v_fmaak_f32 v33, s16, v32, 0x3ecc95a3
	v_mul_f32_e32 v34, v30, v32
	v_cmp_neq_f32_e64 s16, 0x7f800000, v29
	v_fmaak_f32 v32, v32, v33, 0x3f2aaada
	v_ldexp_f32 v33, v30, 1
	v_sub_f32_e32 v30, v30, v31
	v_mul_f32_e32 v32, v34, v32
	v_mul_f32_e32 v34, 0x3f317218, v27
	v_sub_f32_e32 v28, v28, v30
	v_add_f32_e32 v31, v33, v32
	v_ldexp_f32 v28, v28, 1
	v_sub_f32_e32 v30, v31, v33
	v_fma_f32 v33, 0x3f317218, v27, -v34
	v_sub_f32_e32 v30, v32, v30
	v_fmamk_f32 v27, v27, 0xb102e308, v33
	v_add_f32_e32 v28, v28, v30
	v_add_f32_e32 v30, v34, v27
	v_add_f32_e32 v32, v31, v28
	v_sub_f32_e32 v34, v30, v34
	v_add_f32_e32 v33, v30, v32
	v_sub_f32_e32 v31, v32, v31
	v_sub_f32_e32 v27, v27, v34
	v_sub_f32_e32 v35, v33, v30
	v_sub_f32_e32 v28, v28, v31
	v_sub_f32_e32 v36, v33, v35
	v_sub_f32_e32 v31, v32, v35
	v_add_f32_e32 v32, v27, v28
	v_sub_f32_e32 v30, v30, v36
	v_add_f32_e32 v30, v31, v30
	v_sub_f32_e32 v31, v32, v27
	;; [unrolled: 2-line block ×3, first 2 shown]
	v_sub_f32_e32 v28, v28, v31
	v_add_f32_e32 v34, v33, v30
	v_sub_f32_e32 v27, v27, v32
	v_sub_f32_e32 v31, v34, v33
	v_add_f32_e32 v27, v28, v27
	v_sub_f32_e32 v28, v30, v31
	v_add_f32_e32 v27, v27, v28
	v_add_f32_e32 v27, v34, v27
	v_cndmask_b32_e64 v27, 0x7f800000, v27, s16
	v_cmp_gt_f32_e64 s16, 0x33800000, |v29|
	v_cndmask_b32_e64 v27, v27, v29, s16
	v_add_f32_e32 v11, v11, v27
	v_cvt_f16_f32_e32 v28, v11
.LBB359_65:
	s_or_b32 exec_lo, exec_lo, s25
	v_and_b32_e32 v27, 0xffff, v28
	v_mov_b32_e32 v11, v28
.LBB359_66:
	s_or_b32 exec_lo, exec_lo, s24
	v_mov_b32_dpp v28, v27 row_shr:8 row_mask:0xf bank_mask:0xf
	s_mov_b32 s24, exec_lo
	v_cmpx_lt_u32_e32 7, v10
	s_cbranch_execz .LBB359_70
; %bb.67:
	v_cvt_f32_f16_e32 v10, v28
	v_cvt_f32_f16_e32 v27, v11
	v_cmp_u_f16_e64 s16, v28, v28
	v_min_f32_e32 v29, v10, v27
	v_max_f32_e32 v30, v10, v27
	v_cndmask_b32_e64 v29, v29, v10, s16
	v_cndmask_b32_e64 v10, v30, v10, s16
	v_cmp_u_f16_e64 s16, v11, v11
	v_cndmask_b32_e64 v11, v29, v27, s16
	v_cndmask_b32_e64 v10, v10, v27, s16
	v_cmp_class_f32_e64 s25, v11, 0x1f8
	v_cmp_neq_f32_e64 s16, v11, v10
	s_or_b32 s16, s16, s25
	s_and_saveexec_b32 s25, s16
	s_cbranch_execz .LBB359_69
; %bb.68:
	v_sub_f32_e32 v11, v11, v10
	v_mul_f32_e32 v27, 0x3fb8aa3b, v11
	v_cmp_ngt_f32_e64 s16, 0xc2ce8ed0, v11
	v_fma_f32 v28, 0x3fb8aa3b, v11, -v27
	v_rndne_f32_e32 v29, v27
	v_fmamk_f32 v28, v11, 0x32a5705f, v28
	v_sub_f32_e32 v27, v27, v29
	v_add_f32_e32 v27, v27, v28
	v_cvt_i32_f32_e32 v28, v29
	v_exp_f32_e32 v27, v27
	v_ldexp_f32 v27, v27, v28
	v_cndmask_b32_e64 v27, 0, v27, s16
	v_cmp_nlt_f32_e64 s16, 0x42b17218, v11
	v_cndmask_b32_e64 v11, 0x7f800000, v27, s16
	v_add_f32_e32 v29, 1.0, v11
	v_cvt_f64_f32_e32 v[27:28], v29
	v_frexp_exp_i32_f64_e32 v27, v[27:28]
	v_frexp_mant_f32_e32 v28, v29
	v_cmp_gt_f32_e64 s16, 0x3f2aaaab, v28
	v_add_f32_e32 v28, -1.0, v29
	v_sub_f32_e32 v31, v28, v29
	v_sub_f32_e32 v28, v11, v28
	v_add_f32_e32 v31, 1.0, v31
	v_add_f32_e32 v28, v28, v31
	v_subrev_co_ci_u32_e64 v27, null, 0, v27, s16
	s_mov_b32 s16, 0x3e9b6dac
	v_sub_nc_u32_e32 v30, 0, v27
	v_cvt_f32_i32_e32 v27, v27
	v_ldexp_f32 v29, v29, v30
	v_ldexp_f32 v28, v28, v30
	v_add_f32_e32 v32, 1.0, v29
	v_add_f32_e32 v30, -1.0, v29
	v_add_f32_e32 v31, -1.0, v32
	v_add_f32_e32 v33, 1.0, v30
	v_sub_f32_e32 v31, v29, v31
	v_sub_f32_e32 v29, v29, v33
	v_add_f32_e32 v31, v28, v31
	v_add_f32_e32 v28, v28, v29
	;; [unrolled: 1-line block ×4, first 2 shown]
	v_rcp_f32_e32 v29, v33
	v_sub_f32_e32 v32, v32, v33
	v_sub_f32_e32 v30, v30, v34
	v_add_f32_e32 v31, v31, v32
	v_add_f32_e32 v28, v28, v30
	v_mul_f32_e32 v35, v34, v29
	v_mul_f32_e32 v36, v33, v35
	v_fma_f32 v32, v35, v33, -v36
	v_fmac_f32_e32 v32, v35, v31
	v_add_f32_e32 v37, v36, v32
	v_sub_f32_e32 v38, v34, v37
	v_sub_f32_e32 v30, v37, v36
	;; [unrolled: 1-line block ×5, first 2 shown]
	v_add_f32_e32 v28, v28, v34
	v_add_f32_e32 v28, v30, v28
	;; [unrolled: 1-line block ×3, first 2 shown]
	v_mul_f32_e32 v32, v29, v30
	v_sub_f32_e32 v37, v38, v30
	v_mul_f32_e32 v34, v33, v32
	v_add_f32_e32 v28, v28, v37
	v_fma_f32 v33, v32, v33, -v34
	v_fmac_f32_e32 v33, v32, v31
	v_add_f32_e32 v31, v34, v33
	v_sub_f32_e32 v36, v30, v31
	v_sub_f32_e32 v34, v31, v34
	;; [unrolled: 1-line block ×5, first 2 shown]
	v_add_f32_e32 v28, v28, v30
	v_add_f32_e32 v30, v35, v32
	;; [unrolled: 1-line block ×3, first 2 shown]
	v_sub_f32_e32 v31, v30, v35
	v_add_f32_e32 v28, v36, v28
	v_sub_f32_e32 v31, v32, v31
	v_mul_f32_e32 v28, v29, v28
	v_add_f32_e32 v28, v31, v28
	v_add_f32_e32 v29, v30, v28
	v_mul_f32_e32 v31, v29, v29
	v_fmaak_f32 v32, s16, v31, 0x3ecc95a3
	v_mul_f32_e32 v33, v29, v31
	v_cmp_neq_f32_e64 s16, 0x7f800000, v11
	v_fmaak_f32 v31, v31, v32, 0x3f2aaada
	v_ldexp_f32 v32, v29, 1
	v_sub_f32_e32 v29, v29, v30
	v_mul_f32_e32 v31, v33, v31
	v_mul_f32_e32 v33, 0x3f317218, v27
	v_sub_f32_e32 v28, v28, v29
	v_add_f32_e32 v30, v32, v31
	v_ldexp_f32 v28, v28, 1
	v_sub_f32_e32 v29, v30, v32
	v_fma_f32 v32, 0x3f317218, v27, -v33
	v_sub_f32_e32 v29, v31, v29
	v_fmamk_f32 v27, v27, 0xb102e308, v32
	v_add_f32_e32 v28, v28, v29
	v_add_f32_e32 v29, v33, v27
	;; [unrolled: 1-line block ×3, first 2 shown]
	v_sub_f32_e32 v33, v29, v33
	v_add_f32_e32 v32, v29, v31
	v_sub_f32_e32 v30, v31, v30
	v_sub_f32_e32 v27, v27, v33
	;; [unrolled: 1-line block ×6, first 2 shown]
	v_add_f32_e32 v31, v27, v28
	v_sub_f32_e32 v29, v29, v35
	v_add_f32_e32 v29, v30, v29
	v_sub_f32_e32 v30, v31, v27
	;; [unrolled: 2-line block ×3, first 2 shown]
	v_sub_f32_e32 v28, v28, v30
	v_add_f32_e32 v33, v32, v29
	v_sub_f32_e32 v27, v27, v31
	v_sub_f32_e32 v30, v33, v32
	v_add_f32_e32 v27, v28, v27
	v_sub_f32_e32 v28, v29, v30
	v_add_f32_e32 v27, v27, v28
	v_add_f32_e32 v27, v33, v27
	v_cndmask_b32_e64 v27, 0x7f800000, v27, s16
	v_cmp_gt_f32_e64 s16, 0x33800000, |v11|
	v_cndmask_b32_e64 v11, v27, v11, s16
	v_add_f32_e32 v10, v10, v11
	v_cvt_f16_f32_e32 v28, v10
.LBB359_69:
	s_or_b32 exec_lo, exec_lo, s25
	v_and_b32_e32 v27, 0xffff, v28
	v_mov_b32_e32 v11, v28
.LBB359_70:
	s_or_b32 exec_lo, exec_lo, s24
	ds_swizzle_b32 v27, v27 offset:swizzle(BROADCAST,32,15)
	v_and_b32_e32 v10, 16, v9
	s_mov_b32 s24, exec_lo
	v_cmpx_ne_u32_e32 0, v10
	s_cbranch_execz .LBB359_74
; %bb.71:
	s_waitcnt lgkmcnt(0)
	v_cvt_f32_f16_e32 v10, v27
	v_cvt_f32_f16_e32 v28, v11
	v_cmp_u_f16_e64 s16, v27, v27
	v_min_f32_e32 v29, v10, v28
	v_max_f32_e32 v30, v10, v28
	v_cndmask_b32_e64 v29, v29, v10, s16
	v_cndmask_b32_e64 v10, v30, v10, s16
	v_cmp_u_f16_e64 s16, v11, v11
	v_cndmask_b32_e64 v11, v29, v28, s16
	v_cndmask_b32_e64 v10, v10, v28, s16
	v_cmp_class_f32_e64 s25, v11, 0x1f8
	v_cmp_neq_f32_e64 s16, v11, v10
	s_or_b32 s16, s16, s25
	s_and_saveexec_b32 s25, s16
	s_cbranch_execz .LBB359_73
; %bb.72:
	v_sub_f32_e32 v11, v11, v10
	v_mul_f32_e32 v27, 0x3fb8aa3b, v11
	v_cmp_ngt_f32_e64 s16, 0xc2ce8ed0, v11
	v_fma_f32 v28, 0x3fb8aa3b, v11, -v27
	v_rndne_f32_e32 v29, v27
	v_fmamk_f32 v28, v11, 0x32a5705f, v28
	v_sub_f32_e32 v27, v27, v29
	v_add_f32_e32 v27, v27, v28
	v_cvt_i32_f32_e32 v28, v29
	v_exp_f32_e32 v27, v27
	v_ldexp_f32 v27, v27, v28
	v_cndmask_b32_e64 v27, 0, v27, s16
	v_cmp_nlt_f32_e64 s16, 0x42b17218, v11
	v_cndmask_b32_e64 v11, 0x7f800000, v27, s16
	v_add_f32_e32 v29, 1.0, v11
	v_cvt_f64_f32_e32 v[27:28], v29
	v_frexp_exp_i32_f64_e32 v27, v[27:28]
	v_frexp_mant_f32_e32 v28, v29
	v_cmp_gt_f32_e64 s16, 0x3f2aaaab, v28
	v_add_f32_e32 v28, -1.0, v29
	v_sub_f32_e32 v31, v28, v29
	v_sub_f32_e32 v28, v11, v28
	v_add_f32_e32 v31, 1.0, v31
	v_add_f32_e32 v28, v28, v31
	v_subrev_co_ci_u32_e64 v27, null, 0, v27, s16
	s_mov_b32 s16, 0x3e9b6dac
	v_sub_nc_u32_e32 v30, 0, v27
	v_cvt_f32_i32_e32 v27, v27
	v_ldexp_f32 v29, v29, v30
	v_ldexp_f32 v28, v28, v30
	v_add_f32_e32 v32, 1.0, v29
	v_add_f32_e32 v30, -1.0, v29
	v_add_f32_e32 v31, -1.0, v32
	v_add_f32_e32 v33, 1.0, v30
	v_sub_f32_e32 v31, v29, v31
	v_sub_f32_e32 v29, v29, v33
	v_add_f32_e32 v31, v28, v31
	v_add_f32_e32 v28, v28, v29
	;; [unrolled: 1-line block ×4, first 2 shown]
	v_rcp_f32_e32 v29, v33
	v_sub_f32_e32 v32, v32, v33
	v_sub_f32_e32 v30, v30, v34
	v_add_f32_e32 v31, v31, v32
	v_add_f32_e32 v28, v28, v30
	v_mul_f32_e32 v35, v34, v29
	v_mul_f32_e32 v36, v33, v35
	v_fma_f32 v32, v35, v33, -v36
	v_fmac_f32_e32 v32, v35, v31
	v_add_f32_e32 v37, v36, v32
	v_sub_f32_e32 v38, v34, v37
	v_sub_f32_e32 v30, v37, v36
	;; [unrolled: 1-line block ×5, first 2 shown]
	v_add_f32_e32 v28, v28, v34
	v_add_f32_e32 v28, v30, v28
	;; [unrolled: 1-line block ×3, first 2 shown]
	v_mul_f32_e32 v32, v29, v30
	v_sub_f32_e32 v37, v38, v30
	v_mul_f32_e32 v34, v33, v32
	v_add_f32_e32 v28, v28, v37
	v_fma_f32 v33, v32, v33, -v34
	v_fmac_f32_e32 v33, v32, v31
	v_add_f32_e32 v31, v34, v33
	v_sub_f32_e32 v36, v30, v31
	v_sub_f32_e32 v34, v31, v34
	;; [unrolled: 1-line block ×5, first 2 shown]
	v_add_f32_e32 v28, v28, v30
	v_add_f32_e32 v30, v35, v32
	;; [unrolled: 1-line block ×3, first 2 shown]
	v_sub_f32_e32 v31, v30, v35
	v_add_f32_e32 v28, v36, v28
	v_sub_f32_e32 v31, v32, v31
	v_mul_f32_e32 v28, v29, v28
	v_add_f32_e32 v28, v31, v28
	v_add_f32_e32 v29, v30, v28
	v_mul_f32_e32 v31, v29, v29
	v_fmaak_f32 v32, s16, v31, 0x3ecc95a3
	v_mul_f32_e32 v33, v29, v31
	v_cmp_neq_f32_e64 s16, 0x7f800000, v11
	v_fmaak_f32 v31, v31, v32, 0x3f2aaada
	v_ldexp_f32 v32, v29, 1
	v_sub_f32_e32 v29, v29, v30
	v_mul_f32_e32 v31, v33, v31
	v_mul_f32_e32 v33, 0x3f317218, v27
	v_sub_f32_e32 v28, v28, v29
	v_add_f32_e32 v30, v32, v31
	v_ldexp_f32 v28, v28, 1
	v_sub_f32_e32 v29, v30, v32
	v_fma_f32 v32, 0x3f317218, v27, -v33
	v_sub_f32_e32 v29, v31, v29
	v_fmamk_f32 v27, v27, 0xb102e308, v32
	v_add_f32_e32 v28, v28, v29
	v_add_f32_e32 v29, v33, v27
	;; [unrolled: 1-line block ×3, first 2 shown]
	v_sub_f32_e32 v33, v29, v33
	v_add_f32_e32 v32, v29, v31
	v_sub_f32_e32 v30, v31, v30
	v_sub_f32_e32 v27, v27, v33
	;; [unrolled: 1-line block ×6, first 2 shown]
	v_add_f32_e32 v31, v27, v28
	v_sub_f32_e32 v29, v29, v35
	v_add_f32_e32 v29, v30, v29
	v_sub_f32_e32 v30, v31, v27
	;; [unrolled: 2-line block ×3, first 2 shown]
	v_sub_f32_e32 v28, v28, v30
	v_add_f32_e32 v33, v32, v29
	v_sub_f32_e32 v27, v27, v31
	v_sub_f32_e32 v30, v33, v32
	v_add_f32_e32 v27, v28, v27
	v_sub_f32_e32 v28, v29, v30
	v_add_f32_e32 v27, v27, v28
	v_add_f32_e32 v27, v33, v27
	v_cndmask_b32_e64 v27, 0x7f800000, v27, s16
	v_cmp_gt_f32_e64 s16, 0x33800000, |v11|
	v_cndmask_b32_e64 v11, v27, v11, s16
	v_add_f32_e32 v10, v10, v11
	v_cvt_f16_f32_e32 v27, v10
.LBB359_73:
	s_or_b32 exec_lo, exec_lo, s25
	v_mov_b32_e32 v11, v27
.LBB359_74:
	s_or_b32 exec_lo, exec_lo, s24
	v_add_nc_u32_e32 v10, -1, v9
	v_cmp_gt_i32_e64 s16, 0, v10
	v_cndmask_b32_e64 v9, v10, v9, s16
	v_and_b32_e32 v10, 0xffff, v11
	v_lshlrev_b32_e32 v9, 2, v9
	ds_bpermute_b32 v9, v9, v10
	v_max_f32_e32 v10, v8, v8
	s_waitcnt lgkmcnt(0)
	v_cvt_f32_f16_e32 v11, v9
	v_cmp_u_f16_e64 s16, v9, v9
	v_min_f32_e32 v27, v11, v10
	v_max_f32_e32 v10, v11, v10
	v_cndmask_b32_e64 v27, v27, v11, s16
	v_cndmask_b32_e64 v11, v10, v11, s16
	;; [unrolled: 1-line block ×4, first 2 shown]
	v_cmp_class_f32_e64 s16, v10, 0x1f8
	v_cmp_neq_f32_e64 s15, v10, v8
	s_or_b32 s15, s15, s16
	s_and_saveexec_b32 s16, s15
	s_cbranch_execz .LBB359_76
; %bb.75:
	v_sub_f32_e32 v9, v10, v8
	v_mul_f32_e32 v10, 0x3fb8aa3b, v9
	v_cmp_ngt_f32_e64 s15, 0xc2ce8ed0, v9
	v_fma_f32 v11, 0x3fb8aa3b, v9, -v10
	v_rndne_f32_e32 v27, v10
	v_fmamk_f32 v11, v9, 0x32a5705f, v11
	v_sub_f32_e32 v10, v10, v27
	v_add_f32_e32 v10, v10, v11
	v_cvt_i32_f32_e32 v11, v27
	v_exp_f32_e32 v10, v10
	v_ldexp_f32 v10, v10, v11
	v_cndmask_b32_e64 v10, 0, v10, s15
	v_cmp_nlt_f32_e64 s15, 0x42b17218, v9
	v_cndmask_b32_e64 v11, 0x7f800000, v10, s15
	v_add_f32_e32 v27, 1.0, v11
	v_cvt_f64_f32_e32 v[9:10], v27
	v_frexp_exp_i32_f64_e32 v9, v[9:10]
	v_frexp_mant_f32_e32 v10, v27
	v_cmp_gt_f32_e64 s15, 0x3f2aaaab, v10
	v_add_f32_e32 v10, -1.0, v27
	v_sub_f32_e32 v29, v10, v27
	v_sub_f32_e32 v10, v11, v10
	v_add_f32_e32 v29, 1.0, v29
	v_add_f32_e32 v10, v10, v29
	v_subrev_co_ci_u32_e64 v9, null, 0, v9, s15
	s_mov_b32 s15, 0x3e9b6dac
	v_sub_nc_u32_e32 v28, 0, v9
	v_cvt_f32_i32_e32 v9, v9
	v_ldexp_f32 v27, v27, v28
	v_ldexp_f32 v10, v10, v28
	v_add_f32_e32 v30, 1.0, v27
	v_add_f32_e32 v28, -1.0, v27
	v_add_f32_e32 v29, -1.0, v30
	v_add_f32_e32 v31, 1.0, v28
	v_sub_f32_e32 v29, v27, v29
	v_sub_f32_e32 v27, v27, v31
	v_add_f32_e32 v29, v10, v29
	v_add_f32_e32 v10, v10, v27
	v_add_f32_e32 v31, v30, v29
	v_add_f32_e32 v32, v28, v10
	v_rcp_f32_e32 v27, v31
	v_sub_f32_e32 v30, v30, v31
	v_sub_f32_e32 v28, v28, v32
	v_add_f32_e32 v29, v29, v30
	v_add_f32_e32 v10, v10, v28
	v_mul_f32_e32 v33, v32, v27
	v_mul_f32_e32 v34, v31, v33
	v_fma_f32 v30, v33, v31, -v34
	v_fmac_f32_e32 v30, v33, v29
	v_add_f32_e32 v35, v34, v30
	v_sub_f32_e32 v36, v32, v35
	v_sub_f32_e32 v28, v35, v34
	;; [unrolled: 1-line block ×5, first 2 shown]
	v_add_f32_e32 v10, v10, v32
	v_add_f32_e32 v10, v28, v10
	;; [unrolled: 1-line block ×3, first 2 shown]
	v_mul_f32_e32 v30, v27, v28
	v_sub_f32_e32 v35, v36, v28
	v_mul_f32_e32 v32, v31, v30
	v_add_f32_e32 v10, v10, v35
	v_fma_f32 v31, v30, v31, -v32
	v_fmac_f32_e32 v31, v30, v29
	v_add_f32_e32 v29, v32, v31
	v_sub_f32_e32 v34, v28, v29
	v_sub_f32_e32 v32, v29, v32
	;; [unrolled: 1-line block ×5, first 2 shown]
	v_add_f32_e32 v10, v10, v28
	v_add_f32_e32 v28, v33, v30
	;; [unrolled: 1-line block ×3, first 2 shown]
	v_sub_f32_e32 v29, v28, v33
	v_add_f32_e32 v10, v34, v10
	v_sub_f32_e32 v29, v30, v29
	v_mul_f32_e32 v10, v27, v10
	v_add_f32_e32 v10, v29, v10
	v_add_f32_e32 v27, v28, v10
	v_mul_f32_e32 v29, v27, v27
	v_fmaak_f32 v30, s15, v29, 0x3ecc95a3
	v_mul_f32_e32 v31, v27, v29
	v_cmp_neq_f32_e64 s15, 0x7f800000, v11
	v_fmaak_f32 v29, v29, v30, 0x3f2aaada
	v_ldexp_f32 v30, v27, 1
	v_sub_f32_e32 v27, v27, v28
	v_mul_f32_e32 v29, v31, v29
	v_mul_f32_e32 v31, 0x3f317218, v9
	v_sub_f32_e32 v10, v10, v27
	v_add_f32_e32 v28, v30, v29
	v_ldexp_f32 v10, v10, 1
	v_sub_f32_e32 v27, v28, v30
	v_fma_f32 v30, 0x3f317218, v9, -v31
	v_sub_f32_e32 v27, v29, v27
	v_fmamk_f32 v9, v9, 0xb102e308, v30
	v_add_f32_e32 v10, v10, v27
	v_add_f32_e32 v27, v31, v9
	;; [unrolled: 1-line block ×3, first 2 shown]
	v_sub_f32_e32 v31, v27, v31
	v_add_f32_e32 v30, v27, v29
	v_sub_f32_e32 v28, v29, v28
	v_sub_f32_e32 v9, v9, v31
	;; [unrolled: 1-line block ×6, first 2 shown]
	v_add_f32_e32 v29, v9, v10
	v_sub_f32_e32 v27, v27, v33
	v_add_f32_e32 v27, v28, v27
	v_sub_f32_e32 v28, v29, v9
	;; [unrolled: 2-line block ×3, first 2 shown]
	v_sub_f32_e32 v10, v10, v28
	v_add_f32_e32 v31, v30, v27
	v_sub_f32_e32 v9, v9, v29
	v_sub_f32_e32 v28, v31, v30
	v_add_f32_e32 v9, v10, v9
	v_sub_f32_e32 v10, v27, v28
	v_add_f32_e32 v9, v9, v10
	v_add_f32_e32 v9, v31, v9
	v_cndmask_b32_e64 v9, 0x7f800000, v9, s15
	v_cmp_gt_f32_e64 s15, 0x33800000, |v11|
	v_cndmask_b32_e64 v9, v9, v11, s15
	v_add_f32_e32 v8, v8, v9
	v_cvt_f16_f32_e32 v9, v8
.LBB359_76:
	s_or_b32 exec_lo, exec_lo, s16
	v_cmp_eq_u32_e64 s15, 0, v0
	; wave barrier
	v_cndmask_b32_e64 v9, v9, v26, s15
	ds_write_b16 v7, v9
	; wave barrier
	ds_read_u16 v8, v7 offset:2
	v_cvt_f32_f16_e32 v10, v9
	v_cmp_u_f16_e64 s15, v9, v9
	s_waitcnt lgkmcnt(0)
	v_cvt_f32_f16_e32 v11, v8
	v_min_f32_e32 v27, v10, v11
	v_max_f32_e32 v28, v10, v11
	v_cndmask_b32_e64 v27, v27, v10, s15
	v_cndmask_b32_e64 v28, v28, v10, s15
	v_cmp_u_f16_e64 s15, v8, v8
	v_cndmask_b32_e64 v10, v27, v11, s15
	v_cndmask_b32_e64 v8, v28, v11, s15
	v_cmp_class_f32_e64 s16, v10, 0x1f8
	v_cmp_neq_f32_e64 s15, v10, v8
	s_or_b32 s15, s15, s16
	s_and_saveexec_b32 s16, s15
	s_cbranch_execz .LBB359_78
; %bb.77:
	v_sub_f32_e32 v9, v10, v8
	v_mul_f32_e32 v10, 0x3fb8aa3b, v9
	v_cmp_ngt_f32_e64 s15, 0xc2ce8ed0, v9
	v_fma_f32 v11, 0x3fb8aa3b, v9, -v10
	v_rndne_f32_e32 v27, v10
	v_fmamk_f32 v11, v9, 0x32a5705f, v11
	v_sub_f32_e32 v10, v10, v27
	v_add_f32_e32 v10, v10, v11
	v_cvt_i32_f32_e32 v11, v27
	v_exp_f32_e32 v10, v10
	v_ldexp_f32 v10, v10, v11
	v_cndmask_b32_e64 v10, 0, v10, s15
	v_cmp_nlt_f32_e64 s15, 0x42b17218, v9
	v_cndmask_b32_e64 v11, 0x7f800000, v10, s15
	v_add_f32_e32 v27, 1.0, v11
	v_cvt_f64_f32_e32 v[9:10], v27
	v_frexp_exp_i32_f64_e32 v9, v[9:10]
	v_frexp_mant_f32_e32 v10, v27
	v_cmp_gt_f32_e64 s15, 0x3f2aaaab, v10
	v_add_f32_e32 v10, -1.0, v27
	v_sub_f32_e32 v29, v10, v27
	v_sub_f32_e32 v10, v11, v10
	v_add_f32_e32 v29, 1.0, v29
	v_add_f32_e32 v10, v10, v29
	v_subrev_co_ci_u32_e64 v9, null, 0, v9, s15
	s_mov_b32 s15, 0x3e9b6dac
	v_sub_nc_u32_e32 v28, 0, v9
	v_cvt_f32_i32_e32 v9, v9
	v_ldexp_f32 v27, v27, v28
	v_ldexp_f32 v10, v10, v28
	v_add_f32_e32 v30, 1.0, v27
	v_add_f32_e32 v28, -1.0, v27
	v_add_f32_e32 v29, -1.0, v30
	v_add_f32_e32 v31, 1.0, v28
	v_sub_f32_e32 v29, v27, v29
	v_sub_f32_e32 v27, v27, v31
	v_add_f32_e32 v29, v10, v29
	v_add_f32_e32 v10, v10, v27
	;; [unrolled: 1-line block ×4, first 2 shown]
	v_rcp_f32_e32 v27, v31
	v_sub_f32_e32 v30, v30, v31
	v_sub_f32_e32 v28, v28, v32
	v_add_f32_e32 v29, v29, v30
	v_add_f32_e32 v10, v10, v28
	v_mul_f32_e32 v33, v32, v27
	v_mul_f32_e32 v34, v31, v33
	v_fma_f32 v30, v33, v31, -v34
	v_fmac_f32_e32 v30, v33, v29
	v_add_f32_e32 v35, v34, v30
	v_sub_f32_e32 v36, v32, v35
	v_sub_f32_e32 v28, v35, v34
	;; [unrolled: 1-line block ×5, first 2 shown]
	v_add_f32_e32 v10, v10, v32
	v_add_f32_e32 v10, v28, v10
	;; [unrolled: 1-line block ×3, first 2 shown]
	v_mul_f32_e32 v30, v27, v28
	v_sub_f32_e32 v35, v36, v28
	v_mul_f32_e32 v32, v31, v30
	v_add_f32_e32 v10, v10, v35
	v_fma_f32 v31, v30, v31, -v32
	v_fmac_f32_e32 v31, v30, v29
	v_add_f32_e32 v29, v32, v31
	v_sub_f32_e32 v34, v28, v29
	v_sub_f32_e32 v32, v29, v32
	v_sub_f32_e32 v28, v28, v34
	v_sub_f32_e32 v28, v28, v29
	v_sub_f32_e32 v29, v32, v31
	v_add_f32_e32 v10, v10, v28
	v_add_f32_e32 v28, v33, v30
	;; [unrolled: 1-line block ×3, first 2 shown]
	v_sub_f32_e32 v29, v28, v33
	v_add_f32_e32 v10, v34, v10
	v_sub_f32_e32 v29, v30, v29
	v_mul_f32_e32 v10, v27, v10
	v_add_f32_e32 v10, v29, v10
	v_add_f32_e32 v27, v28, v10
	v_mul_f32_e32 v29, v27, v27
	v_fmaak_f32 v30, s15, v29, 0x3ecc95a3
	v_mul_f32_e32 v31, v27, v29
	v_cmp_neq_f32_e64 s15, 0x7f800000, v11
	v_fmaak_f32 v29, v29, v30, 0x3f2aaada
	v_ldexp_f32 v30, v27, 1
	v_sub_f32_e32 v27, v27, v28
	v_mul_f32_e32 v29, v31, v29
	v_mul_f32_e32 v31, 0x3f317218, v9
	v_sub_f32_e32 v10, v10, v27
	v_add_f32_e32 v28, v30, v29
	v_ldexp_f32 v10, v10, 1
	v_sub_f32_e32 v27, v28, v30
	v_fma_f32 v30, 0x3f317218, v9, -v31
	v_sub_f32_e32 v27, v29, v27
	v_fmamk_f32 v9, v9, 0xb102e308, v30
	v_add_f32_e32 v10, v10, v27
	v_add_f32_e32 v27, v31, v9
	;; [unrolled: 1-line block ×3, first 2 shown]
	v_sub_f32_e32 v31, v27, v31
	v_add_f32_e32 v30, v27, v29
	v_sub_f32_e32 v28, v29, v28
	v_sub_f32_e32 v9, v9, v31
	;; [unrolled: 1-line block ×6, first 2 shown]
	v_add_f32_e32 v29, v9, v10
	v_sub_f32_e32 v27, v27, v33
	v_add_f32_e32 v27, v28, v27
	v_sub_f32_e32 v28, v29, v9
	;; [unrolled: 2-line block ×3, first 2 shown]
	v_sub_f32_e32 v10, v10, v28
	v_add_f32_e32 v31, v30, v27
	v_sub_f32_e32 v9, v9, v29
	v_sub_f32_e32 v28, v31, v30
	v_add_f32_e32 v9, v10, v9
	v_sub_f32_e32 v10, v27, v28
	v_add_f32_e32 v9, v9, v10
	v_add_f32_e32 v9, v31, v9
	v_cndmask_b32_e64 v9, 0x7f800000, v9, s15
	v_cmp_gt_f32_e64 s15, 0x33800000, |v11|
	v_cndmask_b32_e64 v9, v9, v11, s15
	v_add_f32_e32 v8, v8, v9
	v_cvt_f16_f32_e32 v9, v8
.LBB359_78:
	s_or_b32 exec_lo, exec_lo, s16
	ds_write_b16 v7, v9 offset:2
.LBB359_79:
	s_or_b32 exec_lo, exec_lo, s17
	v_cmp_eq_u32_e64 s16, 0, v0
	v_cmp_ne_u32_e64 s15, 0, v0
	s_waitcnt lgkmcnt(0)
	s_barrier
	buffer_gl0_inv
	s_and_saveexec_b32 s17, s15
	s_cbranch_execz .LBB359_81
; %bb.80:
	v_add_nc_u32_e32 v7, -1, v0
	v_lshrrev_b32_e32 v8, 4, v7
	v_and_b32_e32 v8, 0xffffffe, v8
	v_lshl_add_u32 v7, v7, 1, v8
	ds_read_u16 v26, v7
.LBB359_81:
	s_or_b32 exec_lo, exec_lo, s17
	s_and_saveexec_b32 s26, vcc_lo
	s_cbranch_execz .LBB359_145
; %bb.82:
	v_mov_b32_e32 v9, 0
	v_mbcnt_lo_u32_b32 v28, -1, 0
	s_mov_b32 s25, 0
	ds_read_u16 v27, v9 offset:128
	v_cmp_eq_u32_e64 s17, 0, v28
	s_and_saveexec_b32 s27, s17
	s_cbranch_execz .LBB359_84
; %bb.83:
	s_add_i32 s24, s6, 32
	s_waitcnt lgkmcnt(0)
	v_or_b32_e32 v7, 0x10000, v27
	s_lshl_b64 s[24:25], s[24:25], 2
	s_add_u32 s24, s34, s24
	s_addc_u32 s25, s35, s25
	global_store_dword v9, v7, s[24:25]
.LBB359_84:
	s_or_b32 exec_lo, exec_lo, s27
	v_xad_u32 v7, v28, -1, s6
	v_add_nc_u32_e32 v8, 32, v7
	v_lshlrev_b64 v[10:11], 2, v[8:9]
	v_add_co_u32 v10, vcc_lo, s34, v10
	v_add_co_ci_u32_e64 v11, null, s35, v11, vcc_lo
	global_load_dword v41, v[10:11], off glc dlc
	s_waitcnt vmcnt(0)
	v_lshrrev_b32_e32 v29, 16, v41
	v_cmp_eq_u16_sdwa s25, v29, v9 src0_sel:BYTE_0 src1_sel:DWORD
	s_and_saveexec_b32 s24, s25
	s_cbranch_execz .LBB359_88
; %bb.85:
	v_mov_b32_e32 v8, 0
	s_mov_b32 s25, 0
.LBB359_86:                             ; =>This Inner Loop Header: Depth=1
	global_load_dword v41, v[10:11], off glc dlc
	s_waitcnt vmcnt(0)
	v_lshrrev_b32_e32 v29, 16, v41
	v_cmp_ne_u16_sdwa s27, v29, v8 src0_sel:BYTE_0 src1_sel:DWORD
	s_or_b32 s25, s27, s25
	s_andn2_b32 exec_lo, exec_lo, s25
	s_cbranch_execnz .LBB359_86
; %bb.87:
	s_or_b32 exec_lo, exec_lo, s25
.LBB359_88:
	s_or_b32 exec_lo, exec_lo, s24
	v_cmp_ne_u32_e32 vcc_lo, 31, v28
	v_mov_b32_e32 v10, 2
	v_and_b32_e32 v9, 0xffff, v41
	v_lshlrev_b32_e64 v30, v28, -1
	v_add_co_ci_u32_e64 v8, null, 0, v28, vcc_lo
	v_cmp_eq_u16_sdwa s24, v29, v10 src0_sel:BYTE_0 src1_sel:DWORD
	v_lshlrev_b32_e32 v11, 2, v8
	v_and_or_b32 v8, s24, v30, 0x80000000
	s_mov_b32 s24, exec_lo
	ds_bpermute_b32 v10, v11, v9
	v_ffbl_b32_e32 v8, v8
	v_cmpx_lt_u32_e64 v28, v8
	s_cbranch_execz .LBB359_92
; %bb.89:
	s_waitcnt lgkmcnt(0)
	v_cvt_f32_f16_e32 v9, v10
	v_cvt_f32_f16_e32 v32, v41
	v_cmp_u_f16_e32 vcc_lo, v10, v10
	v_min_f32_e32 v31, v9, v32
	v_max_f32_e32 v33, v9, v32
	v_cndmask_b32_e32 v31, v31, v9, vcc_lo
	v_cndmask_b32_e32 v9, v33, v9, vcc_lo
	v_cmp_u_f16_e32 vcc_lo, v41, v41
	v_cndmask_b32_e32 v31, v31, v32, vcc_lo
	v_cndmask_b32_e32 v9, v9, v32, vcc_lo
	v_cmp_class_f32_e64 s25, v31, 0x1f8
	v_cmp_neq_f32_e32 vcc_lo, v31, v9
	s_or_b32 s27, vcc_lo, s25
	s_and_saveexec_b32 s25, s27
	s_cbranch_execz .LBB359_91
; %bb.90:
	v_sub_f32_e32 v10, v31, v9
	s_mov_b32 s27, 0x3e9b6dac
	v_mul_f32_e32 v31, 0x3fb8aa3b, v10
	v_cmp_ngt_f32_e32 vcc_lo, 0xc2ce8ed0, v10
	v_fma_f32 v32, 0x3fb8aa3b, v10, -v31
	v_rndne_f32_e32 v33, v31
	v_fmamk_f32 v32, v10, 0x32a5705f, v32
	v_sub_f32_e32 v31, v31, v33
	v_add_f32_e32 v31, v31, v32
	v_cvt_i32_f32_e32 v32, v33
	v_exp_f32_e32 v31, v31
	v_ldexp_f32 v31, v31, v32
	v_cndmask_b32_e32 v31, 0, v31, vcc_lo
	v_cmp_nlt_f32_e32 vcc_lo, 0x42b17218, v10
	v_cndmask_b32_e32 v10, 0x7f800000, v31, vcc_lo
	v_add_f32_e32 v33, 1.0, v10
	v_cvt_f64_f32_e32 v[31:32], v33
	v_frexp_exp_i32_f64_e32 v31, v[31:32]
	v_frexp_mant_f32_e32 v32, v33
	v_cmp_gt_f32_e32 vcc_lo, 0x3f2aaaab, v32
	v_add_f32_e32 v32, -1.0, v33
	v_sub_f32_e32 v35, v32, v33
	v_sub_f32_e32 v32, v10, v32
	v_add_f32_e32 v35, 1.0, v35
	v_add_f32_e32 v32, v32, v35
	v_subrev_co_ci_u32_e64 v31, null, 0, v31, vcc_lo
	v_cmp_neq_f32_e32 vcc_lo, 0x7f800000, v10
	v_sub_nc_u32_e32 v34, 0, v31
	v_cvt_f32_i32_e32 v31, v31
	v_ldexp_f32 v33, v33, v34
	v_ldexp_f32 v32, v32, v34
	v_add_f32_e32 v36, 1.0, v33
	v_add_f32_e32 v34, -1.0, v33
	v_add_f32_e32 v35, -1.0, v36
	v_add_f32_e32 v37, 1.0, v34
	v_sub_f32_e32 v35, v33, v35
	v_sub_f32_e32 v33, v33, v37
	v_add_f32_e32 v35, v32, v35
	v_add_f32_e32 v32, v32, v33
	;; [unrolled: 1-line block ×4, first 2 shown]
	v_rcp_f32_e32 v33, v37
	v_sub_f32_e32 v36, v36, v37
	v_sub_f32_e32 v34, v34, v38
	v_add_f32_e32 v35, v35, v36
	v_add_f32_e32 v32, v32, v34
	v_mul_f32_e32 v39, v38, v33
	v_mul_f32_e32 v40, v37, v39
	v_fma_f32 v36, v39, v37, -v40
	v_fmac_f32_e32 v36, v39, v35
	v_add_f32_e32 v41, v40, v36
	v_sub_f32_e32 v42, v38, v41
	v_sub_f32_e32 v34, v41, v40
	;; [unrolled: 1-line block ×5, first 2 shown]
	v_add_f32_e32 v32, v32, v38
	v_add_f32_e32 v32, v34, v32
	v_add_f32_e32 v34, v42, v32
	v_mul_f32_e32 v36, v33, v34
	v_sub_f32_e32 v41, v42, v34
	v_mul_f32_e32 v38, v37, v36
	v_add_f32_e32 v32, v32, v41
	v_fma_f32 v37, v36, v37, -v38
	v_fmac_f32_e32 v37, v36, v35
	v_add_f32_e32 v35, v38, v37
	v_sub_f32_e32 v40, v34, v35
	v_sub_f32_e32 v38, v35, v38
	;; [unrolled: 1-line block ×5, first 2 shown]
	v_add_f32_e32 v32, v32, v34
	v_add_f32_e32 v34, v39, v36
	;; [unrolled: 1-line block ×3, first 2 shown]
	v_sub_f32_e32 v35, v34, v39
	v_add_f32_e32 v32, v40, v32
	v_sub_f32_e32 v35, v36, v35
	v_mul_f32_e32 v32, v33, v32
	v_add_f32_e32 v32, v35, v32
	v_add_f32_e32 v33, v34, v32
	v_mul_f32_e32 v35, v33, v33
	v_fmaak_f32 v36, s27, v35, 0x3ecc95a3
	v_mul_f32_e32 v37, v33, v35
	v_fmaak_f32 v35, v35, v36, 0x3f2aaada
	v_ldexp_f32 v36, v33, 1
	v_sub_f32_e32 v33, v33, v34
	v_mul_f32_e32 v35, v37, v35
	v_mul_f32_e32 v37, 0x3f317218, v31
	v_sub_f32_e32 v32, v32, v33
	v_add_f32_e32 v34, v36, v35
	v_ldexp_f32 v32, v32, 1
	v_sub_f32_e32 v33, v34, v36
	v_fma_f32 v36, 0x3f317218, v31, -v37
	v_sub_f32_e32 v33, v35, v33
	v_fmamk_f32 v31, v31, 0xb102e308, v36
	v_add_f32_e32 v32, v32, v33
	v_add_f32_e32 v33, v37, v31
	;; [unrolled: 1-line block ×3, first 2 shown]
	v_sub_f32_e32 v37, v33, v37
	v_add_f32_e32 v36, v33, v35
	v_sub_f32_e32 v34, v35, v34
	v_sub_f32_e32 v31, v31, v37
	;; [unrolled: 1-line block ×6, first 2 shown]
	v_add_f32_e32 v35, v31, v32
	v_sub_f32_e32 v33, v33, v39
	v_add_f32_e32 v33, v34, v33
	v_sub_f32_e32 v34, v35, v31
	;; [unrolled: 2-line block ×3, first 2 shown]
	v_sub_f32_e32 v32, v32, v34
	v_add_f32_e32 v37, v36, v33
	v_sub_f32_e32 v31, v31, v35
	v_sub_f32_e32 v34, v37, v36
	v_add_f32_e32 v31, v32, v31
	v_sub_f32_e32 v32, v33, v34
	v_add_f32_e32 v31, v31, v32
	v_add_f32_e32 v31, v37, v31
	v_cndmask_b32_e32 v31, 0x7f800000, v31, vcc_lo
	v_cmp_gt_f32_e64 vcc_lo, 0x33800000, |v10|
	v_cndmask_b32_e32 v10, v31, v10, vcc_lo
	v_add_f32_e32 v9, v9, v10
	v_cvt_f16_f32_e32 v10, v9
.LBB359_91:
	s_or_b32 exec_lo, exec_lo, s25
	v_and_b32_e32 v9, 0xffff, v10
	v_mov_b32_e32 v41, v10
.LBB359_92:
	s_or_b32 exec_lo, exec_lo, s24
	v_cmp_gt_u32_e32 vcc_lo, 30, v28
	v_add_nc_u32_e32 v32, 2, v28
	s_mov_b32 s24, exec_lo
	s_waitcnt lgkmcnt(0)
	v_cndmask_b32_e64 v10, 0, 2, vcc_lo
	v_add_lshl_u32 v31, v10, v28, 2
	ds_bpermute_b32 v10, v31, v9
	v_cmpx_le_u32_e64 v32, v8
	s_cbranch_execz .LBB359_96
; %bb.93:
	s_waitcnt lgkmcnt(0)
	v_cvt_f32_f16_e32 v9, v10
	v_cvt_f32_f16_e32 v34, v41
	v_cmp_u_f16_e32 vcc_lo, v10, v10
	v_min_f32_e32 v33, v9, v34
	v_max_f32_e32 v35, v9, v34
	v_cndmask_b32_e32 v33, v33, v9, vcc_lo
	v_cndmask_b32_e32 v9, v35, v9, vcc_lo
	v_cmp_u_f16_e32 vcc_lo, v41, v41
	v_cndmask_b32_e32 v33, v33, v34, vcc_lo
	v_cndmask_b32_e32 v9, v9, v34, vcc_lo
	v_cmp_class_f32_e64 s25, v33, 0x1f8
	v_cmp_neq_f32_e32 vcc_lo, v33, v9
	s_or_b32 s27, vcc_lo, s25
	s_and_saveexec_b32 s25, s27
	s_cbranch_execz .LBB359_95
; %bb.94:
	v_sub_f32_e32 v10, v33, v9
	s_mov_b32 s27, 0x3e9b6dac
	v_mul_f32_e32 v33, 0x3fb8aa3b, v10
	v_cmp_ngt_f32_e32 vcc_lo, 0xc2ce8ed0, v10
	v_fma_f32 v34, 0x3fb8aa3b, v10, -v33
	v_rndne_f32_e32 v35, v33
	v_fmamk_f32 v34, v10, 0x32a5705f, v34
	v_sub_f32_e32 v33, v33, v35
	v_add_f32_e32 v33, v33, v34
	v_cvt_i32_f32_e32 v34, v35
	v_exp_f32_e32 v33, v33
	v_ldexp_f32 v33, v33, v34
	v_cndmask_b32_e32 v33, 0, v33, vcc_lo
	v_cmp_nlt_f32_e32 vcc_lo, 0x42b17218, v10
	v_cndmask_b32_e32 v10, 0x7f800000, v33, vcc_lo
	v_add_f32_e32 v35, 1.0, v10
	v_cvt_f64_f32_e32 v[33:34], v35
	v_frexp_exp_i32_f64_e32 v33, v[33:34]
	v_frexp_mant_f32_e32 v34, v35
	v_cmp_gt_f32_e32 vcc_lo, 0x3f2aaaab, v34
	v_add_f32_e32 v34, -1.0, v35
	v_sub_f32_e32 v37, v34, v35
	v_sub_f32_e32 v34, v10, v34
	v_add_f32_e32 v37, 1.0, v37
	v_add_f32_e32 v34, v34, v37
	v_subrev_co_ci_u32_e64 v33, null, 0, v33, vcc_lo
	v_cmp_neq_f32_e32 vcc_lo, 0x7f800000, v10
	v_sub_nc_u32_e32 v36, 0, v33
	v_cvt_f32_i32_e32 v33, v33
	v_ldexp_f32 v35, v35, v36
	v_ldexp_f32 v34, v34, v36
	v_add_f32_e32 v38, 1.0, v35
	v_add_f32_e32 v36, -1.0, v35
	v_add_f32_e32 v37, -1.0, v38
	v_add_f32_e32 v39, 1.0, v36
	v_sub_f32_e32 v37, v35, v37
	v_sub_f32_e32 v35, v35, v39
	v_add_f32_e32 v37, v34, v37
	v_add_f32_e32 v34, v34, v35
	v_add_f32_e32 v39, v38, v37
	v_add_f32_e32 v40, v36, v34
	v_rcp_f32_e32 v35, v39
	v_sub_f32_e32 v38, v38, v39
	v_sub_f32_e32 v36, v36, v40
	v_add_f32_e32 v37, v37, v38
	v_add_f32_e32 v34, v34, v36
	v_mul_f32_e32 v41, v40, v35
	v_mul_f32_e32 v42, v39, v41
	v_fma_f32 v38, v41, v39, -v42
	v_fmac_f32_e32 v38, v41, v37
	v_add_f32_e32 v43, v42, v38
	v_sub_f32_e32 v44, v40, v43
	v_sub_f32_e32 v36, v43, v42
	;; [unrolled: 1-line block ×5, first 2 shown]
	v_add_f32_e32 v34, v34, v40
	v_add_f32_e32 v34, v36, v34
	;; [unrolled: 1-line block ×3, first 2 shown]
	v_mul_f32_e32 v38, v35, v36
	v_sub_f32_e32 v43, v44, v36
	v_mul_f32_e32 v40, v39, v38
	v_add_f32_e32 v34, v34, v43
	v_fma_f32 v39, v38, v39, -v40
	v_fmac_f32_e32 v39, v38, v37
	v_add_f32_e32 v37, v40, v39
	v_sub_f32_e32 v42, v36, v37
	v_sub_f32_e32 v40, v37, v40
	;; [unrolled: 1-line block ×5, first 2 shown]
	v_add_f32_e32 v34, v34, v36
	v_add_f32_e32 v36, v41, v38
	;; [unrolled: 1-line block ×3, first 2 shown]
	v_sub_f32_e32 v37, v36, v41
	v_add_f32_e32 v34, v42, v34
	v_sub_f32_e32 v37, v38, v37
	v_mul_f32_e32 v34, v35, v34
	v_add_f32_e32 v34, v37, v34
	v_add_f32_e32 v35, v36, v34
	v_mul_f32_e32 v37, v35, v35
	v_fmaak_f32 v38, s27, v37, 0x3ecc95a3
	v_mul_f32_e32 v39, v35, v37
	v_fmaak_f32 v37, v37, v38, 0x3f2aaada
	v_ldexp_f32 v38, v35, 1
	v_sub_f32_e32 v35, v35, v36
	v_mul_f32_e32 v37, v39, v37
	v_mul_f32_e32 v39, 0x3f317218, v33
	v_sub_f32_e32 v34, v34, v35
	v_add_f32_e32 v36, v38, v37
	v_ldexp_f32 v34, v34, 1
	v_sub_f32_e32 v35, v36, v38
	v_fma_f32 v38, 0x3f317218, v33, -v39
	v_sub_f32_e32 v35, v37, v35
	v_fmamk_f32 v33, v33, 0xb102e308, v38
	v_add_f32_e32 v34, v34, v35
	v_add_f32_e32 v35, v39, v33
	;; [unrolled: 1-line block ×3, first 2 shown]
	v_sub_f32_e32 v39, v35, v39
	v_add_f32_e32 v38, v35, v37
	v_sub_f32_e32 v36, v37, v36
	v_sub_f32_e32 v33, v33, v39
	;; [unrolled: 1-line block ×6, first 2 shown]
	v_add_f32_e32 v37, v33, v34
	v_sub_f32_e32 v35, v35, v41
	v_add_f32_e32 v35, v36, v35
	v_sub_f32_e32 v36, v37, v33
	;; [unrolled: 2-line block ×3, first 2 shown]
	v_sub_f32_e32 v34, v34, v36
	v_add_f32_e32 v39, v38, v35
	v_sub_f32_e32 v33, v33, v37
	v_sub_f32_e32 v36, v39, v38
	v_add_f32_e32 v33, v34, v33
	v_sub_f32_e32 v34, v35, v36
	v_add_f32_e32 v33, v33, v34
	v_add_f32_e32 v33, v39, v33
	v_cndmask_b32_e32 v33, 0x7f800000, v33, vcc_lo
	v_cmp_gt_f32_e64 vcc_lo, 0x33800000, |v10|
	v_cndmask_b32_e32 v10, v33, v10, vcc_lo
	v_add_f32_e32 v9, v9, v10
	v_cvt_f16_f32_e32 v10, v9
.LBB359_95:
	s_or_b32 exec_lo, exec_lo, s25
	v_and_b32_e32 v9, 0xffff, v10
	v_mov_b32_e32 v41, v10
.LBB359_96:
	s_or_b32 exec_lo, exec_lo, s24
	v_cmp_gt_u32_e32 vcc_lo, 28, v28
	v_add_nc_u32_e32 v34, 4, v28
	s_mov_b32 s24, exec_lo
	s_waitcnt lgkmcnt(0)
	v_cndmask_b32_e64 v10, 0, 4, vcc_lo
	v_add_lshl_u32 v33, v10, v28, 2
	ds_bpermute_b32 v10, v33, v9
	v_cmpx_le_u32_e64 v34, v8
	s_cbranch_execz .LBB359_100
; %bb.97:
	s_waitcnt lgkmcnt(0)
	v_cvt_f32_f16_e32 v9, v10
	v_cvt_f32_f16_e32 v36, v41
	v_cmp_u_f16_e32 vcc_lo, v10, v10
	v_min_f32_e32 v35, v9, v36
	v_max_f32_e32 v37, v9, v36
	v_cndmask_b32_e32 v35, v35, v9, vcc_lo
	v_cndmask_b32_e32 v9, v37, v9, vcc_lo
	v_cmp_u_f16_e32 vcc_lo, v41, v41
	v_cndmask_b32_e32 v35, v35, v36, vcc_lo
	v_cndmask_b32_e32 v9, v9, v36, vcc_lo
	v_cmp_class_f32_e64 s25, v35, 0x1f8
	v_cmp_neq_f32_e32 vcc_lo, v35, v9
	s_or_b32 s27, vcc_lo, s25
	s_and_saveexec_b32 s25, s27
	s_cbranch_execz .LBB359_99
; %bb.98:
	v_sub_f32_e32 v10, v35, v9
	s_mov_b32 s27, 0x3e9b6dac
	v_mul_f32_e32 v35, 0x3fb8aa3b, v10
	v_cmp_ngt_f32_e32 vcc_lo, 0xc2ce8ed0, v10
	v_fma_f32 v36, 0x3fb8aa3b, v10, -v35
	v_rndne_f32_e32 v37, v35
	v_fmamk_f32 v36, v10, 0x32a5705f, v36
	v_sub_f32_e32 v35, v35, v37
	v_add_f32_e32 v35, v35, v36
	v_cvt_i32_f32_e32 v36, v37
	v_exp_f32_e32 v35, v35
	v_ldexp_f32 v35, v35, v36
	v_cndmask_b32_e32 v35, 0, v35, vcc_lo
	v_cmp_nlt_f32_e32 vcc_lo, 0x42b17218, v10
	v_cndmask_b32_e32 v10, 0x7f800000, v35, vcc_lo
	v_add_f32_e32 v37, 1.0, v10
	v_cvt_f64_f32_e32 v[35:36], v37
	v_frexp_exp_i32_f64_e32 v35, v[35:36]
	v_frexp_mant_f32_e32 v36, v37
	v_cmp_gt_f32_e32 vcc_lo, 0x3f2aaaab, v36
	v_add_f32_e32 v36, -1.0, v37
	v_sub_f32_e32 v39, v36, v37
	v_sub_f32_e32 v36, v10, v36
	v_add_f32_e32 v39, 1.0, v39
	v_add_f32_e32 v36, v36, v39
	v_subrev_co_ci_u32_e64 v35, null, 0, v35, vcc_lo
	v_cmp_neq_f32_e32 vcc_lo, 0x7f800000, v10
	v_sub_nc_u32_e32 v38, 0, v35
	v_cvt_f32_i32_e32 v35, v35
	v_ldexp_f32 v37, v37, v38
	v_ldexp_f32 v36, v36, v38
	v_add_f32_e32 v40, 1.0, v37
	v_add_f32_e32 v38, -1.0, v37
	v_add_f32_e32 v39, -1.0, v40
	v_add_f32_e32 v41, 1.0, v38
	v_sub_f32_e32 v39, v37, v39
	v_sub_f32_e32 v37, v37, v41
	v_add_f32_e32 v39, v36, v39
	v_add_f32_e32 v36, v36, v37
	;; [unrolled: 1-line block ×4, first 2 shown]
	v_rcp_f32_e32 v37, v41
	v_sub_f32_e32 v40, v40, v41
	v_sub_f32_e32 v38, v38, v42
	v_add_f32_e32 v39, v39, v40
	v_add_f32_e32 v36, v36, v38
	v_mul_f32_e32 v43, v42, v37
	v_mul_f32_e32 v44, v41, v43
	v_fma_f32 v40, v43, v41, -v44
	v_fmac_f32_e32 v40, v43, v39
	v_add_f32_e32 v45, v44, v40
	v_sub_f32_e32 v46, v42, v45
	v_sub_f32_e32 v38, v45, v44
	;; [unrolled: 1-line block ×5, first 2 shown]
	v_add_f32_e32 v36, v36, v42
	v_add_f32_e32 v36, v38, v36
	;; [unrolled: 1-line block ×3, first 2 shown]
	v_mul_f32_e32 v40, v37, v38
	v_sub_f32_e32 v45, v46, v38
	v_mul_f32_e32 v42, v41, v40
	v_add_f32_e32 v36, v36, v45
	v_fma_f32 v41, v40, v41, -v42
	v_fmac_f32_e32 v41, v40, v39
	v_add_f32_e32 v39, v42, v41
	v_sub_f32_e32 v44, v38, v39
	v_sub_f32_e32 v42, v39, v42
	v_sub_f32_e32 v38, v38, v44
	v_sub_f32_e32 v38, v38, v39
	v_sub_f32_e32 v39, v42, v41
	v_add_f32_e32 v36, v36, v38
	v_add_f32_e32 v38, v43, v40
	;; [unrolled: 1-line block ×3, first 2 shown]
	v_sub_f32_e32 v39, v38, v43
	v_add_f32_e32 v36, v44, v36
	v_sub_f32_e32 v39, v40, v39
	v_mul_f32_e32 v36, v37, v36
	v_add_f32_e32 v36, v39, v36
	v_add_f32_e32 v37, v38, v36
	v_mul_f32_e32 v39, v37, v37
	v_fmaak_f32 v40, s27, v39, 0x3ecc95a3
	v_mul_f32_e32 v41, v37, v39
	v_fmaak_f32 v39, v39, v40, 0x3f2aaada
	v_ldexp_f32 v40, v37, 1
	v_sub_f32_e32 v37, v37, v38
	v_mul_f32_e32 v39, v41, v39
	v_mul_f32_e32 v41, 0x3f317218, v35
	v_sub_f32_e32 v36, v36, v37
	v_add_f32_e32 v38, v40, v39
	v_ldexp_f32 v36, v36, 1
	v_sub_f32_e32 v37, v38, v40
	v_fma_f32 v40, 0x3f317218, v35, -v41
	v_sub_f32_e32 v37, v39, v37
	v_fmamk_f32 v35, v35, 0xb102e308, v40
	v_add_f32_e32 v36, v36, v37
	v_add_f32_e32 v37, v41, v35
	;; [unrolled: 1-line block ×3, first 2 shown]
	v_sub_f32_e32 v41, v37, v41
	v_add_f32_e32 v40, v37, v39
	v_sub_f32_e32 v38, v39, v38
	v_sub_f32_e32 v35, v35, v41
	;; [unrolled: 1-line block ×6, first 2 shown]
	v_add_f32_e32 v39, v35, v36
	v_sub_f32_e32 v37, v37, v43
	v_add_f32_e32 v37, v38, v37
	v_sub_f32_e32 v38, v39, v35
	;; [unrolled: 2-line block ×3, first 2 shown]
	v_sub_f32_e32 v36, v36, v38
	v_add_f32_e32 v41, v40, v37
	v_sub_f32_e32 v35, v35, v39
	v_sub_f32_e32 v38, v41, v40
	v_add_f32_e32 v35, v36, v35
	v_sub_f32_e32 v36, v37, v38
	v_add_f32_e32 v35, v35, v36
	v_add_f32_e32 v35, v41, v35
	v_cndmask_b32_e32 v35, 0x7f800000, v35, vcc_lo
	v_cmp_gt_f32_e64 vcc_lo, 0x33800000, |v10|
	v_cndmask_b32_e32 v10, v35, v10, vcc_lo
	v_add_f32_e32 v9, v9, v10
	v_cvt_f16_f32_e32 v10, v9
.LBB359_99:
	s_or_b32 exec_lo, exec_lo, s25
	v_and_b32_e32 v9, 0xffff, v10
	v_mov_b32_e32 v41, v10
.LBB359_100:
	s_or_b32 exec_lo, exec_lo, s24
	v_cmp_gt_u32_e32 vcc_lo, 24, v28
	v_add_nc_u32_e32 v36, 8, v28
	s_mov_b32 s24, exec_lo
	s_waitcnt lgkmcnt(0)
	v_cndmask_b32_e64 v10, 0, 8, vcc_lo
	v_add_lshl_u32 v35, v10, v28, 2
	ds_bpermute_b32 v10, v35, v9
	v_cmpx_le_u32_e64 v36, v8
	s_cbranch_execz .LBB359_104
; %bb.101:
	s_waitcnt lgkmcnt(0)
	v_cvt_f32_f16_e32 v9, v10
	v_cvt_f32_f16_e32 v38, v41
	v_cmp_u_f16_e32 vcc_lo, v10, v10
	v_min_f32_e32 v37, v9, v38
	v_max_f32_e32 v39, v9, v38
	v_cndmask_b32_e32 v37, v37, v9, vcc_lo
	v_cndmask_b32_e32 v9, v39, v9, vcc_lo
	v_cmp_u_f16_e32 vcc_lo, v41, v41
	v_cndmask_b32_e32 v37, v37, v38, vcc_lo
	v_cndmask_b32_e32 v9, v9, v38, vcc_lo
	v_cmp_class_f32_e64 s25, v37, 0x1f8
	v_cmp_neq_f32_e32 vcc_lo, v37, v9
	s_or_b32 s27, vcc_lo, s25
	s_and_saveexec_b32 s25, s27
	s_cbranch_execz .LBB359_103
; %bb.102:
	v_sub_f32_e32 v10, v37, v9
	s_mov_b32 s27, 0x3e9b6dac
	v_mul_f32_e32 v37, 0x3fb8aa3b, v10
	v_cmp_ngt_f32_e32 vcc_lo, 0xc2ce8ed0, v10
	v_fma_f32 v38, 0x3fb8aa3b, v10, -v37
	v_rndne_f32_e32 v39, v37
	v_fmamk_f32 v38, v10, 0x32a5705f, v38
	v_sub_f32_e32 v37, v37, v39
	v_add_f32_e32 v37, v37, v38
	v_cvt_i32_f32_e32 v38, v39
	v_exp_f32_e32 v37, v37
	v_ldexp_f32 v37, v37, v38
	v_cndmask_b32_e32 v37, 0, v37, vcc_lo
	v_cmp_nlt_f32_e32 vcc_lo, 0x42b17218, v10
	v_cndmask_b32_e32 v10, 0x7f800000, v37, vcc_lo
	v_add_f32_e32 v39, 1.0, v10
	v_cvt_f64_f32_e32 v[37:38], v39
	v_frexp_exp_i32_f64_e32 v37, v[37:38]
	v_frexp_mant_f32_e32 v38, v39
	v_cmp_gt_f32_e32 vcc_lo, 0x3f2aaaab, v38
	v_add_f32_e32 v38, -1.0, v39
	v_sub_f32_e32 v41, v38, v39
	v_sub_f32_e32 v38, v10, v38
	v_add_f32_e32 v41, 1.0, v41
	v_add_f32_e32 v38, v38, v41
	v_subrev_co_ci_u32_e64 v37, null, 0, v37, vcc_lo
	v_cmp_neq_f32_e32 vcc_lo, 0x7f800000, v10
	v_sub_nc_u32_e32 v40, 0, v37
	v_cvt_f32_i32_e32 v37, v37
	v_ldexp_f32 v39, v39, v40
	v_ldexp_f32 v38, v38, v40
	v_add_f32_e32 v42, 1.0, v39
	v_add_f32_e32 v40, -1.0, v39
	v_add_f32_e32 v41, -1.0, v42
	v_add_f32_e32 v43, 1.0, v40
	v_sub_f32_e32 v41, v39, v41
	v_sub_f32_e32 v39, v39, v43
	v_add_f32_e32 v41, v38, v41
	v_add_f32_e32 v38, v38, v39
	;; [unrolled: 1-line block ×4, first 2 shown]
	v_rcp_f32_e32 v39, v43
	v_sub_f32_e32 v42, v42, v43
	v_sub_f32_e32 v40, v40, v44
	v_add_f32_e32 v41, v41, v42
	v_add_f32_e32 v38, v38, v40
	v_mul_f32_e32 v45, v44, v39
	v_mul_f32_e32 v46, v43, v45
	v_fma_f32 v42, v45, v43, -v46
	v_fmac_f32_e32 v42, v45, v41
	v_add_f32_e32 v47, v46, v42
	v_sub_f32_e32 v48, v44, v47
	v_sub_f32_e32 v40, v47, v46
	;; [unrolled: 1-line block ×5, first 2 shown]
	v_add_f32_e32 v38, v38, v44
	v_add_f32_e32 v38, v40, v38
	;; [unrolled: 1-line block ×3, first 2 shown]
	v_mul_f32_e32 v42, v39, v40
	v_sub_f32_e32 v47, v48, v40
	v_mul_f32_e32 v44, v43, v42
	v_add_f32_e32 v38, v38, v47
	v_fma_f32 v43, v42, v43, -v44
	v_fmac_f32_e32 v43, v42, v41
	v_add_f32_e32 v41, v44, v43
	v_sub_f32_e32 v46, v40, v41
	v_sub_f32_e32 v44, v41, v44
	;; [unrolled: 1-line block ×5, first 2 shown]
	v_add_f32_e32 v38, v38, v40
	v_add_f32_e32 v40, v45, v42
	;; [unrolled: 1-line block ×3, first 2 shown]
	v_sub_f32_e32 v41, v40, v45
	v_add_f32_e32 v38, v46, v38
	v_sub_f32_e32 v41, v42, v41
	v_mul_f32_e32 v38, v39, v38
	v_add_f32_e32 v38, v41, v38
	v_add_f32_e32 v39, v40, v38
	v_mul_f32_e32 v41, v39, v39
	v_fmaak_f32 v42, s27, v41, 0x3ecc95a3
	v_mul_f32_e32 v43, v39, v41
	v_fmaak_f32 v41, v41, v42, 0x3f2aaada
	v_ldexp_f32 v42, v39, 1
	v_sub_f32_e32 v39, v39, v40
	v_mul_f32_e32 v41, v43, v41
	v_mul_f32_e32 v43, 0x3f317218, v37
	v_sub_f32_e32 v38, v38, v39
	v_add_f32_e32 v40, v42, v41
	v_ldexp_f32 v38, v38, 1
	v_sub_f32_e32 v39, v40, v42
	v_fma_f32 v42, 0x3f317218, v37, -v43
	v_sub_f32_e32 v39, v41, v39
	v_fmamk_f32 v37, v37, 0xb102e308, v42
	v_add_f32_e32 v38, v38, v39
	v_add_f32_e32 v39, v43, v37
	;; [unrolled: 1-line block ×3, first 2 shown]
	v_sub_f32_e32 v43, v39, v43
	v_add_f32_e32 v42, v39, v41
	v_sub_f32_e32 v40, v41, v40
	v_sub_f32_e32 v37, v37, v43
	;; [unrolled: 1-line block ×6, first 2 shown]
	v_add_f32_e32 v41, v37, v38
	v_sub_f32_e32 v39, v39, v45
	v_add_f32_e32 v39, v40, v39
	v_sub_f32_e32 v40, v41, v37
	;; [unrolled: 2-line block ×3, first 2 shown]
	v_sub_f32_e32 v38, v38, v40
	v_add_f32_e32 v43, v42, v39
	v_sub_f32_e32 v37, v37, v41
	v_sub_f32_e32 v40, v43, v42
	v_add_f32_e32 v37, v38, v37
	v_sub_f32_e32 v38, v39, v40
	v_add_f32_e32 v37, v37, v38
	v_add_f32_e32 v37, v43, v37
	v_cndmask_b32_e32 v37, 0x7f800000, v37, vcc_lo
	v_cmp_gt_f32_e64 vcc_lo, 0x33800000, |v10|
	v_cndmask_b32_e32 v10, v37, v10, vcc_lo
	v_add_f32_e32 v9, v9, v10
	v_cvt_f16_f32_e32 v10, v9
.LBB359_103:
	s_or_b32 exec_lo, exec_lo, s25
	v_and_b32_e32 v9, 0xffff, v10
	v_mov_b32_e32 v41, v10
.LBB359_104:
	s_or_b32 exec_lo, exec_lo, s24
	v_lshl_or_b32 v38, v28, 2, 64
	v_add_nc_u32_e32 v39, 16, v28
	s_mov_b32 s24, exec_lo
	ds_bpermute_b32 v9, v38, v9
	v_cmpx_le_u32_e64 v39, v8
	s_cbranch_execz .LBB359_108
; %bb.105:
	s_waitcnt lgkmcnt(0)
	v_cvt_f32_f16_e32 v8, v9
	v_cvt_f32_f16_e32 v37, v41
	v_cmp_u_f16_e32 vcc_lo, v9, v9
	v_min_f32_e32 v10, v8, v37
	v_max_f32_e32 v40, v8, v37
	v_cndmask_b32_e32 v10, v10, v8, vcc_lo
	v_cndmask_b32_e32 v8, v40, v8, vcc_lo
	v_cmp_u_f16_e32 vcc_lo, v41, v41
	v_cndmask_b32_e32 v10, v10, v37, vcc_lo
	v_cndmask_b32_e32 v8, v8, v37, vcc_lo
	v_cmp_class_f32_e64 s25, v10, 0x1f8
	v_cmp_neq_f32_e32 vcc_lo, v10, v8
	s_or_b32 s27, vcc_lo, s25
	s_and_saveexec_b32 s25, s27
	s_cbranch_execz .LBB359_107
; %bb.106:
	v_sub_f32_e32 v9, v10, v8
	s_mov_b32 s27, 0x3e9b6dac
	v_mul_f32_e32 v10, 0x3fb8aa3b, v9
	v_cmp_ngt_f32_e32 vcc_lo, 0xc2ce8ed0, v9
	v_fma_f32 v37, 0x3fb8aa3b, v9, -v10
	v_rndne_f32_e32 v40, v10
	v_fmamk_f32 v37, v9, 0x32a5705f, v37
	v_sub_f32_e32 v10, v10, v40
	v_add_f32_e32 v10, v10, v37
	v_cvt_i32_f32_e32 v37, v40
	v_exp_f32_e32 v10, v10
	v_ldexp_f32 v10, v10, v37
	v_cndmask_b32_e32 v10, 0, v10, vcc_lo
	v_cmp_nlt_f32_e32 vcc_lo, 0x42b17218, v9
	v_cndmask_b32_e32 v37, 0x7f800000, v10, vcc_lo
	v_add_f32_e32 v40, 1.0, v37
	v_cvt_f64_f32_e32 v[9:10], v40
	v_frexp_exp_i32_f64_e32 v9, v[9:10]
	v_frexp_mant_f32_e32 v10, v40
	v_cmp_gt_f32_e32 vcc_lo, 0x3f2aaaab, v10
	v_add_f32_e32 v10, -1.0, v40
	v_sub_f32_e32 v42, v10, v40
	v_sub_f32_e32 v10, v37, v10
	v_add_f32_e32 v42, 1.0, v42
	v_add_f32_e32 v10, v10, v42
	v_subrev_co_ci_u32_e64 v9, null, 0, v9, vcc_lo
	v_cmp_neq_f32_e32 vcc_lo, 0x7f800000, v37
	v_sub_nc_u32_e32 v41, 0, v9
	v_cvt_f32_i32_e32 v9, v9
	v_ldexp_f32 v40, v40, v41
	v_ldexp_f32 v10, v10, v41
	v_add_f32_e32 v43, 1.0, v40
	v_add_f32_e32 v41, -1.0, v40
	v_add_f32_e32 v42, -1.0, v43
	v_add_f32_e32 v44, 1.0, v41
	v_sub_f32_e32 v42, v40, v42
	v_sub_f32_e32 v40, v40, v44
	v_add_f32_e32 v42, v10, v42
	v_add_f32_e32 v10, v10, v40
	;; [unrolled: 1-line block ×4, first 2 shown]
	v_rcp_f32_e32 v40, v44
	v_sub_f32_e32 v43, v43, v44
	v_sub_f32_e32 v41, v41, v45
	v_add_f32_e32 v42, v42, v43
	v_add_f32_e32 v10, v10, v41
	v_mul_f32_e32 v46, v45, v40
	v_mul_f32_e32 v47, v44, v46
	v_fma_f32 v43, v46, v44, -v47
	v_fmac_f32_e32 v43, v46, v42
	v_add_f32_e32 v48, v47, v43
	v_sub_f32_e32 v49, v45, v48
	v_sub_f32_e32 v41, v48, v47
	;; [unrolled: 1-line block ×5, first 2 shown]
	v_add_f32_e32 v10, v10, v45
	v_add_f32_e32 v10, v41, v10
	;; [unrolled: 1-line block ×3, first 2 shown]
	v_mul_f32_e32 v43, v40, v41
	v_sub_f32_e32 v48, v49, v41
	v_mul_f32_e32 v45, v44, v43
	v_add_f32_e32 v10, v10, v48
	v_fma_f32 v44, v43, v44, -v45
	v_fmac_f32_e32 v44, v43, v42
	v_add_f32_e32 v42, v45, v44
	v_sub_f32_e32 v47, v41, v42
	v_sub_f32_e32 v45, v42, v45
	;; [unrolled: 1-line block ×5, first 2 shown]
	v_add_f32_e32 v10, v10, v41
	v_add_f32_e32 v41, v46, v43
	;; [unrolled: 1-line block ×3, first 2 shown]
	v_sub_f32_e32 v42, v41, v46
	v_add_f32_e32 v10, v47, v10
	v_sub_f32_e32 v42, v43, v42
	v_mul_f32_e32 v10, v40, v10
	v_add_f32_e32 v10, v42, v10
	v_add_f32_e32 v40, v41, v10
	v_mul_f32_e32 v42, v40, v40
	v_fmaak_f32 v43, s27, v42, 0x3ecc95a3
	v_mul_f32_e32 v44, v40, v42
	v_fmaak_f32 v42, v42, v43, 0x3f2aaada
	v_ldexp_f32 v43, v40, 1
	v_sub_f32_e32 v40, v40, v41
	v_mul_f32_e32 v42, v44, v42
	v_mul_f32_e32 v44, 0x3f317218, v9
	v_sub_f32_e32 v10, v10, v40
	v_add_f32_e32 v41, v43, v42
	v_ldexp_f32 v10, v10, 1
	v_sub_f32_e32 v40, v41, v43
	v_fma_f32 v43, 0x3f317218, v9, -v44
	v_sub_f32_e32 v40, v42, v40
	v_fmamk_f32 v9, v9, 0xb102e308, v43
	v_add_f32_e32 v10, v10, v40
	v_add_f32_e32 v40, v44, v9
	;; [unrolled: 1-line block ×3, first 2 shown]
	v_sub_f32_e32 v44, v40, v44
	v_add_f32_e32 v43, v40, v42
	v_sub_f32_e32 v41, v42, v41
	v_sub_f32_e32 v9, v9, v44
	;; [unrolled: 1-line block ×6, first 2 shown]
	v_add_f32_e32 v42, v9, v10
	v_sub_f32_e32 v40, v40, v46
	v_add_f32_e32 v40, v41, v40
	v_sub_f32_e32 v41, v42, v9
	;; [unrolled: 2-line block ×3, first 2 shown]
	v_sub_f32_e32 v10, v10, v41
	v_add_f32_e32 v44, v43, v40
	v_sub_f32_e32 v9, v9, v42
	v_sub_f32_e32 v41, v44, v43
	v_add_f32_e32 v9, v10, v9
	v_sub_f32_e32 v10, v40, v41
	v_add_f32_e32 v9, v9, v10
	v_add_f32_e32 v9, v44, v9
	v_cndmask_b32_e32 v9, 0x7f800000, v9, vcc_lo
	v_cmp_gt_f32_e64 vcc_lo, 0x33800000, |v37|
	v_cndmask_b32_e32 v9, v9, v37, vcc_lo
	v_add_f32_e32 v8, v8, v9
	v_cvt_f16_f32_e32 v9, v8
.LBB359_107:
	s_or_b32 exec_lo, exec_lo, s25
	v_mov_b32_e32 v41, v9
.LBB359_108:
	s_or_b32 exec_lo, exec_lo, s24
	v_mov_b32_e32 v8, 0
	v_mov_b32_e32 v40, 2
	s_mov_b32 s24, 0x3e9b6dac
	s_branch .LBB359_111
.LBB359_109:                            ;   in Loop: Header=BB359_111 Depth=1
	s_or_b32 exec_lo, exec_lo, s25
	v_subrev_nc_u32_e32 v7, 32, v7
	s_mov_b32 s25, 0
.LBB359_110:                            ;   in Loop: Header=BB359_111 Depth=1
	s_and_b32 vcc_lo, exec_lo, s25
	s_cbranch_vccnz .LBB359_139
.LBB359_111:                            ; =>This Loop Header: Depth=1
                                        ;     Child Loop BB359_114 Depth 2
	v_cmp_ne_u16_sdwa s25, v29, v40 src0_sel:BYTE_0 src1_sel:DWORD
	v_mov_b32_e32 v37, v41
                                        ; implicit-def: $vgpr41
                                        ; implicit-def: $vgpr29
	s_cmp_lg_u32 s25, exec_lo
	s_mov_b32 s25, -1
	s_cbranch_scc1 .LBB359_110
; %bb.112:                              ;   in Loop: Header=BB359_111 Depth=1
	s_waitcnt lgkmcnt(0)
	v_lshlrev_b64 v[9:10], 2, v[7:8]
	v_add_co_u32 v9, vcc_lo, s34, v9
	v_add_co_ci_u32_e64 v10, null, s35, v10, vcc_lo
	global_load_dword v41, v[9:10], off glc dlc
	s_waitcnt vmcnt(0)
	v_lshrrev_b32_e32 v29, 16, v41
	v_cmp_eq_u16_sdwa s27, v29, v8 src0_sel:BYTE_0 src1_sel:DWORD
	s_and_saveexec_b32 s25, s27
	s_cbranch_execz .LBB359_116
; %bb.113:                              ;   in Loop: Header=BB359_111 Depth=1
	s_mov_b32 s27, 0
.LBB359_114:                            ;   Parent Loop BB359_111 Depth=1
                                        ; =>  This Inner Loop Header: Depth=2
	global_load_dword v41, v[9:10], off glc dlc
	s_waitcnt vmcnt(0)
	v_lshrrev_b32_e32 v29, 16, v41
	v_cmp_ne_u16_sdwa s28, v29, v8 src0_sel:BYTE_0 src1_sel:DWORD
	s_or_b32 s27, s28, s27
	s_andn2_b32 exec_lo, exec_lo, s27
	s_cbranch_execnz .LBB359_114
; %bb.115:                              ;   in Loop: Header=BB359_111 Depth=1
	s_or_b32 exec_lo, exec_lo, s27
.LBB359_116:                            ;   in Loop: Header=BB359_111 Depth=1
	s_or_b32 exec_lo, exec_lo, s25
	v_and_b32_e32 v10, 0xffff, v41
	v_cmp_eq_u16_sdwa s25, v29, v40 src0_sel:BYTE_0 src1_sel:DWORD
	ds_bpermute_b32 v42, v11, v10
	v_and_or_b32 v9, s25, v30, 0x80000000
	s_mov_b32 s25, exec_lo
	v_ffbl_b32_e32 v9, v9
	v_cmpx_lt_u32_e64 v28, v9
	s_cbranch_execz .LBB359_120
; %bb.117:                              ;   in Loop: Header=BB359_111 Depth=1
	s_waitcnt lgkmcnt(0)
	v_cvt_f32_f16_e32 v10, v42
	v_cvt_f32_f16_e32 v43, v41
	v_cmp_u_f16_e32 vcc_lo, v42, v42
	v_min_f32_e32 v44, v10, v43
	v_max_f32_e32 v45, v10, v43
	v_cndmask_b32_e32 v44, v44, v10, vcc_lo
	v_cndmask_b32_e32 v10, v45, v10, vcc_lo
	v_cmp_u_f16_e32 vcc_lo, v41, v41
	v_cndmask_b32_e32 v41, v44, v43, vcc_lo
	v_cndmask_b32_e32 v10, v10, v43, vcc_lo
	v_cmp_class_f32_e64 s27, v41, 0x1f8
	v_cmp_neq_f32_e32 vcc_lo, v41, v10
	s_or_b32 s28, vcc_lo, s27
	s_and_saveexec_b32 s27, s28
	s_cbranch_execz .LBB359_119
; %bb.118:                              ;   in Loop: Header=BB359_111 Depth=1
	v_sub_f32_e32 v41, v41, v10
	v_mul_f32_e32 v42, 0x3fb8aa3b, v41
	v_cmp_ngt_f32_e32 vcc_lo, 0xc2ce8ed0, v41
	v_fma_f32 v43, 0x3fb8aa3b, v41, -v42
	v_rndne_f32_e32 v44, v42
	v_fmac_f32_e32 v43, 0x32a5705f, v41
	v_sub_f32_e32 v42, v42, v44
	v_add_f32_e32 v42, v42, v43
	v_cvt_i32_f32_e32 v43, v44
	v_exp_f32_e32 v42, v42
	v_ldexp_f32 v42, v42, v43
	v_cndmask_b32_e32 v42, 0, v42, vcc_lo
	v_cmp_nlt_f32_e32 vcc_lo, 0x42b17218, v41
	v_cndmask_b32_e32 v43, 0x7f800000, v42, vcc_lo
	v_add_f32_e32 v44, 1.0, v43
	v_cvt_f64_f32_e32 v[41:42], v44
	v_frexp_exp_i32_f64_e32 v41, v[41:42]
	v_frexp_mant_f32_e32 v42, v44
	v_cmp_gt_f32_e32 vcc_lo, 0x3f2aaaab, v42
	v_add_f32_e32 v42, -1.0, v44
	v_sub_f32_e32 v46, v42, v44
	v_sub_f32_e32 v42, v43, v42
	v_add_f32_e32 v46, 1.0, v46
	v_add_f32_e32 v42, v42, v46
	v_subrev_co_ci_u32_e64 v41, null, 0, v41, vcc_lo
	v_cmp_neq_f32_e32 vcc_lo, 0x7f800000, v43
	v_sub_nc_u32_e32 v45, 0, v41
	v_cvt_f32_i32_e32 v41, v41
	v_ldexp_f32 v44, v44, v45
	v_ldexp_f32 v42, v42, v45
	v_add_f32_e32 v47, 1.0, v44
	v_add_f32_e32 v45, -1.0, v44
	v_add_f32_e32 v46, -1.0, v47
	v_add_f32_e32 v48, 1.0, v45
	v_sub_f32_e32 v46, v44, v46
	v_sub_f32_e32 v44, v44, v48
	v_add_f32_e32 v46, v42, v46
	v_add_f32_e32 v42, v42, v44
	;; [unrolled: 1-line block ×4, first 2 shown]
	v_rcp_f32_e32 v44, v48
	v_sub_f32_e32 v47, v47, v48
	v_sub_f32_e32 v45, v45, v49
	v_add_f32_e32 v46, v46, v47
	v_add_f32_e32 v42, v42, v45
	v_mul_f32_e32 v50, v49, v44
	v_mul_f32_e32 v51, v48, v50
	v_fma_f32 v47, v50, v48, -v51
	v_fmac_f32_e32 v47, v50, v46
	v_add_f32_e32 v52, v51, v47
	v_sub_f32_e32 v53, v49, v52
	v_sub_f32_e32 v45, v52, v51
	;; [unrolled: 1-line block ×5, first 2 shown]
	v_add_f32_e32 v42, v42, v49
	v_add_f32_e32 v42, v45, v42
	;; [unrolled: 1-line block ×3, first 2 shown]
	v_mul_f32_e32 v47, v44, v45
	v_sub_f32_e32 v52, v53, v45
	v_mul_f32_e32 v49, v48, v47
	v_add_f32_e32 v42, v42, v52
	v_fma_f32 v48, v47, v48, -v49
	v_fmac_f32_e32 v48, v47, v46
	v_add_f32_e32 v46, v49, v48
	v_sub_f32_e32 v51, v45, v46
	v_sub_f32_e32 v49, v46, v49
	;; [unrolled: 1-line block ×5, first 2 shown]
	v_add_f32_e32 v42, v42, v45
	v_add_f32_e32 v45, v50, v47
	;; [unrolled: 1-line block ×3, first 2 shown]
	v_sub_f32_e32 v46, v45, v50
	v_add_f32_e32 v42, v51, v42
	v_sub_f32_e32 v46, v47, v46
	v_mul_f32_e32 v42, v44, v42
	v_add_f32_e32 v42, v46, v42
	v_add_f32_e32 v44, v45, v42
	v_mul_f32_e32 v46, v44, v44
	v_fmaak_f32 v47, s24, v46, 0x3ecc95a3
	v_mul_f32_e32 v48, v44, v46
	v_fmaak_f32 v46, v46, v47, 0x3f2aaada
	v_ldexp_f32 v47, v44, 1
	v_sub_f32_e32 v44, v44, v45
	v_mul_f32_e32 v46, v48, v46
	v_mul_f32_e32 v48, 0x3f317218, v41
	v_sub_f32_e32 v42, v42, v44
	v_add_f32_e32 v45, v47, v46
	v_ldexp_f32 v42, v42, 1
	v_sub_f32_e32 v44, v45, v47
	v_fma_f32 v47, 0x3f317218, v41, -v48
	v_sub_f32_e32 v44, v46, v44
	v_fmac_f32_e32 v47, 0xb102e308, v41
	v_add_f32_e32 v41, v42, v44
	v_add_f32_e32 v42, v48, v47
	;; [unrolled: 1-line block ×3, first 2 shown]
	v_sub_f32_e32 v48, v42, v48
	v_add_f32_e32 v46, v42, v44
	v_sub_f32_e32 v45, v44, v45
	v_sub_f32_e32 v47, v47, v48
	;; [unrolled: 1-line block ×6, first 2 shown]
	v_add_f32_e32 v45, v47, v41
	v_sub_f32_e32 v42, v42, v50
	v_add_f32_e32 v42, v44, v42
	v_sub_f32_e32 v44, v45, v47
	;; [unrolled: 2-line block ×3, first 2 shown]
	v_sub_f32_e32 v41, v41, v44
	v_add_f32_e32 v48, v46, v42
	v_sub_f32_e32 v45, v47, v45
	v_sub_f32_e32 v44, v48, v46
	v_add_f32_e32 v41, v41, v45
	v_sub_f32_e32 v42, v42, v44
	v_add_f32_e32 v41, v41, v42
	v_add_f32_e32 v41, v48, v41
	v_cndmask_b32_e32 v41, 0x7f800000, v41, vcc_lo
	v_cmp_gt_f32_e64 vcc_lo, 0x33800000, |v43|
	v_cndmask_b32_e32 v41, v41, v43, vcc_lo
	v_add_f32_e32 v10, v10, v41
	v_cvt_f16_f32_e32 v42, v10
.LBB359_119:                            ;   in Loop: Header=BB359_111 Depth=1
	s_or_b32 exec_lo, exec_lo, s27
	v_and_b32_e32 v10, 0xffff, v42
	v_mov_b32_e32 v41, v42
.LBB359_120:                            ;   in Loop: Header=BB359_111 Depth=1
	s_or_b32 exec_lo, exec_lo, s25
	s_waitcnt lgkmcnt(0)
	ds_bpermute_b32 v42, v31, v10
	s_mov_b32 s25, exec_lo
	v_cmpx_le_u32_e64 v32, v9
	s_cbranch_execz .LBB359_124
; %bb.121:                              ;   in Loop: Header=BB359_111 Depth=1
	s_waitcnt lgkmcnt(0)
	v_cvt_f32_f16_e32 v10, v42
	v_cvt_f32_f16_e32 v43, v41
	v_cmp_u_f16_e32 vcc_lo, v42, v42
	v_min_f32_e32 v44, v10, v43
	v_max_f32_e32 v45, v10, v43
	v_cndmask_b32_e32 v44, v44, v10, vcc_lo
	v_cndmask_b32_e32 v10, v45, v10, vcc_lo
	v_cmp_u_f16_e32 vcc_lo, v41, v41
	v_cndmask_b32_e32 v41, v44, v43, vcc_lo
	v_cndmask_b32_e32 v10, v10, v43, vcc_lo
	v_cmp_class_f32_e64 s27, v41, 0x1f8
	v_cmp_neq_f32_e32 vcc_lo, v41, v10
	s_or_b32 s28, vcc_lo, s27
	s_and_saveexec_b32 s27, s28
	s_cbranch_execz .LBB359_123
; %bb.122:                              ;   in Loop: Header=BB359_111 Depth=1
	v_sub_f32_e32 v41, v41, v10
	v_mul_f32_e32 v42, 0x3fb8aa3b, v41
	v_cmp_ngt_f32_e32 vcc_lo, 0xc2ce8ed0, v41
	v_fma_f32 v43, 0x3fb8aa3b, v41, -v42
	v_rndne_f32_e32 v44, v42
	v_fmac_f32_e32 v43, 0x32a5705f, v41
	v_sub_f32_e32 v42, v42, v44
	v_add_f32_e32 v42, v42, v43
	v_cvt_i32_f32_e32 v43, v44
	v_exp_f32_e32 v42, v42
	v_ldexp_f32 v42, v42, v43
	v_cndmask_b32_e32 v42, 0, v42, vcc_lo
	v_cmp_nlt_f32_e32 vcc_lo, 0x42b17218, v41
	v_cndmask_b32_e32 v43, 0x7f800000, v42, vcc_lo
	v_add_f32_e32 v44, 1.0, v43
	v_cvt_f64_f32_e32 v[41:42], v44
	v_frexp_exp_i32_f64_e32 v41, v[41:42]
	v_frexp_mant_f32_e32 v42, v44
	v_cmp_gt_f32_e32 vcc_lo, 0x3f2aaaab, v42
	v_add_f32_e32 v42, -1.0, v44
	v_sub_f32_e32 v46, v42, v44
	v_sub_f32_e32 v42, v43, v42
	v_add_f32_e32 v46, 1.0, v46
	v_add_f32_e32 v42, v42, v46
	v_subrev_co_ci_u32_e64 v41, null, 0, v41, vcc_lo
	v_cmp_neq_f32_e32 vcc_lo, 0x7f800000, v43
	v_sub_nc_u32_e32 v45, 0, v41
	v_cvt_f32_i32_e32 v41, v41
	v_ldexp_f32 v44, v44, v45
	v_ldexp_f32 v42, v42, v45
	v_add_f32_e32 v47, 1.0, v44
	v_add_f32_e32 v45, -1.0, v44
	v_add_f32_e32 v46, -1.0, v47
	v_add_f32_e32 v48, 1.0, v45
	v_sub_f32_e32 v46, v44, v46
	v_sub_f32_e32 v44, v44, v48
	v_add_f32_e32 v46, v42, v46
	v_add_f32_e32 v42, v42, v44
	;; [unrolled: 1-line block ×4, first 2 shown]
	v_rcp_f32_e32 v44, v48
	v_sub_f32_e32 v47, v47, v48
	v_sub_f32_e32 v45, v45, v49
	v_add_f32_e32 v46, v46, v47
	v_add_f32_e32 v42, v42, v45
	v_mul_f32_e32 v50, v49, v44
	v_mul_f32_e32 v51, v48, v50
	v_fma_f32 v47, v50, v48, -v51
	v_fmac_f32_e32 v47, v50, v46
	v_add_f32_e32 v52, v51, v47
	v_sub_f32_e32 v53, v49, v52
	v_sub_f32_e32 v45, v52, v51
	v_sub_f32_e32 v49, v49, v53
	v_sub_f32_e32 v45, v45, v47
	v_sub_f32_e32 v49, v49, v52
	v_add_f32_e32 v42, v42, v49
	v_add_f32_e32 v42, v45, v42
	v_add_f32_e32 v45, v53, v42
	v_mul_f32_e32 v47, v44, v45
	v_sub_f32_e32 v52, v53, v45
	v_mul_f32_e32 v49, v48, v47
	v_add_f32_e32 v42, v42, v52
	v_fma_f32 v48, v47, v48, -v49
	v_fmac_f32_e32 v48, v47, v46
	v_add_f32_e32 v46, v49, v48
	v_sub_f32_e32 v51, v45, v46
	v_sub_f32_e32 v49, v46, v49
	;; [unrolled: 1-line block ×5, first 2 shown]
	v_add_f32_e32 v42, v42, v45
	v_add_f32_e32 v45, v50, v47
	;; [unrolled: 1-line block ×3, first 2 shown]
	v_sub_f32_e32 v46, v45, v50
	v_add_f32_e32 v42, v51, v42
	v_sub_f32_e32 v46, v47, v46
	v_mul_f32_e32 v42, v44, v42
	v_add_f32_e32 v42, v46, v42
	v_add_f32_e32 v44, v45, v42
	v_mul_f32_e32 v46, v44, v44
	v_fmaak_f32 v47, s24, v46, 0x3ecc95a3
	v_mul_f32_e32 v48, v44, v46
	v_fmaak_f32 v46, v46, v47, 0x3f2aaada
	v_ldexp_f32 v47, v44, 1
	v_sub_f32_e32 v44, v44, v45
	v_mul_f32_e32 v46, v48, v46
	v_mul_f32_e32 v48, 0x3f317218, v41
	v_sub_f32_e32 v42, v42, v44
	v_add_f32_e32 v45, v47, v46
	v_ldexp_f32 v42, v42, 1
	v_sub_f32_e32 v44, v45, v47
	v_fma_f32 v47, 0x3f317218, v41, -v48
	v_sub_f32_e32 v44, v46, v44
	v_fmac_f32_e32 v47, 0xb102e308, v41
	v_add_f32_e32 v41, v42, v44
	v_add_f32_e32 v42, v48, v47
	;; [unrolled: 1-line block ×3, first 2 shown]
	v_sub_f32_e32 v48, v42, v48
	v_add_f32_e32 v46, v42, v44
	v_sub_f32_e32 v45, v44, v45
	v_sub_f32_e32 v47, v47, v48
	;; [unrolled: 1-line block ×6, first 2 shown]
	v_add_f32_e32 v45, v47, v41
	v_sub_f32_e32 v42, v42, v50
	v_add_f32_e32 v42, v44, v42
	v_sub_f32_e32 v44, v45, v47
	;; [unrolled: 2-line block ×3, first 2 shown]
	v_sub_f32_e32 v41, v41, v44
	v_add_f32_e32 v48, v46, v42
	v_sub_f32_e32 v45, v47, v45
	v_sub_f32_e32 v44, v48, v46
	v_add_f32_e32 v41, v41, v45
	v_sub_f32_e32 v42, v42, v44
	v_add_f32_e32 v41, v41, v42
	v_add_f32_e32 v41, v48, v41
	v_cndmask_b32_e32 v41, 0x7f800000, v41, vcc_lo
	v_cmp_gt_f32_e64 vcc_lo, 0x33800000, |v43|
	v_cndmask_b32_e32 v41, v41, v43, vcc_lo
	v_add_f32_e32 v10, v10, v41
	v_cvt_f16_f32_e32 v42, v10
.LBB359_123:                            ;   in Loop: Header=BB359_111 Depth=1
	s_or_b32 exec_lo, exec_lo, s27
	v_and_b32_e32 v10, 0xffff, v42
	v_mov_b32_e32 v41, v42
.LBB359_124:                            ;   in Loop: Header=BB359_111 Depth=1
	s_or_b32 exec_lo, exec_lo, s25
	s_waitcnt lgkmcnt(0)
	ds_bpermute_b32 v42, v33, v10
	s_mov_b32 s25, exec_lo
	v_cmpx_le_u32_e64 v34, v9
	s_cbranch_execz .LBB359_128
; %bb.125:                              ;   in Loop: Header=BB359_111 Depth=1
	s_waitcnt lgkmcnt(0)
	v_cvt_f32_f16_e32 v10, v42
	v_cvt_f32_f16_e32 v43, v41
	v_cmp_u_f16_e32 vcc_lo, v42, v42
	v_min_f32_e32 v44, v10, v43
	v_max_f32_e32 v45, v10, v43
	v_cndmask_b32_e32 v44, v44, v10, vcc_lo
	v_cndmask_b32_e32 v10, v45, v10, vcc_lo
	v_cmp_u_f16_e32 vcc_lo, v41, v41
	v_cndmask_b32_e32 v41, v44, v43, vcc_lo
	v_cndmask_b32_e32 v10, v10, v43, vcc_lo
	v_cmp_class_f32_e64 s27, v41, 0x1f8
	v_cmp_neq_f32_e32 vcc_lo, v41, v10
	s_or_b32 s28, vcc_lo, s27
	s_and_saveexec_b32 s27, s28
	s_cbranch_execz .LBB359_127
; %bb.126:                              ;   in Loop: Header=BB359_111 Depth=1
	v_sub_f32_e32 v41, v41, v10
	v_mul_f32_e32 v42, 0x3fb8aa3b, v41
	v_cmp_ngt_f32_e32 vcc_lo, 0xc2ce8ed0, v41
	v_fma_f32 v43, 0x3fb8aa3b, v41, -v42
	v_rndne_f32_e32 v44, v42
	v_fmac_f32_e32 v43, 0x32a5705f, v41
	v_sub_f32_e32 v42, v42, v44
	v_add_f32_e32 v42, v42, v43
	v_cvt_i32_f32_e32 v43, v44
	v_exp_f32_e32 v42, v42
	v_ldexp_f32 v42, v42, v43
	v_cndmask_b32_e32 v42, 0, v42, vcc_lo
	v_cmp_nlt_f32_e32 vcc_lo, 0x42b17218, v41
	v_cndmask_b32_e32 v43, 0x7f800000, v42, vcc_lo
	v_add_f32_e32 v44, 1.0, v43
	v_cvt_f64_f32_e32 v[41:42], v44
	v_frexp_exp_i32_f64_e32 v41, v[41:42]
	v_frexp_mant_f32_e32 v42, v44
	v_cmp_gt_f32_e32 vcc_lo, 0x3f2aaaab, v42
	v_add_f32_e32 v42, -1.0, v44
	v_sub_f32_e32 v46, v42, v44
	v_sub_f32_e32 v42, v43, v42
	v_add_f32_e32 v46, 1.0, v46
	v_add_f32_e32 v42, v42, v46
	v_subrev_co_ci_u32_e64 v41, null, 0, v41, vcc_lo
	v_cmp_neq_f32_e32 vcc_lo, 0x7f800000, v43
	v_sub_nc_u32_e32 v45, 0, v41
	v_cvt_f32_i32_e32 v41, v41
	v_ldexp_f32 v44, v44, v45
	v_ldexp_f32 v42, v42, v45
	v_add_f32_e32 v47, 1.0, v44
	v_add_f32_e32 v45, -1.0, v44
	v_add_f32_e32 v46, -1.0, v47
	v_add_f32_e32 v48, 1.0, v45
	v_sub_f32_e32 v46, v44, v46
	v_sub_f32_e32 v44, v44, v48
	v_add_f32_e32 v46, v42, v46
	v_add_f32_e32 v42, v42, v44
	v_add_f32_e32 v48, v47, v46
	v_add_f32_e32 v49, v45, v42
	v_rcp_f32_e32 v44, v48
	v_sub_f32_e32 v47, v47, v48
	v_sub_f32_e32 v45, v45, v49
	v_add_f32_e32 v46, v46, v47
	v_add_f32_e32 v42, v42, v45
	v_mul_f32_e32 v50, v49, v44
	v_mul_f32_e32 v51, v48, v50
	v_fma_f32 v47, v50, v48, -v51
	v_fmac_f32_e32 v47, v50, v46
	v_add_f32_e32 v52, v51, v47
	v_sub_f32_e32 v53, v49, v52
	v_sub_f32_e32 v45, v52, v51
	;; [unrolled: 1-line block ×5, first 2 shown]
	v_add_f32_e32 v42, v42, v49
	v_add_f32_e32 v42, v45, v42
	;; [unrolled: 1-line block ×3, first 2 shown]
	v_mul_f32_e32 v47, v44, v45
	v_sub_f32_e32 v52, v53, v45
	v_mul_f32_e32 v49, v48, v47
	v_add_f32_e32 v42, v42, v52
	v_fma_f32 v48, v47, v48, -v49
	v_fmac_f32_e32 v48, v47, v46
	v_add_f32_e32 v46, v49, v48
	v_sub_f32_e32 v51, v45, v46
	v_sub_f32_e32 v49, v46, v49
	;; [unrolled: 1-line block ×5, first 2 shown]
	v_add_f32_e32 v42, v42, v45
	v_add_f32_e32 v45, v50, v47
	;; [unrolled: 1-line block ×3, first 2 shown]
	v_sub_f32_e32 v46, v45, v50
	v_add_f32_e32 v42, v51, v42
	v_sub_f32_e32 v46, v47, v46
	v_mul_f32_e32 v42, v44, v42
	v_add_f32_e32 v42, v46, v42
	v_add_f32_e32 v44, v45, v42
	v_mul_f32_e32 v46, v44, v44
	v_fmaak_f32 v47, s24, v46, 0x3ecc95a3
	v_mul_f32_e32 v48, v44, v46
	v_fmaak_f32 v46, v46, v47, 0x3f2aaada
	v_ldexp_f32 v47, v44, 1
	v_sub_f32_e32 v44, v44, v45
	v_mul_f32_e32 v46, v48, v46
	v_mul_f32_e32 v48, 0x3f317218, v41
	v_sub_f32_e32 v42, v42, v44
	v_add_f32_e32 v45, v47, v46
	v_ldexp_f32 v42, v42, 1
	v_sub_f32_e32 v44, v45, v47
	v_fma_f32 v47, 0x3f317218, v41, -v48
	v_sub_f32_e32 v44, v46, v44
	v_fmac_f32_e32 v47, 0xb102e308, v41
	v_add_f32_e32 v41, v42, v44
	v_add_f32_e32 v42, v48, v47
	;; [unrolled: 1-line block ×3, first 2 shown]
	v_sub_f32_e32 v48, v42, v48
	v_add_f32_e32 v46, v42, v44
	v_sub_f32_e32 v45, v44, v45
	v_sub_f32_e32 v47, v47, v48
	;; [unrolled: 1-line block ×6, first 2 shown]
	v_add_f32_e32 v45, v47, v41
	v_sub_f32_e32 v42, v42, v50
	v_add_f32_e32 v42, v44, v42
	v_sub_f32_e32 v44, v45, v47
	;; [unrolled: 2-line block ×3, first 2 shown]
	v_sub_f32_e32 v41, v41, v44
	v_add_f32_e32 v48, v46, v42
	v_sub_f32_e32 v45, v47, v45
	v_sub_f32_e32 v44, v48, v46
	v_add_f32_e32 v41, v41, v45
	v_sub_f32_e32 v42, v42, v44
	v_add_f32_e32 v41, v41, v42
	v_add_f32_e32 v41, v48, v41
	v_cndmask_b32_e32 v41, 0x7f800000, v41, vcc_lo
	v_cmp_gt_f32_e64 vcc_lo, 0x33800000, |v43|
	v_cndmask_b32_e32 v41, v41, v43, vcc_lo
	v_add_f32_e32 v10, v10, v41
	v_cvt_f16_f32_e32 v42, v10
.LBB359_127:                            ;   in Loop: Header=BB359_111 Depth=1
	s_or_b32 exec_lo, exec_lo, s27
	v_and_b32_e32 v10, 0xffff, v42
	v_mov_b32_e32 v41, v42
.LBB359_128:                            ;   in Loop: Header=BB359_111 Depth=1
	s_or_b32 exec_lo, exec_lo, s25
	s_waitcnt lgkmcnt(0)
	ds_bpermute_b32 v42, v35, v10
	s_mov_b32 s25, exec_lo
	v_cmpx_le_u32_e64 v36, v9
	s_cbranch_execz .LBB359_132
; %bb.129:                              ;   in Loop: Header=BB359_111 Depth=1
	s_waitcnt lgkmcnt(0)
	v_cvt_f32_f16_e32 v10, v42
	v_cvt_f32_f16_e32 v43, v41
	v_cmp_u_f16_e32 vcc_lo, v42, v42
	v_min_f32_e32 v44, v10, v43
	v_max_f32_e32 v45, v10, v43
	v_cndmask_b32_e32 v44, v44, v10, vcc_lo
	v_cndmask_b32_e32 v10, v45, v10, vcc_lo
	v_cmp_u_f16_e32 vcc_lo, v41, v41
	v_cndmask_b32_e32 v41, v44, v43, vcc_lo
	v_cndmask_b32_e32 v10, v10, v43, vcc_lo
	v_cmp_class_f32_e64 s27, v41, 0x1f8
	v_cmp_neq_f32_e32 vcc_lo, v41, v10
	s_or_b32 s28, vcc_lo, s27
	s_and_saveexec_b32 s27, s28
	s_cbranch_execz .LBB359_131
; %bb.130:                              ;   in Loop: Header=BB359_111 Depth=1
	v_sub_f32_e32 v41, v41, v10
	v_mul_f32_e32 v42, 0x3fb8aa3b, v41
	v_cmp_ngt_f32_e32 vcc_lo, 0xc2ce8ed0, v41
	v_fma_f32 v43, 0x3fb8aa3b, v41, -v42
	v_rndne_f32_e32 v44, v42
	v_fmac_f32_e32 v43, 0x32a5705f, v41
	v_sub_f32_e32 v42, v42, v44
	v_add_f32_e32 v42, v42, v43
	v_cvt_i32_f32_e32 v43, v44
	v_exp_f32_e32 v42, v42
	v_ldexp_f32 v42, v42, v43
	v_cndmask_b32_e32 v42, 0, v42, vcc_lo
	v_cmp_nlt_f32_e32 vcc_lo, 0x42b17218, v41
	v_cndmask_b32_e32 v43, 0x7f800000, v42, vcc_lo
	v_add_f32_e32 v44, 1.0, v43
	v_cvt_f64_f32_e32 v[41:42], v44
	v_frexp_exp_i32_f64_e32 v41, v[41:42]
	v_frexp_mant_f32_e32 v42, v44
	v_cmp_gt_f32_e32 vcc_lo, 0x3f2aaaab, v42
	v_add_f32_e32 v42, -1.0, v44
	v_sub_f32_e32 v46, v42, v44
	v_sub_f32_e32 v42, v43, v42
	v_add_f32_e32 v46, 1.0, v46
	v_add_f32_e32 v42, v42, v46
	v_subrev_co_ci_u32_e64 v41, null, 0, v41, vcc_lo
	v_cmp_neq_f32_e32 vcc_lo, 0x7f800000, v43
	v_sub_nc_u32_e32 v45, 0, v41
	v_cvt_f32_i32_e32 v41, v41
	v_ldexp_f32 v44, v44, v45
	v_ldexp_f32 v42, v42, v45
	v_add_f32_e32 v47, 1.0, v44
	v_add_f32_e32 v45, -1.0, v44
	v_add_f32_e32 v46, -1.0, v47
	v_add_f32_e32 v48, 1.0, v45
	v_sub_f32_e32 v46, v44, v46
	v_sub_f32_e32 v44, v44, v48
	v_add_f32_e32 v46, v42, v46
	v_add_f32_e32 v42, v42, v44
	v_add_f32_e32 v48, v47, v46
	v_add_f32_e32 v49, v45, v42
	v_rcp_f32_e32 v44, v48
	v_sub_f32_e32 v47, v47, v48
	v_sub_f32_e32 v45, v45, v49
	v_add_f32_e32 v46, v46, v47
	v_add_f32_e32 v42, v42, v45
	v_mul_f32_e32 v50, v49, v44
	v_mul_f32_e32 v51, v48, v50
	v_fma_f32 v47, v50, v48, -v51
	v_fmac_f32_e32 v47, v50, v46
	v_add_f32_e32 v52, v51, v47
	v_sub_f32_e32 v53, v49, v52
	v_sub_f32_e32 v45, v52, v51
	;; [unrolled: 1-line block ×5, first 2 shown]
	v_add_f32_e32 v42, v42, v49
	v_add_f32_e32 v42, v45, v42
	;; [unrolled: 1-line block ×3, first 2 shown]
	v_mul_f32_e32 v47, v44, v45
	v_sub_f32_e32 v52, v53, v45
	v_mul_f32_e32 v49, v48, v47
	v_add_f32_e32 v42, v42, v52
	v_fma_f32 v48, v47, v48, -v49
	v_fmac_f32_e32 v48, v47, v46
	v_add_f32_e32 v46, v49, v48
	v_sub_f32_e32 v51, v45, v46
	v_sub_f32_e32 v49, v46, v49
	;; [unrolled: 1-line block ×5, first 2 shown]
	v_add_f32_e32 v42, v42, v45
	v_add_f32_e32 v45, v50, v47
	v_add_f32_e32 v42, v46, v42
	v_sub_f32_e32 v46, v45, v50
	v_add_f32_e32 v42, v51, v42
	v_sub_f32_e32 v46, v47, v46
	v_mul_f32_e32 v42, v44, v42
	v_add_f32_e32 v42, v46, v42
	v_add_f32_e32 v44, v45, v42
	v_mul_f32_e32 v46, v44, v44
	v_fmaak_f32 v47, s24, v46, 0x3ecc95a3
	v_mul_f32_e32 v48, v44, v46
	v_fmaak_f32 v46, v46, v47, 0x3f2aaada
	v_ldexp_f32 v47, v44, 1
	v_sub_f32_e32 v44, v44, v45
	v_mul_f32_e32 v46, v48, v46
	v_mul_f32_e32 v48, 0x3f317218, v41
	v_sub_f32_e32 v42, v42, v44
	v_add_f32_e32 v45, v47, v46
	v_ldexp_f32 v42, v42, 1
	v_sub_f32_e32 v44, v45, v47
	v_fma_f32 v47, 0x3f317218, v41, -v48
	v_sub_f32_e32 v44, v46, v44
	v_fmac_f32_e32 v47, 0xb102e308, v41
	v_add_f32_e32 v41, v42, v44
	v_add_f32_e32 v42, v48, v47
	;; [unrolled: 1-line block ×3, first 2 shown]
	v_sub_f32_e32 v48, v42, v48
	v_add_f32_e32 v46, v42, v44
	v_sub_f32_e32 v45, v44, v45
	v_sub_f32_e32 v47, v47, v48
	;; [unrolled: 1-line block ×6, first 2 shown]
	v_add_f32_e32 v45, v47, v41
	v_sub_f32_e32 v42, v42, v50
	v_add_f32_e32 v42, v44, v42
	v_sub_f32_e32 v44, v45, v47
	v_add_f32_e32 v42, v45, v42
	v_sub_f32_e32 v45, v45, v44
	v_sub_f32_e32 v41, v41, v44
	v_add_f32_e32 v48, v46, v42
	v_sub_f32_e32 v45, v47, v45
	v_sub_f32_e32 v44, v48, v46
	v_add_f32_e32 v41, v41, v45
	v_sub_f32_e32 v42, v42, v44
	v_add_f32_e32 v41, v41, v42
	v_add_f32_e32 v41, v48, v41
	v_cndmask_b32_e32 v41, 0x7f800000, v41, vcc_lo
	v_cmp_gt_f32_e64 vcc_lo, 0x33800000, |v43|
	v_cndmask_b32_e32 v41, v41, v43, vcc_lo
	v_add_f32_e32 v10, v10, v41
	v_cvt_f16_f32_e32 v42, v10
.LBB359_131:                            ;   in Loop: Header=BB359_111 Depth=1
	s_or_b32 exec_lo, exec_lo, s27
	v_and_b32_e32 v10, 0xffff, v42
	v_mov_b32_e32 v41, v42
.LBB359_132:                            ;   in Loop: Header=BB359_111 Depth=1
	s_or_b32 exec_lo, exec_lo, s25
	ds_bpermute_b32 v10, v38, v10
	s_mov_b32 s25, exec_lo
	v_cmpx_le_u32_e64 v39, v9
	s_cbranch_execz .LBB359_136
; %bb.133:                              ;   in Loop: Header=BB359_111 Depth=1
	s_waitcnt lgkmcnt(0)
	v_cvt_f32_f16_e32 v9, v10
	v_cvt_f32_f16_e32 v42, v41
	v_cmp_u_f16_e32 vcc_lo, v10, v10
	v_min_f32_e32 v43, v9, v42
	v_max_f32_e32 v44, v9, v42
	v_cndmask_b32_e32 v43, v43, v9, vcc_lo
	v_cndmask_b32_e32 v9, v44, v9, vcc_lo
	v_cmp_u_f16_e32 vcc_lo, v41, v41
	v_cndmask_b32_e32 v41, v43, v42, vcc_lo
	v_cndmask_b32_e32 v9, v9, v42, vcc_lo
	v_cmp_class_f32_e64 s27, v41, 0x1f8
	v_cmp_neq_f32_e32 vcc_lo, v41, v9
	s_or_b32 s28, vcc_lo, s27
	s_and_saveexec_b32 s27, s28
	s_cbranch_execz .LBB359_135
; %bb.134:                              ;   in Loop: Header=BB359_111 Depth=1
	v_sub_f32_e32 v10, v41, v9
	v_mul_f32_e32 v41, 0x3fb8aa3b, v10
	v_cmp_ngt_f32_e32 vcc_lo, 0xc2ce8ed0, v10
	v_fma_f32 v42, 0x3fb8aa3b, v10, -v41
	v_rndne_f32_e32 v43, v41
	v_fmac_f32_e32 v42, 0x32a5705f, v10
	v_sub_f32_e32 v41, v41, v43
	v_add_f32_e32 v41, v41, v42
	v_cvt_i32_f32_e32 v42, v43
	v_exp_f32_e32 v41, v41
	v_ldexp_f32 v41, v41, v42
	v_cndmask_b32_e32 v41, 0, v41, vcc_lo
	v_cmp_nlt_f32_e32 vcc_lo, 0x42b17218, v10
	v_cndmask_b32_e32 v10, 0x7f800000, v41, vcc_lo
	v_add_f32_e32 v43, 1.0, v10
	v_cvt_f64_f32_e32 v[41:42], v43
	v_frexp_exp_i32_f64_e32 v41, v[41:42]
	v_frexp_mant_f32_e32 v42, v43
	v_cmp_gt_f32_e32 vcc_lo, 0x3f2aaaab, v42
	v_add_f32_e32 v42, -1.0, v43
	v_sub_f32_e32 v45, v42, v43
	v_sub_f32_e32 v42, v10, v42
	v_add_f32_e32 v45, 1.0, v45
	v_add_f32_e32 v42, v42, v45
	v_subrev_co_ci_u32_e64 v41, null, 0, v41, vcc_lo
	v_cmp_neq_f32_e32 vcc_lo, 0x7f800000, v10
	v_sub_nc_u32_e32 v44, 0, v41
	v_cvt_f32_i32_e32 v41, v41
	v_ldexp_f32 v43, v43, v44
	v_ldexp_f32 v42, v42, v44
	v_add_f32_e32 v46, 1.0, v43
	v_add_f32_e32 v44, -1.0, v43
	v_add_f32_e32 v45, -1.0, v46
	v_add_f32_e32 v47, 1.0, v44
	v_sub_f32_e32 v45, v43, v45
	v_sub_f32_e32 v43, v43, v47
	v_add_f32_e32 v45, v42, v45
	v_add_f32_e32 v42, v42, v43
	;; [unrolled: 1-line block ×4, first 2 shown]
	v_rcp_f32_e32 v43, v47
	v_sub_f32_e32 v46, v46, v47
	v_sub_f32_e32 v44, v44, v48
	v_add_f32_e32 v45, v45, v46
	v_add_f32_e32 v42, v42, v44
	v_mul_f32_e32 v49, v48, v43
	v_mul_f32_e32 v50, v47, v49
	v_fma_f32 v46, v49, v47, -v50
	v_fmac_f32_e32 v46, v49, v45
	v_add_f32_e32 v51, v50, v46
	v_sub_f32_e32 v52, v48, v51
	v_sub_f32_e32 v44, v51, v50
	;; [unrolled: 1-line block ×5, first 2 shown]
	v_add_f32_e32 v42, v42, v48
	v_add_f32_e32 v42, v44, v42
	;; [unrolled: 1-line block ×3, first 2 shown]
	v_mul_f32_e32 v46, v43, v44
	v_sub_f32_e32 v51, v52, v44
	v_mul_f32_e32 v48, v47, v46
	v_add_f32_e32 v42, v42, v51
	v_fma_f32 v47, v46, v47, -v48
	v_fmac_f32_e32 v47, v46, v45
	v_add_f32_e32 v45, v48, v47
	v_sub_f32_e32 v50, v44, v45
	v_sub_f32_e32 v48, v45, v48
	;; [unrolled: 1-line block ×5, first 2 shown]
	v_add_f32_e32 v42, v42, v44
	v_add_f32_e32 v44, v49, v46
	;; [unrolled: 1-line block ×3, first 2 shown]
	v_sub_f32_e32 v45, v44, v49
	v_add_f32_e32 v42, v50, v42
	v_sub_f32_e32 v45, v46, v45
	v_mul_f32_e32 v42, v43, v42
	v_add_f32_e32 v42, v45, v42
	v_add_f32_e32 v43, v44, v42
	v_mul_f32_e32 v45, v43, v43
	v_fmaak_f32 v46, s24, v45, 0x3ecc95a3
	v_mul_f32_e32 v47, v43, v45
	v_fmaak_f32 v45, v45, v46, 0x3f2aaada
	v_ldexp_f32 v46, v43, 1
	v_sub_f32_e32 v43, v43, v44
	v_mul_f32_e32 v45, v47, v45
	v_mul_f32_e32 v47, 0x3f317218, v41
	v_sub_f32_e32 v42, v42, v43
	v_add_f32_e32 v44, v46, v45
	v_ldexp_f32 v42, v42, 1
	v_sub_f32_e32 v43, v44, v46
	v_fma_f32 v46, 0x3f317218, v41, -v47
	v_sub_f32_e32 v43, v45, v43
	v_fmac_f32_e32 v46, 0xb102e308, v41
	v_add_f32_e32 v41, v42, v43
	v_add_f32_e32 v42, v47, v46
	;; [unrolled: 1-line block ×3, first 2 shown]
	v_sub_f32_e32 v47, v42, v47
	v_add_f32_e32 v45, v42, v43
	v_sub_f32_e32 v44, v43, v44
	v_sub_f32_e32 v46, v46, v47
	;; [unrolled: 1-line block ×6, first 2 shown]
	v_add_f32_e32 v44, v46, v41
	v_sub_f32_e32 v42, v42, v49
	v_add_f32_e32 v42, v43, v42
	v_sub_f32_e32 v43, v44, v46
	;; [unrolled: 2-line block ×3, first 2 shown]
	v_sub_f32_e32 v41, v41, v43
	v_add_f32_e32 v47, v45, v42
	v_sub_f32_e32 v44, v46, v44
	v_sub_f32_e32 v43, v47, v45
	v_add_f32_e32 v41, v41, v44
	v_sub_f32_e32 v42, v42, v43
	v_add_f32_e32 v41, v41, v42
	v_add_f32_e32 v41, v47, v41
	v_cndmask_b32_e32 v41, 0x7f800000, v41, vcc_lo
	v_cmp_gt_f32_e64 vcc_lo, 0x33800000, |v10|
	v_cndmask_b32_e32 v10, v41, v10, vcc_lo
	v_add_f32_e32 v9, v9, v10
	v_cvt_f16_f32_e32 v10, v9
.LBB359_135:                            ;   in Loop: Header=BB359_111 Depth=1
	s_or_b32 exec_lo, exec_lo, s27
	v_mov_b32_e32 v41, v10
.LBB359_136:                            ;   in Loop: Header=BB359_111 Depth=1
	s_or_b32 exec_lo, exec_lo, s25
	v_cvt_f32_f16_e32 v9, v41
	s_waitcnt lgkmcnt(1)
	v_cvt_f32_f16_e32 v42, v37
	v_cmp_u_f16_e32 vcc_lo, v41, v41
	s_waitcnt lgkmcnt(0)
	v_min_f32_e32 v10, v9, v42
	v_max_f32_e32 v43, v9, v42
	v_cndmask_b32_e32 v10, v10, v9, vcc_lo
	v_cndmask_b32_e32 v9, v43, v9, vcc_lo
	v_cmp_u_f16_e32 vcc_lo, v37, v37
	v_cndmask_b32_e32 v10, v10, v42, vcc_lo
	v_cndmask_b32_e32 v9, v9, v42, vcc_lo
	v_cmp_class_f32_e64 s25, v10, 0x1f8
	v_cmp_neq_f32_e32 vcc_lo, v10, v9
	s_or_b32 s25, vcc_lo, s25
	s_and_saveexec_b32 s27, s25
	s_xor_b32 s25, exec_lo, s27
	s_cbranch_execz .LBB359_109
; %bb.137:                              ;   in Loop: Header=BB359_111 Depth=1
	v_sub_f32_e32 v10, v10, v9
	v_mul_f32_e32 v41, 0x3fb8aa3b, v10
	v_cmp_ngt_f32_e32 vcc_lo, 0xc2ce8ed0, v10
	v_fma_f32 v42, 0x3fb8aa3b, v10, -v41
	v_rndne_f32_e32 v43, v41
	v_fmac_f32_e32 v42, 0x32a5705f, v10
	v_sub_f32_e32 v41, v41, v43
	v_add_f32_e32 v41, v41, v42
	v_cvt_i32_f32_e32 v42, v43
	v_exp_f32_e32 v41, v41
	v_ldexp_f32 v41, v41, v42
	v_cndmask_b32_e32 v41, 0, v41, vcc_lo
	v_cmp_nlt_f32_e32 vcc_lo, 0x42b17218, v10
	v_cndmask_b32_e32 v10, 0x7f800000, v41, vcc_lo
	v_add_f32_e32 v43, 1.0, v10
	v_cvt_f64_f32_e32 v[41:42], v43
	v_frexp_exp_i32_f64_e32 v41, v[41:42]
	v_frexp_mant_f32_e32 v42, v43
	v_cmp_gt_f32_e32 vcc_lo, 0x3f2aaaab, v42
	v_add_f32_e32 v42, -1.0, v43
	v_sub_f32_e32 v45, v42, v43
	v_sub_f32_e32 v42, v10, v42
	v_add_f32_e32 v45, 1.0, v45
	v_add_f32_e32 v42, v42, v45
	v_subrev_co_ci_u32_e64 v41, null, 0, v41, vcc_lo
	v_cmp_neq_f32_e32 vcc_lo, 0x7f800000, v10
	v_sub_nc_u32_e32 v44, 0, v41
	v_cvt_f32_i32_e32 v41, v41
	v_ldexp_f32 v43, v43, v44
	v_ldexp_f32 v42, v42, v44
	v_add_f32_e32 v46, 1.0, v43
	v_add_f32_e32 v44, -1.0, v43
	v_add_f32_e32 v45, -1.0, v46
	v_add_f32_e32 v47, 1.0, v44
	v_sub_f32_e32 v45, v43, v45
	v_sub_f32_e32 v43, v43, v47
	v_add_f32_e32 v45, v42, v45
	v_add_f32_e32 v42, v42, v43
	;; [unrolled: 1-line block ×4, first 2 shown]
	v_rcp_f32_e32 v43, v47
	v_sub_f32_e32 v46, v46, v47
	v_sub_f32_e32 v44, v44, v48
	v_add_f32_e32 v45, v45, v46
	v_add_f32_e32 v42, v42, v44
	v_mul_f32_e32 v49, v48, v43
	v_mul_f32_e32 v50, v47, v49
	v_fma_f32 v46, v49, v47, -v50
	v_fmac_f32_e32 v46, v49, v45
	v_add_f32_e32 v51, v50, v46
	v_sub_f32_e32 v52, v48, v51
	v_sub_f32_e32 v44, v51, v50
	;; [unrolled: 1-line block ×5, first 2 shown]
	v_add_f32_e32 v42, v42, v48
	v_add_f32_e32 v42, v44, v42
	;; [unrolled: 1-line block ×3, first 2 shown]
	v_mul_f32_e32 v46, v43, v44
	v_sub_f32_e32 v51, v52, v44
	v_mul_f32_e32 v48, v47, v46
	v_add_f32_e32 v42, v42, v51
	v_fma_f32 v47, v46, v47, -v48
	v_fmac_f32_e32 v47, v46, v45
	v_add_f32_e32 v45, v48, v47
	v_sub_f32_e32 v50, v44, v45
	v_sub_f32_e32 v48, v45, v48
	;; [unrolled: 1-line block ×5, first 2 shown]
	v_add_f32_e32 v42, v42, v44
	v_add_f32_e32 v44, v49, v46
	;; [unrolled: 1-line block ×3, first 2 shown]
	v_sub_f32_e32 v45, v44, v49
	v_add_f32_e32 v42, v50, v42
	v_sub_f32_e32 v45, v46, v45
	v_mul_f32_e32 v42, v43, v42
	v_add_f32_e32 v42, v45, v42
	v_add_f32_e32 v43, v44, v42
	v_mul_f32_e32 v45, v43, v43
	v_fmaak_f32 v46, s24, v45, 0x3ecc95a3
	v_mul_f32_e32 v47, v43, v45
	v_fmaak_f32 v45, v45, v46, 0x3f2aaada
	v_ldexp_f32 v46, v43, 1
	v_sub_f32_e32 v43, v43, v44
	v_mul_f32_e32 v45, v47, v45
	v_mul_f32_e32 v47, 0x3f317218, v41
	v_sub_f32_e32 v42, v42, v43
	v_add_f32_e32 v44, v46, v45
	v_ldexp_f32 v42, v42, 1
	v_sub_f32_e32 v43, v44, v46
	v_fma_f32 v46, 0x3f317218, v41, -v47
	v_sub_f32_e32 v43, v45, v43
	v_fmac_f32_e32 v46, 0xb102e308, v41
	v_add_f32_e32 v41, v42, v43
	v_add_f32_e32 v42, v47, v46
	;; [unrolled: 1-line block ×3, first 2 shown]
	v_sub_f32_e32 v47, v42, v47
	v_add_f32_e32 v45, v42, v43
	v_sub_f32_e32 v44, v43, v44
	v_sub_f32_e32 v46, v46, v47
	;; [unrolled: 1-line block ×6, first 2 shown]
	v_add_f32_e32 v44, v46, v41
	v_sub_f32_e32 v42, v42, v49
	v_add_f32_e32 v42, v43, v42
	v_sub_f32_e32 v43, v44, v46
	;; [unrolled: 2-line block ×3, first 2 shown]
	v_sub_f32_e32 v41, v41, v43
	v_add_f32_e32 v47, v45, v42
	v_sub_f32_e32 v44, v46, v44
	v_sub_f32_e32 v43, v47, v45
	v_add_f32_e32 v41, v41, v44
	v_sub_f32_e32 v42, v42, v43
	v_add_f32_e32 v41, v41, v42
	v_add_f32_e32 v41, v47, v41
	v_cndmask_b32_e32 v41, 0x7f800000, v41, vcc_lo
	v_cmp_gt_f32_e64 vcc_lo, 0x33800000, |v10|
	v_cndmask_b32_e32 v10, v41, v10, vcc_lo
	v_add_f32_e32 v9, v9, v10
	v_cvt_f16_f32_e32 v41, v9
	s_branch .LBB359_109
.LBB359_138:
                                        ; implicit-def: $vgpr7
                                        ; implicit-def: $vgpr25
                                        ; implicit-def: $vgpr26
                                        ; implicit-def: $vgpr9
                                        ; implicit-def: $vgpr17
                                        ; implicit-def: $vgpr10
                                        ; implicit-def: $vgpr18
                                        ; implicit-def: $vgpr11
                                        ; implicit-def: $vgpr19
                                        ; implicit-def: $vgpr15
                                        ; implicit-def: $vgpr20
                                        ; implicit-def: $vgpr16
	s_load_dwordx8 s[24:31], s[4:5], 0x38
	s_cbranch_execnz .LBB359_174
	s_branch .LBB359_257
.LBB359_139:
	s_and_saveexec_b32 s24, s17
	s_cbranch_execz .LBB359_143
; %bb.140:
	v_cvt_f32_f16_e32 v7, v37
	v_cvt_f32_f16_e32 v8, v27
	v_cmp_u_f16_e32 vcc_lo, v37, v37
	s_waitcnt lgkmcnt(0)
	v_min_f32_e32 v9, v7, v8
	v_max_f32_e32 v10, v7, v8
	v_cndmask_b32_e32 v9, v9, v7, vcc_lo
	v_cndmask_b32_e32 v7, v10, v7, vcc_lo
	v_cmp_u_f16_e32 vcc_lo, v27, v27
	v_cndmask_b32_e32 v9, v9, v8, vcc_lo
	v_cndmask_b32_e32 v7, v7, v8, vcc_lo
	v_mov_b32_e32 v8, v37
	v_cmp_class_f32_e64 s17, v9, 0x1f8
	v_cmp_neq_f32_e32 vcc_lo, v9, v7
	s_or_b32 s25, vcc_lo, s17
	s_and_saveexec_b32 s17, s25
	s_cbranch_execz .LBB359_142
; %bb.141:
	v_sub_f32_e32 v8, v9, v7
	s_mov_b32 s25, 0x3e9b6dac
	v_mul_f32_e32 v9, 0x3fb8aa3b, v8
	v_cmp_ngt_f32_e32 vcc_lo, 0xc2ce8ed0, v8
	v_fma_f32 v10, 0x3fb8aa3b, v8, -v9
	v_rndne_f32_e32 v11, v9
	v_fmamk_f32 v10, v8, 0x32a5705f, v10
	v_sub_f32_e32 v9, v9, v11
	v_add_f32_e32 v9, v9, v10
	v_cvt_i32_f32_e32 v10, v11
	v_exp_f32_e32 v9, v9
	v_ldexp_f32 v9, v9, v10
	v_cndmask_b32_e32 v9, 0, v9, vcc_lo
	v_cmp_nlt_f32_e32 vcc_lo, 0x42b17218, v8
	v_cndmask_b32_e32 v10, 0x7f800000, v9, vcc_lo
	v_add_f32_e32 v11, 1.0, v10
	v_cvt_f64_f32_e32 v[8:9], v11
	v_frexp_exp_i32_f64_e32 v8, v[8:9]
	v_frexp_mant_f32_e32 v9, v11
	v_cmp_gt_f32_e32 vcc_lo, 0x3f2aaaab, v9
	v_add_f32_e32 v9, -1.0, v11
	v_sub_f32_e32 v28, v9, v11
	v_sub_f32_e32 v9, v10, v9
	v_add_f32_e32 v28, 1.0, v28
	v_add_f32_e32 v9, v9, v28
	v_subrev_co_ci_u32_e64 v8, null, 0, v8, vcc_lo
	v_cmp_neq_f32_e32 vcc_lo, 0x7f800000, v10
	v_sub_nc_u32_e32 v27, 0, v8
	v_cvt_f32_i32_e32 v8, v8
	v_ldexp_f32 v11, v11, v27
	v_ldexp_f32 v9, v9, v27
	v_add_f32_e32 v29, 1.0, v11
	v_add_f32_e32 v27, -1.0, v11
	v_add_f32_e32 v28, -1.0, v29
	v_add_f32_e32 v30, 1.0, v27
	v_sub_f32_e32 v28, v11, v28
	v_sub_f32_e32 v11, v11, v30
	v_add_f32_e32 v28, v9, v28
	v_add_f32_e32 v9, v9, v11
	;; [unrolled: 1-line block ×4, first 2 shown]
	v_rcp_f32_e32 v11, v30
	v_sub_f32_e32 v29, v29, v30
	v_sub_f32_e32 v27, v27, v31
	v_add_f32_e32 v28, v28, v29
	v_add_f32_e32 v9, v9, v27
	v_mul_f32_e32 v32, v31, v11
	v_mul_f32_e32 v33, v30, v32
	v_fma_f32 v29, v32, v30, -v33
	v_fmac_f32_e32 v29, v32, v28
	v_add_f32_e32 v34, v33, v29
	v_sub_f32_e32 v35, v31, v34
	v_sub_f32_e32 v27, v34, v33
	;; [unrolled: 1-line block ×5, first 2 shown]
	v_add_f32_e32 v9, v9, v31
	v_add_f32_e32 v9, v27, v9
	v_add_f32_e32 v27, v35, v9
	v_mul_f32_e32 v29, v11, v27
	v_sub_f32_e32 v34, v35, v27
	v_mul_f32_e32 v31, v30, v29
	v_add_f32_e32 v9, v9, v34
	v_fma_f32 v30, v29, v30, -v31
	v_fmac_f32_e32 v30, v29, v28
	v_add_f32_e32 v28, v31, v30
	v_sub_f32_e32 v33, v27, v28
	v_sub_f32_e32 v31, v28, v31
	;; [unrolled: 1-line block ×5, first 2 shown]
	v_add_f32_e32 v9, v9, v27
	v_add_f32_e32 v27, v32, v29
	;; [unrolled: 1-line block ×3, first 2 shown]
	v_sub_f32_e32 v28, v27, v32
	v_add_f32_e32 v9, v33, v9
	v_sub_f32_e32 v28, v29, v28
	v_mul_f32_e32 v9, v11, v9
	v_add_f32_e32 v9, v28, v9
	v_add_f32_e32 v11, v27, v9
	v_mul_f32_e32 v28, v11, v11
	v_fmaak_f32 v29, s25, v28, 0x3ecc95a3
	v_mul_f32_e32 v30, v11, v28
	v_fmaak_f32 v28, v28, v29, 0x3f2aaada
	v_ldexp_f32 v29, v11, 1
	v_sub_f32_e32 v11, v11, v27
	v_mul_f32_e32 v28, v30, v28
	v_mul_f32_e32 v30, 0x3f317218, v8
	v_sub_f32_e32 v9, v9, v11
	v_add_f32_e32 v27, v29, v28
	v_ldexp_f32 v9, v9, 1
	v_sub_f32_e32 v11, v27, v29
	v_fma_f32 v29, 0x3f317218, v8, -v30
	v_sub_f32_e32 v11, v28, v11
	v_fmamk_f32 v8, v8, 0xb102e308, v29
	v_add_f32_e32 v9, v9, v11
	v_add_f32_e32 v11, v30, v8
	v_add_f32_e32 v28, v27, v9
	v_sub_f32_e32 v30, v11, v30
	v_add_f32_e32 v29, v11, v28
	v_sub_f32_e32 v27, v28, v27
	v_sub_f32_e32 v8, v8, v30
	;; [unrolled: 1-line block ×6, first 2 shown]
	v_add_f32_e32 v28, v8, v9
	v_sub_f32_e32 v11, v11, v32
	v_add_f32_e32 v11, v27, v11
	v_sub_f32_e32 v27, v28, v8
	v_add_f32_e32 v11, v28, v11
	v_sub_f32_e32 v28, v28, v27
	v_sub_f32_e32 v9, v9, v27
	v_add_f32_e32 v30, v29, v11
	v_sub_f32_e32 v8, v8, v28
	v_sub_f32_e32 v27, v30, v29
	v_add_f32_e32 v8, v9, v8
	v_sub_f32_e32 v9, v11, v27
	v_add_f32_e32 v8, v8, v9
	v_add_f32_e32 v8, v30, v8
	v_cndmask_b32_e32 v8, 0x7f800000, v8, vcc_lo
	v_cmp_gt_f32_e64 vcc_lo, 0x33800000, |v10|
	v_cndmask_b32_e32 v8, v8, v10, vcc_lo
	v_add_f32_e32 v7, v7, v8
	v_cvt_f16_f32_e32 v8, v7
.LBB359_142:
	s_or_b32 exec_lo, exec_lo, s17
	v_mov_b32_e32 v7, 0x20000
	s_add_i32 s28, s6, 32
	s_mov_b32 s29, 0
	v_mov_b32_e32 v9, 0
	s_lshl_b64 s[28:29], s[28:29], 2
	v_or_b32_sdwa v7, v8, v7 dst_sel:DWORD dst_unused:UNUSED_PAD src0_sel:WORD_0 src1_sel:DWORD
	s_add_u32 s28, s34, s28
	s_addc_u32 s29, s35, s29
	global_store_dword v9, v7, s[28:29]
.LBB359_143:
	s_or_b32 exec_lo, exec_lo, s24
	s_and_b32 exec_lo, exec_lo, s16
; %bb.144:
	v_mov_b32_e32 v7, 0
	ds_write_b16 v7, v37
.LBB359_145:
	s_or_b32 exec_lo, exec_lo, s26
	v_mov_b32_e32 v7, 0
	s_waitcnt lgkmcnt(0)
	s_waitcnt_vscnt null, 0x0
	s_barrier
	buffer_gl0_inv
	v_mov_b32_e32 v9, v1
	ds_read_u16 v7, v7
	s_and_saveexec_b32 s6, s15
	s_cbranch_execz .LBB359_149
; %bb.146:
	v_cvt_f32_f16_e32 v9, v26
	v_max_f32_e32 v8, v25, v25
	v_cmp_u_f16_e32 vcc_lo, v26, v26
	v_min_f32_e32 v10, v9, v8
	v_max_f32_e32 v8, v9, v8
	v_cndmask_b32_e32 v10, v10, v9, vcc_lo
	v_cndmask_b32_e32 v8, v8, v9, vcc_lo
	v_cndmask_b32_e64 v10, v10, v25, s14
	v_cndmask_b32_e64 v8, v8, v25, s14
	v_cmp_class_f32_e64 s14, v10, 0x1f8
	v_cmp_neq_f32_e32 vcc_lo, v10, v8
	s_or_b32 s15, vcc_lo, s14
	s_and_saveexec_b32 s14, s15
	s_cbranch_execz .LBB359_148
; %bb.147:
	v_sub_f32_e32 v9, v10, v8
	s_mov_b32 s15, 0x3e9b6dac
	v_mul_f32_e32 v10, 0x3fb8aa3b, v9
	v_cmp_ngt_f32_e32 vcc_lo, 0xc2ce8ed0, v9
	v_fma_f32 v11, 0x3fb8aa3b, v9, -v10
	v_rndne_f32_e32 v25, v10
	v_fmamk_f32 v11, v9, 0x32a5705f, v11
	v_sub_f32_e32 v10, v10, v25
	v_add_f32_e32 v10, v10, v11
	v_cvt_i32_f32_e32 v11, v25
	v_exp_f32_e32 v10, v10
	v_ldexp_f32 v10, v10, v11
	v_cndmask_b32_e32 v10, 0, v10, vcc_lo
	v_cmp_nlt_f32_e32 vcc_lo, 0x42b17218, v9
	v_cndmask_b32_e32 v11, 0x7f800000, v10, vcc_lo
	v_add_f32_e32 v25, 1.0, v11
	v_cvt_f64_f32_e32 v[9:10], v25
	v_frexp_exp_i32_f64_e32 v9, v[9:10]
	v_frexp_mant_f32_e32 v10, v25
	v_cmp_gt_f32_e32 vcc_lo, 0x3f2aaaab, v10
	v_add_f32_e32 v10, -1.0, v25
	v_sub_f32_e32 v27, v10, v25
	v_sub_f32_e32 v10, v11, v10
	v_add_f32_e32 v27, 1.0, v27
	v_add_f32_e32 v10, v10, v27
	v_subrev_co_ci_u32_e64 v9, null, 0, v9, vcc_lo
	v_cmp_neq_f32_e32 vcc_lo, 0x7f800000, v11
	v_sub_nc_u32_e32 v26, 0, v9
	v_cvt_f32_i32_e32 v9, v9
	v_ldexp_f32 v25, v25, v26
	v_ldexp_f32 v10, v10, v26
	v_add_f32_e32 v28, 1.0, v25
	v_add_f32_e32 v26, -1.0, v25
	v_add_f32_e32 v27, -1.0, v28
	v_add_f32_e32 v29, 1.0, v26
	v_sub_f32_e32 v27, v25, v27
	v_sub_f32_e32 v25, v25, v29
	v_add_f32_e32 v27, v10, v27
	v_add_f32_e32 v10, v10, v25
	;; [unrolled: 1-line block ×4, first 2 shown]
	v_rcp_f32_e32 v25, v29
	v_sub_f32_e32 v28, v28, v29
	v_sub_f32_e32 v26, v26, v30
	v_add_f32_e32 v27, v27, v28
	v_add_f32_e32 v10, v10, v26
	v_mul_f32_e32 v31, v30, v25
	v_mul_f32_e32 v32, v29, v31
	v_fma_f32 v28, v31, v29, -v32
	v_fmac_f32_e32 v28, v31, v27
	v_add_f32_e32 v33, v32, v28
	v_sub_f32_e32 v34, v30, v33
	v_sub_f32_e32 v26, v33, v32
	;; [unrolled: 1-line block ×5, first 2 shown]
	v_add_f32_e32 v10, v10, v30
	v_add_f32_e32 v10, v26, v10
	;; [unrolled: 1-line block ×3, first 2 shown]
	v_mul_f32_e32 v28, v25, v26
	v_sub_f32_e32 v33, v34, v26
	v_mul_f32_e32 v30, v29, v28
	v_add_f32_e32 v10, v10, v33
	v_fma_f32 v29, v28, v29, -v30
	v_fmac_f32_e32 v29, v28, v27
	v_add_f32_e32 v27, v30, v29
	v_sub_f32_e32 v32, v26, v27
	v_sub_f32_e32 v30, v27, v30
	;; [unrolled: 1-line block ×5, first 2 shown]
	v_add_f32_e32 v10, v10, v26
	v_add_f32_e32 v26, v31, v28
	;; [unrolled: 1-line block ×3, first 2 shown]
	v_sub_f32_e32 v27, v26, v31
	v_add_f32_e32 v10, v32, v10
	v_sub_f32_e32 v27, v28, v27
	v_mul_f32_e32 v10, v25, v10
	v_add_f32_e32 v10, v27, v10
	v_add_f32_e32 v25, v26, v10
	v_mul_f32_e32 v27, v25, v25
	v_fmaak_f32 v28, s15, v27, 0x3ecc95a3
	v_mul_f32_e32 v29, v25, v27
	v_fmaak_f32 v27, v27, v28, 0x3f2aaada
	v_ldexp_f32 v28, v25, 1
	v_sub_f32_e32 v25, v25, v26
	v_mul_f32_e32 v27, v29, v27
	v_mul_f32_e32 v29, 0x3f317218, v9
	v_sub_f32_e32 v10, v10, v25
	v_add_f32_e32 v26, v28, v27
	v_ldexp_f32 v10, v10, 1
	v_sub_f32_e32 v25, v26, v28
	v_fma_f32 v28, 0x3f317218, v9, -v29
	v_sub_f32_e32 v25, v27, v25
	v_fmamk_f32 v9, v9, 0xb102e308, v28
	v_add_f32_e32 v10, v10, v25
	v_add_f32_e32 v25, v29, v9
	;; [unrolled: 1-line block ×3, first 2 shown]
	v_sub_f32_e32 v29, v25, v29
	v_add_f32_e32 v28, v25, v27
	v_sub_f32_e32 v26, v27, v26
	v_sub_f32_e32 v9, v9, v29
	;; [unrolled: 1-line block ×6, first 2 shown]
	v_add_f32_e32 v27, v9, v10
	v_sub_f32_e32 v25, v25, v31
	v_add_f32_e32 v25, v26, v25
	v_sub_f32_e32 v26, v27, v9
	;; [unrolled: 2-line block ×3, first 2 shown]
	v_sub_f32_e32 v10, v10, v26
	v_add_f32_e32 v29, v28, v25
	v_sub_f32_e32 v9, v9, v27
	v_sub_f32_e32 v26, v29, v28
	v_add_f32_e32 v9, v10, v9
	v_sub_f32_e32 v10, v25, v26
	v_add_f32_e32 v9, v9, v10
	v_add_f32_e32 v9, v29, v9
	v_cndmask_b32_e32 v9, 0x7f800000, v9, vcc_lo
	v_cmp_gt_f32_e64 vcc_lo, 0x33800000, |v11|
	v_cndmask_b32_e32 v9, v9, v11, vcc_lo
	v_add_f32_e32 v8, v8, v9
	v_cvt_f16_f32_e32 v26, v8
	v_cvt_f32_f16_e32 v9, v26
.LBB359_148:
	s_or_b32 exec_lo, exec_lo, s14
	v_mov_b32_e32 v25, v9
	v_mov_b32_e32 v9, v26
.LBB359_149:
	s_or_b32 exec_lo, exec_lo, s6
	s_waitcnt lgkmcnt(0)
	v_cvt_f32_f16_e32 v8, v7
	v_max_f32_e32 v10, v25, v25
	v_cmp_u_f16_e32 vcc_lo, v7, v7
	v_min_f32_e32 v11, v8, v10
	v_max_f32_e32 v10, v8, v10
	v_cndmask_b32_e32 v11, v11, v8, vcc_lo
	v_cndmask_b32_e32 v26, v10, v8, vcc_lo
	v_cmp_u_f16_e32 vcc_lo, v9, v9
	v_cndmask_b32_e32 v10, v11, v25, vcc_lo
	v_cndmask_b32_e32 v9, v26, v25, vcc_lo
	v_cmp_class_f32_e64 s6, v10, 0x1f8
	v_cmp_neq_f32_e32 vcc_lo, v10, v9
	s_or_b32 s14, vcc_lo, s6
	s_and_saveexec_b32 s6, s14
	s_cbranch_execz .LBB359_151
; %bb.150:
	v_sub_f32_e32 v7, v10, v9
	s_mov_b32 s14, 0x3e9b6dac
	v_mul_f32_e32 v8, 0x3fb8aa3b, v7
	v_cmp_ngt_f32_e32 vcc_lo, 0xc2ce8ed0, v7
	v_fma_f32 v10, 0x3fb8aa3b, v7, -v8
	v_rndne_f32_e32 v11, v8
	v_fmamk_f32 v10, v7, 0x32a5705f, v10
	v_sub_f32_e32 v8, v8, v11
	v_add_f32_e32 v8, v8, v10
	v_cvt_i32_f32_e32 v10, v11
	v_exp_f32_e32 v8, v8
	v_ldexp_f32 v8, v8, v10
	v_cndmask_b32_e32 v8, 0, v8, vcc_lo
	v_cmp_nlt_f32_e32 vcc_lo, 0x42b17218, v7
	v_cndmask_b32_e32 v10, 0x7f800000, v8, vcc_lo
	v_add_f32_e32 v11, 1.0, v10
	v_cvt_f64_f32_e32 v[7:8], v11
	v_frexp_exp_i32_f64_e32 v7, v[7:8]
	v_frexp_mant_f32_e32 v8, v11
	v_cmp_gt_f32_e32 vcc_lo, 0x3f2aaaab, v8
	v_add_f32_e32 v8, -1.0, v11
	v_sub_f32_e32 v26, v8, v11
	v_sub_f32_e32 v8, v10, v8
	v_add_f32_e32 v26, 1.0, v26
	v_add_f32_e32 v8, v8, v26
	v_subrev_co_ci_u32_e64 v7, null, 0, v7, vcc_lo
	v_cmp_neq_f32_e32 vcc_lo, 0x7f800000, v10
	v_sub_nc_u32_e32 v25, 0, v7
	v_cvt_f32_i32_e32 v7, v7
	v_ldexp_f32 v11, v11, v25
	v_ldexp_f32 v8, v8, v25
	v_add_f32_e32 v27, 1.0, v11
	v_add_f32_e32 v25, -1.0, v11
	v_add_f32_e32 v26, -1.0, v27
	v_add_f32_e32 v28, 1.0, v25
	v_sub_f32_e32 v26, v11, v26
	v_sub_f32_e32 v11, v11, v28
	v_add_f32_e32 v26, v8, v26
	v_add_f32_e32 v8, v8, v11
	;; [unrolled: 1-line block ×4, first 2 shown]
	v_rcp_f32_e32 v11, v28
	v_sub_f32_e32 v27, v27, v28
	v_sub_f32_e32 v25, v25, v29
	v_add_f32_e32 v26, v26, v27
	v_add_f32_e32 v8, v8, v25
	v_mul_f32_e32 v30, v29, v11
	v_mul_f32_e32 v31, v28, v30
	v_fma_f32 v27, v30, v28, -v31
	v_fmac_f32_e32 v27, v30, v26
	v_add_f32_e32 v32, v31, v27
	v_sub_f32_e32 v33, v29, v32
	v_sub_f32_e32 v25, v32, v31
	v_sub_f32_e32 v29, v29, v33
	v_sub_f32_e32 v25, v25, v27
	v_sub_f32_e32 v29, v29, v32
	v_add_f32_e32 v8, v8, v29
	v_add_f32_e32 v8, v25, v8
	;; [unrolled: 1-line block ×3, first 2 shown]
	v_mul_f32_e32 v27, v11, v25
	v_sub_f32_e32 v32, v33, v25
	v_mul_f32_e32 v29, v28, v27
	v_add_f32_e32 v8, v8, v32
	v_fma_f32 v28, v27, v28, -v29
	v_fmac_f32_e32 v28, v27, v26
	v_add_f32_e32 v26, v29, v28
	v_sub_f32_e32 v31, v25, v26
	v_sub_f32_e32 v29, v26, v29
	;; [unrolled: 1-line block ×5, first 2 shown]
	v_add_f32_e32 v8, v8, v25
	v_add_f32_e32 v25, v30, v27
	;; [unrolled: 1-line block ×3, first 2 shown]
	v_sub_f32_e32 v26, v25, v30
	v_add_f32_e32 v8, v31, v8
	v_sub_f32_e32 v26, v27, v26
	v_mul_f32_e32 v8, v11, v8
	v_add_f32_e32 v8, v26, v8
	v_add_f32_e32 v11, v25, v8
	v_mul_f32_e32 v26, v11, v11
	v_fmaak_f32 v27, s14, v26, 0x3ecc95a3
	v_mul_f32_e32 v28, v11, v26
	v_fmaak_f32 v26, v26, v27, 0x3f2aaada
	v_ldexp_f32 v27, v11, 1
	v_sub_f32_e32 v11, v11, v25
	v_mul_f32_e32 v26, v28, v26
	v_mul_f32_e32 v28, 0x3f317218, v7
	v_sub_f32_e32 v8, v8, v11
	v_add_f32_e32 v25, v27, v26
	v_ldexp_f32 v8, v8, 1
	v_sub_f32_e32 v11, v25, v27
	v_fma_f32 v27, 0x3f317218, v7, -v28
	v_sub_f32_e32 v11, v26, v11
	v_fmamk_f32 v7, v7, 0xb102e308, v27
	v_add_f32_e32 v8, v8, v11
	v_add_f32_e32 v11, v28, v7
	;; [unrolled: 1-line block ×3, first 2 shown]
	v_sub_f32_e32 v28, v11, v28
	v_add_f32_e32 v27, v11, v26
	v_sub_f32_e32 v25, v26, v25
	v_sub_f32_e32 v7, v7, v28
	;; [unrolled: 1-line block ×6, first 2 shown]
	v_add_f32_e32 v26, v7, v8
	v_sub_f32_e32 v11, v11, v30
	v_add_f32_e32 v11, v25, v11
	v_sub_f32_e32 v25, v26, v7
	;; [unrolled: 2-line block ×3, first 2 shown]
	v_sub_f32_e32 v8, v8, v25
	v_add_f32_e32 v28, v27, v11
	v_sub_f32_e32 v7, v7, v26
	v_sub_f32_e32 v25, v28, v27
	v_add_f32_e32 v7, v8, v7
	v_sub_f32_e32 v8, v11, v25
	v_add_f32_e32 v7, v7, v8
	v_add_f32_e32 v7, v28, v7
	v_cndmask_b32_e32 v7, 0x7f800000, v7, vcc_lo
	v_cmp_gt_f32_e64 vcc_lo, 0x33800000, |v10|
	v_cndmask_b32_e32 v7, v7, v10, vcc_lo
	v_add_f32_e32 v7, v9, v7
	v_cvt_f16_f32_e32 v7, v7
	v_cvt_f32_f16_e32 v8, v7
.LBB359_151:
	s_or_b32 exec_lo, exec_lo, s6
	v_max_f32_e32 v9, v14, v14
	v_max_f32_e32 v10, v8, v8
	v_cmp_u_f16_e32 vcc_lo, v7, v7
	v_mov_b32_e32 v27, v7
	v_mov_b32_e32 v25, v7
	v_min_f32_e32 v11, v10, v9
	v_max_f32_e32 v9, v10, v9
	v_cndmask_b32_e32 v10, v11, v8, vcc_lo
	v_cndmask_b32_e32 v9, v9, v8, vcc_lo
	v_cndmask_b32_e64 v10, v10, v14, s0
	v_cndmask_b32_e64 v9, v9, v14, s0
	v_cmp_class_f32_e64 s0, v10, 0x1f8
	v_cmp_neq_f32_e32 vcc_lo, v10, v9
	s_or_b32 s6, vcc_lo, s0
	s_and_saveexec_b32 s0, s6
	s_cbranch_execz .LBB359_153
; %bb.152:
	v_sub_f32_e32 v8, v10, v9
	s_mov_b32 s6, 0x3e9b6dac
	v_mul_f32_e32 v10, 0x3fb8aa3b, v8
	v_cmp_ngt_f32_e32 vcc_lo, 0xc2ce8ed0, v8
	v_fma_f32 v11, 0x3fb8aa3b, v8, -v10
	v_rndne_f32_e32 v25, v10
	v_fmamk_f32 v11, v8, 0x32a5705f, v11
	v_sub_f32_e32 v10, v10, v25
	v_add_f32_e32 v10, v10, v11
	v_cvt_i32_f32_e32 v11, v25
	v_exp_f32_e32 v10, v10
	v_ldexp_f32 v10, v10, v11
	v_cndmask_b32_e32 v10, 0, v10, vcc_lo
	v_cmp_nlt_f32_e32 vcc_lo, 0x42b17218, v8
	v_cndmask_b32_e32 v8, 0x7f800000, v10, vcc_lo
	v_add_f32_e32 v25, 1.0, v8
	v_cvt_f64_f32_e32 v[10:11], v25
	v_frexp_exp_i32_f64_e32 v10, v[10:11]
	v_frexp_mant_f32_e32 v11, v25
	v_cmp_gt_f32_e32 vcc_lo, 0x3f2aaaab, v11
	v_add_f32_e32 v11, -1.0, v25
	v_sub_f32_e32 v27, v11, v25
	v_sub_f32_e32 v11, v8, v11
	v_add_f32_e32 v27, 1.0, v27
	v_add_f32_e32 v11, v11, v27
	v_subrev_co_ci_u32_e64 v10, null, 0, v10, vcc_lo
	v_cmp_neq_f32_e32 vcc_lo, 0x7f800000, v8
	v_sub_nc_u32_e32 v26, 0, v10
	v_cvt_f32_i32_e32 v10, v10
	v_ldexp_f32 v25, v25, v26
	v_ldexp_f32 v11, v11, v26
	v_add_f32_e32 v28, 1.0, v25
	v_add_f32_e32 v26, -1.0, v25
	v_add_f32_e32 v27, -1.0, v28
	v_add_f32_e32 v29, 1.0, v26
	v_sub_f32_e32 v27, v25, v27
	v_sub_f32_e32 v25, v25, v29
	v_add_f32_e32 v27, v11, v27
	v_add_f32_e32 v11, v11, v25
	;; [unrolled: 1-line block ×4, first 2 shown]
	v_rcp_f32_e32 v25, v29
	v_sub_f32_e32 v28, v28, v29
	v_sub_f32_e32 v26, v26, v30
	v_add_f32_e32 v27, v27, v28
	v_add_f32_e32 v11, v11, v26
	v_mul_f32_e32 v31, v30, v25
	v_mul_f32_e32 v32, v29, v31
	v_fma_f32 v28, v31, v29, -v32
	v_fmac_f32_e32 v28, v31, v27
	v_add_f32_e32 v33, v32, v28
	v_sub_f32_e32 v34, v30, v33
	v_sub_f32_e32 v26, v33, v32
	;; [unrolled: 1-line block ×5, first 2 shown]
	v_add_f32_e32 v11, v11, v30
	v_add_f32_e32 v11, v26, v11
	;; [unrolled: 1-line block ×3, first 2 shown]
	v_mul_f32_e32 v28, v25, v26
	v_sub_f32_e32 v33, v34, v26
	v_mul_f32_e32 v30, v29, v28
	v_add_f32_e32 v11, v11, v33
	v_fma_f32 v29, v28, v29, -v30
	v_fmac_f32_e32 v29, v28, v27
	v_add_f32_e32 v27, v30, v29
	v_sub_f32_e32 v32, v26, v27
	v_sub_f32_e32 v30, v27, v30
	;; [unrolled: 1-line block ×5, first 2 shown]
	v_add_f32_e32 v11, v11, v26
	v_add_f32_e32 v26, v31, v28
	v_add_f32_e32 v11, v27, v11
	v_sub_f32_e32 v27, v26, v31
	v_add_f32_e32 v11, v32, v11
	v_sub_f32_e32 v27, v28, v27
	v_mul_f32_e32 v11, v25, v11
	v_add_f32_e32 v11, v27, v11
	v_add_f32_e32 v25, v26, v11
	v_mul_f32_e32 v27, v25, v25
	v_fmaak_f32 v28, s6, v27, 0x3ecc95a3
	v_mul_f32_e32 v29, v25, v27
	v_fmaak_f32 v27, v27, v28, 0x3f2aaada
	v_ldexp_f32 v28, v25, 1
	v_sub_f32_e32 v25, v25, v26
	v_mul_f32_e32 v27, v29, v27
	v_mul_f32_e32 v29, 0x3f317218, v10
	v_sub_f32_e32 v11, v11, v25
	v_add_f32_e32 v26, v28, v27
	v_ldexp_f32 v11, v11, 1
	v_sub_f32_e32 v25, v26, v28
	v_fma_f32 v28, 0x3f317218, v10, -v29
	v_sub_f32_e32 v25, v27, v25
	v_fmamk_f32 v10, v10, 0xb102e308, v28
	v_add_f32_e32 v11, v11, v25
	v_add_f32_e32 v25, v29, v10
	;; [unrolled: 1-line block ×3, first 2 shown]
	v_sub_f32_e32 v29, v25, v29
	v_add_f32_e32 v28, v25, v27
	v_sub_f32_e32 v26, v27, v26
	v_sub_f32_e32 v10, v10, v29
	;; [unrolled: 1-line block ×6, first 2 shown]
	v_add_f32_e32 v27, v10, v11
	v_sub_f32_e32 v25, v25, v31
	v_add_f32_e32 v25, v26, v25
	v_sub_f32_e32 v26, v27, v10
	;; [unrolled: 2-line block ×3, first 2 shown]
	v_sub_f32_e32 v11, v11, v26
	v_add_f32_e32 v29, v28, v25
	v_sub_f32_e32 v10, v10, v27
	v_sub_f32_e32 v26, v29, v28
	v_add_f32_e32 v10, v11, v10
	v_sub_f32_e32 v11, v25, v26
	v_add_f32_e32 v10, v10, v11
	v_add_f32_e32 v10, v29, v10
	v_cndmask_b32_e32 v10, 0x7f800000, v10, vcc_lo
	v_cmp_gt_f32_e64 vcc_lo, 0x33800000, |v8|
	v_cndmask_b32_e32 v8, v10, v8, vcc_lo
	v_add_f32_e32 v8, v9, v8
	v_cvt_f16_f32_e32 v27, v8
	v_cvt_f32_f16_e32 v8, v27
	v_mov_b32_e32 v25, v27
.LBB359_153:
	s_or_b32 exec_lo, exec_lo, s0
	v_max_f32_e32 v9, v15, v15
	v_max_f32_e32 v10, v8, v8
	v_cmp_u_f16_e32 vcc_lo, v27, v27
	v_mov_b32_e32 v26, v25
	v_min_f32_e32 v11, v10, v9
	v_max_f32_e32 v9, v10, v9
	v_cndmask_b32_e32 v10, v11, v8, vcc_lo
	v_cndmask_b32_e32 v9, v9, v8, vcc_lo
	v_cndmask_b32_e64 v10, v10, v15, s1
	v_cndmask_b32_e64 v9, v9, v15, s1
	v_cmp_class_f32_e64 s0, v10, 0x1f8
	v_cmp_neq_f32_e32 vcc_lo, v10, v9
	s_or_b32 s1, vcc_lo, s0
	s_and_saveexec_b32 s0, s1
	s_cbranch_execz .LBB359_155
; %bb.154:
	v_sub_f32_e32 v8, v10, v9
	s_mov_b32 s1, 0x3e9b6dac
	v_mul_f32_e32 v10, 0x3fb8aa3b, v8
	v_cmp_ngt_f32_e32 vcc_lo, 0xc2ce8ed0, v8
	v_fma_f32 v11, 0x3fb8aa3b, v8, -v10
	v_rndne_f32_e32 v15, v10
	v_fmamk_f32 v11, v8, 0x32a5705f, v11
	v_sub_f32_e32 v10, v10, v15
	v_add_f32_e32 v10, v10, v11
	v_cvt_i32_f32_e32 v11, v15
	v_exp_f32_e32 v10, v10
	v_ldexp_f32 v10, v10, v11
	v_cndmask_b32_e32 v10, 0, v10, vcc_lo
	v_cmp_nlt_f32_e32 vcc_lo, 0x42b17218, v8
	v_cndmask_b32_e32 v8, 0x7f800000, v10, vcc_lo
	v_add_f32_e32 v15, 1.0, v8
	v_cvt_f64_f32_e32 v[10:11], v15
	v_frexp_exp_i32_f64_e32 v10, v[10:11]
	v_frexp_mant_f32_e32 v11, v15
	v_cmp_gt_f32_e32 vcc_lo, 0x3f2aaaab, v11
	v_add_f32_e32 v11, -1.0, v15
	v_sub_f32_e32 v27, v11, v15
	v_sub_f32_e32 v11, v8, v11
	v_add_f32_e32 v27, 1.0, v27
	v_add_f32_e32 v11, v11, v27
	v_subrev_co_ci_u32_e64 v10, null, 0, v10, vcc_lo
	v_cmp_neq_f32_e32 vcc_lo, 0x7f800000, v8
	v_sub_nc_u32_e32 v26, 0, v10
	v_cvt_f32_i32_e32 v10, v10
	v_ldexp_f32 v15, v15, v26
	v_ldexp_f32 v11, v11, v26
	v_add_f32_e32 v28, 1.0, v15
	v_add_f32_e32 v26, -1.0, v15
	v_add_f32_e32 v27, -1.0, v28
	v_add_f32_e32 v29, 1.0, v26
	v_sub_f32_e32 v27, v15, v27
	v_sub_f32_e32 v15, v15, v29
	v_add_f32_e32 v27, v11, v27
	v_add_f32_e32 v11, v11, v15
	;; [unrolled: 1-line block ×4, first 2 shown]
	v_rcp_f32_e32 v15, v29
	v_sub_f32_e32 v28, v28, v29
	v_sub_f32_e32 v26, v26, v30
	v_add_f32_e32 v27, v27, v28
	v_add_f32_e32 v11, v11, v26
	v_mul_f32_e32 v31, v30, v15
	v_mul_f32_e32 v32, v29, v31
	v_fma_f32 v28, v31, v29, -v32
	v_fmac_f32_e32 v28, v31, v27
	v_add_f32_e32 v33, v32, v28
	v_sub_f32_e32 v34, v30, v33
	v_sub_f32_e32 v26, v33, v32
	;; [unrolled: 1-line block ×5, first 2 shown]
	v_add_f32_e32 v11, v11, v30
	v_add_f32_e32 v11, v26, v11
	;; [unrolled: 1-line block ×3, first 2 shown]
	v_mul_f32_e32 v28, v15, v26
	v_sub_f32_e32 v33, v34, v26
	v_mul_f32_e32 v30, v29, v28
	v_add_f32_e32 v11, v11, v33
	v_fma_f32 v29, v28, v29, -v30
	v_fmac_f32_e32 v29, v28, v27
	v_add_f32_e32 v27, v30, v29
	v_sub_f32_e32 v32, v26, v27
	v_sub_f32_e32 v30, v27, v30
	;; [unrolled: 1-line block ×5, first 2 shown]
	v_add_f32_e32 v11, v11, v26
	v_add_f32_e32 v26, v31, v28
	;; [unrolled: 1-line block ×3, first 2 shown]
	v_sub_f32_e32 v27, v26, v31
	v_add_f32_e32 v11, v32, v11
	v_sub_f32_e32 v27, v28, v27
	v_mul_f32_e32 v11, v15, v11
	v_add_f32_e32 v11, v27, v11
	v_add_f32_e32 v15, v26, v11
	v_mul_f32_e32 v27, v15, v15
	v_fmaak_f32 v28, s1, v27, 0x3ecc95a3
	v_mul_f32_e32 v29, v15, v27
	v_fmaak_f32 v27, v27, v28, 0x3f2aaada
	v_ldexp_f32 v28, v15, 1
	v_sub_f32_e32 v15, v15, v26
	v_mul_f32_e32 v27, v29, v27
	v_mul_f32_e32 v29, 0x3f317218, v10
	v_sub_f32_e32 v11, v11, v15
	v_add_f32_e32 v26, v28, v27
	v_ldexp_f32 v11, v11, 1
	v_sub_f32_e32 v15, v26, v28
	v_fma_f32 v28, 0x3f317218, v10, -v29
	v_sub_f32_e32 v15, v27, v15
	v_fmamk_f32 v10, v10, 0xb102e308, v28
	v_add_f32_e32 v11, v11, v15
	v_add_f32_e32 v15, v29, v10
	;; [unrolled: 1-line block ×3, first 2 shown]
	v_sub_f32_e32 v29, v15, v29
	v_add_f32_e32 v28, v15, v27
	v_sub_f32_e32 v26, v27, v26
	v_sub_f32_e32 v10, v10, v29
	v_sub_f32_e32 v30, v28, v15
	v_sub_f32_e32 v11, v11, v26
	v_sub_f32_e32 v31, v28, v30
	v_sub_f32_e32 v26, v27, v30
	v_add_f32_e32 v27, v10, v11
	v_sub_f32_e32 v15, v15, v31
	v_add_f32_e32 v15, v26, v15
	v_sub_f32_e32 v26, v27, v10
	;; [unrolled: 2-line block ×3, first 2 shown]
	v_sub_f32_e32 v11, v11, v26
	v_add_f32_e32 v29, v28, v15
	v_sub_f32_e32 v10, v10, v27
	v_sub_f32_e32 v26, v29, v28
	v_add_f32_e32 v10, v11, v10
	v_sub_f32_e32 v11, v15, v26
	v_add_f32_e32 v10, v10, v11
	v_add_f32_e32 v10, v29, v10
	v_cndmask_b32_e32 v10, 0x7f800000, v10, vcc_lo
	v_cmp_gt_f32_e64 vcc_lo, 0x33800000, |v8|
	v_cndmask_b32_e32 v8, v10, v8, vcc_lo
	v_add_f32_e32 v8, v9, v8
	v_cvt_f16_f32_e32 v27, v8
	v_cvt_f32_f16_e32 v8, v27
	v_mov_b32_e32 v26, v27
.LBB359_155:
	s_or_b32 exec_lo, exec_lo, s0
	v_max_f32_e32 v9, v16, v16
	v_max_f32_e32 v10, v8, v8
	v_cmp_u_f16_e32 vcc_lo, v27, v27
	v_min_f32_e32 v11, v10, v9
	v_max_f32_e32 v9, v10, v9
	v_cndmask_b32_e32 v10, v11, v8, vcc_lo
	v_cndmask_b32_e32 v9, v9, v8, vcc_lo
	v_cndmask_b32_e64 v11, v10, v16, s2
	v_cndmask_b32_e64 v10, v9, v16, s2
	v_mov_b32_e32 v9, v26
	v_cmp_class_f32_e64 s0, v11, 0x1f8
	v_cmp_neq_f32_e32 vcc_lo, v11, v10
	s_or_b32 s1, vcc_lo, s0
	s_and_saveexec_b32 s0, s1
	s_cbranch_execz .LBB359_157
; %bb.156:
	v_sub_f32_e32 v8, v11, v10
	s_mov_b32 s1, 0x3e9b6dac
	v_mul_f32_e32 v9, 0x3fb8aa3b, v8
	v_cmp_ngt_f32_e32 vcc_lo, 0xc2ce8ed0, v8
	v_fma_f32 v11, 0x3fb8aa3b, v8, -v9
	v_rndne_f32_e32 v15, v9
	v_fmamk_f32 v11, v8, 0x32a5705f, v11
	v_sub_f32_e32 v9, v9, v15
	v_add_f32_e32 v9, v9, v11
	v_cvt_i32_f32_e32 v11, v15
	v_exp_f32_e32 v9, v9
	v_ldexp_f32 v9, v9, v11
	v_cndmask_b32_e32 v9, 0, v9, vcc_lo
	v_cmp_nlt_f32_e32 vcc_lo, 0x42b17218, v8
	v_cndmask_b32_e32 v11, 0x7f800000, v9, vcc_lo
	v_add_f32_e32 v15, 1.0, v11
	v_cvt_f64_f32_e32 v[8:9], v15
	v_frexp_exp_i32_f64_e32 v8, v[8:9]
	v_frexp_mant_f32_e32 v9, v15
	v_cmp_gt_f32_e32 vcc_lo, 0x3f2aaaab, v9
	v_add_f32_e32 v9, -1.0, v15
	v_sub_f32_e32 v27, v9, v15
	v_sub_f32_e32 v9, v11, v9
	v_add_f32_e32 v27, 1.0, v27
	v_add_f32_e32 v9, v9, v27
	v_subrev_co_ci_u32_e64 v8, null, 0, v8, vcc_lo
	v_cmp_neq_f32_e32 vcc_lo, 0x7f800000, v11
	v_sub_nc_u32_e32 v16, 0, v8
	v_cvt_f32_i32_e32 v8, v8
	v_ldexp_f32 v15, v15, v16
	v_ldexp_f32 v9, v9, v16
	v_add_f32_e32 v28, 1.0, v15
	v_add_f32_e32 v16, -1.0, v15
	v_add_f32_e32 v27, -1.0, v28
	v_add_f32_e32 v29, 1.0, v16
	v_sub_f32_e32 v27, v15, v27
	v_sub_f32_e32 v15, v15, v29
	v_add_f32_e32 v27, v9, v27
	v_add_f32_e32 v9, v9, v15
	v_add_f32_e32 v29, v28, v27
	v_add_f32_e32 v30, v16, v9
	v_rcp_f32_e32 v15, v29
	v_sub_f32_e32 v28, v28, v29
	v_sub_f32_e32 v16, v16, v30
	v_add_f32_e32 v27, v27, v28
	v_add_f32_e32 v9, v9, v16
	v_mul_f32_e32 v31, v30, v15
	v_mul_f32_e32 v32, v29, v31
	v_fma_f32 v28, v31, v29, -v32
	v_fmac_f32_e32 v28, v31, v27
	v_add_f32_e32 v33, v32, v28
	v_sub_f32_e32 v34, v30, v33
	v_sub_f32_e32 v16, v33, v32
	;; [unrolled: 1-line block ×5, first 2 shown]
	v_add_f32_e32 v9, v9, v30
	v_add_f32_e32 v9, v16, v9
	;; [unrolled: 1-line block ×3, first 2 shown]
	v_mul_f32_e32 v28, v15, v16
	v_sub_f32_e32 v33, v34, v16
	v_mul_f32_e32 v30, v29, v28
	v_add_f32_e32 v9, v9, v33
	v_fma_f32 v29, v28, v29, -v30
	v_fmac_f32_e32 v29, v28, v27
	v_add_f32_e32 v27, v30, v29
	v_sub_f32_e32 v32, v16, v27
	v_sub_f32_e32 v30, v27, v30
	;; [unrolled: 1-line block ×5, first 2 shown]
	v_add_f32_e32 v9, v9, v16
	v_add_f32_e32 v16, v31, v28
	;; [unrolled: 1-line block ×3, first 2 shown]
	v_sub_f32_e32 v27, v16, v31
	v_add_f32_e32 v9, v32, v9
	v_sub_f32_e32 v27, v28, v27
	v_mul_f32_e32 v9, v15, v9
	v_add_f32_e32 v9, v27, v9
	v_add_f32_e32 v15, v16, v9
	v_mul_f32_e32 v27, v15, v15
	v_fmaak_f32 v28, s1, v27, 0x3ecc95a3
	v_mul_f32_e32 v29, v15, v27
	v_fmaak_f32 v27, v27, v28, 0x3f2aaada
	v_ldexp_f32 v28, v15, 1
	v_sub_f32_e32 v15, v15, v16
	v_mul_f32_e32 v27, v29, v27
	v_mul_f32_e32 v29, 0x3f317218, v8
	v_sub_f32_e32 v9, v9, v15
	v_add_f32_e32 v16, v28, v27
	v_ldexp_f32 v9, v9, 1
	v_sub_f32_e32 v15, v16, v28
	v_fma_f32 v28, 0x3f317218, v8, -v29
	v_sub_f32_e32 v15, v27, v15
	v_fmamk_f32 v8, v8, 0xb102e308, v28
	v_add_f32_e32 v9, v9, v15
	v_add_f32_e32 v15, v29, v8
	;; [unrolled: 1-line block ×3, first 2 shown]
	v_sub_f32_e32 v29, v15, v29
	v_add_f32_e32 v28, v15, v27
	v_sub_f32_e32 v16, v27, v16
	v_sub_f32_e32 v8, v8, v29
	;; [unrolled: 1-line block ×6, first 2 shown]
	v_add_f32_e32 v27, v8, v9
	v_sub_f32_e32 v15, v15, v31
	v_add_f32_e32 v15, v16, v15
	v_sub_f32_e32 v16, v27, v8
	;; [unrolled: 2-line block ×3, first 2 shown]
	v_sub_f32_e32 v9, v9, v16
	v_add_f32_e32 v29, v28, v15
	v_sub_f32_e32 v8, v8, v27
	v_sub_f32_e32 v16, v29, v28
	v_add_f32_e32 v8, v9, v8
	v_sub_f32_e32 v9, v15, v16
	v_add_f32_e32 v8, v8, v9
	v_add_f32_e32 v8, v29, v8
	v_cndmask_b32_e32 v8, 0x7f800000, v8, vcc_lo
	v_cmp_gt_f32_e64 vcc_lo, 0x33800000, |v11|
	v_cndmask_b32_e32 v8, v8, v11, vcc_lo
	v_add_f32_e32 v8, v10, v8
	v_cvt_f16_f32_e32 v27, v8
	v_cvt_f32_f16_e32 v8, v27
	v_mov_b32_e32 v9, v27
.LBB359_157:
	s_or_b32 exec_lo, exec_lo, s0
	v_max_f32_e32 v10, v17, v17
	v_max_f32_e32 v11, v8, v8
	v_cmp_u_f16_e32 vcc_lo, v27, v27
	v_min_f32_e32 v15, v11, v10
	v_max_f32_e32 v10, v11, v10
	v_cndmask_b32_e32 v11, v15, v8, vcc_lo
	v_cndmask_b32_e32 v10, v10, v8, vcc_lo
	v_cndmask_b32_e64 v11, v11, v17, s3
	v_cndmask_b32_e64 v10, v10, v17, s3
	v_mov_b32_e32 v17, v9
	v_cmp_class_f32_e64 s0, v11, 0x1f8
	v_cmp_neq_f32_e32 vcc_lo, v11, v10
	s_or_b32 s1, vcc_lo, s0
	s_and_saveexec_b32 s0, s1
	s_cbranch_execz .LBB359_159
; %bb.158:
	v_sub_f32_e32 v8, v11, v10
	s_mov_b32 s1, 0x3e9b6dac
	v_mul_f32_e32 v11, 0x3fb8aa3b, v8
	v_cmp_ngt_f32_e32 vcc_lo, 0xc2ce8ed0, v8
	v_fma_f32 v15, 0x3fb8aa3b, v8, -v11
	v_rndne_f32_e32 v16, v11
	v_fmamk_f32 v15, v8, 0x32a5705f, v15
	v_sub_f32_e32 v11, v11, v16
	v_add_f32_e32 v11, v11, v15
	v_cvt_i32_f32_e32 v15, v16
	v_exp_f32_e32 v11, v11
	v_ldexp_f32 v11, v11, v15
	v_cndmask_b32_e32 v11, 0, v11, vcc_lo
	v_cmp_nlt_f32_e32 vcc_lo, 0x42b17218, v8
	v_cndmask_b32_e32 v8, 0x7f800000, v11, vcc_lo
	v_add_f32_e32 v11, 1.0, v8
	v_cvt_f64_f32_e32 v[15:16], v11
	v_frexp_exp_i32_f64_e32 v15, v[15:16]
	v_frexp_mant_f32_e32 v16, v11
	v_cmp_gt_f32_e32 vcc_lo, 0x3f2aaaab, v16
	v_add_f32_e32 v16, -1.0, v11
	v_sub_f32_e32 v27, v16, v11
	v_sub_f32_e32 v16, v8, v16
	v_add_f32_e32 v27, 1.0, v27
	v_add_f32_e32 v16, v16, v27
	v_subrev_co_ci_u32_e64 v15, null, 0, v15, vcc_lo
	v_cmp_neq_f32_e32 vcc_lo, 0x7f800000, v8
	v_sub_nc_u32_e32 v17, 0, v15
	v_cvt_f32_i32_e32 v15, v15
	v_ldexp_f32 v11, v11, v17
	v_ldexp_f32 v16, v16, v17
	v_add_f32_e32 v28, 1.0, v11
	v_add_f32_e32 v17, -1.0, v11
	v_add_f32_e32 v27, -1.0, v28
	v_add_f32_e32 v29, 1.0, v17
	v_sub_f32_e32 v27, v11, v27
	v_sub_f32_e32 v11, v11, v29
	v_add_f32_e32 v27, v16, v27
	v_add_f32_e32 v11, v16, v11
	;; [unrolled: 1-line block ×4, first 2 shown]
	v_rcp_f32_e32 v16, v29
	v_sub_f32_e32 v28, v28, v29
	v_sub_f32_e32 v17, v17, v30
	v_add_f32_e32 v27, v27, v28
	v_add_f32_e32 v11, v11, v17
	v_mul_f32_e32 v31, v30, v16
	v_mul_f32_e32 v32, v29, v31
	v_fma_f32 v28, v31, v29, -v32
	v_fmac_f32_e32 v28, v31, v27
	v_add_f32_e32 v33, v32, v28
	v_sub_f32_e32 v34, v30, v33
	v_sub_f32_e32 v17, v33, v32
	;; [unrolled: 1-line block ×5, first 2 shown]
	v_add_f32_e32 v11, v11, v30
	v_add_f32_e32 v11, v17, v11
	;; [unrolled: 1-line block ×3, first 2 shown]
	v_mul_f32_e32 v28, v16, v17
	v_sub_f32_e32 v33, v34, v17
	v_mul_f32_e32 v30, v29, v28
	v_add_f32_e32 v11, v11, v33
	v_fma_f32 v29, v28, v29, -v30
	v_fmac_f32_e32 v29, v28, v27
	v_add_f32_e32 v27, v30, v29
	v_sub_f32_e32 v32, v17, v27
	v_sub_f32_e32 v30, v27, v30
	;; [unrolled: 1-line block ×5, first 2 shown]
	v_add_f32_e32 v11, v11, v17
	v_add_f32_e32 v17, v31, v28
	;; [unrolled: 1-line block ×3, first 2 shown]
	v_sub_f32_e32 v27, v17, v31
	v_add_f32_e32 v11, v32, v11
	v_sub_f32_e32 v27, v28, v27
	v_mul_f32_e32 v11, v16, v11
	v_add_f32_e32 v11, v27, v11
	v_add_f32_e32 v16, v17, v11
	v_mul_f32_e32 v27, v16, v16
	v_fmaak_f32 v28, s1, v27, 0x3ecc95a3
	v_mul_f32_e32 v29, v16, v27
	v_fmaak_f32 v27, v27, v28, 0x3f2aaada
	v_ldexp_f32 v28, v16, 1
	v_sub_f32_e32 v16, v16, v17
	v_mul_f32_e32 v27, v29, v27
	v_mul_f32_e32 v29, 0x3f317218, v15
	v_sub_f32_e32 v11, v11, v16
	v_add_f32_e32 v17, v28, v27
	v_ldexp_f32 v11, v11, 1
	v_sub_f32_e32 v16, v17, v28
	v_fma_f32 v28, 0x3f317218, v15, -v29
	v_sub_f32_e32 v16, v27, v16
	v_fmamk_f32 v15, v15, 0xb102e308, v28
	v_add_f32_e32 v11, v11, v16
	v_add_f32_e32 v16, v29, v15
	;; [unrolled: 1-line block ×3, first 2 shown]
	v_sub_f32_e32 v29, v16, v29
	v_add_f32_e32 v28, v16, v27
	v_sub_f32_e32 v17, v27, v17
	v_sub_f32_e32 v15, v15, v29
	;; [unrolled: 1-line block ×6, first 2 shown]
	v_add_f32_e32 v27, v15, v11
	v_sub_f32_e32 v16, v16, v31
	v_add_f32_e32 v16, v17, v16
	v_sub_f32_e32 v17, v27, v15
	;; [unrolled: 2-line block ×3, first 2 shown]
	v_sub_f32_e32 v11, v11, v17
	v_add_f32_e32 v29, v28, v16
	v_sub_f32_e32 v15, v15, v27
	v_sub_f32_e32 v17, v29, v28
	v_add_f32_e32 v11, v11, v15
	v_sub_f32_e32 v15, v16, v17
	v_add_f32_e32 v11, v11, v15
	v_add_f32_e32 v11, v29, v11
	v_cndmask_b32_e32 v11, 0x7f800000, v11, vcc_lo
	v_cmp_gt_f32_e64 vcc_lo, 0x33800000, |v8|
	v_cndmask_b32_e32 v8, v11, v8, vcc_lo
	v_add_f32_e32 v8, v10, v8
	v_cvt_f16_f32_e32 v27, v8
	v_cvt_f32_f16_e32 v8, v27
	v_mov_b32_e32 v17, v27
.LBB359_159:
	s_or_b32 exec_lo, exec_lo, s0
	v_max_f32_e32 v10, v18, v18
	v_max_f32_e32 v11, v8, v8
	v_cmp_u_f16_e32 vcc_lo, v27, v27
	v_min_f32_e32 v15, v11, v10
	v_max_f32_e32 v10, v11, v10
	v_cndmask_b32_e32 v11, v15, v8, vcc_lo
	v_cndmask_b32_e32 v10, v10, v8, vcc_lo
	v_cndmask_b32_e64 v15, v11, v18, s13
	v_cndmask_b32_e64 v11, v10, v18, s13
	v_mov_b32_e32 v10, v17
	v_cmp_class_f32_e64 s0, v15, 0x1f8
	v_cmp_neq_f32_e32 vcc_lo, v15, v11
	s_or_b32 s1, vcc_lo, s0
	s_and_saveexec_b32 s0, s1
	s_cbranch_execz .LBB359_161
; %bb.160:
	v_sub_f32_e32 v8, v15, v11
	s_mov_b32 s1, 0x3e9b6dac
	v_mul_f32_e32 v10, 0x3fb8aa3b, v8
	v_cmp_ngt_f32_e32 vcc_lo, 0xc2ce8ed0, v8
	v_fma_f32 v15, 0x3fb8aa3b, v8, -v10
	v_rndne_f32_e32 v16, v10
	v_fmamk_f32 v15, v8, 0x32a5705f, v15
	v_sub_f32_e32 v10, v10, v16
	v_add_f32_e32 v10, v10, v15
	v_cvt_i32_f32_e32 v15, v16
	v_exp_f32_e32 v10, v10
	v_ldexp_f32 v10, v10, v15
	v_cndmask_b32_e32 v10, 0, v10, vcc_lo
	v_cmp_nlt_f32_e32 vcc_lo, 0x42b17218, v8
	v_cndmask_b32_e32 v8, 0x7f800000, v10, vcc_lo
	v_add_f32_e32 v10, 1.0, v8
	v_cvt_f64_f32_e32 v[15:16], v10
	v_frexp_exp_i32_f64_e32 v15, v[15:16]
	v_frexp_mant_f32_e32 v16, v10
	v_cmp_gt_f32_e32 vcc_lo, 0x3f2aaaab, v16
	v_add_f32_e32 v16, -1.0, v10
	v_sub_f32_e32 v27, v16, v10
	v_sub_f32_e32 v16, v8, v16
	v_add_f32_e32 v27, 1.0, v27
	v_add_f32_e32 v16, v16, v27
	v_subrev_co_ci_u32_e64 v15, null, 0, v15, vcc_lo
	v_cmp_neq_f32_e32 vcc_lo, 0x7f800000, v8
	v_sub_nc_u32_e32 v18, 0, v15
	v_cvt_f32_i32_e32 v15, v15
	v_ldexp_f32 v10, v10, v18
	v_ldexp_f32 v16, v16, v18
	v_add_f32_e32 v28, 1.0, v10
	v_add_f32_e32 v18, -1.0, v10
	v_add_f32_e32 v27, -1.0, v28
	v_add_f32_e32 v29, 1.0, v18
	v_sub_f32_e32 v27, v10, v27
	v_sub_f32_e32 v10, v10, v29
	v_add_f32_e32 v27, v16, v27
	v_add_f32_e32 v10, v16, v10
	;; [unrolled: 1-line block ×4, first 2 shown]
	v_rcp_f32_e32 v16, v29
	v_sub_f32_e32 v28, v28, v29
	v_sub_f32_e32 v18, v18, v30
	v_add_f32_e32 v27, v27, v28
	v_add_f32_e32 v10, v10, v18
	v_mul_f32_e32 v31, v30, v16
	v_mul_f32_e32 v32, v29, v31
	v_fma_f32 v28, v31, v29, -v32
	v_fmac_f32_e32 v28, v31, v27
	v_add_f32_e32 v33, v32, v28
	v_sub_f32_e32 v34, v30, v33
	v_sub_f32_e32 v18, v33, v32
	;; [unrolled: 1-line block ×5, first 2 shown]
	v_add_f32_e32 v10, v10, v30
	v_add_f32_e32 v10, v18, v10
	;; [unrolled: 1-line block ×3, first 2 shown]
	v_mul_f32_e32 v28, v16, v18
	v_sub_f32_e32 v33, v34, v18
	v_mul_f32_e32 v30, v29, v28
	v_add_f32_e32 v10, v10, v33
	v_fma_f32 v29, v28, v29, -v30
	v_fmac_f32_e32 v29, v28, v27
	v_add_f32_e32 v27, v30, v29
	v_sub_f32_e32 v32, v18, v27
	v_sub_f32_e32 v30, v27, v30
	;; [unrolled: 1-line block ×5, first 2 shown]
	v_add_f32_e32 v10, v10, v18
	v_add_f32_e32 v18, v31, v28
	;; [unrolled: 1-line block ×3, first 2 shown]
	v_sub_f32_e32 v27, v18, v31
	v_add_f32_e32 v10, v32, v10
	v_sub_f32_e32 v27, v28, v27
	v_mul_f32_e32 v10, v16, v10
	v_add_f32_e32 v10, v27, v10
	v_add_f32_e32 v16, v18, v10
	v_mul_f32_e32 v27, v16, v16
	v_fmaak_f32 v28, s1, v27, 0x3ecc95a3
	v_mul_f32_e32 v29, v16, v27
	v_fmaak_f32 v27, v27, v28, 0x3f2aaada
	v_ldexp_f32 v28, v16, 1
	v_sub_f32_e32 v16, v16, v18
	v_mul_f32_e32 v27, v29, v27
	v_mul_f32_e32 v29, 0x3f317218, v15
	v_sub_f32_e32 v10, v10, v16
	v_add_f32_e32 v18, v28, v27
	v_ldexp_f32 v10, v10, 1
	v_sub_f32_e32 v16, v18, v28
	v_fma_f32 v28, 0x3f317218, v15, -v29
	v_sub_f32_e32 v16, v27, v16
	v_fmamk_f32 v15, v15, 0xb102e308, v28
	v_add_f32_e32 v10, v10, v16
	v_add_f32_e32 v16, v29, v15
	;; [unrolled: 1-line block ×3, first 2 shown]
	v_sub_f32_e32 v29, v16, v29
	v_add_f32_e32 v28, v16, v27
	v_sub_f32_e32 v18, v27, v18
	v_sub_f32_e32 v15, v15, v29
	;; [unrolled: 1-line block ×6, first 2 shown]
	v_add_f32_e32 v27, v15, v10
	v_sub_f32_e32 v16, v16, v31
	v_add_f32_e32 v16, v18, v16
	v_sub_f32_e32 v18, v27, v15
	;; [unrolled: 2-line block ×3, first 2 shown]
	v_sub_f32_e32 v10, v10, v18
	v_add_f32_e32 v29, v28, v16
	v_sub_f32_e32 v15, v15, v27
	v_sub_f32_e32 v18, v29, v28
	v_add_f32_e32 v10, v10, v15
	v_sub_f32_e32 v15, v16, v18
	v_add_f32_e32 v10, v10, v15
	v_add_f32_e32 v10, v29, v10
	v_cndmask_b32_e32 v10, 0x7f800000, v10, vcc_lo
	v_cmp_gt_f32_e64 vcc_lo, 0x33800000, |v8|
	v_cndmask_b32_e32 v8, v10, v8, vcc_lo
	v_add_f32_e32 v8, v11, v8
	v_cvt_f16_f32_e32 v27, v8
	v_cvt_f32_f16_e32 v8, v27
	v_mov_b32_e32 v10, v27
.LBB359_161:
	s_or_b32 exec_lo, exec_lo, s0
	v_max_f32_e32 v11, v19, v19
	v_max_f32_e32 v15, v8, v8
	v_cmp_u_f16_e32 vcc_lo, v27, v27
	v_mov_b32_e32 v18, v10
	v_min_f32_e32 v16, v15, v11
	v_max_f32_e32 v11, v15, v11
	v_cndmask_b32_e32 v15, v16, v8, vcc_lo
	v_cndmask_b32_e32 v11, v11, v8, vcc_lo
	v_cndmask_b32_e64 v15, v15, v19, s7
	v_cndmask_b32_e64 v11, v11, v19, s7
	v_cmp_class_f32_e64 s0, v15, 0x1f8
	v_cmp_neq_f32_e32 vcc_lo, v15, v11
	s_or_b32 s1, vcc_lo, s0
	s_and_saveexec_b32 s0, s1
	s_cbranch_execz .LBB359_163
; %bb.162:
	v_sub_f32_e32 v8, v15, v11
	s_mov_b32 s1, 0x3e9b6dac
	v_mul_f32_e32 v15, 0x3fb8aa3b, v8
	v_cmp_ngt_f32_e32 vcc_lo, 0xc2ce8ed0, v8
	v_fma_f32 v16, 0x3fb8aa3b, v8, -v15
	v_rndne_f32_e32 v18, v15
	v_fmamk_f32 v16, v8, 0x32a5705f, v16
	v_sub_f32_e32 v15, v15, v18
	v_add_f32_e32 v15, v15, v16
	v_cvt_i32_f32_e32 v16, v18
	v_exp_f32_e32 v15, v15
	v_ldexp_f32 v15, v15, v16
	v_cndmask_b32_e32 v15, 0, v15, vcc_lo
	v_cmp_nlt_f32_e32 vcc_lo, 0x42b17218, v8
	v_cndmask_b32_e32 v8, 0x7f800000, v15, vcc_lo
	v_add_f32_e32 v18, 1.0, v8
	v_cvt_f64_f32_e32 v[15:16], v18
	v_frexp_exp_i32_f64_e32 v15, v[15:16]
	v_frexp_mant_f32_e32 v16, v18
	v_cmp_gt_f32_e32 vcc_lo, 0x3f2aaaab, v16
	v_add_f32_e32 v16, -1.0, v18
	v_sub_f32_e32 v27, v16, v18
	v_sub_f32_e32 v16, v8, v16
	v_add_f32_e32 v27, 1.0, v27
	v_add_f32_e32 v16, v16, v27
	v_subrev_co_ci_u32_e64 v15, null, 0, v15, vcc_lo
	v_cmp_neq_f32_e32 vcc_lo, 0x7f800000, v8
	v_sub_nc_u32_e32 v19, 0, v15
	v_cvt_f32_i32_e32 v15, v15
	v_ldexp_f32 v18, v18, v19
	v_ldexp_f32 v16, v16, v19
	v_add_f32_e32 v28, 1.0, v18
	v_add_f32_e32 v19, -1.0, v18
	v_add_f32_e32 v27, -1.0, v28
	v_add_f32_e32 v29, 1.0, v19
	v_sub_f32_e32 v27, v18, v27
	v_sub_f32_e32 v18, v18, v29
	v_add_f32_e32 v27, v16, v27
	v_add_f32_e32 v16, v16, v18
	;; [unrolled: 1-line block ×4, first 2 shown]
	v_rcp_f32_e32 v18, v29
	v_sub_f32_e32 v28, v28, v29
	v_sub_f32_e32 v19, v19, v30
	v_add_f32_e32 v27, v27, v28
	v_add_f32_e32 v16, v16, v19
	v_mul_f32_e32 v31, v30, v18
	v_mul_f32_e32 v32, v29, v31
	v_fma_f32 v28, v31, v29, -v32
	v_fmac_f32_e32 v28, v31, v27
	v_add_f32_e32 v33, v32, v28
	v_sub_f32_e32 v34, v30, v33
	v_sub_f32_e32 v19, v33, v32
	;; [unrolled: 1-line block ×5, first 2 shown]
	v_add_f32_e32 v16, v16, v30
	v_add_f32_e32 v16, v19, v16
	;; [unrolled: 1-line block ×3, first 2 shown]
	v_mul_f32_e32 v28, v18, v19
	v_sub_f32_e32 v33, v34, v19
	v_mul_f32_e32 v30, v29, v28
	v_add_f32_e32 v16, v16, v33
	v_fma_f32 v29, v28, v29, -v30
	v_fmac_f32_e32 v29, v28, v27
	v_add_f32_e32 v27, v30, v29
	v_sub_f32_e32 v32, v19, v27
	v_sub_f32_e32 v30, v27, v30
	;; [unrolled: 1-line block ×5, first 2 shown]
	v_add_f32_e32 v16, v16, v19
	v_add_f32_e32 v19, v31, v28
	;; [unrolled: 1-line block ×3, first 2 shown]
	v_sub_f32_e32 v27, v19, v31
	v_add_f32_e32 v16, v32, v16
	v_sub_f32_e32 v27, v28, v27
	v_mul_f32_e32 v16, v18, v16
	v_add_f32_e32 v16, v27, v16
	v_add_f32_e32 v18, v19, v16
	v_mul_f32_e32 v27, v18, v18
	v_fmaak_f32 v28, s1, v27, 0x3ecc95a3
	v_mul_f32_e32 v29, v18, v27
	v_fmaak_f32 v27, v27, v28, 0x3f2aaada
	v_ldexp_f32 v28, v18, 1
	v_sub_f32_e32 v18, v18, v19
	v_mul_f32_e32 v27, v29, v27
	v_mul_f32_e32 v29, 0x3f317218, v15
	v_sub_f32_e32 v16, v16, v18
	v_add_f32_e32 v19, v28, v27
	v_ldexp_f32 v16, v16, 1
	v_sub_f32_e32 v18, v19, v28
	v_fma_f32 v28, 0x3f317218, v15, -v29
	v_sub_f32_e32 v18, v27, v18
	v_fmamk_f32 v15, v15, 0xb102e308, v28
	v_add_f32_e32 v16, v16, v18
	v_add_f32_e32 v18, v29, v15
	;; [unrolled: 1-line block ×3, first 2 shown]
	v_sub_f32_e32 v29, v18, v29
	v_add_f32_e32 v28, v18, v27
	v_sub_f32_e32 v19, v27, v19
	v_sub_f32_e32 v15, v15, v29
	;; [unrolled: 1-line block ×6, first 2 shown]
	v_add_f32_e32 v27, v15, v16
	v_sub_f32_e32 v18, v18, v31
	v_add_f32_e32 v18, v19, v18
	v_sub_f32_e32 v19, v27, v15
	;; [unrolled: 2-line block ×3, first 2 shown]
	v_sub_f32_e32 v16, v16, v19
	v_add_f32_e32 v29, v28, v18
	v_sub_f32_e32 v15, v15, v27
	v_sub_f32_e32 v19, v29, v28
	v_add_f32_e32 v15, v16, v15
	v_sub_f32_e32 v16, v18, v19
	v_add_f32_e32 v15, v15, v16
	v_add_f32_e32 v15, v29, v15
	v_cndmask_b32_e32 v15, 0x7f800000, v15, vcc_lo
	v_cmp_gt_f32_e64 vcc_lo, 0x33800000, |v8|
	v_cndmask_b32_e32 v8, v15, v8, vcc_lo
	v_add_f32_e32 v8, v11, v8
	v_cvt_f16_f32_e32 v27, v8
	v_cvt_f32_f16_e32 v8, v27
	v_mov_b32_e32 v18, v27
.LBB359_163:
	s_or_b32 exec_lo, exec_lo, s0
	v_max_f32_e32 v11, v20, v20
	v_max_f32_e32 v15, v8, v8
	v_cmp_u_f16_e32 vcc_lo, v27, v27
	v_min_f32_e32 v16, v15, v11
	v_max_f32_e32 v11, v15, v11
	v_cndmask_b32_e32 v15, v16, v8, vcc_lo
	v_cndmask_b32_e32 v11, v11, v8, vcc_lo
	v_cndmask_b32_e64 v16, v15, v20, s8
	v_cndmask_b32_e64 v15, v11, v20, s8
	v_mov_b32_e32 v11, v18
	v_cmp_class_f32_e64 s0, v16, 0x1f8
	v_cmp_neq_f32_e32 vcc_lo, v16, v15
	s_or_b32 s1, vcc_lo, s0
	s_and_saveexec_b32 s0, s1
	s_cbranch_execz .LBB359_165
; %bb.164:
	v_sub_f32_e32 v8, v16, v15
	s_mov_b32 s1, 0x3e9b6dac
	v_mul_f32_e32 v11, 0x3fb8aa3b, v8
	v_cmp_ngt_f32_e32 vcc_lo, 0xc2ce8ed0, v8
	v_fma_f32 v16, 0x3fb8aa3b, v8, -v11
	v_rndne_f32_e32 v19, v11
	v_fmamk_f32 v16, v8, 0x32a5705f, v16
	v_sub_f32_e32 v11, v11, v19
	v_add_f32_e32 v11, v11, v16
	v_cvt_i32_f32_e32 v16, v19
	v_exp_f32_e32 v11, v11
	v_ldexp_f32 v11, v11, v16
	v_cndmask_b32_e32 v11, 0, v11, vcc_lo
	v_cmp_nlt_f32_e32 vcc_lo, 0x42b17218, v8
	v_cndmask_b32_e32 v8, 0x7f800000, v11, vcc_lo
	v_add_f32_e32 v11, 1.0, v8
	v_cvt_f64_f32_e32 v[19:20], v11
	v_frexp_exp_i32_f64_e32 v16, v[19:20]
	v_frexp_mant_f32_e32 v19, v11
	v_cmp_gt_f32_e32 vcc_lo, 0x3f2aaaab, v19
	v_add_f32_e32 v19, -1.0, v11
	v_sub_f32_e32 v27, v19, v11
	v_sub_f32_e32 v19, v8, v19
	v_add_f32_e32 v27, 1.0, v27
	v_add_f32_e32 v19, v19, v27
	v_subrev_co_ci_u32_e64 v16, null, 0, v16, vcc_lo
	v_cmp_neq_f32_e32 vcc_lo, 0x7f800000, v8
	v_sub_nc_u32_e32 v20, 0, v16
	v_cvt_f32_i32_e32 v16, v16
	v_ldexp_f32 v11, v11, v20
	v_ldexp_f32 v19, v19, v20
	v_add_f32_e32 v28, 1.0, v11
	v_add_f32_e32 v20, -1.0, v11
	v_add_f32_e32 v27, -1.0, v28
	v_add_f32_e32 v29, 1.0, v20
	v_sub_f32_e32 v27, v11, v27
	v_sub_f32_e32 v11, v11, v29
	v_add_f32_e32 v27, v19, v27
	v_add_f32_e32 v11, v19, v11
	v_add_f32_e32 v29, v28, v27
	v_add_f32_e32 v30, v20, v11
	v_rcp_f32_e32 v19, v29
	v_sub_f32_e32 v28, v28, v29
	v_sub_f32_e32 v20, v20, v30
	v_add_f32_e32 v27, v27, v28
	v_add_f32_e32 v11, v11, v20
	v_mul_f32_e32 v31, v30, v19
	v_mul_f32_e32 v32, v29, v31
	v_fma_f32 v28, v31, v29, -v32
	v_fmac_f32_e32 v28, v31, v27
	v_add_f32_e32 v33, v32, v28
	v_sub_f32_e32 v34, v30, v33
	v_sub_f32_e32 v20, v33, v32
	;; [unrolled: 1-line block ×5, first 2 shown]
	v_add_f32_e32 v11, v11, v30
	v_add_f32_e32 v11, v20, v11
	;; [unrolled: 1-line block ×3, first 2 shown]
	v_mul_f32_e32 v28, v19, v20
	v_sub_f32_e32 v33, v34, v20
	v_mul_f32_e32 v30, v29, v28
	v_add_f32_e32 v11, v11, v33
	v_fma_f32 v29, v28, v29, -v30
	v_fmac_f32_e32 v29, v28, v27
	v_add_f32_e32 v27, v30, v29
	v_sub_f32_e32 v32, v20, v27
	v_sub_f32_e32 v30, v27, v30
	;; [unrolled: 1-line block ×5, first 2 shown]
	v_add_f32_e32 v11, v11, v20
	v_add_f32_e32 v20, v31, v28
	;; [unrolled: 1-line block ×3, first 2 shown]
	v_sub_f32_e32 v27, v20, v31
	v_add_f32_e32 v11, v32, v11
	v_sub_f32_e32 v27, v28, v27
	v_mul_f32_e32 v11, v19, v11
	v_add_f32_e32 v11, v27, v11
	v_add_f32_e32 v19, v20, v11
	v_mul_f32_e32 v27, v19, v19
	v_fmaak_f32 v28, s1, v27, 0x3ecc95a3
	v_mul_f32_e32 v29, v19, v27
	v_fmaak_f32 v27, v27, v28, 0x3f2aaada
	v_ldexp_f32 v28, v19, 1
	v_sub_f32_e32 v19, v19, v20
	v_mul_f32_e32 v27, v29, v27
	v_mul_f32_e32 v29, 0x3f317218, v16
	v_sub_f32_e32 v11, v11, v19
	v_add_f32_e32 v20, v28, v27
	v_ldexp_f32 v11, v11, 1
	v_sub_f32_e32 v19, v20, v28
	v_fma_f32 v28, 0x3f317218, v16, -v29
	v_sub_f32_e32 v19, v27, v19
	v_fmamk_f32 v16, v16, 0xb102e308, v28
	v_add_f32_e32 v11, v11, v19
	v_add_f32_e32 v19, v29, v16
	;; [unrolled: 1-line block ×3, first 2 shown]
	v_sub_f32_e32 v29, v19, v29
	v_add_f32_e32 v28, v19, v27
	v_sub_f32_e32 v20, v27, v20
	v_sub_f32_e32 v16, v16, v29
	;; [unrolled: 1-line block ×6, first 2 shown]
	v_add_f32_e32 v27, v16, v11
	v_sub_f32_e32 v19, v19, v31
	v_add_f32_e32 v19, v20, v19
	v_sub_f32_e32 v20, v27, v16
	v_add_f32_e32 v19, v27, v19
	v_sub_f32_e32 v27, v27, v20
	v_sub_f32_e32 v11, v11, v20
	v_add_f32_e32 v29, v28, v19
	v_sub_f32_e32 v16, v16, v27
	v_sub_f32_e32 v20, v29, v28
	v_add_f32_e32 v11, v11, v16
	v_sub_f32_e32 v16, v19, v20
	v_add_f32_e32 v11, v11, v16
	v_add_f32_e32 v11, v29, v11
	v_cndmask_b32_e32 v11, 0x7f800000, v11, vcc_lo
	v_cmp_gt_f32_e64 vcc_lo, 0x33800000, |v8|
	v_cndmask_b32_e32 v8, v11, v8, vcc_lo
	v_add_f32_e32 v8, v15, v8
	v_cvt_f16_f32_e32 v27, v8
	v_cvt_f32_f16_e32 v8, v27
	v_mov_b32_e32 v11, v27
.LBB359_165:
	s_or_b32 exec_lo, exec_lo, s0
	v_max_f32_e32 v15, v21, v21
	v_max_f32_e32 v16, v8, v8
	v_cmp_u_f16_e32 vcc_lo, v27, v27
	v_min_f32_e32 v19, v16, v15
	v_max_f32_e32 v15, v16, v15
	v_cndmask_b32_e32 v16, v19, v8, vcc_lo
	v_cndmask_b32_e32 v15, v15, v8, vcc_lo
	v_mov_b32_e32 v19, v11
	v_cndmask_b32_e64 v16, v16, v21, s9
	v_cndmask_b32_e64 v15, v15, v21, s9
	v_cmp_class_f32_e64 s0, v16, 0x1f8
	v_cmp_neq_f32_e32 vcc_lo, v16, v15
	s_or_b32 s1, vcc_lo, s0
	s_and_saveexec_b32 s0, s1
	s_cbranch_execz .LBB359_167
; %bb.166:
	v_sub_f32_e32 v8, v16, v15
	s_mov_b32 s1, 0x3e9b6dac
	v_mul_f32_e32 v16, 0x3fb8aa3b, v8
	v_cmp_ngt_f32_e32 vcc_lo, 0xc2ce8ed0, v8
	v_fma_f32 v19, 0x3fb8aa3b, v8, -v16
	v_rndne_f32_e32 v20, v16
	v_fmamk_f32 v19, v8, 0x32a5705f, v19
	v_sub_f32_e32 v16, v16, v20
	v_add_f32_e32 v16, v16, v19
	v_cvt_i32_f32_e32 v19, v20
	v_exp_f32_e32 v16, v16
	v_ldexp_f32 v16, v16, v19
	v_cndmask_b32_e32 v16, 0, v16, vcc_lo
	v_cmp_nlt_f32_e32 vcc_lo, 0x42b17218, v8
	v_cndmask_b32_e32 v8, 0x7f800000, v16, vcc_lo
	v_add_f32_e32 v16, 1.0, v8
	v_cvt_f64_f32_e32 v[19:20], v16
	v_frexp_exp_i32_f64_e32 v19, v[19:20]
	v_frexp_mant_f32_e32 v20, v16
	v_cmp_gt_f32_e32 vcc_lo, 0x3f2aaaab, v20
	v_add_f32_e32 v20, -1.0, v16
	v_sub_f32_e32 v27, v20, v16
	v_sub_f32_e32 v20, v8, v20
	v_add_f32_e32 v27, 1.0, v27
	v_add_f32_e32 v20, v20, v27
	v_subrev_co_ci_u32_e64 v19, null, 0, v19, vcc_lo
	v_cmp_neq_f32_e32 vcc_lo, 0x7f800000, v8
	v_sub_nc_u32_e32 v21, 0, v19
	v_cvt_f32_i32_e32 v19, v19
	v_ldexp_f32 v16, v16, v21
	v_ldexp_f32 v20, v20, v21
	v_add_f32_e32 v28, 1.0, v16
	v_add_f32_e32 v21, -1.0, v16
	v_add_f32_e32 v27, -1.0, v28
	v_add_f32_e32 v29, 1.0, v21
	v_sub_f32_e32 v27, v16, v27
	v_sub_f32_e32 v16, v16, v29
	v_add_f32_e32 v27, v20, v27
	v_add_f32_e32 v16, v20, v16
	v_add_f32_e32 v29, v28, v27
	v_add_f32_e32 v30, v21, v16
	v_rcp_f32_e32 v20, v29
	v_sub_f32_e32 v28, v28, v29
	v_sub_f32_e32 v21, v21, v30
	v_add_f32_e32 v27, v27, v28
	v_add_f32_e32 v16, v16, v21
	v_mul_f32_e32 v31, v30, v20
	v_mul_f32_e32 v32, v29, v31
	v_fma_f32 v28, v31, v29, -v32
	v_fmac_f32_e32 v28, v31, v27
	v_add_f32_e32 v33, v32, v28
	v_sub_f32_e32 v34, v30, v33
	v_sub_f32_e32 v21, v33, v32
	;; [unrolled: 1-line block ×5, first 2 shown]
	v_add_f32_e32 v16, v16, v30
	v_add_f32_e32 v16, v21, v16
	;; [unrolled: 1-line block ×3, first 2 shown]
	v_mul_f32_e32 v28, v20, v21
	v_sub_f32_e32 v33, v34, v21
	v_mul_f32_e32 v30, v29, v28
	v_add_f32_e32 v16, v16, v33
	v_fma_f32 v29, v28, v29, -v30
	v_fmac_f32_e32 v29, v28, v27
	v_add_f32_e32 v27, v30, v29
	v_sub_f32_e32 v32, v21, v27
	v_sub_f32_e32 v30, v27, v30
	v_sub_f32_e32 v21, v21, v32
	v_sub_f32_e32 v21, v21, v27
	v_sub_f32_e32 v27, v30, v29
	v_add_f32_e32 v16, v16, v21
	v_add_f32_e32 v21, v31, v28
	;; [unrolled: 1-line block ×3, first 2 shown]
	v_sub_f32_e32 v27, v21, v31
	v_add_f32_e32 v16, v32, v16
	v_sub_f32_e32 v27, v28, v27
	v_mul_f32_e32 v16, v20, v16
	v_add_f32_e32 v16, v27, v16
	v_add_f32_e32 v20, v21, v16
	v_mul_f32_e32 v27, v20, v20
	v_fmaak_f32 v28, s1, v27, 0x3ecc95a3
	v_mul_f32_e32 v29, v20, v27
	v_fmaak_f32 v27, v27, v28, 0x3f2aaada
	v_ldexp_f32 v28, v20, 1
	v_sub_f32_e32 v20, v20, v21
	v_mul_f32_e32 v27, v29, v27
	v_mul_f32_e32 v29, 0x3f317218, v19
	v_sub_f32_e32 v16, v16, v20
	v_add_f32_e32 v21, v28, v27
	v_ldexp_f32 v16, v16, 1
	v_sub_f32_e32 v20, v21, v28
	v_fma_f32 v28, 0x3f317218, v19, -v29
	v_sub_f32_e32 v20, v27, v20
	v_fmamk_f32 v19, v19, 0xb102e308, v28
	v_add_f32_e32 v16, v16, v20
	v_add_f32_e32 v20, v29, v19
	;; [unrolled: 1-line block ×3, first 2 shown]
	v_sub_f32_e32 v29, v20, v29
	v_add_f32_e32 v28, v20, v27
	v_sub_f32_e32 v21, v27, v21
	v_sub_f32_e32 v19, v19, v29
	;; [unrolled: 1-line block ×6, first 2 shown]
	v_add_f32_e32 v27, v19, v16
	v_sub_f32_e32 v20, v20, v31
	v_add_f32_e32 v20, v21, v20
	v_sub_f32_e32 v21, v27, v19
	;; [unrolled: 2-line block ×3, first 2 shown]
	v_sub_f32_e32 v16, v16, v21
	v_add_f32_e32 v29, v28, v20
	v_sub_f32_e32 v19, v19, v27
	v_sub_f32_e32 v21, v29, v28
	v_add_f32_e32 v16, v16, v19
	v_sub_f32_e32 v19, v20, v21
	v_add_f32_e32 v16, v16, v19
	v_add_f32_e32 v16, v29, v16
	v_cndmask_b32_e32 v16, 0x7f800000, v16, vcc_lo
	v_cmp_gt_f32_e64 vcc_lo, 0x33800000, |v8|
	v_cndmask_b32_e32 v8, v16, v8, vcc_lo
	v_add_f32_e32 v8, v15, v8
	v_cvt_f16_f32_e32 v27, v8
	v_cvt_f32_f16_e32 v8, v27
	v_mov_b32_e32 v19, v27
.LBB359_167:
	s_or_b32 exec_lo, exec_lo, s0
	v_max_f32_e32 v15, v22, v22
	v_max_f32_e32 v16, v8, v8
	v_cmp_u_f16_e32 vcc_lo, v27, v27
	v_min_f32_e32 v20, v16, v15
	v_max_f32_e32 v15, v16, v15
	v_cndmask_b32_e32 v16, v20, v8, vcc_lo
	v_cndmask_b32_e32 v15, v15, v8, vcc_lo
	v_cndmask_b32_e64 v20, v16, v22, s10
	v_cndmask_b32_e64 v16, v15, v22, s10
	v_mov_b32_e32 v15, v19
	v_cmp_class_f32_e64 s0, v20, 0x1f8
	v_cmp_neq_f32_e32 vcc_lo, v20, v16
	s_or_b32 s1, vcc_lo, s0
	s_and_saveexec_b32 s0, s1
	s_cbranch_execz .LBB359_169
; %bb.168:
	v_sub_f32_e32 v8, v20, v16
	s_mov_b32 s1, 0x3e9b6dac
	v_mul_f32_e32 v15, 0x3fb8aa3b, v8
	v_cmp_ngt_f32_e32 vcc_lo, 0xc2ce8ed0, v8
	v_fma_f32 v20, 0x3fb8aa3b, v8, -v15
	v_rndne_f32_e32 v21, v15
	v_fmamk_f32 v20, v8, 0x32a5705f, v20
	v_sub_f32_e32 v15, v15, v21
	v_add_f32_e32 v15, v15, v20
	v_cvt_i32_f32_e32 v20, v21
	v_exp_f32_e32 v15, v15
	v_ldexp_f32 v15, v15, v20
	v_cndmask_b32_e32 v15, 0, v15, vcc_lo
	v_cmp_nlt_f32_e32 vcc_lo, 0x42b17218, v8
	v_cndmask_b32_e32 v8, 0x7f800000, v15, vcc_lo
	v_add_f32_e32 v15, 1.0, v8
	v_cvt_f64_f32_e32 v[20:21], v15
	v_frexp_exp_i32_f64_e32 v20, v[20:21]
	v_frexp_mant_f32_e32 v21, v15
	v_cmp_gt_f32_e32 vcc_lo, 0x3f2aaaab, v21
	v_add_f32_e32 v21, -1.0, v15
	v_sub_f32_e32 v27, v21, v15
	v_sub_f32_e32 v21, v8, v21
	v_add_f32_e32 v27, 1.0, v27
	v_add_f32_e32 v21, v21, v27
	v_subrev_co_ci_u32_e64 v20, null, 0, v20, vcc_lo
	v_cmp_neq_f32_e32 vcc_lo, 0x7f800000, v8
	v_sub_nc_u32_e32 v22, 0, v20
	v_cvt_f32_i32_e32 v20, v20
	v_ldexp_f32 v15, v15, v22
	v_ldexp_f32 v21, v21, v22
	v_add_f32_e32 v28, 1.0, v15
	v_add_f32_e32 v22, -1.0, v15
	v_add_f32_e32 v27, -1.0, v28
	v_add_f32_e32 v29, 1.0, v22
	v_sub_f32_e32 v27, v15, v27
	v_sub_f32_e32 v15, v15, v29
	v_add_f32_e32 v27, v21, v27
	v_add_f32_e32 v15, v21, v15
	;; [unrolled: 1-line block ×4, first 2 shown]
	v_rcp_f32_e32 v21, v29
	v_sub_f32_e32 v28, v28, v29
	v_sub_f32_e32 v22, v22, v30
	v_add_f32_e32 v27, v27, v28
	v_add_f32_e32 v15, v15, v22
	v_mul_f32_e32 v31, v30, v21
	v_mul_f32_e32 v32, v29, v31
	v_fma_f32 v28, v31, v29, -v32
	v_fmac_f32_e32 v28, v31, v27
	v_add_f32_e32 v33, v32, v28
	v_sub_f32_e32 v34, v30, v33
	v_sub_f32_e32 v22, v33, v32
	;; [unrolled: 1-line block ×5, first 2 shown]
	v_add_f32_e32 v15, v15, v30
	v_add_f32_e32 v15, v22, v15
	;; [unrolled: 1-line block ×3, first 2 shown]
	v_mul_f32_e32 v28, v21, v22
	v_sub_f32_e32 v33, v34, v22
	v_mul_f32_e32 v30, v29, v28
	v_add_f32_e32 v15, v15, v33
	v_fma_f32 v29, v28, v29, -v30
	v_fmac_f32_e32 v29, v28, v27
	v_add_f32_e32 v27, v30, v29
	v_sub_f32_e32 v32, v22, v27
	v_sub_f32_e32 v30, v27, v30
	;; [unrolled: 1-line block ×5, first 2 shown]
	v_add_f32_e32 v15, v15, v22
	v_add_f32_e32 v22, v31, v28
	;; [unrolled: 1-line block ×3, first 2 shown]
	v_sub_f32_e32 v27, v22, v31
	v_add_f32_e32 v15, v32, v15
	v_sub_f32_e32 v27, v28, v27
	v_mul_f32_e32 v15, v21, v15
	v_add_f32_e32 v15, v27, v15
	v_add_f32_e32 v21, v22, v15
	v_mul_f32_e32 v27, v21, v21
	v_fmaak_f32 v28, s1, v27, 0x3ecc95a3
	v_mul_f32_e32 v29, v21, v27
	v_fmaak_f32 v27, v27, v28, 0x3f2aaada
	v_ldexp_f32 v28, v21, 1
	v_sub_f32_e32 v21, v21, v22
	v_mul_f32_e32 v27, v29, v27
	v_mul_f32_e32 v29, 0x3f317218, v20
	v_sub_f32_e32 v15, v15, v21
	v_add_f32_e32 v22, v28, v27
	v_ldexp_f32 v15, v15, 1
	v_sub_f32_e32 v21, v22, v28
	v_fma_f32 v28, 0x3f317218, v20, -v29
	v_sub_f32_e32 v21, v27, v21
	v_fmamk_f32 v20, v20, 0xb102e308, v28
	v_add_f32_e32 v15, v15, v21
	v_add_f32_e32 v21, v29, v20
	;; [unrolled: 1-line block ×3, first 2 shown]
	v_sub_f32_e32 v29, v21, v29
	v_add_f32_e32 v28, v21, v27
	v_sub_f32_e32 v22, v27, v22
	v_sub_f32_e32 v20, v20, v29
	;; [unrolled: 1-line block ×6, first 2 shown]
	v_add_f32_e32 v27, v20, v15
	v_sub_f32_e32 v21, v21, v31
	v_add_f32_e32 v21, v22, v21
	v_sub_f32_e32 v22, v27, v20
	;; [unrolled: 2-line block ×3, first 2 shown]
	v_sub_f32_e32 v15, v15, v22
	v_add_f32_e32 v29, v28, v21
	v_sub_f32_e32 v20, v20, v27
	v_sub_f32_e32 v22, v29, v28
	v_add_f32_e32 v15, v15, v20
	v_sub_f32_e32 v20, v21, v22
	v_add_f32_e32 v15, v15, v20
	v_add_f32_e32 v15, v29, v15
	v_cndmask_b32_e32 v15, 0x7f800000, v15, vcc_lo
	v_cmp_gt_f32_e64 vcc_lo, 0x33800000, |v8|
	v_cndmask_b32_e32 v8, v15, v8, vcc_lo
	v_add_f32_e32 v8, v16, v8
	v_cvt_f16_f32_e32 v27, v8
	v_cvt_f32_f16_e32 v8, v27
	v_mov_b32_e32 v15, v27
.LBB359_169:
	s_or_b32 exec_lo, exec_lo, s0
	v_max_f32_e32 v16, v23, v23
	v_max_f32_e32 v20, v8, v8
	v_cmp_u_f16_e32 vcc_lo, v27, v27
	v_min_f32_e32 v21, v20, v16
	v_max_f32_e32 v16, v20, v16
	v_cndmask_b32_e32 v20, v21, v8, vcc_lo
	v_cndmask_b32_e32 v16, v16, v8, vcc_lo
	v_cndmask_b32_e64 v21, v20, v23, s11
	v_cndmask_b32_e64 v16, v16, v23, s11
	v_mov_b32_e32 v20, v15
	v_cmp_class_f32_e64 s0, v21, 0x1f8
	v_cmp_neq_f32_e32 vcc_lo, v21, v16
	s_or_b32 s1, vcc_lo, s0
	s_and_saveexec_b32 s0, s1
	s_cbranch_execz .LBB359_171
; %bb.170:
	v_sub_f32_e32 v8, v21, v16
	s_mov_b32 s1, 0x3e9b6dac
	v_mul_f32_e32 v20, 0x3fb8aa3b, v8
	v_cmp_ngt_f32_e32 vcc_lo, 0xc2ce8ed0, v8
	v_fma_f32 v21, 0x3fb8aa3b, v8, -v20
	v_rndne_f32_e32 v22, v20
	v_fmamk_f32 v21, v8, 0x32a5705f, v21
	v_sub_f32_e32 v20, v20, v22
	v_add_f32_e32 v20, v20, v21
	v_cvt_i32_f32_e32 v21, v22
	v_exp_f32_e32 v20, v20
	v_ldexp_f32 v20, v20, v21
	v_cndmask_b32_e32 v20, 0, v20, vcc_lo
	v_cmp_nlt_f32_e32 vcc_lo, 0x42b17218, v8
	v_cndmask_b32_e32 v8, 0x7f800000, v20, vcc_lo
	v_add_f32_e32 v22, 1.0, v8
	v_cvt_f64_f32_e32 v[20:21], v22
	v_frexp_exp_i32_f64_e32 v20, v[20:21]
	v_frexp_mant_f32_e32 v21, v22
	v_cmp_gt_f32_e32 vcc_lo, 0x3f2aaaab, v21
	v_add_f32_e32 v21, -1.0, v22
	v_sub_f32_e32 v27, v21, v22
	v_sub_f32_e32 v21, v8, v21
	v_add_f32_e32 v27, 1.0, v27
	v_add_f32_e32 v21, v21, v27
	v_subrev_co_ci_u32_e64 v20, null, 0, v20, vcc_lo
	v_cmp_neq_f32_e32 vcc_lo, 0x7f800000, v8
	v_sub_nc_u32_e32 v23, 0, v20
	v_cvt_f32_i32_e32 v20, v20
	v_ldexp_f32 v22, v22, v23
	v_ldexp_f32 v21, v21, v23
	v_add_f32_e32 v28, 1.0, v22
	v_add_f32_e32 v23, -1.0, v22
	v_add_f32_e32 v27, -1.0, v28
	v_add_f32_e32 v29, 1.0, v23
	v_sub_f32_e32 v27, v22, v27
	v_sub_f32_e32 v22, v22, v29
	v_add_f32_e32 v27, v21, v27
	v_add_f32_e32 v21, v21, v22
	;; [unrolled: 1-line block ×4, first 2 shown]
	v_rcp_f32_e32 v22, v29
	v_sub_f32_e32 v28, v28, v29
	v_sub_f32_e32 v23, v23, v30
	v_add_f32_e32 v27, v27, v28
	v_add_f32_e32 v21, v21, v23
	v_mul_f32_e32 v31, v30, v22
	v_mul_f32_e32 v32, v29, v31
	v_fma_f32 v28, v31, v29, -v32
	v_fmac_f32_e32 v28, v31, v27
	v_add_f32_e32 v33, v32, v28
	v_sub_f32_e32 v34, v30, v33
	v_sub_f32_e32 v23, v33, v32
	v_sub_f32_e32 v30, v30, v34
	v_sub_f32_e32 v23, v23, v28
	v_sub_f32_e32 v30, v30, v33
	v_add_f32_e32 v21, v21, v30
	v_add_f32_e32 v21, v23, v21
	;; [unrolled: 1-line block ×3, first 2 shown]
	v_mul_f32_e32 v28, v22, v23
	v_sub_f32_e32 v33, v34, v23
	v_mul_f32_e32 v30, v29, v28
	v_add_f32_e32 v21, v21, v33
	v_fma_f32 v29, v28, v29, -v30
	v_fmac_f32_e32 v29, v28, v27
	v_add_f32_e32 v27, v30, v29
	v_sub_f32_e32 v32, v23, v27
	v_sub_f32_e32 v30, v27, v30
	;; [unrolled: 1-line block ×5, first 2 shown]
	v_add_f32_e32 v21, v21, v23
	v_add_f32_e32 v23, v31, v28
	;; [unrolled: 1-line block ×3, first 2 shown]
	v_sub_f32_e32 v27, v23, v31
	v_add_f32_e32 v21, v32, v21
	v_sub_f32_e32 v27, v28, v27
	v_mul_f32_e32 v21, v22, v21
	v_add_f32_e32 v21, v27, v21
	v_add_f32_e32 v22, v23, v21
	v_mul_f32_e32 v27, v22, v22
	v_fmaak_f32 v28, s1, v27, 0x3ecc95a3
	v_mul_f32_e32 v29, v22, v27
	v_fmaak_f32 v27, v27, v28, 0x3f2aaada
	v_ldexp_f32 v28, v22, 1
	v_sub_f32_e32 v22, v22, v23
	v_mul_f32_e32 v27, v29, v27
	v_mul_f32_e32 v29, 0x3f317218, v20
	v_sub_f32_e32 v21, v21, v22
	v_add_f32_e32 v23, v28, v27
	v_ldexp_f32 v21, v21, 1
	v_sub_f32_e32 v22, v23, v28
	v_fma_f32 v28, 0x3f317218, v20, -v29
	v_sub_f32_e32 v22, v27, v22
	v_fmamk_f32 v20, v20, 0xb102e308, v28
	v_add_f32_e32 v21, v21, v22
	v_add_f32_e32 v22, v29, v20
	;; [unrolled: 1-line block ×3, first 2 shown]
	v_sub_f32_e32 v29, v22, v29
	v_add_f32_e32 v28, v22, v27
	v_sub_f32_e32 v23, v27, v23
	v_sub_f32_e32 v20, v20, v29
	;; [unrolled: 1-line block ×6, first 2 shown]
	v_add_f32_e32 v27, v20, v21
	v_sub_f32_e32 v22, v22, v31
	v_add_f32_e32 v22, v23, v22
	v_sub_f32_e32 v23, v27, v20
	;; [unrolled: 2-line block ×3, first 2 shown]
	v_sub_f32_e32 v21, v21, v23
	v_add_f32_e32 v29, v28, v22
	v_sub_f32_e32 v20, v20, v27
	v_sub_f32_e32 v23, v29, v28
	v_add_f32_e32 v20, v21, v20
	v_sub_f32_e32 v21, v22, v23
	v_add_f32_e32 v20, v20, v21
	v_add_f32_e32 v20, v29, v20
	v_cndmask_b32_e32 v20, 0x7f800000, v20, vcc_lo
	v_cmp_gt_f32_e64 vcc_lo, 0x33800000, |v8|
	v_cndmask_b32_e32 v8, v20, v8, vcc_lo
	v_add_f32_e32 v8, v16, v8
	v_cvt_f16_f32_e32 v27, v8
	v_cvt_f32_f16_e32 v8, v27
	v_mov_b32_e32 v20, v27
.LBB359_171:
	s_or_b32 exec_lo, exec_lo, s0
	v_max_f32_e32 v16, v24, v24
	v_max_f32_e32 v21, v8, v8
	v_cmp_u_f16_e32 vcc_lo, v27, v27
	v_min_f32_e32 v22, v21, v16
	v_max_f32_e32 v16, v21, v16
	v_cndmask_b32_e32 v21, v22, v8, vcc_lo
	v_cndmask_b32_e32 v8, v16, v8, vcc_lo
	v_mov_b32_e32 v16, v20
	v_cndmask_b32_e64 v21, v21, v24, s12
	v_cndmask_b32_e64 v8, v8, v24, s12
	v_cmp_class_f32_e64 s0, v21, 0x1f8
	v_cmp_neq_f32_e32 vcc_lo, v21, v8
	s_or_b32 s1, vcc_lo, s0
	s_and_saveexec_b32 s0, s1
	s_cbranch_execz .LBB359_173
; %bb.172:
	v_sub_f32_e32 v16, v21, v8
	s_mov_b32 s1, 0x3e9b6dac
	v_mul_f32_e32 v21, 0x3fb8aa3b, v16
	v_cmp_ngt_f32_e32 vcc_lo, 0xc2ce8ed0, v16
	v_fma_f32 v22, 0x3fb8aa3b, v16, -v21
	v_rndne_f32_e32 v23, v21
	v_fmamk_f32 v22, v16, 0x32a5705f, v22
	v_sub_f32_e32 v21, v21, v23
	v_add_f32_e32 v21, v21, v22
	v_cvt_i32_f32_e32 v22, v23
	v_exp_f32_e32 v21, v21
	v_ldexp_f32 v21, v21, v22
	v_cndmask_b32_e32 v21, 0, v21, vcc_lo
	v_cmp_nlt_f32_e32 vcc_lo, 0x42b17218, v16
	v_cndmask_b32_e32 v16, 0x7f800000, v21, vcc_lo
	v_add_f32_e32 v23, 1.0, v16
	v_cvt_f64_f32_e32 v[21:22], v23
	v_frexp_exp_i32_f64_e32 v21, v[21:22]
	v_frexp_mant_f32_e32 v22, v23
	v_cmp_gt_f32_e32 vcc_lo, 0x3f2aaaab, v22
	v_add_f32_e32 v22, -1.0, v23
	v_sub_f32_e32 v27, v22, v23
	v_sub_f32_e32 v22, v16, v22
	v_add_f32_e32 v27, 1.0, v27
	v_add_f32_e32 v22, v22, v27
	v_subrev_co_ci_u32_e64 v21, null, 0, v21, vcc_lo
	v_cmp_neq_f32_e32 vcc_lo, 0x7f800000, v16
	v_sub_nc_u32_e32 v24, 0, v21
	v_cvt_f32_i32_e32 v21, v21
	v_ldexp_f32 v23, v23, v24
	v_ldexp_f32 v22, v22, v24
	v_add_f32_e32 v28, 1.0, v23
	v_add_f32_e32 v24, -1.0, v23
	v_add_f32_e32 v27, -1.0, v28
	v_add_f32_e32 v29, 1.0, v24
	v_sub_f32_e32 v27, v23, v27
	v_sub_f32_e32 v23, v23, v29
	v_add_f32_e32 v27, v22, v27
	v_add_f32_e32 v22, v22, v23
	;; [unrolled: 1-line block ×4, first 2 shown]
	v_rcp_f32_e32 v23, v29
	v_sub_f32_e32 v28, v28, v29
	v_sub_f32_e32 v24, v24, v30
	v_add_f32_e32 v27, v27, v28
	v_add_f32_e32 v22, v22, v24
	v_mul_f32_e32 v31, v30, v23
	v_mul_f32_e32 v32, v29, v31
	v_fma_f32 v28, v31, v29, -v32
	v_fmac_f32_e32 v28, v31, v27
	v_add_f32_e32 v33, v32, v28
	v_sub_f32_e32 v34, v30, v33
	v_sub_f32_e32 v24, v33, v32
	;; [unrolled: 1-line block ×5, first 2 shown]
	v_add_f32_e32 v22, v22, v30
	v_add_f32_e32 v22, v24, v22
	;; [unrolled: 1-line block ×3, first 2 shown]
	v_mul_f32_e32 v28, v23, v24
	v_sub_f32_e32 v33, v34, v24
	v_mul_f32_e32 v30, v29, v28
	v_add_f32_e32 v22, v22, v33
	v_fma_f32 v29, v28, v29, -v30
	v_fmac_f32_e32 v29, v28, v27
	v_add_f32_e32 v27, v30, v29
	v_sub_f32_e32 v32, v24, v27
	v_sub_f32_e32 v30, v27, v30
	;; [unrolled: 1-line block ×5, first 2 shown]
	v_add_f32_e32 v22, v22, v24
	v_add_f32_e32 v24, v31, v28
	;; [unrolled: 1-line block ×3, first 2 shown]
	v_sub_f32_e32 v27, v24, v31
	v_add_f32_e32 v22, v32, v22
	v_sub_f32_e32 v27, v28, v27
	v_mul_f32_e32 v22, v23, v22
	v_add_f32_e32 v22, v27, v22
	v_add_f32_e32 v23, v24, v22
	v_mul_f32_e32 v27, v23, v23
	v_fmaak_f32 v28, s1, v27, 0x3ecc95a3
	v_mul_f32_e32 v29, v23, v27
	v_fmaak_f32 v27, v27, v28, 0x3f2aaada
	v_ldexp_f32 v28, v23, 1
	v_sub_f32_e32 v23, v23, v24
	v_mul_f32_e32 v27, v29, v27
	v_mul_f32_e32 v29, 0x3f317218, v21
	v_sub_f32_e32 v22, v22, v23
	v_add_f32_e32 v24, v28, v27
	v_ldexp_f32 v22, v22, 1
	v_sub_f32_e32 v23, v24, v28
	v_fma_f32 v28, 0x3f317218, v21, -v29
	v_sub_f32_e32 v23, v27, v23
	v_fmamk_f32 v21, v21, 0xb102e308, v28
	v_add_f32_e32 v22, v22, v23
	v_add_f32_e32 v23, v29, v21
	;; [unrolled: 1-line block ×3, first 2 shown]
	v_sub_f32_e32 v29, v23, v29
	v_add_f32_e32 v28, v23, v27
	v_sub_f32_e32 v24, v27, v24
	v_sub_f32_e32 v21, v21, v29
	;; [unrolled: 1-line block ×6, first 2 shown]
	v_add_f32_e32 v27, v21, v22
	v_sub_f32_e32 v23, v23, v31
	v_add_f32_e32 v23, v24, v23
	v_sub_f32_e32 v24, v27, v21
	;; [unrolled: 2-line block ×3, first 2 shown]
	v_sub_f32_e32 v22, v22, v24
	v_add_f32_e32 v29, v28, v23
	v_sub_f32_e32 v21, v21, v27
	v_sub_f32_e32 v24, v29, v28
	v_add_f32_e32 v21, v22, v21
	v_sub_f32_e32 v22, v23, v24
	v_add_f32_e32 v21, v21, v22
	v_add_f32_e32 v21, v29, v21
	v_cndmask_b32_e32 v21, 0x7f800000, v21, vcc_lo
	v_cmp_gt_f32_e64 vcc_lo, 0x33800000, |v16|
	v_cndmask_b32_e32 v16, v21, v16, vcc_lo
	v_add_f32_e32 v8, v8, v16
	v_cvt_f16_f32_e32 v16, v8
.LBB359_173:
	s_or_b32 exec_lo, exec_lo, s0
	s_load_dwordx8 s[24:31], s[4:5], 0x38
	s_branch .LBB359_257
.LBB359_174:
	v_cmp_eq_u32_e64 s12, 0, v0
	s_waitcnt lgkmcnt(0)
	s_cmp_lg_u64 s[28:29], 0
	v_cmp_ne_u32_e64 s10, 0, v0
	v_mov_b32_e32 v7, v1
	s_cselect_b32 s0, -1, 0
	s_and_b32 s1, s12, s0
	s_and_saveexec_b32 s0, s1
	s_cbranch_execz .LBB359_178
; %bb.175:
	v_mov_b32_e32 v7, 0
	v_cvt_f32_f16_e32 v8, v1
	global_load_ushort v7, v7, s[24:25]
	s_waitcnt vmcnt(0)
	v_cvt_f32_f16_e32 v9, v7
	v_cmp_u_f16_e32 vcc_lo, v7, v7
	v_min_f32_e32 v10, v9, v8
	v_max_f32_e32 v11, v9, v8
	v_cndmask_b32_e32 v10, v10, v9, vcc_lo
	v_cndmask_b32_e32 v11, v11, v9, vcc_lo
	v_cmp_u_f16_e32 vcc_lo, v1, v1
	v_cndmask_b32_e32 v9, v10, v8, vcc_lo
	v_cndmask_b32_e32 v8, v11, v8, vcc_lo
	v_cmp_class_f32_e64 s1, v9, 0x1f8
	v_cmp_neq_f32_e32 vcc_lo, v9, v8
	s_or_b32 s2, vcc_lo, s1
	s_and_saveexec_b32 s1, s2
	s_cbranch_execz .LBB359_177
; %bb.176:
	v_sub_f32_e32 v7, v9, v8
	s_mov_b32 s2, 0x3e9b6dac
	v_mul_f32_e32 v9, 0x3fb8aa3b, v7
	v_cmp_ngt_f32_e32 vcc_lo, 0xc2ce8ed0, v7
	v_fma_f32 v10, 0x3fb8aa3b, v7, -v9
	v_rndne_f32_e32 v11, v9
	v_fmamk_f32 v10, v7, 0x32a5705f, v10
	v_sub_f32_e32 v9, v9, v11
	v_add_f32_e32 v9, v9, v10
	v_cvt_i32_f32_e32 v10, v11
	v_exp_f32_e32 v9, v9
	v_ldexp_f32 v9, v9, v10
	v_cndmask_b32_e32 v9, 0, v9, vcc_lo
	v_cmp_nlt_f32_e32 vcc_lo, 0x42b17218, v7
	v_cndmask_b32_e32 v7, 0x7f800000, v9, vcc_lo
	v_add_f32_e32 v11, 1.0, v7
	v_cvt_f64_f32_e32 v[9:10], v11
	v_frexp_exp_i32_f64_e32 v9, v[9:10]
	v_frexp_mant_f32_e32 v10, v11
	v_cmp_gt_f32_e32 vcc_lo, 0x3f2aaaab, v10
	v_add_f32_e32 v10, -1.0, v11
	v_sub_f32_e32 v16, v10, v11
	v_sub_f32_e32 v10, v7, v10
	v_add_f32_e32 v16, 1.0, v16
	v_add_f32_e32 v10, v10, v16
	v_subrev_co_ci_u32_e64 v9, null, 0, v9, vcc_lo
	v_cmp_neq_f32_e32 vcc_lo, 0x7f800000, v7
	v_sub_nc_u32_e32 v15, 0, v9
	v_cvt_f32_i32_e32 v9, v9
	v_ldexp_f32 v11, v11, v15
	v_ldexp_f32 v10, v10, v15
	v_add_f32_e32 v17, 1.0, v11
	v_add_f32_e32 v15, -1.0, v11
	v_add_f32_e32 v16, -1.0, v17
	v_add_f32_e32 v18, 1.0, v15
	v_sub_f32_e32 v16, v11, v16
	v_sub_f32_e32 v11, v11, v18
	v_add_f32_e32 v16, v10, v16
	v_add_f32_e32 v10, v10, v11
	;; [unrolled: 1-line block ×4, first 2 shown]
	v_rcp_f32_e32 v11, v18
	v_sub_f32_e32 v17, v17, v18
	v_sub_f32_e32 v15, v15, v19
	v_add_f32_e32 v16, v16, v17
	v_add_f32_e32 v10, v10, v15
	v_mul_f32_e32 v20, v19, v11
	v_mul_f32_e32 v21, v18, v20
	v_fma_f32 v17, v20, v18, -v21
	v_fmac_f32_e32 v17, v20, v16
	v_add_f32_e32 v22, v21, v17
	v_sub_f32_e32 v23, v19, v22
	v_sub_f32_e32 v15, v22, v21
	;; [unrolled: 1-line block ×5, first 2 shown]
	v_add_f32_e32 v10, v10, v19
	v_add_f32_e32 v10, v15, v10
	;; [unrolled: 1-line block ×3, first 2 shown]
	v_mul_f32_e32 v17, v11, v15
	v_sub_f32_e32 v22, v23, v15
	v_mul_f32_e32 v19, v18, v17
	v_add_f32_e32 v10, v10, v22
	v_fma_f32 v18, v17, v18, -v19
	v_fmac_f32_e32 v18, v17, v16
	v_add_f32_e32 v16, v19, v18
	v_sub_f32_e32 v21, v15, v16
	v_sub_f32_e32 v19, v16, v19
	;; [unrolled: 1-line block ×5, first 2 shown]
	v_add_f32_e32 v10, v10, v15
	v_add_f32_e32 v15, v20, v17
	;; [unrolled: 1-line block ×3, first 2 shown]
	v_sub_f32_e32 v16, v15, v20
	v_add_f32_e32 v10, v21, v10
	v_sub_f32_e32 v16, v17, v16
	v_mul_f32_e32 v10, v11, v10
	v_add_f32_e32 v10, v16, v10
	v_add_f32_e32 v11, v15, v10
	v_mul_f32_e32 v16, v11, v11
	v_fmaak_f32 v17, s2, v16, 0x3ecc95a3
	v_mul_f32_e32 v18, v11, v16
	v_fmaak_f32 v16, v16, v17, 0x3f2aaada
	v_ldexp_f32 v17, v11, 1
	v_sub_f32_e32 v11, v11, v15
	v_mul_f32_e32 v16, v18, v16
	v_mul_f32_e32 v18, 0x3f317218, v9
	v_sub_f32_e32 v10, v10, v11
	v_add_f32_e32 v15, v17, v16
	v_ldexp_f32 v10, v10, 1
	v_sub_f32_e32 v11, v15, v17
	v_fma_f32 v17, 0x3f317218, v9, -v18
	v_sub_f32_e32 v11, v16, v11
	v_fmamk_f32 v9, v9, 0xb102e308, v17
	v_add_f32_e32 v10, v10, v11
	v_add_f32_e32 v11, v18, v9
	;; [unrolled: 1-line block ×3, first 2 shown]
	v_sub_f32_e32 v18, v11, v18
	v_add_f32_e32 v17, v11, v16
	v_sub_f32_e32 v15, v16, v15
	v_sub_f32_e32 v9, v9, v18
	;; [unrolled: 1-line block ×6, first 2 shown]
	v_add_f32_e32 v16, v9, v10
	v_sub_f32_e32 v11, v11, v20
	v_add_f32_e32 v11, v15, v11
	v_sub_f32_e32 v15, v16, v9
	;; [unrolled: 2-line block ×3, first 2 shown]
	v_sub_f32_e32 v10, v10, v15
	v_add_f32_e32 v18, v17, v11
	v_sub_f32_e32 v9, v9, v16
	v_sub_f32_e32 v15, v18, v17
	v_add_f32_e32 v9, v10, v9
	v_sub_f32_e32 v10, v11, v15
	v_add_f32_e32 v9, v9, v10
	v_add_f32_e32 v9, v18, v9
	v_cndmask_b32_e32 v9, 0x7f800000, v9, vcc_lo
	v_cmp_gt_f32_e64 vcc_lo, 0x33800000, |v7|
	v_cndmask_b32_e32 v7, v9, v7, vcc_lo
	v_add_f32_e32 v7, v8, v7
	v_cvt_f16_f32_e32 v7, v7
.LBB359_177:
	s_or_b32 exec_lo, exec_lo, s1
.LBB359_178:
	s_or_b32 exec_lo, exec_lo, s0
	v_cvt_f32_f16_e32 v8, v7
	v_cmp_u_f16_e64 s11, v7, v7
	v_cmp_u_f16_sdwa vcc_lo, v1, v1 src0_sel:WORD_1 src1_sel:WORD_1
	v_mov_b32_e32 v19, v7
	v_min_f32_e32 v17, v8, v14
	v_max_f32_e32 v18, v8, v14
	v_mov_b32_e32 v20, v8
	v_cndmask_b32_e64 v9, v17, v8, s11
	v_cndmask_b32_e64 v10, v18, v8, s11
	v_cndmask_b32_e32 v9, v9, v14, vcc_lo
	v_cndmask_b32_e32 v1, v10, v14, vcc_lo
	v_cmp_class_f32_e64 s1, v9, 0x1f8
	v_cmp_neq_f32_e64 s0, v9, v1
	s_or_b32 s0, s0, s1
	s_and_saveexec_b32 s1, s0
	s_cbranch_execz .LBB359_180
; %bb.179:
	v_sub_f32_e32 v9, v9, v1
	v_mul_f32_e32 v10, 0x3fb8aa3b, v9
	v_cmp_ngt_f32_e64 s0, 0xc2ce8ed0, v9
	v_fma_f32 v11, 0x3fb8aa3b, v9, -v10
	v_rndne_f32_e32 v15, v10
	v_fmamk_f32 v11, v9, 0x32a5705f, v11
	v_sub_f32_e32 v10, v10, v15
	v_add_f32_e32 v10, v10, v11
	v_cvt_i32_f32_e32 v11, v15
	v_exp_f32_e32 v10, v10
	v_ldexp_f32 v10, v10, v11
	v_cndmask_b32_e64 v10, 0, v10, s0
	v_cmp_nlt_f32_e64 s0, 0x42b17218, v9
	v_cndmask_b32_e64 v11, 0x7f800000, v10, s0
	v_add_f32_e32 v15, 1.0, v11
	v_cvt_f64_f32_e32 v[9:10], v15
	v_frexp_exp_i32_f64_e32 v9, v[9:10]
	v_frexp_mant_f32_e32 v10, v15
	v_cmp_gt_f32_e64 s0, 0x3f2aaaab, v10
	v_add_f32_e32 v10, -1.0, v15
	v_sub_f32_e32 v19, v10, v15
	v_sub_f32_e32 v10, v11, v10
	v_add_f32_e32 v19, 1.0, v19
	v_add_f32_e32 v10, v10, v19
	v_subrev_co_ci_u32_e64 v9, null, 0, v9, s0
	s_mov_b32 s0, 0x3e9b6dac
	v_sub_nc_u32_e32 v16, 0, v9
	v_cvt_f32_i32_e32 v9, v9
	v_ldexp_f32 v15, v15, v16
	v_ldexp_f32 v10, v10, v16
	v_add_f32_e32 v20, 1.0, v15
	v_add_f32_e32 v16, -1.0, v15
	v_add_f32_e32 v19, -1.0, v20
	v_add_f32_e32 v21, 1.0, v16
	v_sub_f32_e32 v19, v15, v19
	v_sub_f32_e32 v15, v15, v21
	v_add_f32_e32 v19, v10, v19
	v_add_f32_e32 v10, v10, v15
	v_add_f32_e32 v21, v20, v19
	v_add_f32_e32 v22, v16, v10
	v_rcp_f32_e32 v15, v21
	v_sub_f32_e32 v20, v20, v21
	v_sub_f32_e32 v16, v16, v22
	v_add_f32_e32 v19, v19, v20
	v_add_f32_e32 v10, v10, v16
	v_mul_f32_e32 v23, v22, v15
	v_mul_f32_e32 v24, v21, v23
	v_fma_f32 v20, v23, v21, -v24
	v_fmac_f32_e32 v20, v23, v19
	v_add_f32_e32 v25, v24, v20
	v_sub_f32_e32 v26, v22, v25
	v_sub_f32_e32 v16, v25, v24
	;; [unrolled: 1-line block ×5, first 2 shown]
	v_add_f32_e32 v10, v10, v22
	v_add_f32_e32 v10, v16, v10
	;; [unrolled: 1-line block ×3, first 2 shown]
	v_mul_f32_e32 v20, v15, v16
	v_sub_f32_e32 v25, v26, v16
	v_mul_f32_e32 v22, v21, v20
	v_add_f32_e32 v10, v10, v25
	v_fma_f32 v21, v20, v21, -v22
	v_fmac_f32_e32 v21, v20, v19
	v_add_f32_e32 v19, v22, v21
	v_sub_f32_e32 v24, v16, v19
	v_sub_f32_e32 v22, v19, v22
	;; [unrolled: 1-line block ×5, first 2 shown]
	v_add_f32_e32 v10, v10, v16
	v_add_f32_e32 v16, v23, v20
	;; [unrolled: 1-line block ×3, first 2 shown]
	v_sub_f32_e32 v19, v16, v23
	v_add_f32_e32 v10, v24, v10
	v_sub_f32_e32 v19, v20, v19
	v_mul_f32_e32 v10, v15, v10
	v_add_f32_e32 v10, v19, v10
	v_add_f32_e32 v15, v16, v10
	v_mul_f32_e32 v19, v15, v15
	v_fmaak_f32 v20, s0, v19, 0x3ecc95a3
	v_mul_f32_e32 v21, v15, v19
	v_cmp_neq_f32_e64 s0, 0x7f800000, v11
	v_fmaak_f32 v19, v19, v20, 0x3f2aaada
	v_ldexp_f32 v20, v15, 1
	v_sub_f32_e32 v15, v15, v16
	v_mul_f32_e32 v19, v21, v19
	v_mul_f32_e32 v21, 0x3f317218, v9
	v_sub_f32_e32 v10, v10, v15
	v_add_f32_e32 v16, v20, v19
	v_ldexp_f32 v10, v10, 1
	v_sub_f32_e32 v15, v16, v20
	v_fma_f32 v20, 0x3f317218, v9, -v21
	v_sub_f32_e32 v15, v19, v15
	v_fmamk_f32 v9, v9, 0xb102e308, v20
	v_add_f32_e32 v10, v10, v15
	v_add_f32_e32 v15, v21, v9
	;; [unrolled: 1-line block ×3, first 2 shown]
	v_sub_f32_e32 v21, v15, v21
	v_add_f32_e32 v20, v15, v19
	v_sub_f32_e32 v16, v19, v16
	v_sub_f32_e32 v9, v9, v21
	;; [unrolled: 1-line block ×6, first 2 shown]
	v_add_f32_e32 v19, v9, v10
	v_sub_f32_e32 v15, v15, v23
	v_add_f32_e32 v15, v16, v15
	v_sub_f32_e32 v16, v19, v9
	;; [unrolled: 2-line block ×3, first 2 shown]
	v_sub_f32_e32 v10, v10, v16
	v_add_f32_e32 v21, v20, v15
	v_sub_f32_e32 v9, v9, v19
	v_sub_f32_e32 v16, v21, v20
	v_add_f32_e32 v9, v10, v9
	v_sub_f32_e32 v10, v15, v16
	v_add_f32_e32 v9, v9, v10
	v_add_f32_e32 v9, v21, v9
	v_cndmask_b32_e64 v9, 0x7f800000, v9, s0
	v_cmp_gt_f32_e64 s0, 0x33800000, |v11|
	v_cndmask_b32_e64 v9, v9, v11, s0
	v_add_f32_e32 v1, v1, v9
	v_cvt_f16_f32_e32 v19, v1
	v_cvt_f32_f16_e32 v20, v19
.LBB359_180:
	s_or_b32 exec_lo, exec_lo, s1
	v_cvt_f32_f16_e32 v1, v2
	v_max_f32_e32 v9, v20, v20
	v_cmp_u_f16_e64 s0, v19, v19
	v_min_f32_e32 v10, v9, v1
	v_max_f32_e32 v9, v9, v1
	v_cndmask_b32_e64 v10, v10, v20, s0
	v_cndmask_b32_e64 v9, v9, v20, s0
	v_cmp_u_f16_e64 s0, v2, v2
	v_cndmask_b32_e64 v10, v10, v1, s0
	v_cndmask_b32_e64 v9, v9, v1, s0
	v_cmp_class_f32_e64 s2, v10, 0x1f8
	v_cmp_neq_f32_e64 s1, v10, v9
	s_or_b32 s1, s1, s2
	s_and_saveexec_b32 s2, s1
	s_cbranch_execz .LBB359_182
; %bb.181:
	v_sub_f32_e32 v10, v10, v9
	v_mul_f32_e32 v11, 0x3fb8aa3b, v10
	v_cmp_ngt_f32_e64 s1, 0xc2ce8ed0, v10
	v_fma_f32 v15, 0x3fb8aa3b, v10, -v11
	v_rndne_f32_e32 v16, v11
	v_fmamk_f32 v15, v10, 0x32a5705f, v15
	v_sub_f32_e32 v11, v11, v16
	v_add_f32_e32 v11, v11, v15
	v_cvt_i32_f32_e32 v15, v16
	v_exp_f32_e32 v11, v11
	v_ldexp_f32 v11, v11, v15
	v_cndmask_b32_e64 v11, 0, v11, s1
	v_cmp_nlt_f32_e64 s1, 0x42b17218, v10
	v_cndmask_b32_e64 v15, 0x7f800000, v11, s1
	v_add_f32_e32 v16, 1.0, v15
	v_cvt_f64_f32_e32 v[10:11], v16
	v_frexp_exp_i32_f64_e32 v10, v[10:11]
	v_frexp_mant_f32_e32 v11, v16
	v_cmp_gt_f32_e64 s1, 0x3f2aaaab, v11
	v_add_f32_e32 v11, -1.0, v16
	v_sub_f32_e32 v20, v11, v16
	v_sub_f32_e32 v11, v15, v11
	v_add_f32_e32 v20, 1.0, v20
	v_add_f32_e32 v11, v11, v20
	v_subrev_co_ci_u32_e64 v10, null, 0, v10, s1
	s_mov_b32 s1, 0x3e9b6dac
	v_sub_nc_u32_e32 v19, 0, v10
	v_cvt_f32_i32_e32 v10, v10
	v_ldexp_f32 v16, v16, v19
	v_ldexp_f32 v11, v11, v19
	v_add_f32_e32 v21, 1.0, v16
	v_add_f32_e32 v19, -1.0, v16
	v_add_f32_e32 v20, -1.0, v21
	v_add_f32_e32 v22, 1.0, v19
	v_sub_f32_e32 v20, v16, v20
	v_sub_f32_e32 v16, v16, v22
	v_add_f32_e32 v20, v11, v20
	v_add_f32_e32 v11, v11, v16
	;; [unrolled: 1-line block ×4, first 2 shown]
	v_rcp_f32_e32 v16, v22
	v_sub_f32_e32 v21, v21, v22
	v_sub_f32_e32 v19, v19, v23
	v_add_f32_e32 v20, v20, v21
	v_add_f32_e32 v11, v11, v19
	v_mul_f32_e32 v24, v23, v16
	v_mul_f32_e32 v25, v22, v24
	v_fma_f32 v21, v24, v22, -v25
	v_fmac_f32_e32 v21, v24, v20
	v_add_f32_e32 v26, v25, v21
	v_sub_f32_e32 v27, v23, v26
	v_sub_f32_e32 v19, v26, v25
	;; [unrolled: 1-line block ×5, first 2 shown]
	v_add_f32_e32 v11, v11, v23
	v_add_f32_e32 v11, v19, v11
	;; [unrolled: 1-line block ×3, first 2 shown]
	v_mul_f32_e32 v21, v16, v19
	v_sub_f32_e32 v26, v27, v19
	v_mul_f32_e32 v23, v22, v21
	v_add_f32_e32 v11, v11, v26
	v_fma_f32 v22, v21, v22, -v23
	v_fmac_f32_e32 v22, v21, v20
	v_add_f32_e32 v20, v23, v22
	v_sub_f32_e32 v25, v19, v20
	v_sub_f32_e32 v23, v20, v23
	;; [unrolled: 1-line block ×5, first 2 shown]
	v_add_f32_e32 v11, v11, v19
	v_add_f32_e32 v19, v24, v21
	;; [unrolled: 1-line block ×3, first 2 shown]
	v_sub_f32_e32 v20, v19, v24
	v_add_f32_e32 v11, v25, v11
	v_sub_f32_e32 v20, v21, v20
	v_mul_f32_e32 v11, v16, v11
	v_add_f32_e32 v11, v20, v11
	v_add_f32_e32 v16, v19, v11
	v_mul_f32_e32 v20, v16, v16
	v_fmaak_f32 v21, s1, v20, 0x3ecc95a3
	v_mul_f32_e32 v22, v16, v20
	v_cmp_neq_f32_e64 s1, 0x7f800000, v15
	v_fmaak_f32 v20, v20, v21, 0x3f2aaada
	v_ldexp_f32 v21, v16, 1
	v_sub_f32_e32 v16, v16, v19
	v_mul_f32_e32 v20, v22, v20
	v_mul_f32_e32 v22, 0x3f317218, v10
	v_sub_f32_e32 v11, v11, v16
	v_add_f32_e32 v19, v21, v20
	v_ldexp_f32 v11, v11, 1
	v_sub_f32_e32 v16, v19, v21
	v_fma_f32 v21, 0x3f317218, v10, -v22
	v_sub_f32_e32 v16, v20, v16
	v_fmamk_f32 v10, v10, 0xb102e308, v21
	v_add_f32_e32 v11, v11, v16
	v_add_f32_e32 v16, v22, v10
	;; [unrolled: 1-line block ×3, first 2 shown]
	v_sub_f32_e32 v22, v16, v22
	v_add_f32_e32 v21, v16, v20
	v_sub_f32_e32 v19, v20, v19
	v_sub_f32_e32 v10, v10, v22
	;; [unrolled: 1-line block ×6, first 2 shown]
	v_add_f32_e32 v20, v10, v11
	v_sub_f32_e32 v16, v16, v24
	v_add_f32_e32 v16, v19, v16
	v_sub_f32_e32 v19, v20, v10
	;; [unrolled: 2-line block ×3, first 2 shown]
	v_sub_f32_e32 v11, v11, v19
	v_add_f32_e32 v22, v21, v16
	v_sub_f32_e32 v10, v10, v20
	v_sub_f32_e32 v19, v22, v21
	v_add_f32_e32 v10, v11, v10
	v_sub_f32_e32 v11, v16, v19
	v_add_f32_e32 v10, v10, v11
	v_add_f32_e32 v10, v22, v10
	v_cndmask_b32_e64 v10, 0x7f800000, v10, s1
	v_cmp_gt_f32_e64 s1, 0x33800000, |v15|
	v_cndmask_b32_e64 v10, v10, v15, s1
	v_add_f32_e32 v9, v9, v10
	v_cvt_f16_f32_e32 v19, v9
	v_cvt_f32_f16_e32 v20, v19
.LBB359_182:
	s_or_b32 exec_lo, exec_lo, s2
	v_cvt_f32_f16_sdwa v9, v2 dst_sel:DWORD dst_unused:UNUSED_PAD src0_sel:WORD_1
	v_max_f32_e32 v10, v20, v20
	v_cmp_u_f16_e64 s1, v19, v19
	v_min_f32_e32 v11, v10, v9
	v_max_f32_e32 v10, v10, v9
	v_cndmask_b32_e64 v11, v11, v20, s1
	v_cndmask_b32_e64 v15, v10, v20, s1
	v_cmp_u_f16_sdwa s1, v2, v2 src0_sel:WORD_1 src1_sel:WORD_1
	v_cndmask_b32_e64 v10, v11, v9, s1
	v_cndmask_b32_e64 v2, v15, v9, s1
	v_cmp_class_f32_e64 s3, v10, 0x1f8
	v_cmp_neq_f32_e64 s2, v10, v2
	s_or_b32 s2, s2, s3
	s_and_saveexec_b32 s3, s2
	s_cbranch_execz .LBB359_184
; %bb.183:
	v_sub_f32_e32 v10, v10, v2
	v_mul_f32_e32 v11, 0x3fb8aa3b, v10
	v_cmp_ngt_f32_e64 s2, 0xc2ce8ed0, v10
	v_fma_f32 v15, 0x3fb8aa3b, v10, -v11
	v_rndne_f32_e32 v16, v11
	v_fmamk_f32 v15, v10, 0x32a5705f, v15
	v_sub_f32_e32 v11, v11, v16
	v_add_f32_e32 v11, v11, v15
	v_cvt_i32_f32_e32 v15, v16
	v_exp_f32_e32 v11, v11
	v_ldexp_f32 v11, v11, v15
	v_cndmask_b32_e64 v11, 0, v11, s2
	v_cmp_nlt_f32_e64 s2, 0x42b17218, v10
	v_cndmask_b32_e64 v15, 0x7f800000, v11, s2
	v_add_f32_e32 v16, 1.0, v15
	v_cvt_f64_f32_e32 v[10:11], v16
	v_frexp_exp_i32_f64_e32 v10, v[10:11]
	v_frexp_mant_f32_e32 v11, v16
	v_cmp_gt_f32_e64 s2, 0x3f2aaaab, v11
	v_add_f32_e32 v11, -1.0, v16
	v_sub_f32_e32 v20, v11, v16
	v_sub_f32_e32 v11, v15, v11
	v_add_f32_e32 v20, 1.0, v20
	v_add_f32_e32 v11, v11, v20
	v_subrev_co_ci_u32_e64 v10, null, 0, v10, s2
	s_mov_b32 s2, 0x3e9b6dac
	v_sub_nc_u32_e32 v19, 0, v10
	v_cvt_f32_i32_e32 v10, v10
	v_ldexp_f32 v16, v16, v19
	v_ldexp_f32 v11, v11, v19
	v_add_f32_e32 v21, 1.0, v16
	v_add_f32_e32 v19, -1.0, v16
	v_add_f32_e32 v20, -1.0, v21
	v_add_f32_e32 v22, 1.0, v19
	v_sub_f32_e32 v20, v16, v20
	v_sub_f32_e32 v16, v16, v22
	v_add_f32_e32 v20, v11, v20
	v_add_f32_e32 v11, v11, v16
	;; [unrolled: 1-line block ×4, first 2 shown]
	v_rcp_f32_e32 v16, v22
	v_sub_f32_e32 v21, v21, v22
	v_sub_f32_e32 v19, v19, v23
	v_add_f32_e32 v20, v20, v21
	v_add_f32_e32 v11, v11, v19
	v_mul_f32_e32 v24, v23, v16
	v_mul_f32_e32 v25, v22, v24
	v_fma_f32 v21, v24, v22, -v25
	v_fmac_f32_e32 v21, v24, v20
	v_add_f32_e32 v26, v25, v21
	v_sub_f32_e32 v27, v23, v26
	v_sub_f32_e32 v19, v26, v25
	;; [unrolled: 1-line block ×5, first 2 shown]
	v_add_f32_e32 v11, v11, v23
	v_add_f32_e32 v11, v19, v11
	;; [unrolled: 1-line block ×3, first 2 shown]
	v_mul_f32_e32 v21, v16, v19
	v_sub_f32_e32 v26, v27, v19
	v_mul_f32_e32 v23, v22, v21
	v_add_f32_e32 v11, v11, v26
	v_fma_f32 v22, v21, v22, -v23
	v_fmac_f32_e32 v22, v21, v20
	v_add_f32_e32 v20, v23, v22
	v_sub_f32_e32 v25, v19, v20
	v_sub_f32_e32 v23, v20, v23
	;; [unrolled: 1-line block ×5, first 2 shown]
	v_add_f32_e32 v11, v11, v19
	v_add_f32_e32 v19, v24, v21
	;; [unrolled: 1-line block ×3, first 2 shown]
	v_sub_f32_e32 v20, v19, v24
	v_add_f32_e32 v11, v25, v11
	v_sub_f32_e32 v20, v21, v20
	v_mul_f32_e32 v11, v16, v11
	v_add_f32_e32 v11, v20, v11
	v_add_f32_e32 v16, v19, v11
	v_mul_f32_e32 v20, v16, v16
	v_fmaak_f32 v21, s2, v20, 0x3ecc95a3
	v_mul_f32_e32 v22, v16, v20
	v_cmp_neq_f32_e64 s2, 0x7f800000, v15
	v_fmaak_f32 v20, v20, v21, 0x3f2aaada
	v_ldexp_f32 v21, v16, 1
	v_sub_f32_e32 v16, v16, v19
	v_mul_f32_e32 v20, v22, v20
	v_mul_f32_e32 v22, 0x3f317218, v10
	v_sub_f32_e32 v11, v11, v16
	v_add_f32_e32 v19, v21, v20
	v_ldexp_f32 v11, v11, 1
	v_sub_f32_e32 v16, v19, v21
	v_fma_f32 v21, 0x3f317218, v10, -v22
	v_sub_f32_e32 v16, v20, v16
	v_fmamk_f32 v10, v10, 0xb102e308, v21
	v_add_f32_e32 v11, v11, v16
	v_add_f32_e32 v16, v22, v10
	;; [unrolled: 1-line block ×3, first 2 shown]
	v_sub_f32_e32 v22, v16, v22
	v_add_f32_e32 v21, v16, v20
	v_sub_f32_e32 v19, v20, v19
	v_sub_f32_e32 v10, v10, v22
	;; [unrolled: 1-line block ×6, first 2 shown]
	v_add_f32_e32 v20, v10, v11
	v_sub_f32_e32 v16, v16, v24
	v_add_f32_e32 v16, v19, v16
	v_sub_f32_e32 v19, v20, v10
	;; [unrolled: 2-line block ×3, first 2 shown]
	v_sub_f32_e32 v11, v11, v19
	v_add_f32_e32 v22, v21, v16
	v_sub_f32_e32 v10, v10, v20
	v_sub_f32_e32 v19, v22, v21
	v_add_f32_e32 v10, v11, v10
	v_sub_f32_e32 v11, v16, v19
	v_add_f32_e32 v10, v10, v11
	v_add_f32_e32 v10, v22, v10
	v_cndmask_b32_e64 v10, 0x7f800000, v10, s2
	v_cmp_gt_f32_e64 s2, 0x33800000, |v15|
	v_cndmask_b32_e64 v10, v10, v15, s2
	v_add_f32_e32 v2, v2, v10
	v_cvt_f16_f32_e32 v19, v2
	v_cvt_f32_f16_e32 v20, v19
.LBB359_184:
	s_or_b32 exec_lo, exec_lo, s3
	v_cvt_f32_f16_e32 v2, v3
	v_max_f32_e32 v10, v20, v20
	v_cmp_u_f16_e64 s2, v19, v19
	v_min_f32_e32 v11, v10, v2
	v_max_f32_e32 v10, v10, v2
	v_cndmask_b32_e64 v11, v11, v20, s2
	v_cndmask_b32_e64 v10, v10, v20, s2
	v_cmp_u_f16_e64 s2, v3, v3
	v_cndmask_b32_e64 v11, v11, v2, s2
	v_cndmask_b32_e64 v10, v10, v2, s2
	v_cmp_class_f32_e64 s4, v11, 0x1f8
	v_cmp_neq_f32_e64 s3, v11, v10
	s_or_b32 s3, s3, s4
	s_and_saveexec_b32 s4, s3
	s_cbranch_execz .LBB359_186
; %bb.185:
	v_sub_f32_e32 v11, v11, v10
	v_mul_f32_e32 v15, 0x3fb8aa3b, v11
	v_cmp_ngt_f32_e64 s3, 0xc2ce8ed0, v11
	v_fma_f32 v16, 0x3fb8aa3b, v11, -v15
	v_rndne_f32_e32 v19, v15
	v_fmamk_f32 v16, v11, 0x32a5705f, v16
	v_sub_f32_e32 v15, v15, v19
	v_add_f32_e32 v15, v15, v16
	v_cvt_i32_f32_e32 v16, v19
	v_exp_f32_e32 v15, v15
	v_ldexp_f32 v15, v15, v16
	v_cndmask_b32_e64 v15, 0, v15, s3
	v_cmp_nlt_f32_e64 s3, 0x42b17218, v11
	v_cndmask_b32_e64 v11, 0x7f800000, v15, s3
	v_add_f32_e32 v19, 1.0, v11
	v_cvt_f64_f32_e32 v[15:16], v19
	v_frexp_exp_i32_f64_e32 v15, v[15:16]
	v_frexp_mant_f32_e32 v16, v19
	v_cmp_gt_f32_e64 s3, 0x3f2aaaab, v16
	v_add_f32_e32 v16, -1.0, v19
	v_sub_f32_e32 v21, v16, v19
	v_sub_f32_e32 v16, v11, v16
	v_add_f32_e32 v21, 1.0, v21
	v_add_f32_e32 v16, v16, v21
	v_subrev_co_ci_u32_e64 v15, null, 0, v15, s3
	s_mov_b32 s3, 0x3e9b6dac
	v_sub_nc_u32_e32 v20, 0, v15
	v_cvt_f32_i32_e32 v15, v15
	v_ldexp_f32 v19, v19, v20
	v_ldexp_f32 v16, v16, v20
	v_add_f32_e32 v22, 1.0, v19
	v_add_f32_e32 v20, -1.0, v19
	v_add_f32_e32 v21, -1.0, v22
	v_add_f32_e32 v23, 1.0, v20
	v_sub_f32_e32 v21, v19, v21
	v_sub_f32_e32 v19, v19, v23
	v_add_f32_e32 v21, v16, v21
	v_add_f32_e32 v16, v16, v19
	;; [unrolled: 1-line block ×4, first 2 shown]
	v_rcp_f32_e32 v19, v23
	v_sub_f32_e32 v22, v22, v23
	v_sub_f32_e32 v20, v20, v24
	v_add_f32_e32 v21, v21, v22
	v_add_f32_e32 v16, v16, v20
	v_mul_f32_e32 v25, v24, v19
	v_mul_f32_e32 v26, v23, v25
	v_fma_f32 v22, v25, v23, -v26
	v_fmac_f32_e32 v22, v25, v21
	v_add_f32_e32 v27, v26, v22
	v_sub_f32_e32 v28, v24, v27
	v_sub_f32_e32 v20, v27, v26
	;; [unrolled: 1-line block ×5, first 2 shown]
	v_add_f32_e32 v16, v16, v24
	v_add_f32_e32 v16, v20, v16
	;; [unrolled: 1-line block ×3, first 2 shown]
	v_mul_f32_e32 v22, v19, v20
	v_sub_f32_e32 v27, v28, v20
	v_mul_f32_e32 v24, v23, v22
	v_add_f32_e32 v16, v16, v27
	v_fma_f32 v23, v22, v23, -v24
	v_fmac_f32_e32 v23, v22, v21
	v_add_f32_e32 v21, v24, v23
	v_sub_f32_e32 v26, v20, v21
	v_sub_f32_e32 v24, v21, v24
	;; [unrolled: 1-line block ×5, first 2 shown]
	v_add_f32_e32 v16, v16, v20
	v_add_f32_e32 v20, v25, v22
	;; [unrolled: 1-line block ×3, first 2 shown]
	v_sub_f32_e32 v21, v20, v25
	v_add_f32_e32 v16, v26, v16
	v_sub_f32_e32 v21, v22, v21
	v_mul_f32_e32 v16, v19, v16
	v_add_f32_e32 v16, v21, v16
	v_add_f32_e32 v19, v20, v16
	v_mul_f32_e32 v21, v19, v19
	v_fmaak_f32 v22, s3, v21, 0x3ecc95a3
	v_mul_f32_e32 v23, v19, v21
	v_cmp_neq_f32_e64 s3, 0x7f800000, v11
	v_fmaak_f32 v21, v21, v22, 0x3f2aaada
	v_ldexp_f32 v22, v19, 1
	v_sub_f32_e32 v19, v19, v20
	v_mul_f32_e32 v21, v23, v21
	v_mul_f32_e32 v23, 0x3f317218, v15
	v_sub_f32_e32 v16, v16, v19
	v_add_f32_e32 v20, v22, v21
	v_ldexp_f32 v16, v16, 1
	v_sub_f32_e32 v19, v20, v22
	v_fma_f32 v22, 0x3f317218, v15, -v23
	v_sub_f32_e32 v19, v21, v19
	v_fmamk_f32 v15, v15, 0xb102e308, v22
	v_add_f32_e32 v16, v16, v19
	v_add_f32_e32 v19, v23, v15
	;; [unrolled: 1-line block ×3, first 2 shown]
	v_sub_f32_e32 v23, v19, v23
	v_add_f32_e32 v22, v19, v21
	v_sub_f32_e32 v20, v21, v20
	v_sub_f32_e32 v15, v15, v23
	;; [unrolled: 1-line block ×6, first 2 shown]
	v_add_f32_e32 v21, v15, v16
	v_sub_f32_e32 v19, v19, v25
	v_add_f32_e32 v19, v20, v19
	v_sub_f32_e32 v20, v21, v15
	;; [unrolled: 2-line block ×3, first 2 shown]
	v_sub_f32_e32 v16, v16, v20
	v_add_f32_e32 v23, v22, v19
	v_sub_f32_e32 v15, v15, v21
	v_sub_f32_e32 v20, v23, v22
	v_add_f32_e32 v15, v16, v15
	v_sub_f32_e32 v16, v19, v20
	v_add_f32_e32 v15, v15, v16
	v_add_f32_e32 v15, v23, v15
	v_cndmask_b32_e64 v15, 0x7f800000, v15, s3
	v_cmp_gt_f32_e64 s3, 0x33800000, |v11|
	v_cndmask_b32_e64 v11, v15, v11, s3
	v_add_f32_e32 v10, v10, v11
	v_cvt_f16_f32_e32 v19, v10
	v_cvt_f32_f16_e32 v20, v19
.LBB359_186:
	s_or_b32 exec_lo, exec_lo, s4
	v_cvt_f32_f16_sdwa v10, v3 dst_sel:DWORD dst_unused:UNUSED_PAD src0_sel:WORD_1
	v_max_f32_e32 v11, v20, v20
	v_cmp_u_f16_e64 s3, v19, v19
	v_min_f32_e32 v15, v11, v10
	v_max_f32_e32 v11, v11, v10
	v_cndmask_b32_e64 v15, v15, v20, s3
	v_cndmask_b32_e64 v16, v11, v20, s3
	v_cmp_u_f16_sdwa s3, v3, v3 src0_sel:WORD_1 src1_sel:WORD_1
	v_cndmask_b32_e64 v11, v15, v10, s3
	v_cndmask_b32_e64 v3, v16, v10, s3
	v_cmp_class_f32_e64 s5, v11, 0x1f8
	v_cmp_neq_f32_e64 s4, v11, v3
	s_or_b32 s4, s4, s5
	s_and_saveexec_b32 s5, s4
	s_cbranch_execz .LBB359_188
; %bb.187:
	v_sub_f32_e32 v11, v11, v3
	v_mul_f32_e32 v15, 0x3fb8aa3b, v11
	v_cmp_ngt_f32_e64 s4, 0xc2ce8ed0, v11
	v_fma_f32 v16, 0x3fb8aa3b, v11, -v15
	v_rndne_f32_e32 v19, v15
	v_fmamk_f32 v16, v11, 0x32a5705f, v16
	v_sub_f32_e32 v15, v15, v19
	v_add_f32_e32 v15, v15, v16
	v_cvt_i32_f32_e32 v16, v19
	v_exp_f32_e32 v15, v15
	v_ldexp_f32 v15, v15, v16
	v_cndmask_b32_e64 v15, 0, v15, s4
	v_cmp_nlt_f32_e64 s4, 0x42b17218, v11
	v_cndmask_b32_e64 v11, 0x7f800000, v15, s4
	v_add_f32_e32 v19, 1.0, v11
	v_cvt_f64_f32_e32 v[15:16], v19
	v_frexp_exp_i32_f64_e32 v15, v[15:16]
	v_frexp_mant_f32_e32 v16, v19
	v_cmp_gt_f32_e64 s4, 0x3f2aaaab, v16
	v_add_f32_e32 v16, -1.0, v19
	v_sub_f32_e32 v21, v16, v19
	v_sub_f32_e32 v16, v11, v16
	v_add_f32_e32 v21, 1.0, v21
	v_add_f32_e32 v16, v16, v21
	v_subrev_co_ci_u32_e64 v15, null, 0, v15, s4
	s_mov_b32 s4, 0x3e9b6dac
	v_sub_nc_u32_e32 v20, 0, v15
	v_cvt_f32_i32_e32 v15, v15
	v_ldexp_f32 v19, v19, v20
	v_ldexp_f32 v16, v16, v20
	v_add_f32_e32 v22, 1.0, v19
	v_add_f32_e32 v20, -1.0, v19
	v_add_f32_e32 v21, -1.0, v22
	v_add_f32_e32 v23, 1.0, v20
	v_sub_f32_e32 v21, v19, v21
	v_sub_f32_e32 v19, v19, v23
	v_add_f32_e32 v21, v16, v21
	v_add_f32_e32 v16, v16, v19
	;; [unrolled: 1-line block ×4, first 2 shown]
	v_rcp_f32_e32 v19, v23
	v_sub_f32_e32 v22, v22, v23
	v_sub_f32_e32 v20, v20, v24
	v_add_f32_e32 v21, v21, v22
	v_add_f32_e32 v16, v16, v20
	v_mul_f32_e32 v25, v24, v19
	v_mul_f32_e32 v26, v23, v25
	v_fma_f32 v22, v25, v23, -v26
	v_fmac_f32_e32 v22, v25, v21
	v_add_f32_e32 v27, v26, v22
	v_sub_f32_e32 v28, v24, v27
	v_sub_f32_e32 v20, v27, v26
	;; [unrolled: 1-line block ×5, first 2 shown]
	v_add_f32_e32 v16, v16, v24
	v_add_f32_e32 v16, v20, v16
	;; [unrolled: 1-line block ×3, first 2 shown]
	v_mul_f32_e32 v22, v19, v20
	v_sub_f32_e32 v27, v28, v20
	v_mul_f32_e32 v24, v23, v22
	v_add_f32_e32 v16, v16, v27
	v_fma_f32 v23, v22, v23, -v24
	v_fmac_f32_e32 v23, v22, v21
	v_add_f32_e32 v21, v24, v23
	v_sub_f32_e32 v26, v20, v21
	v_sub_f32_e32 v24, v21, v24
	;; [unrolled: 1-line block ×5, first 2 shown]
	v_add_f32_e32 v16, v16, v20
	v_add_f32_e32 v20, v25, v22
	v_add_f32_e32 v16, v21, v16
	v_sub_f32_e32 v21, v20, v25
	v_add_f32_e32 v16, v26, v16
	v_sub_f32_e32 v21, v22, v21
	v_mul_f32_e32 v16, v19, v16
	v_add_f32_e32 v16, v21, v16
	v_add_f32_e32 v19, v20, v16
	v_mul_f32_e32 v21, v19, v19
	v_fmaak_f32 v22, s4, v21, 0x3ecc95a3
	v_mul_f32_e32 v23, v19, v21
	v_cmp_neq_f32_e64 s4, 0x7f800000, v11
	v_fmaak_f32 v21, v21, v22, 0x3f2aaada
	v_ldexp_f32 v22, v19, 1
	v_sub_f32_e32 v19, v19, v20
	v_mul_f32_e32 v21, v23, v21
	v_mul_f32_e32 v23, 0x3f317218, v15
	v_sub_f32_e32 v16, v16, v19
	v_add_f32_e32 v20, v22, v21
	v_ldexp_f32 v16, v16, 1
	v_sub_f32_e32 v19, v20, v22
	v_fma_f32 v22, 0x3f317218, v15, -v23
	v_sub_f32_e32 v19, v21, v19
	v_fmamk_f32 v15, v15, 0xb102e308, v22
	v_add_f32_e32 v16, v16, v19
	v_add_f32_e32 v19, v23, v15
	;; [unrolled: 1-line block ×3, first 2 shown]
	v_sub_f32_e32 v23, v19, v23
	v_add_f32_e32 v22, v19, v21
	v_sub_f32_e32 v20, v21, v20
	v_sub_f32_e32 v15, v15, v23
	;; [unrolled: 1-line block ×6, first 2 shown]
	v_add_f32_e32 v21, v15, v16
	v_sub_f32_e32 v19, v19, v25
	v_add_f32_e32 v19, v20, v19
	v_sub_f32_e32 v20, v21, v15
	;; [unrolled: 2-line block ×3, first 2 shown]
	v_sub_f32_e32 v16, v16, v20
	v_add_f32_e32 v23, v22, v19
	v_sub_f32_e32 v15, v15, v21
	v_sub_f32_e32 v20, v23, v22
	v_add_f32_e32 v15, v16, v15
	v_sub_f32_e32 v16, v19, v20
	v_add_f32_e32 v15, v15, v16
	v_add_f32_e32 v15, v23, v15
	v_cndmask_b32_e64 v15, 0x7f800000, v15, s4
	v_cmp_gt_f32_e64 s4, 0x33800000, |v11|
	v_cndmask_b32_e64 v11, v15, v11, s4
	v_add_f32_e32 v3, v3, v11
	v_cvt_f16_f32_e32 v19, v3
	v_cvt_f32_f16_e32 v20, v19
.LBB359_188:
	s_or_b32 exec_lo, exec_lo, s5
	v_cvt_f32_f16_e32 v3, v4
	v_max_f32_e32 v11, v20, v20
	v_cmp_u_f16_e64 s4, v19, v19
	v_min_f32_e32 v15, v11, v3
	v_max_f32_e32 v11, v11, v3
	v_cndmask_b32_e64 v15, v15, v20, s4
	v_cndmask_b32_e64 v11, v11, v20, s4
	v_cmp_u_f16_e64 s4, v4, v4
	v_cndmask_b32_e64 v15, v15, v3, s4
	v_cndmask_b32_e64 v11, v11, v3, s4
	v_cmp_class_f32_e64 s6, v15, 0x1f8
	v_cmp_neq_f32_e64 s5, v15, v11
	s_or_b32 s5, s5, s6
	s_and_saveexec_b32 s6, s5
	s_cbranch_execz .LBB359_190
; %bb.189:
	v_sub_f32_e32 v15, v15, v11
	v_mul_f32_e32 v16, 0x3fb8aa3b, v15
	v_cmp_ngt_f32_e64 s5, 0xc2ce8ed0, v15
	v_fma_f32 v19, 0x3fb8aa3b, v15, -v16
	v_rndne_f32_e32 v20, v16
	v_fmamk_f32 v19, v15, 0x32a5705f, v19
	v_sub_f32_e32 v16, v16, v20
	v_add_f32_e32 v16, v16, v19
	v_cvt_i32_f32_e32 v19, v20
	v_exp_f32_e32 v16, v16
	v_ldexp_f32 v16, v16, v19
	v_cndmask_b32_e64 v16, 0, v16, s5
	v_cmp_nlt_f32_e64 s5, 0x42b17218, v15
	v_cndmask_b32_e64 v19, 0x7f800000, v16, s5
	v_add_f32_e32 v20, 1.0, v19
	v_cvt_f64_f32_e32 v[15:16], v20
	v_frexp_exp_i32_f64_e32 v15, v[15:16]
	v_frexp_mant_f32_e32 v16, v20
	v_cmp_gt_f32_e64 s5, 0x3f2aaaab, v16
	v_add_f32_e32 v16, -1.0, v20
	v_sub_f32_e32 v22, v16, v20
	v_sub_f32_e32 v16, v19, v16
	v_add_f32_e32 v22, 1.0, v22
	v_add_f32_e32 v16, v16, v22
	v_subrev_co_ci_u32_e64 v15, null, 0, v15, s5
	s_mov_b32 s5, 0x3e9b6dac
	v_sub_nc_u32_e32 v21, 0, v15
	v_cvt_f32_i32_e32 v15, v15
	v_ldexp_f32 v20, v20, v21
	v_ldexp_f32 v16, v16, v21
	v_add_f32_e32 v23, 1.0, v20
	v_add_f32_e32 v21, -1.0, v20
	v_add_f32_e32 v22, -1.0, v23
	v_add_f32_e32 v24, 1.0, v21
	v_sub_f32_e32 v22, v20, v22
	v_sub_f32_e32 v20, v20, v24
	v_add_f32_e32 v22, v16, v22
	v_add_f32_e32 v16, v16, v20
	;; [unrolled: 1-line block ×4, first 2 shown]
	v_rcp_f32_e32 v20, v24
	v_sub_f32_e32 v23, v23, v24
	v_sub_f32_e32 v21, v21, v25
	v_add_f32_e32 v22, v22, v23
	v_add_f32_e32 v16, v16, v21
	v_mul_f32_e32 v26, v25, v20
	v_mul_f32_e32 v27, v24, v26
	v_fma_f32 v23, v26, v24, -v27
	v_fmac_f32_e32 v23, v26, v22
	v_add_f32_e32 v28, v27, v23
	v_sub_f32_e32 v29, v25, v28
	v_sub_f32_e32 v21, v28, v27
	;; [unrolled: 1-line block ×5, first 2 shown]
	v_add_f32_e32 v16, v16, v25
	v_add_f32_e32 v16, v21, v16
	;; [unrolled: 1-line block ×3, first 2 shown]
	v_mul_f32_e32 v23, v20, v21
	v_sub_f32_e32 v28, v29, v21
	v_mul_f32_e32 v25, v24, v23
	v_add_f32_e32 v16, v16, v28
	v_fma_f32 v24, v23, v24, -v25
	v_fmac_f32_e32 v24, v23, v22
	v_add_f32_e32 v22, v25, v24
	v_sub_f32_e32 v27, v21, v22
	v_sub_f32_e32 v25, v22, v25
	;; [unrolled: 1-line block ×5, first 2 shown]
	v_add_f32_e32 v16, v16, v21
	v_add_f32_e32 v21, v26, v23
	;; [unrolled: 1-line block ×3, first 2 shown]
	v_sub_f32_e32 v22, v21, v26
	v_add_f32_e32 v16, v27, v16
	v_sub_f32_e32 v22, v23, v22
	v_mul_f32_e32 v16, v20, v16
	v_add_f32_e32 v16, v22, v16
	v_add_f32_e32 v20, v21, v16
	v_mul_f32_e32 v22, v20, v20
	v_fmaak_f32 v23, s5, v22, 0x3ecc95a3
	v_mul_f32_e32 v24, v20, v22
	v_cmp_neq_f32_e64 s5, 0x7f800000, v19
	v_fmaak_f32 v22, v22, v23, 0x3f2aaada
	v_ldexp_f32 v23, v20, 1
	v_sub_f32_e32 v20, v20, v21
	v_mul_f32_e32 v22, v24, v22
	v_mul_f32_e32 v24, 0x3f317218, v15
	v_sub_f32_e32 v16, v16, v20
	v_add_f32_e32 v21, v23, v22
	v_ldexp_f32 v16, v16, 1
	v_sub_f32_e32 v20, v21, v23
	v_fma_f32 v23, 0x3f317218, v15, -v24
	v_sub_f32_e32 v20, v22, v20
	v_fmamk_f32 v15, v15, 0xb102e308, v23
	v_add_f32_e32 v16, v16, v20
	v_add_f32_e32 v20, v24, v15
	;; [unrolled: 1-line block ×3, first 2 shown]
	v_sub_f32_e32 v24, v20, v24
	v_add_f32_e32 v23, v20, v22
	v_sub_f32_e32 v21, v22, v21
	v_sub_f32_e32 v15, v15, v24
	v_sub_f32_e32 v25, v23, v20
	v_sub_f32_e32 v16, v16, v21
	v_sub_f32_e32 v26, v23, v25
	v_sub_f32_e32 v21, v22, v25
	v_add_f32_e32 v22, v15, v16
	v_sub_f32_e32 v20, v20, v26
	v_add_f32_e32 v20, v21, v20
	v_sub_f32_e32 v21, v22, v15
	v_add_f32_e32 v20, v22, v20
	v_sub_f32_e32 v22, v22, v21
	v_sub_f32_e32 v16, v16, v21
	v_add_f32_e32 v24, v23, v20
	v_sub_f32_e32 v15, v15, v22
	v_sub_f32_e32 v21, v24, v23
	v_add_f32_e32 v15, v16, v15
	v_sub_f32_e32 v16, v20, v21
	v_add_f32_e32 v15, v15, v16
	v_add_f32_e32 v15, v24, v15
	v_cndmask_b32_e64 v15, 0x7f800000, v15, s5
	v_cmp_gt_f32_e64 s5, 0x33800000, |v19|
	v_cndmask_b32_e64 v15, v15, v19, s5
	v_add_f32_e32 v11, v11, v15
	v_cvt_f16_f32_e32 v19, v11
	v_cvt_f32_f16_e32 v20, v19
.LBB359_190:
	s_or_b32 exec_lo, exec_lo, s6
	v_cvt_f32_f16_sdwa v11, v4 dst_sel:DWORD dst_unused:UNUSED_PAD src0_sel:WORD_1
	v_max_f32_e32 v15, v20, v20
	v_cmp_u_f16_e64 s5, v19, v19
	v_min_f32_e32 v16, v15, v11
	v_max_f32_e32 v15, v15, v11
	v_cndmask_b32_e64 v16, v16, v20, s5
	v_cndmask_b32_e64 v21, v15, v20, s5
	v_cmp_u_f16_sdwa s5, v4, v4 src0_sel:WORD_1 src1_sel:WORD_1
	v_cndmask_b32_e64 v15, v16, v11, s5
	v_cndmask_b32_e64 v4, v21, v11, s5
	v_cmp_class_f32_e64 s7, v15, 0x1f8
	v_cmp_neq_f32_e64 s6, v15, v4
	s_or_b32 s6, s6, s7
	s_and_saveexec_b32 s7, s6
	s_cbranch_execz .LBB359_192
; %bb.191:
	v_sub_f32_e32 v15, v15, v4
	v_mul_f32_e32 v16, 0x3fb8aa3b, v15
	v_cmp_ngt_f32_e64 s6, 0xc2ce8ed0, v15
	v_fma_f32 v19, 0x3fb8aa3b, v15, -v16
	v_rndne_f32_e32 v20, v16
	v_fmamk_f32 v19, v15, 0x32a5705f, v19
	v_sub_f32_e32 v16, v16, v20
	v_add_f32_e32 v16, v16, v19
	v_cvt_i32_f32_e32 v19, v20
	v_exp_f32_e32 v16, v16
	v_ldexp_f32 v16, v16, v19
	v_cndmask_b32_e64 v16, 0, v16, s6
	v_cmp_nlt_f32_e64 s6, 0x42b17218, v15
	v_cndmask_b32_e64 v19, 0x7f800000, v16, s6
	v_add_f32_e32 v20, 1.0, v19
	v_cvt_f64_f32_e32 v[15:16], v20
	v_frexp_exp_i32_f64_e32 v15, v[15:16]
	v_frexp_mant_f32_e32 v16, v20
	v_cmp_gt_f32_e64 s6, 0x3f2aaaab, v16
	v_add_f32_e32 v16, -1.0, v20
	v_sub_f32_e32 v22, v16, v20
	v_sub_f32_e32 v16, v19, v16
	v_add_f32_e32 v22, 1.0, v22
	v_add_f32_e32 v16, v16, v22
	v_subrev_co_ci_u32_e64 v15, null, 0, v15, s6
	s_mov_b32 s6, 0x3e9b6dac
	v_sub_nc_u32_e32 v21, 0, v15
	v_cvt_f32_i32_e32 v15, v15
	v_ldexp_f32 v20, v20, v21
	v_ldexp_f32 v16, v16, v21
	v_add_f32_e32 v23, 1.0, v20
	v_add_f32_e32 v21, -1.0, v20
	v_add_f32_e32 v22, -1.0, v23
	v_add_f32_e32 v24, 1.0, v21
	v_sub_f32_e32 v22, v20, v22
	v_sub_f32_e32 v20, v20, v24
	v_add_f32_e32 v22, v16, v22
	v_add_f32_e32 v16, v16, v20
	;; [unrolled: 1-line block ×4, first 2 shown]
	v_rcp_f32_e32 v20, v24
	v_sub_f32_e32 v23, v23, v24
	v_sub_f32_e32 v21, v21, v25
	v_add_f32_e32 v22, v22, v23
	v_add_f32_e32 v16, v16, v21
	v_mul_f32_e32 v26, v25, v20
	v_mul_f32_e32 v27, v24, v26
	v_fma_f32 v23, v26, v24, -v27
	v_fmac_f32_e32 v23, v26, v22
	v_add_f32_e32 v28, v27, v23
	v_sub_f32_e32 v29, v25, v28
	v_sub_f32_e32 v21, v28, v27
	;; [unrolled: 1-line block ×5, first 2 shown]
	v_add_f32_e32 v16, v16, v25
	v_add_f32_e32 v16, v21, v16
	;; [unrolled: 1-line block ×3, first 2 shown]
	v_mul_f32_e32 v23, v20, v21
	v_sub_f32_e32 v28, v29, v21
	v_mul_f32_e32 v25, v24, v23
	v_add_f32_e32 v16, v16, v28
	v_fma_f32 v24, v23, v24, -v25
	v_fmac_f32_e32 v24, v23, v22
	v_add_f32_e32 v22, v25, v24
	v_sub_f32_e32 v27, v21, v22
	v_sub_f32_e32 v25, v22, v25
	v_sub_f32_e32 v21, v21, v27
	v_sub_f32_e32 v21, v21, v22
	v_sub_f32_e32 v22, v25, v24
	v_add_f32_e32 v16, v16, v21
	v_add_f32_e32 v21, v26, v23
	v_add_f32_e32 v16, v22, v16
	v_sub_f32_e32 v22, v21, v26
	v_add_f32_e32 v16, v27, v16
	v_sub_f32_e32 v22, v23, v22
	v_mul_f32_e32 v16, v20, v16
	v_add_f32_e32 v16, v22, v16
	v_add_f32_e32 v20, v21, v16
	v_mul_f32_e32 v22, v20, v20
	v_fmaak_f32 v23, s6, v22, 0x3ecc95a3
	v_mul_f32_e32 v24, v20, v22
	v_cmp_neq_f32_e64 s6, 0x7f800000, v19
	v_fmaak_f32 v22, v22, v23, 0x3f2aaada
	v_ldexp_f32 v23, v20, 1
	v_sub_f32_e32 v20, v20, v21
	v_mul_f32_e32 v22, v24, v22
	v_mul_f32_e32 v24, 0x3f317218, v15
	v_sub_f32_e32 v16, v16, v20
	v_add_f32_e32 v21, v23, v22
	v_ldexp_f32 v16, v16, 1
	v_sub_f32_e32 v20, v21, v23
	v_fma_f32 v23, 0x3f317218, v15, -v24
	v_sub_f32_e32 v20, v22, v20
	v_fmamk_f32 v15, v15, 0xb102e308, v23
	v_add_f32_e32 v16, v16, v20
	v_add_f32_e32 v20, v24, v15
	;; [unrolled: 1-line block ×3, first 2 shown]
	v_sub_f32_e32 v24, v20, v24
	v_add_f32_e32 v23, v20, v22
	v_sub_f32_e32 v21, v22, v21
	v_sub_f32_e32 v15, v15, v24
	;; [unrolled: 1-line block ×6, first 2 shown]
	v_add_f32_e32 v22, v15, v16
	v_sub_f32_e32 v20, v20, v26
	v_add_f32_e32 v20, v21, v20
	v_sub_f32_e32 v21, v22, v15
	;; [unrolled: 2-line block ×3, first 2 shown]
	v_sub_f32_e32 v16, v16, v21
	v_add_f32_e32 v24, v23, v20
	v_sub_f32_e32 v15, v15, v22
	v_sub_f32_e32 v21, v24, v23
	v_add_f32_e32 v15, v16, v15
	v_sub_f32_e32 v16, v20, v21
	v_add_f32_e32 v15, v15, v16
	v_add_f32_e32 v15, v24, v15
	v_cndmask_b32_e64 v15, 0x7f800000, v15, s6
	v_cmp_gt_f32_e64 s6, 0x33800000, |v19|
	v_cndmask_b32_e64 v15, v15, v19, s6
	v_add_f32_e32 v4, v4, v15
	v_cvt_f16_f32_e32 v19, v4
	v_cvt_f32_f16_e32 v20, v19
.LBB359_192:
	s_or_b32 exec_lo, exec_lo, s7
	v_cvt_f32_f16_e32 v4, v5
	v_max_f32_e32 v15, v20, v20
	v_cmp_u_f16_e64 s6, v19, v19
	v_min_f32_e32 v16, v15, v4
	v_max_f32_e32 v15, v15, v4
	v_cndmask_b32_e64 v16, v16, v20, s6
	v_cndmask_b32_e64 v15, v15, v20, s6
	v_cmp_u_f16_e64 s6, v5, v5
	v_cndmask_b32_e64 v16, v16, v4, s6
	v_cndmask_b32_e64 v15, v15, v4, s6
	v_cmp_class_f32_e64 s8, v16, 0x1f8
	v_cmp_neq_f32_e64 s7, v16, v15
	s_or_b32 s7, s7, s8
	s_and_saveexec_b32 s8, s7
	s_cbranch_execz .LBB359_194
; %bb.193:
	v_sub_f32_e32 v16, v16, v15
	v_mul_f32_e32 v19, 0x3fb8aa3b, v16
	v_cmp_ngt_f32_e64 s7, 0xc2ce8ed0, v16
	v_fma_f32 v20, 0x3fb8aa3b, v16, -v19
	v_rndne_f32_e32 v21, v19
	v_fmamk_f32 v20, v16, 0x32a5705f, v20
	v_sub_f32_e32 v19, v19, v21
	v_add_f32_e32 v19, v19, v20
	v_cvt_i32_f32_e32 v20, v21
	v_exp_f32_e32 v19, v19
	v_ldexp_f32 v19, v19, v20
	v_cndmask_b32_e64 v19, 0, v19, s7
	v_cmp_nlt_f32_e64 s7, 0x42b17218, v16
	v_cndmask_b32_e64 v16, 0x7f800000, v19, s7
	v_add_f32_e32 v21, 1.0, v16
	v_cvt_f64_f32_e32 v[19:20], v21
	v_frexp_exp_i32_f64_e32 v19, v[19:20]
	v_frexp_mant_f32_e32 v20, v21
	v_cmp_gt_f32_e64 s7, 0x3f2aaaab, v20
	v_add_f32_e32 v20, -1.0, v21
	v_sub_f32_e32 v23, v20, v21
	v_sub_f32_e32 v20, v16, v20
	v_add_f32_e32 v23, 1.0, v23
	v_add_f32_e32 v20, v20, v23
	v_subrev_co_ci_u32_e64 v19, null, 0, v19, s7
	s_mov_b32 s7, 0x3e9b6dac
	v_sub_nc_u32_e32 v22, 0, v19
	v_cvt_f32_i32_e32 v19, v19
	v_ldexp_f32 v21, v21, v22
	v_ldexp_f32 v20, v20, v22
	v_add_f32_e32 v24, 1.0, v21
	v_add_f32_e32 v22, -1.0, v21
	v_add_f32_e32 v23, -1.0, v24
	v_add_f32_e32 v25, 1.0, v22
	v_sub_f32_e32 v23, v21, v23
	v_sub_f32_e32 v21, v21, v25
	v_add_f32_e32 v23, v20, v23
	v_add_f32_e32 v20, v20, v21
	;; [unrolled: 1-line block ×4, first 2 shown]
	v_rcp_f32_e32 v21, v25
	v_sub_f32_e32 v24, v24, v25
	v_sub_f32_e32 v22, v22, v26
	v_add_f32_e32 v23, v23, v24
	v_add_f32_e32 v20, v20, v22
	v_mul_f32_e32 v27, v26, v21
	v_mul_f32_e32 v28, v25, v27
	v_fma_f32 v24, v27, v25, -v28
	v_fmac_f32_e32 v24, v27, v23
	v_add_f32_e32 v29, v28, v24
	v_sub_f32_e32 v30, v26, v29
	v_sub_f32_e32 v22, v29, v28
	;; [unrolled: 1-line block ×5, first 2 shown]
	v_add_f32_e32 v20, v20, v26
	v_add_f32_e32 v20, v22, v20
	;; [unrolled: 1-line block ×3, first 2 shown]
	v_mul_f32_e32 v24, v21, v22
	v_sub_f32_e32 v29, v30, v22
	v_mul_f32_e32 v26, v25, v24
	v_add_f32_e32 v20, v20, v29
	v_fma_f32 v25, v24, v25, -v26
	v_fmac_f32_e32 v25, v24, v23
	v_add_f32_e32 v23, v26, v25
	v_sub_f32_e32 v28, v22, v23
	v_sub_f32_e32 v26, v23, v26
	;; [unrolled: 1-line block ×5, first 2 shown]
	v_add_f32_e32 v20, v20, v22
	v_add_f32_e32 v22, v27, v24
	;; [unrolled: 1-line block ×3, first 2 shown]
	v_sub_f32_e32 v23, v22, v27
	v_add_f32_e32 v20, v28, v20
	v_sub_f32_e32 v23, v24, v23
	v_mul_f32_e32 v20, v21, v20
	v_add_f32_e32 v20, v23, v20
	v_add_f32_e32 v21, v22, v20
	v_mul_f32_e32 v23, v21, v21
	v_fmaak_f32 v24, s7, v23, 0x3ecc95a3
	v_mul_f32_e32 v25, v21, v23
	v_cmp_neq_f32_e64 s7, 0x7f800000, v16
	v_fmaak_f32 v23, v23, v24, 0x3f2aaada
	v_ldexp_f32 v24, v21, 1
	v_sub_f32_e32 v21, v21, v22
	v_mul_f32_e32 v23, v25, v23
	v_mul_f32_e32 v25, 0x3f317218, v19
	v_sub_f32_e32 v20, v20, v21
	v_add_f32_e32 v22, v24, v23
	v_ldexp_f32 v20, v20, 1
	v_sub_f32_e32 v21, v22, v24
	v_fma_f32 v24, 0x3f317218, v19, -v25
	v_sub_f32_e32 v21, v23, v21
	v_fmamk_f32 v19, v19, 0xb102e308, v24
	v_add_f32_e32 v20, v20, v21
	v_add_f32_e32 v21, v25, v19
	;; [unrolled: 1-line block ×3, first 2 shown]
	v_sub_f32_e32 v25, v21, v25
	v_add_f32_e32 v24, v21, v23
	v_sub_f32_e32 v22, v23, v22
	v_sub_f32_e32 v19, v19, v25
	;; [unrolled: 1-line block ×6, first 2 shown]
	v_add_f32_e32 v23, v19, v20
	v_sub_f32_e32 v21, v21, v27
	v_add_f32_e32 v21, v22, v21
	v_sub_f32_e32 v22, v23, v19
	;; [unrolled: 2-line block ×3, first 2 shown]
	v_sub_f32_e32 v20, v20, v22
	v_add_f32_e32 v25, v24, v21
	v_sub_f32_e32 v19, v19, v23
	v_sub_f32_e32 v22, v25, v24
	v_add_f32_e32 v19, v20, v19
	v_sub_f32_e32 v20, v21, v22
	v_add_f32_e32 v19, v19, v20
	v_add_f32_e32 v19, v25, v19
	v_cndmask_b32_e64 v19, 0x7f800000, v19, s7
	v_cmp_gt_f32_e64 s7, 0x33800000, |v16|
	v_cndmask_b32_e64 v16, v19, v16, s7
	v_add_f32_e32 v15, v15, v16
	v_cvt_f16_f32_e32 v19, v15
	v_cvt_f32_f16_e32 v20, v19
.LBB359_194:
	s_or_b32 exec_lo, exec_lo, s8
	v_cvt_f32_f16_sdwa v15, v5 dst_sel:DWORD dst_unused:UNUSED_PAD src0_sel:WORD_1
	v_max_f32_e32 v16, v20, v20
	v_cmp_u_f16_e64 s7, v19, v19
	v_min_f32_e32 v21, v16, v15
	v_max_f32_e32 v16, v16, v15
	v_cndmask_b32_e64 v21, v21, v20, s7
	v_cndmask_b32_e64 v22, v16, v20, s7
	v_cmp_u_f16_sdwa s7, v5, v5 src0_sel:WORD_1 src1_sel:WORD_1
	v_cndmask_b32_e64 v16, v21, v15, s7
	v_cndmask_b32_e64 v5, v22, v15, s7
	v_cmp_class_f32_e64 s9, v16, 0x1f8
	v_cmp_neq_f32_e64 s8, v16, v5
	s_or_b32 s8, s8, s9
	s_and_saveexec_b32 s9, s8
	s_cbranch_execz .LBB359_196
; %bb.195:
	v_sub_f32_e32 v16, v16, v5
	v_mul_f32_e32 v19, 0x3fb8aa3b, v16
	v_cmp_ngt_f32_e64 s8, 0xc2ce8ed0, v16
	v_fma_f32 v20, 0x3fb8aa3b, v16, -v19
	v_rndne_f32_e32 v21, v19
	v_fmamk_f32 v20, v16, 0x32a5705f, v20
	v_sub_f32_e32 v19, v19, v21
	v_add_f32_e32 v19, v19, v20
	v_cvt_i32_f32_e32 v20, v21
	v_exp_f32_e32 v19, v19
	v_ldexp_f32 v19, v19, v20
	v_cndmask_b32_e64 v19, 0, v19, s8
	v_cmp_nlt_f32_e64 s8, 0x42b17218, v16
	v_cndmask_b32_e64 v16, 0x7f800000, v19, s8
	v_add_f32_e32 v21, 1.0, v16
	v_cvt_f64_f32_e32 v[19:20], v21
	v_frexp_exp_i32_f64_e32 v19, v[19:20]
	v_frexp_mant_f32_e32 v20, v21
	v_cmp_gt_f32_e64 s8, 0x3f2aaaab, v20
	v_add_f32_e32 v20, -1.0, v21
	v_sub_f32_e32 v23, v20, v21
	v_sub_f32_e32 v20, v16, v20
	v_add_f32_e32 v23, 1.0, v23
	v_add_f32_e32 v20, v20, v23
	v_subrev_co_ci_u32_e64 v19, null, 0, v19, s8
	s_mov_b32 s8, 0x3e9b6dac
	v_sub_nc_u32_e32 v22, 0, v19
	v_cvt_f32_i32_e32 v19, v19
	v_ldexp_f32 v21, v21, v22
	v_ldexp_f32 v20, v20, v22
	v_add_f32_e32 v24, 1.0, v21
	v_add_f32_e32 v22, -1.0, v21
	v_add_f32_e32 v23, -1.0, v24
	v_add_f32_e32 v25, 1.0, v22
	v_sub_f32_e32 v23, v21, v23
	v_sub_f32_e32 v21, v21, v25
	v_add_f32_e32 v23, v20, v23
	v_add_f32_e32 v20, v20, v21
	;; [unrolled: 1-line block ×4, first 2 shown]
	v_rcp_f32_e32 v21, v25
	v_sub_f32_e32 v24, v24, v25
	v_sub_f32_e32 v22, v22, v26
	v_add_f32_e32 v23, v23, v24
	v_add_f32_e32 v20, v20, v22
	v_mul_f32_e32 v27, v26, v21
	v_mul_f32_e32 v28, v25, v27
	v_fma_f32 v24, v27, v25, -v28
	v_fmac_f32_e32 v24, v27, v23
	v_add_f32_e32 v29, v28, v24
	v_sub_f32_e32 v30, v26, v29
	v_sub_f32_e32 v22, v29, v28
	;; [unrolled: 1-line block ×5, first 2 shown]
	v_add_f32_e32 v20, v20, v26
	v_add_f32_e32 v20, v22, v20
	;; [unrolled: 1-line block ×3, first 2 shown]
	v_mul_f32_e32 v24, v21, v22
	v_sub_f32_e32 v29, v30, v22
	v_mul_f32_e32 v26, v25, v24
	v_add_f32_e32 v20, v20, v29
	v_fma_f32 v25, v24, v25, -v26
	v_fmac_f32_e32 v25, v24, v23
	v_add_f32_e32 v23, v26, v25
	v_sub_f32_e32 v28, v22, v23
	v_sub_f32_e32 v26, v23, v26
	;; [unrolled: 1-line block ×5, first 2 shown]
	v_add_f32_e32 v20, v20, v22
	v_add_f32_e32 v22, v27, v24
	;; [unrolled: 1-line block ×3, first 2 shown]
	v_sub_f32_e32 v23, v22, v27
	v_add_f32_e32 v20, v28, v20
	v_sub_f32_e32 v23, v24, v23
	v_mul_f32_e32 v20, v21, v20
	v_add_f32_e32 v20, v23, v20
	v_add_f32_e32 v21, v22, v20
	v_mul_f32_e32 v23, v21, v21
	v_fmaak_f32 v24, s8, v23, 0x3ecc95a3
	v_mul_f32_e32 v25, v21, v23
	v_cmp_neq_f32_e64 s8, 0x7f800000, v16
	v_fmaak_f32 v23, v23, v24, 0x3f2aaada
	v_ldexp_f32 v24, v21, 1
	v_sub_f32_e32 v21, v21, v22
	v_mul_f32_e32 v23, v25, v23
	v_mul_f32_e32 v25, 0x3f317218, v19
	v_sub_f32_e32 v20, v20, v21
	v_add_f32_e32 v22, v24, v23
	v_ldexp_f32 v20, v20, 1
	v_sub_f32_e32 v21, v22, v24
	v_fma_f32 v24, 0x3f317218, v19, -v25
	v_sub_f32_e32 v21, v23, v21
	v_fmamk_f32 v19, v19, 0xb102e308, v24
	v_add_f32_e32 v20, v20, v21
	v_add_f32_e32 v21, v25, v19
	;; [unrolled: 1-line block ×3, first 2 shown]
	v_sub_f32_e32 v25, v21, v25
	v_add_f32_e32 v24, v21, v23
	v_sub_f32_e32 v22, v23, v22
	v_sub_f32_e32 v19, v19, v25
	;; [unrolled: 1-line block ×6, first 2 shown]
	v_add_f32_e32 v23, v19, v20
	v_sub_f32_e32 v21, v21, v27
	v_add_f32_e32 v21, v22, v21
	v_sub_f32_e32 v22, v23, v19
	v_add_f32_e32 v21, v23, v21
	v_sub_f32_e32 v23, v23, v22
	v_sub_f32_e32 v20, v20, v22
	v_add_f32_e32 v25, v24, v21
	v_sub_f32_e32 v19, v19, v23
	v_sub_f32_e32 v22, v25, v24
	v_add_f32_e32 v19, v20, v19
	v_sub_f32_e32 v20, v21, v22
	v_add_f32_e32 v19, v19, v20
	v_add_f32_e32 v19, v25, v19
	v_cndmask_b32_e64 v19, 0x7f800000, v19, s8
	v_cmp_gt_f32_e64 s8, 0x33800000, |v16|
	v_cndmask_b32_e64 v16, v19, v16, s8
	v_add_f32_e32 v5, v5, v16
	v_cvt_f16_f32_e32 v19, v5
	v_cvt_f32_f16_e32 v20, v19
.LBB359_196:
	s_or_b32 exec_lo, exec_lo, s9
	v_cvt_f32_f16_e32 v5, v6
	v_max_f32_e32 v16, v20, v20
	v_cmp_u_f16_e64 s8, v19, v19
	v_min_f32_e32 v21, v16, v5
	v_max_f32_e32 v16, v16, v5
	v_cndmask_b32_e64 v21, v21, v20, s8
	v_cndmask_b32_e64 v16, v16, v20, s8
	v_cmp_u_f16_e64 s8, v6, v6
	v_cndmask_b32_e64 v21, v21, v5, s8
	v_cndmask_b32_e64 v16, v16, v5, s8
	v_cmp_class_f32_e64 s13, v21, 0x1f8
	v_cmp_neq_f32_e64 s9, v21, v16
	s_or_b32 s9, s9, s13
	s_and_saveexec_b32 s13, s9
	s_cbranch_execz .LBB359_198
; %bb.197:
	v_sub_f32_e32 v19, v21, v16
	v_mul_f32_e32 v20, 0x3fb8aa3b, v19
	v_cmp_ngt_f32_e64 s9, 0xc2ce8ed0, v19
	v_fma_f32 v21, 0x3fb8aa3b, v19, -v20
	v_rndne_f32_e32 v22, v20
	v_fmamk_f32 v21, v19, 0x32a5705f, v21
	v_sub_f32_e32 v20, v20, v22
	v_add_f32_e32 v20, v20, v21
	v_cvt_i32_f32_e32 v21, v22
	v_exp_f32_e32 v20, v20
	v_ldexp_f32 v20, v20, v21
	v_cndmask_b32_e64 v20, 0, v20, s9
	v_cmp_nlt_f32_e64 s9, 0x42b17218, v19
	v_cndmask_b32_e64 v21, 0x7f800000, v20, s9
	v_add_f32_e32 v22, 1.0, v21
	v_cvt_f64_f32_e32 v[19:20], v22
	v_frexp_exp_i32_f64_e32 v19, v[19:20]
	v_frexp_mant_f32_e32 v20, v22
	v_cmp_gt_f32_e64 s9, 0x3f2aaaab, v20
	v_add_f32_e32 v20, -1.0, v22
	v_sub_f32_e32 v24, v20, v22
	v_sub_f32_e32 v20, v21, v20
	v_add_f32_e32 v24, 1.0, v24
	v_add_f32_e32 v20, v20, v24
	v_subrev_co_ci_u32_e64 v19, null, 0, v19, s9
	s_mov_b32 s9, 0x3e9b6dac
	v_sub_nc_u32_e32 v23, 0, v19
	v_cvt_f32_i32_e32 v19, v19
	v_ldexp_f32 v22, v22, v23
	v_ldexp_f32 v20, v20, v23
	v_add_f32_e32 v25, 1.0, v22
	v_add_f32_e32 v23, -1.0, v22
	v_add_f32_e32 v24, -1.0, v25
	v_add_f32_e32 v26, 1.0, v23
	v_sub_f32_e32 v24, v22, v24
	v_sub_f32_e32 v22, v22, v26
	v_add_f32_e32 v24, v20, v24
	v_add_f32_e32 v20, v20, v22
	;; [unrolled: 1-line block ×4, first 2 shown]
	v_rcp_f32_e32 v22, v26
	v_sub_f32_e32 v25, v25, v26
	v_sub_f32_e32 v23, v23, v27
	v_add_f32_e32 v24, v24, v25
	v_add_f32_e32 v20, v20, v23
	v_mul_f32_e32 v28, v27, v22
	v_mul_f32_e32 v29, v26, v28
	v_fma_f32 v25, v28, v26, -v29
	v_fmac_f32_e32 v25, v28, v24
	v_add_f32_e32 v30, v29, v25
	v_sub_f32_e32 v31, v27, v30
	v_sub_f32_e32 v23, v30, v29
	;; [unrolled: 1-line block ×5, first 2 shown]
	v_add_f32_e32 v20, v20, v27
	v_add_f32_e32 v20, v23, v20
	;; [unrolled: 1-line block ×3, first 2 shown]
	v_mul_f32_e32 v25, v22, v23
	v_sub_f32_e32 v30, v31, v23
	v_mul_f32_e32 v27, v26, v25
	v_add_f32_e32 v20, v20, v30
	v_fma_f32 v26, v25, v26, -v27
	v_fmac_f32_e32 v26, v25, v24
	v_add_f32_e32 v24, v27, v26
	v_sub_f32_e32 v29, v23, v24
	v_sub_f32_e32 v27, v24, v27
	;; [unrolled: 1-line block ×5, first 2 shown]
	v_add_f32_e32 v20, v20, v23
	v_add_f32_e32 v23, v28, v25
	;; [unrolled: 1-line block ×3, first 2 shown]
	v_sub_f32_e32 v24, v23, v28
	v_add_f32_e32 v20, v29, v20
	v_sub_f32_e32 v24, v25, v24
	v_mul_f32_e32 v20, v22, v20
	v_add_f32_e32 v20, v24, v20
	v_add_f32_e32 v22, v23, v20
	v_mul_f32_e32 v24, v22, v22
	v_fmaak_f32 v25, s9, v24, 0x3ecc95a3
	v_mul_f32_e32 v26, v22, v24
	v_cmp_neq_f32_e64 s9, 0x7f800000, v21
	v_fmaak_f32 v24, v24, v25, 0x3f2aaada
	v_ldexp_f32 v25, v22, 1
	v_sub_f32_e32 v22, v22, v23
	v_mul_f32_e32 v24, v26, v24
	v_mul_f32_e32 v26, 0x3f317218, v19
	v_sub_f32_e32 v20, v20, v22
	v_add_f32_e32 v23, v25, v24
	v_ldexp_f32 v20, v20, 1
	v_sub_f32_e32 v22, v23, v25
	v_fma_f32 v25, 0x3f317218, v19, -v26
	v_sub_f32_e32 v22, v24, v22
	v_fmamk_f32 v19, v19, 0xb102e308, v25
	v_add_f32_e32 v20, v20, v22
	v_add_f32_e32 v22, v26, v19
	;; [unrolled: 1-line block ×3, first 2 shown]
	v_sub_f32_e32 v26, v22, v26
	v_add_f32_e32 v25, v22, v24
	v_sub_f32_e32 v23, v24, v23
	v_sub_f32_e32 v19, v19, v26
	;; [unrolled: 1-line block ×6, first 2 shown]
	v_add_f32_e32 v24, v19, v20
	v_sub_f32_e32 v22, v22, v28
	v_add_f32_e32 v22, v23, v22
	v_sub_f32_e32 v23, v24, v19
	;; [unrolled: 2-line block ×3, first 2 shown]
	v_sub_f32_e32 v20, v20, v23
	v_add_f32_e32 v26, v25, v22
	v_sub_f32_e32 v19, v19, v24
	v_sub_f32_e32 v23, v26, v25
	v_add_f32_e32 v19, v20, v19
	v_sub_f32_e32 v20, v22, v23
	v_add_f32_e32 v19, v19, v20
	v_add_f32_e32 v19, v26, v19
	v_cndmask_b32_e64 v19, 0x7f800000, v19, s9
	v_cmp_gt_f32_e64 s9, 0x33800000, |v21|
	v_cndmask_b32_e64 v19, v19, v21, s9
	v_add_f32_e32 v16, v16, v19
	v_cvt_f16_f32_e32 v19, v16
	v_cvt_f32_f16_e32 v20, v19
.LBB359_198:
	s_or_b32 exec_lo, exec_lo, s13
	v_cvt_f32_f16_sdwa v16, v6 dst_sel:DWORD dst_unused:UNUSED_PAD src0_sel:WORD_1
	v_max_f32_e32 v21, v20, v20
	v_cmp_u_f16_e64 s9, v19, v19
	v_min_f32_e32 v22, v21, v16
	v_max_f32_e32 v21, v21, v16
	v_cndmask_b32_e64 v22, v22, v20, s9
	v_cndmask_b32_e64 v21, v21, v20, s9
	v_cmp_u_f16_sdwa s9, v6, v6 src0_sel:WORD_1 src1_sel:WORD_1
	v_cndmask_b32_e64 v20, v22, v16, s9
	v_cndmask_b32_e64 v6, v21, v16, s9
	v_cmp_class_f32_e64 s14, v20, 0x1f8
	v_cmp_neq_f32_e64 s13, v20, v6
	s_or_b32 s13, s13, s14
	s_and_saveexec_b32 s14, s13
	s_cbranch_execz .LBB359_200
; %bb.199:
	v_sub_f32_e32 v19, v20, v6
	v_mul_f32_e32 v20, 0x3fb8aa3b, v19
	v_cmp_ngt_f32_e64 s13, 0xc2ce8ed0, v19
	v_fma_f32 v21, 0x3fb8aa3b, v19, -v20
	v_rndne_f32_e32 v22, v20
	v_fmamk_f32 v21, v19, 0x32a5705f, v21
	v_sub_f32_e32 v20, v20, v22
	v_add_f32_e32 v20, v20, v21
	v_cvt_i32_f32_e32 v21, v22
	v_exp_f32_e32 v20, v20
	v_ldexp_f32 v20, v20, v21
	v_cndmask_b32_e64 v20, 0, v20, s13
	v_cmp_nlt_f32_e64 s13, 0x42b17218, v19
	v_cndmask_b32_e64 v21, 0x7f800000, v20, s13
	v_add_f32_e32 v22, 1.0, v21
	v_cvt_f64_f32_e32 v[19:20], v22
	v_frexp_exp_i32_f64_e32 v19, v[19:20]
	v_frexp_mant_f32_e32 v20, v22
	v_cmp_gt_f32_e64 s13, 0x3f2aaaab, v20
	v_add_f32_e32 v20, -1.0, v22
	v_sub_f32_e32 v24, v20, v22
	v_sub_f32_e32 v20, v21, v20
	v_add_f32_e32 v24, 1.0, v24
	v_add_f32_e32 v20, v20, v24
	v_subrev_co_ci_u32_e64 v19, null, 0, v19, s13
	s_mov_b32 s13, 0x3e9b6dac
	v_sub_nc_u32_e32 v23, 0, v19
	v_cvt_f32_i32_e32 v19, v19
	v_ldexp_f32 v22, v22, v23
	v_ldexp_f32 v20, v20, v23
	v_add_f32_e32 v25, 1.0, v22
	v_add_f32_e32 v23, -1.0, v22
	v_add_f32_e32 v24, -1.0, v25
	v_add_f32_e32 v26, 1.0, v23
	v_sub_f32_e32 v24, v22, v24
	v_sub_f32_e32 v22, v22, v26
	v_add_f32_e32 v24, v20, v24
	v_add_f32_e32 v20, v20, v22
	v_add_f32_e32 v26, v25, v24
	v_add_f32_e32 v27, v23, v20
	v_rcp_f32_e32 v22, v26
	v_sub_f32_e32 v25, v25, v26
	v_sub_f32_e32 v23, v23, v27
	v_add_f32_e32 v24, v24, v25
	v_add_f32_e32 v20, v20, v23
	v_mul_f32_e32 v28, v27, v22
	v_mul_f32_e32 v29, v26, v28
	v_fma_f32 v25, v28, v26, -v29
	v_fmac_f32_e32 v25, v28, v24
	v_add_f32_e32 v30, v29, v25
	v_sub_f32_e32 v31, v27, v30
	v_sub_f32_e32 v23, v30, v29
	;; [unrolled: 1-line block ×5, first 2 shown]
	v_add_f32_e32 v20, v20, v27
	v_add_f32_e32 v20, v23, v20
	;; [unrolled: 1-line block ×3, first 2 shown]
	v_mul_f32_e32 v25, v22, v23
	v_sub_f32_e32 v30, v31, v23
	v_mul_f32_e32 v27, v26, v25
	v_add_f32_e32 v20, v20, v30
	v_fma_f32 v26, v25, v26, -v27
	v_fmac_f32_e32 v26, v25, v24
	v_add_f32_e32 v24, v27, v26
	v_sub_f32_e32 v29, v23, v24
	v_sub_f32_e32 v27, v24, v27
	;; [unrolled: 1-line block ×5, first 2 shown]
	v_add_f32_e32 v20, v20, v23
	v_add_f32_e32 v23, v28, v25
	;; [unrolled: 1-line block ×3, first 2 shown]
	v_sub_f32_e32 v24, v23, v28
	v_add_f32_e32 v20, v29, v20
	v_sub_f32_e32 v24, v25, v24
	v_mul_f32_e32 v20, v22, v20
	v_add_f32_e32 v20, v24, v20
	v_add_f32_e32 v22, v23, v20
	v_mul_f32_e32 v24, v22, v22
	v_fmaak_f32 v25, s13, v24, 0x3ecc95a3
	v_mul_f32_e32 v26, v22, v24
	v_cmp_neq_f32_e64 s13, 0x7f800000, v21
	v_fmaak_f32 v24, v24, v25, 0x3f2aaada
	v_ldexp_f32 v25, v22, 1
	v_sub_f32_e32 v22, v22, v23
	v_mul_f32_e32 v24, v26, v24
	v_mul_f32_e32 v26, 0x3f317218, v19
	v_sub_f32_e32 v20, v20, v22
	v_add_f32_e32 v23, v25, v24
	v_ldexp_f32 v20, v20, 1
	v_sub_f32_e32 v22, v23, v25
	v_fma_f32 v25, 0x3f317218, v19, -v26
	v_sub_f32_e32 v22, v24, v22
	v_fmamk_f32 v19, v19, 0xb102e308, v25
	v_add_f32_e32 v20, v20, v22
	v_add_f32_e32 v22, v26, v19
	v_add_f32_e32 v24, v23, v20
	v_sub_f32_e32 v26, v22, v26
	v_add_f32_e32 v25, v22, v24
	v_sub_f32_e32 v23, v24, v23
	v_sub_f32_e32 v19, v19, v26
	;; [unrolled: 1-line block ×6, first 2 shown]
	v_add_f32_e32 v24, v19, v20
	v_sub_f32_e32 v22, v22, v28
	v_add_f32_e32 v22, v23, v22
	v_sub_f32_e32 v23, v24, v19
	;; [unrolled: 2-line block ×3, first 2 shown]
	v_sub_f32_e32 v20, v20, v23
	v_add_f32_e32 v26, v25, v22
	v_sub_f32_e32 v19, v19, v24
	v_sub_f32_e32 v23, v26, v25
	v_add_f32_e32 v19, v20, v19
	v_sub_f32_e32 v20, v22, v23
	v_add_f32_e32 v19, v19, v20
	v_add_f32_e32 v19, v26, v19
	v_cndmask_b32_e64 v19, 0x7f800000, v19, s13
	v_cmp_gt_f32_e64 s13, 0x33800000, |v21|
	v_cndmask_b32_e64 v19, v19, v21, s13
	v_add_f32_e32 v6, v6, v19
	v_cvt_f16_f32_e32 v19, v6
.LBB359_200:
	s_or_b32 exec_lo, exec_lo, s14
	v_lshrrev_b32_e32 v6, 4, v0
	s_mov_b32 s15, exec_lo
	v_and_b32_e32 v6, 2, v6
	v_lshl_add_u32 v6, v0, 1, v6
	ds_write_b16 v6, v19
	s_waitcnt lgkmcnt(0)
	s_barrier
	buffer_gl0_inv
	v_cmpx_gt_u32_e32 32, v0
	s_cbranch_execz .LBB359_228
; %bb.201:
	v_lshrrev_b32_e32 v6, 3, v0
	v_lshlrev_b32_e32 v20, 2, v0
	v_and_b32_e32 v6, 6, v6
	v_add_nc_u32_e32 v6, v6, v20
	ds_read_u16 v21, v6 offset:2
	ds_read_u16 v23, v6
	s_waitcnt lgkmcnt(1)
	v_cvt_f32_f16_e32 v24, v21
	s_waitcnt lgkmcnt(0)
	v_cvt_f32_f16_e32 v20, v23
	v_cmp_u_f16_e64 s13, v23, v23
	v_cmp_u_f16_e64 s14, v21, v21
	v_min_f32_e32 v22, v20, v24
	v_max_f32_e32 v25, v20, v24
	v_cndmask_b32_e64 v22, v22, v20, s13
	v_cndmask_b32_e64 v25, v25, v20, s13
	;; [unrolled: 1-line block ×4, first 2 shown]
	v_cmp_class_f32_e64 s16, v22, 0x1f8
	v_cmp_neq_f32_e64 s14, v22, v21
	s_or_b32 s14, s14, s16
	s_and_saveexec_b32 s16, s14
	s_cbranch_execz .LBB359_203
; %bb.202:
	v_sub_f32_e32 v22, v22, v21
	v_mul_f32_e32 v23, 0x3fb8aa3b, v22
	v_cmp_ngt_f32_e64 s14, 0xc2ce8ed0, v22
	v_fma_f32 v24, 0x3fb8aa3b, v22, -v23
	v_rndne_f32_e32 v25, v23
	v_fmamk_f32 v24, v22, 0x32a5705f, v24
	v_sub_f32_e32 v23, v23, v25
	v_add_f32_e32 v23, v23, v24
	v_cvt_i32_f32_e32 v24, v25
	v_exp_f32_e32 v23, v23
	v_ldexp_f32 v23, v23, v24
	v_cndmask_b32_e64 v23, 0, v23, s14
	v_cmp_nlt_f32_e64 s14, 0x42b17218, v22
	v_cndmask_b32_e64 v24, 0x7f800000, v23, s14
	v_add_f32_e32 v25, 1.0, v24
	v_cvt_f64_f32_e32 v[22:23], v25
	v_frexp_exp_i32_f64_e32 v22, v[22:23]
	v_frexp_mant_f32_e32 v23, v25
	v_cmp_gt_f32_e64 s14, 0x3f2aaaab, v23
	v_add_f32_e32 v23, -1.0, v25
	v_sub_f32_e32 v27, v23, v25
	v_sub_f32_e32 v23, v24, v23
	v_add_f32_e32 v27, 1.0, v27
	v_add_f32_e32 v23, v23, v27
	v_subrev_co_ci_u32_e64 v22, null, 0, v22, s14
	s_mov_b32 s14, 0x3e9b6dac
	v_sub_nc_u32_e32 v26, 0, v22
	v_cvt_f32_i32_e32 v22, v22
	v_ldexp_f32 v25, v25, v26
	v_ldexp_f32 v23, v23, v26
	v_add_f32_e32 v28, 1.0, v25
	v_add_f32_e32 v26, -1.0, v25
	v_add_f32_e32 v27, -1.0, v28
	v_add_f32_e32 v29, 1.0, v26
	v_sub_f32_e32 v27, v25, v27
	v_sub_f32_e32 v25, v25, v29
	v_add_f32_e32 v27, v23, v27
	v_add_f32_e32 v23, v23, v25
	;; [unrolled: 1-line block ×4, first 2 shown]
	v_rcp_f32_e32 v25, v29
	v_sub_f32_e32 v28, v28, v29
	v_sub_f32_e32 v26, v26, v30
	v_add_f32_e32 v27, v27, v28
	v_add_f32_e32 v23, v23, v26
	v_mul_f32_e32 v31, v30, v25
	v_mul_f32_e32 v32, v29, v31
	v_fma_f32 v28, v31, v29, -v32
	v_fmac_f32_e32 v28, v31, v27
	v_add_f32_e32 v33, v32, v28
	v_sub_f32_e32 v34, v30, v33
	v_sub_f32_e32 v26, v33, v32
	;; [unrolled: 1-line block ×5, first 2 shown]
	v_add_f32_e32 v23, v23, v30
	v_add_f32_e32 v23, v26, v23
	v_add_f32_e32 v26, v34, v23
	v_mul_f32_e32 v28, v25, v26
	v_sub_f32_e32 v33, v34, v26
	v_mul_f32_e32 v30, v29, v28
	v_add_f32_e32 v23, v23, v33
	v_fma_f32 v29, v28, v29, -v30
	v_fmac_f32_e32 v29, v28, v27
	v_add_f32_e32 v27, v30, v29
	v_sub_f32_e32 v32, v26, v27
	v_sub_f32_e32 v30, v27, v30
	;; [unrolled: 1-line block ×5, first 2 shown]
	v_add_f32_e32 v23, v23, v26
	v_add_f32_e32 v26, v31, v28
	;; [unrolled: 1-line block ×3, first 2 shown]
	v_sub_f32_e32 v27, v26, v31
	v_add_f32_e32 v23, v32, v23
	v_sub_f32_e32 v27, v28, v27
	v_mul_f32_e32 v23, v25, v23
	v_add_f32_e32 v23, v27, v23
	v_add_f32_e32 v25, v26, v23
	v_mul_f32_e32 v27, v25, v25
	v_fmaak_f32 v28, s14, v27, 0x3ecc95a3
	v_mul_f32_e32 v29, v25, v27
	v_cmp_neq_f32_e64 s14, 0x7f800000, v24
	v_fmaak_f32 v27, v27, v28, 0x3f2aaada
	v_ldexp_f32 v28, v25, 1
	v_sub_f32_e32 v25, v25, v26
	v_mul_f32_e32 v27, v29, v27
	v_mul_f32_e32 v29, 0x3f317218, v22
	v_sub_f32_e32 v23, v23, v25
	v_add_f32_e32 v26, v28, v27
	v_ldexp_f32 v23, v23, 1
	v_sub_f32_e32 v25, v26, v28
	v_fma_f32 v28, 0x3f317218, v22, -v29
	v_sub_f32_e32 v25, v27, v25
	v_fmamk_f32 v22, v22, 0xb102e308, v28
	v_add_f32_e32 v23, v23, v25
	v_add_f32_e32 v25, v29, v22
	;; [unrolled: 1-line block ×3, first 2 shown]
	v_sub_f32_e32 v29, v25, v29
	v_add_f32_e32 v28, v25, v27
	v_sub_f32_e32 v26, v27, v26
	v_sub_f32_e32 v22, v22, v29
	;; [unrolled: 1-line block ×6, first 2 shown]
	v_add_f32_e32 v27, v22, v23
	v_sub_f32_e32 v25, v25, v31
	v_add_f32_e32 v25, v26, v25
	v_sub_f32_e32 v26, v27, v22
	;; [unrolled: 2-line block ×3, first 2 shown]
	v_sub_f32_e32 v23, v23, v26
	v_add_f32_e32 v29, v28, v25
	v_sub_f32_e32 v22, v22, v27
	v_sub_f32_e32 v26, v29, v28
	v_add_f32_e32 v22, v23, v22
	v_sub_f32_e32 v23, v25, v26
	v_add_f32_e32 v22, v22, v23
	v_add_f32_e32 v22, v29, v22
	v_cndmask_b32_e64 v22, 0x7f800000, v22, s14
	v_cmp_gt_f32_e64 s14, 0x33800000, |v24|
	v_cndmask_b32_e64 v22, v22, v24, s14
	v_add_f32_e32 v21, v21, v22
	v_cvt_f16_f32_e32 v23, v21
.LBB359_203:
	s_or_b32 exec_lo, exec_lo, s16
	v_mbcnt_lo_u32_b32 v21, -1, 0
	v_and_b32_e32 v24, 0xffff, v23
	s_mov_b32 s16, exec_lo
	v_and_b32_e32 v22, 15, v21
	v_mov_b32_dpp v25, v24 row_shr:1 row_mask:0xf bank_mask:0xf
	v_cmpx_ne_u32_e32 0, v22
	s_xor_b32 s16, exec_lo, s16
	s_cbranch_execz .LBB359_207
; %bb.204:
	v_cvt_f32_f16_e32 v24, v25
	v_cvt_f32_f16_e32 v26, v23
	v_cmp_u_f16_e64 s14, v25, v25
	v_min_f32_e32 v27, v24, v26
	v_max_f32_e32 v28, v24, v26
	v_cndmask_b32_e64 v27, v27, v24, s14
	v_cndmask_b32_e64 v28, v28, v24, s14
	v_cmp_u_f16_e64 s14, v23, v23
	v_cndmask_b32_e64 v24, v27, v26, s14
	v_cndmask_b32_e64 v23, v28, v26, s14
	v_cmp_class_f32_e64 s17, v24, 0x1f8
	v_cmp_neq_f32_e64 s14, v24, v23
	s_or_b32 s14, s14, s17
	s_and_saveexec_b32 s17, s14
	s_cbranch_execz .LBB359_206
; %bb.205:
	v_sub_f32_e32 v24, v24, v23
	v_mul_f32_e32 v25, 0x3fb8aa3b, v24
	v_cmp_ngt_f32_e64 s14, 0xc2ce8ed0, v24
	v_fma_f32 v26, 0x3fb8aa3b, v24, -v25
	v_rndne_f32_e32 v27, v25
	v_fmamk_f32 v26, v24, 0x32a5705f, v26
	v_sub_f32_e32 v25, v25, v27
	v_add_f32_e32 v25, v25, v26
	v_cvt_i32_f32_e32 v26, v27
	v_exp_f32_e32 v25, v25
	v_ldexp_f32 v25, v25, v26
	v_cndmask_b32_e64 v25, 0, v25, s14
	v_cmp_nlt_f32_e64 s14, 0x42b17218, v24
	v_cndmask_b32_e64 v26, 0x7f800000, v25, s14
	v_add_f32_e32 v27, 1.0, v26
	v_cvt_f64_f32_e32 v[24:25], v27
	v_frexp_exp_i32_f64_e32 v24, v[24:25]
	v_frexp_mant_f32_e32 v25, v27
	v_cmp_gt_f32_e64 s14, 0x3f2aaaab, v25
	v_add_f32_e32 v25, -1.0, v27
	v_sub_f32_e32 v29, v25, v27
	v_sub_f32_e32 v25, v26, v25
	v_add_f32_e32 v29, 1.0, v29
	v_add_f32_e32 v25, v25, v29
	v_subrev_co_ci_u32_e64 v24, null, 0, v24, s14
	s_mov_b32 s14, 0x3e9b6dac
	v_sub_nc_u32_e32 v28, 0, v24
	v_cvt_f32_i32_e32 v24, v24
	v_ldexp_f32 v27, v27, v28
	v_ldexp_f32 v25, v25, v28
	v_add_f32_e32 v30, 1.0, v27
	v_add_f32_e32 v28, -1.0, v27
	v_add_f32_e32 v29, -1.0, v30
	v_add_f32_e32 v31, 1.0, v28
	v_sub_f32_e32 v29, v27, v29
	v_sub_f32_e32 v27, v27, v31
	v_add_f32_e32 v29, v25, v29
	v_add_f32_e32 v25, v25, v27
	;; [unrolled: 1-line block ×4, first 2 shown]
	v_rcp_f32_e32 v27, v31
	v_sub_f32_e32 v30, v30, v31
	v_sub_f32_e32 v28, v28, v32
	v_add_f32_e32 v29, v29, v30
	v_add_f32_e32 v25, v25, v28
	v_mul_f32_e32 v33, v32, v27
	v_mul_f32_e32 v34, v31, v33
	v_fma_f32 v30, v33, v31, -v34
	v_fmac_f32_e32 v30, v33, v29
	v_add_f32_e32 v35, v34, v30
	v_sub_f32_e32 v36, v32, v35
	v_sub_f32_e32 v28, v35, v34
	;; [unrolled: 1-line block ×5, first 2 shown]
	v_add_f32_e32 v25, v25, v32
	v_add_f32_e32 v25, v28, v25
	;; [unrolled: 1-line block ×3, first 2 shown]
	v_mul_f32_e32 v30, v27, v28
	v_sub_f32_e32 v35, v36, v28
	v_mul_f32_e32 v32, v31, v30
	v_add_f32_e32 v25, v25, v35
	v_fma_f32 v31, v30, v31, -v32
	v_fmac_f32_e32 v31, v30, v29
	v_add_f32_e32 v29, v32, v31
	v_sub_f32_e32 v34, v28, v29
	v_sub_f32_e32 v32, v29, v32
	v_sub_f32_e32 v28, v28, v34
	v_sub_f32_e32 v28, v28, v29
	v_sub_f32_e32 v29, v32, v31
	v_add_f32_e32 v25, v25, v28
	v_add_f32_e32 v28, v33, v30
	;; [unrolled: 1-line block ×3, first 2 shown]
	v_sub_f32_e32 v29, v28, v33
	v_add_f32_e32 v25, v34, v25
	v_sub_f32_e32 v29, v30, v29
	v_mul_f32_e32 v25, v27, v25
	v_add_f32_e32 v25, v29, v25
	v_add_f32_e32 v27, v28, v25
	v_mul_f32_e32 v29, v27, v27
	v_fmaak_f32 v30, s14, v29, 0x3ecc95a3
	v_mul_f32_e32 v31, v27, v29
	v_cmp_neq_f32_e64 s14, 0x7f800000, v26
	v_fmaak_f32 v29, v29, v30, 0x3f2aaada
	v_ldexp_f32 v30, v27, 1
	v_sub_f32_e32 v27, v27, v28
	v_mul_f32_e32 v29, v31, v29
	v_mul_f32_e32 v31, 0x3f317218, v24
	v_sub_f32_e32 v25, v25, v27
	v_add_f32_e32 v28, v30, v29
	v_ldexp_f32 v25, v25, 1
	v_sub_f32_e32 v27, v28, v30
	v_fma_f32 v30, 0x3f317218, v24, -v31
	v_sub_f32_e32 v27, v29, v27
	v_fmamk_f32 v24, v24, 0xb102e308, v30
	v_add_f32_e32 v25, v25, v27
	v_add_f32_e32 v27, v31, v24
	;; [unrolled: 1-line block ×3, first 2 shown]
	v_sub_f32_e32 v31, v27, v31
	v_add_f32_e32 v30, v27, v29
	v_sub_f32_e32 v28, v29, v28
	v_sub_f32_e32 v24, v24, v31
	;; [unrolled: 1-line block ×6, first 2 shown]
	v_add_f32_e32 v29, v24, v25
	v_sub_f32_e32 v27, v27, v33
	v_add_f32_e32 v27, v28, v27
	v_sub_f32_e32 v28, v29, v24
	;; [unrolled: 2-line block ×3, first 2 shown]
	v_sub_f32_e32 v25, v25, v28
	v_add_f32_e32 v31, v30, v27
	v_sub_f32_e32 v24, v24, v29
	v_sub_f32_e32 v28, v31, v30
	v_add_f32_e32 v24, v25, v24
	v_sub_f32_e32 v25, v27, v28
	v_add_f32_e32 v24, v24, v25
	v_add_f32_e32 v24, v31, v24
	v_cndmask_b32_e64 v24, 0x7f800000, v24, s14
	v_cmp_gt_f32_e64 s14, 0x33800000, |v26|
	v_cndmask_b32_e64 v24, v24, v26, s14
	v_add_f32_e32 v23, v23, v24
	v_cvt_f16_f32_e32 v25, v23
.LBB359_206:
	s_or_b32 exec_lo, exec_lo, s17
	v_and_b32_e32 v24, 0xffff, v25
	v_mov_b32_e32 v23, v25
.LBB359_207:
	s_or_b32 exec_lo, exec_lo, s16
	v_mov_b32_dpp v25, v24 row_shr:2 row_mask:0xf bank_mask:0xf
	s_mov_b32 s16, exec_lo
	v_cmpx_lt_u32_e32 1, v22
	s_cbranch_execz .LBB359_211
; %bb.208:
	v_cvt_f32_f16_e32 v24, v25
	v_cvt_f32_f16_e32 v26, v23
	v_cmp_u_f16_e64 s14, v25, v25
	v_min_f32_e32 v27, v24, v26
	v_max_f32_e32 v28, v24, v26
	v_cndmask_b32_e64 v27, v27, v24, s14
	v_cndmask_b32_e64 v28, v28, v24, s14
	v_cmp_u_f16_e64 s14, v23, v23
	v_cndmask_b32_e64 v24, v27, v26, s14
	v_cndmask_b32_e64 v23, v28, v26, s14
	v_cmp_class_f32_e64 s17, v24, 0x1f8
	v_cmp_neq_f32_e64 s14, v24, v23
	s_or_b32 s14, s14, s17
	s_and_saveexec_b32 s17, s14
	s_cbranch_execz .LBB359_210
; %bb.209:
	v_sub_f32_e32 v24, v24, v23
	v_mul_f32_e32 v25, 0x3fb8aa3b, v24
	v_cmp_ngt_f32_e64 s14, 0xc2ce8ed0, v24
	v_fma_f32 v26, 0x3fb8aa3b, v24, -v25
	v_rndne_f32_e32 v27, v25
	v_fmamk_f32 v26, v24, 0x32a5705f, v26
	v_sub_f32_e32 v25, v25, v27
	v_add_f32_e32 v25, v25, v26
	v_cvt_i32_f32_e32 v26, v27
	v_exp_f32_e32 v25, v25
	v_ldexp_f32 v25, v25, v26
	v_cndmask_b32_e64 v25, 0, v25, s14
	v_cmp_nlt_f32_e64 s14, 0x42b17218, v24
	v_cndmask_b32_e64 v26, 0x7f800000, v25, s14
	v_add_f32_e32 v27, 1.0, v26
	v_cvt_f64_f32_e32 v[24:25], v27
	v_frexp_exp_i32_f64_e32 v24, v[24:25]
	v_frexp_mant_f32_e32 v25, v27
	v_cmp_gt_f32_e64 s14, 0x3f2aaaab, v25
	v_add_f32_e32 v25, -1.0, v27
	v_sub_f32_e32 v29, v25, v27
	v_sub_f32_e32 v25, v26, v25
	v_add_f32_e32 v29, 1.0, v29
	v_add_f32_e32 v25, v25, v29
	v_subrev_co_ci_u32_e64 v24, null, 0, v24, s14
	s_mov_b32 s14, 0x3e9b6dac
	v_sub_nc_u32_e32 v28, 0, v24
	v_cvt_f32_i32_e32 v24, v24
	v_ldexp_f32 v27, v27, v28
	v_ldexp_f32 v25, v25, v28
	v_add_f32_e32 v30, 1.0, v27
	v_add_f32_e32 v28, -1.0, v27
	v_add_f32_e32 v29, -1.0, v30
	v_add_f32_e32 v31, 1.0, v28
	v_sub_f32_e32 v29, v27, v29
	v_sub_f32_e32 v27, v27, v31
	v_add_f32_e32 v29, v25, v29
	v_add_f32_e32 v25, v25, v27
	;; [unrolled: 1-line block ×4, first 2 shown]
	v_rcp_f32_e32 v27, v31
	v_sub_f32_e32 v30, v30, v31
	v_sub_f32_e32 v28, v28, v32
	v_add_f32_e32 v29, v29, v30
	v_add_f32_e32 v25, v25, v28
	v_mul_f32_e32 v33, v32, v27
	v_mul_f32_e32 v34, v31, v33
	v_fma_f32 v30, v33, v31, -v34
	v_fmac_f32_e32 v30, v33, v29
	v_add_f32_e32 v35, v34, v30
	v_sub_f32_e32 v36, v32, v35
	v_sub_f32_e32 v28, v35, v34
	;; [unrolled: 1-line block ×5, first 2 shown]
	v_add_f32_e32 v25, v25, v32
	v_add_f32_e32 v25, v28, v25
	;; [unrolled: 1-line block ×3, first 2 shown]
	v_mul_f32_e32 v30, v27, v28
	v_sub_f32_e32 v35, v36, v28
	v_mul_f32_e32 v32, v31, v30
	v_add_f32_e32 v25, v25, v35
	v_fma_f32 v31, v30, v31, -v32
	v_fmac_f32_e32 v31, v30, v29
	v_add_f32_e32 v29, v32, v31
	v_sub_f32_e32 v34, v28, v29
	v_sub_f32_e32 v32, v29, v32
	;; [unrolled: 1-line block ×5, first 2 shown]
	v_add_f32_e32 v25, v25, v28
	v_add_f32_e32 v28, v33, v30
	;; [unrolled: 1-line block ×3, first 2 shown]
	v_sub_f32_e32 v29, v28, v33
	v_add_f32_e32 v25, v34, v25
	v_sub_f32_e32 v29, v30, v29
	v_mul_f32_e32 v25, v27, v25
	v_add_f32_e32 v25, v29, v25
	v_add_f32_e32 v27, v28, v25
	v_mul_f32_e32 v29, v27, v27
	v_fmaak_f32 v30, s14, v29, 0x3ecc95a3
	v_mul_f32_e32 v31, v27, v29
	v_cmp_neq_f32_e64 s14, 0x7f800000, v26
	v_fmaak_f32 v29, v29, v30, 0x3f2aaada
	v_ldexp_f32 v30, v27, 1
	v_sub_f32_e32 v27, v27, v28
	v_mul_f32_e32 v29, v31, v29
	v_mul_f32_e32 v31, 0x3f317218, v24
	v_sub_f32_e32 v25, v25, v27
	v_add_f32_e32 v28, v30, v29
	v_ldexp_f32 v25, v25, 1
	v_sub_f32_e32 v27, v28, v30
	v_fma_f32 v30, 0x3f317218, v24, -v31
	v_sub_f32_e32 v27, v29, v27
	v_fmamk_f32 v24, v24, 0xb102e308, v30
	v_add_f32_e32 v25, v25, v27
	v_add_f32_e32 v27, v31, v24
	;; [unrolled: 1-line block ×3, first 2 shown]
	v_sub_f32_e32 v31, v27, v31
	v_add_f32_e32 v30, v27, v29
	v_sub_f32_e32 v28, v29, v28
	v_sub_f32_e32 v24, v24, v31
	;; [unrolled: 1-line block ×6, first 2 shown]
	v_add_f32_e32 v29, v24, v25
	v_sub_f32_e32 v27, v27, v33
	v_add_f32_e32 v27, v28, v27
	v_sub_f32_e32 v28, v29, v24
	;; [unrolled: 2-line block ×3, first 2 shown]
	v_sub_f32_e32 v25, v25, v28
	v_add_f32_e32 v31, v30, v27
	v_sub_f32_e32 v24, v24, v29
	v_sub_f32_e32 v28, v31, v30
	v_add_f32_e32 v24, v25, v24
	v_sub_f32_e32 v25, v27, v28
	v_add_f32_e32 v24, v24, v25
	v_add_f32_e32 v24, v31, v24
	v_cndmask_b32_e64 v24, 0x7f800000, v24, s14
	v_cmp_gt_f32_e64 s14, 0x33800000, |v26|
	v_cndmask_b32_e64 v24, v24, v26, s14
	v_add_f32_e32 v23, v23, v24
	v_cvt_f16_f32_e32 v25, v23
.LBB359_210:
	s_or_b32 exec_lo, exec_lo, s17
	v_and_b32_e32 v24, 0xffff, v25
	v_mov_b32_e32 v23, v25
.LBB359_211:
	s_or_b32 exec_lo, exec_lo, s16
	v_mov_b32_dpp v25, v24 row_shr:4 row_mask:0xf bank_mask:0xf
	s_mov_b32 s16, exec_lo
	v_cmpx_lt_u32_e32 3, v22
	s_cbranch_execz .LBB359_215
; %bb.212:
	v_cvt_f32_f16_e32 v24, v25
	v_cvt_f32_f16_e32 v26, v23
	v_cmp_u_f16_e64 s14, v25, v25
	v_min_f32_e32 v27, v24, v26
	v_max_f32_e32 v28, v24, v26
	v_cndmask_b32_e64 v27, v27, v24, s14
	v_cndmask_b32_e64 v28, v28, v24, s14
	v_cmp_u_f16_e64 s14, v23, v23
	v_cndmask_b32_e64 v24, v27, v26, s14
	v_cndmask_b32_e64 v23, v28, v26, s14
	v_cmp_class_f32_e64 s17, v24, 0x1f8
	v_cmp_neq_f32_e64 s14, v24, v23
	s_or_b32 s14, s14, s17
	s_and_saveexec_b32 s17, s14
	s_cbranch_execz .LBB359_214
; %bb.213:
	v_sub_f32_e32 v24, v24, v23
	v_mul_f32_e32 v25, 0x3fb8aa3b, v24
	v_cmp_ngt_f32_e64 s14, 0xc2ce8ed0, v24
	v_fma_f32 v26, 0x3fb8aa3b, v24, -v25
	v_rndne_f32_e32 v27, v25
	v_fmamk_f32 v26, v24, 0x32a5705f, v26
	v_sub_f32_e32 v25, v25, v27
	v_add_f32_e32 v25, v25, v26
	v_cvt_i32_f32_e32 v26, v27
	v_exp_f32_e32 v25, v25
	v_ldexp_f32 v25, v25, v26
	v_cndmask_b32_e64 v25, 0, v25, s14
	v_cmp_nlt_f32_e64 s14, 0x42b17218, v24
	v_cndmask_b32_e64 v26, 0x7f800000, v25, s14
	v_add_f32_e32 v27, 1.0, v26
	v_cvt_f64_f32_e32 v[24:25], v27
	v_frexp_exp_i32_f64_e32 v24, v[24:25]
	v_frexp_mant_f32_e32 v25, v27
	v_cmp_gt_f32_e64 s14, 0x3f2aaaab, v25
	v_add_f32_e32 v25, -1.0, v27
	v_sub_f32_e32 v29, v25, v27
	v_sub_f32_e32 v25, v26, v25
	v_add_f32_e32 v29, 1.0, v29
	v_add_f32_e32 v25, v25, v29
	v_subrev_co_ci_u32_e64 v24, null, 0, v24, s14
	s_mov_b32 s14, 0x3e9b6dac
	v_sub_nc_u32_e32 v28, 0, v24
	v_cvt_f32_i32_e32 v24, v24
	v_ldexp_f32 v27, v27, v28
	v_ldexp_f32 v25, v25, v28
	v_add_f32_e32 v30, 1.0, v27
	v_add_f32_e32 v28, -1.0, v27
	v_add_f32_e32 v29, -1.0, v30
	v_add_f32_e32 v31, 1.0, v28
	v_sub_f32_e32 v29, v27, v29
	v_sub_f32_e32 v27, v27, v31
	v_add_f32_e32 v29, v25, v29
	v_add_f32_e32 v25, v25, v27
	;; [unrolled: 1-line block ×4, first 2 shown]
	v_rcp_f32_e32 v27, v31
	v_sub_f32_e32 v30, v30, v31
	v_sub_f32_e32 v28, v28, v32
	v_add_f32_e32 v29, v29, v30
	v_add_f32_e32 v25, v25, v28
	v_mul_f32_e32 v33, v32, v27
	v_mul_f32_e32 v34, v31, v33
	v_fma_f32 v30, v33, v31, -v34
	v_fmac_f32_e32 v30, v33, v29
	v_add_f32_e32 v35, v34, v30
	v_sub_f32_e32 v36, v32, v35
	v_sub_f32_e32 v28, v35, v34
	;; [unrolled: 1-line block ×5, first 2 shown]
	v_add_f32_e32 v25, v25, v32
	v_add_f32_e32 v25, v28, v25
	v_add_f32_e32 v28, v36, v25
	v_mul_f32_e32 v30, v27, v28
	v_sub_f32_e32 v35, v36, v28
	v_mul_f32_e32 v32, v31, v30
	v_add_f32_e32 v25, v25, v35
	v_fma_f32 v31, v30, v31, -v32
	v_fmac_f32_e32 v31, v30, v29
	v_add_f32_e32 v29, v32, v31
	v_sub_f32_e32 v34, v28, v29
	v_sub_f32_e32 v32, v29, v32
	;; [unrolled: 1-line block ×5, first 2 shown]
	v_add_f32_e32 v25, v25, v28
	v_add_f32_e32 v28, v33, v30
	;; [unrolled: 1-line block ×3, first 2 shown]
	v_sub_f32_e32 v29, v28, v33
	v_add_f32_e32 v25, v34, v25
	v_sub_f32_e32 v29, v30, v29
	v_mul_f32_e32 v25, v27, v25
	v_add_f32_e32 v25, v29, v25
	v_add_f32_e32 v27, v28, v25
	v_mul_f32_e32 v29, v27, v27
	v_fmaak_f32 v30, s14, v29, 0x3ecc95a3
	v_mul_f32_e32 v31, v27, v29
	v_cmp_neq_f32_e64 s14, 0x7f800000, v26
	v_fmaak_f32 v29, v29, v30, 0x3f2aaada
	v_ldexp_f32 v30, v27, 1
	v_sub_f32_e32 v27, v27, v28
	v_mul_f32_e32 v29, v31, v29
	v_mul_f32_e32 v31, 0x3f317218, v24
	v_sub_f32_e32 v25, v25, v27
	v_add_f32_e32 v28, v30, v29
	v_ldexp_f32 v25, v25, 1
	v_sub_f32_e32 v27, v28, v30
	v_fma_f32 v30, 0x3f317218, v24, -v31
	v_sub_f32_e32 v27, v29, v27
	v_fmamk_f32 v24, v24, 0xb102e308, v30
	v_add_f32_e32 v25, v25, v27
	v_add_f32_e32 v27, v31, v24
	;; [unrolled: 1-line block ×3, first 2 shown]
	v_sub_f32_e32 v31, v27, v31
	v_add_f32_e32 v30, v27, v29
	v_sub_f32_e32 v28, v29, v28
	v_sub_f32_e32 v24, v24, v31
	;; [unrolled: 1-line block ×6, first 2 shown]
	v_add_f32_e32 v29, v24, v25
	v_sub_f32_e32 v27, v27, v33
	v_add_f32_e32 v27, v28, v27
	v_sub_f32_e32 v28, v29, v24
	;; [unrolled: 2-line block ×3, first 2 shown]
	v_sub_f32_e32 v25, v25, v28
	v_add_f32_e32 v31, v30, v27
	v_sub_f32_e32 v24, v24, v29
	v_sub_f32_e32 v28, v31, v30
	v_add_f32_e32 v24, v25, v24
	v_sub_f32_e32 v25, v27, v28
	v_add_f32_e32 v24, v24, v25
	v_add_f32_e32 v24, v31, v24
	v_cndmask_b32_e64 v24, 0x7f800000, v24, s14
	v_cmp_gt_f32_e64 s14, 0x33800000, |v26|
	v_cndmask_b32_e64 v24, v24, v26, s14
	v_add_f32_e32 v23, v23, v24
	v_cvt_f16_f32_e32 v25, v23
.LBB359_214:
	s_or_b32 exec_lo, exec_lo, s17
	v_and_b32_e32 v24, 0xffff, v25
	v_mov_b32_e32 v23, v25
.LBB359_215:
	s_or_b32 exec_lo, exec_lo, s16
	v_mov_b32_dpp v25, v24 row_shr:8 row_mask:0xf bank_mask:0xf
	s_mov_b32 s16, exec_lo
	v_cmpx_lt_u32_e32 7, v22
	s_cbranch_execz .LBB359_219
; %bb.216:
	v_cvt_f32_f16_e32 v22, v25
	v_cvt_f32_f16_e32 v24, v23
	v_cmp_u_f16_e64 s14, v25, v25
	v_min_f32_e32 v26, v22, v24
	v_max_f32_e32 v27, v22, v24
	v_cndmask_b32_e64 v26, v26, v22, s14
	v_cndmask_b32_e64 v22, v27, v22, s14
	v_cmp_u_f16_e64 s14, v23, v23
	v_cndmask_b32_e64 v23, v26, v24, s14
	v_cndmask_b32_e64 v22, v22, v24, s14
	v_cmp_class_f32_e64 s17, v23, 0x1f8
	v_cmp_neq_f32_e64 s14, v23, v22
	s_or_b32 s14, s14, s17
	s_and_saveexec_b32 s17, s14
	s_cbranch_execz .LBB359_218
; %bb.217:
	v_sub_f32_e32 v23, v23, v22
	v_mul_f32_e32 v24, 0x3fb8aa3b, v23
	v_cmp_ngt_f32_e64 s14, 0xc2ce8ed0, v23
	v_fma_f32 v25, 0x3fb8aa3b, v23, -v24
	v_rndne_f32_e32 v26, v24
	v_fmamk_f32 v25, v23, 0x32a5705f, v25
	v_sub_f32_e32 v24, v24, v26
	v_add_f32_e32 v24, v24, v25
	v_cvt_i32_f32_e32 v25, v26
	v_exp_f32_e32 v24, v24
	v_ldexp_f32 v24, v24, v25
	v_cndmask_b32_e64 v24, 0, v24, s14
	v_cmp_nlt_f32_e64 s14, 0x42b17218, v23
	v_cndmask_b32_e64 v25, 0x7f800000, v24, s14
	v_add_f32_e32 v26, 1.0, v25
	v_cvt_f64_f32_e32 v[23:24], v26
	v_frexp_exp_i32_f64_e32 v23, v[23:24]
	v_frexp_mant_f32_e32 v24, v26
	v_cmp_gt_f32_e64 s14, 0x3f2aaaab, v24
	v_add_f32_e32 v24, -1.0, v26
	v_sub_f32_e32 v28, v24, v26
	v_sub_f32_e32 v24, v25, v24
	v_add_f32_e32 v28, 1.0, v28
	v_add_f32_e32 v24, v24, v28
	v_subrev_co_ci_u32_e64 v23, null, 0, v23, s14
	s_mov_b32 s14, 0x3e9b6dac
	v_sub_nc_u32_e32 v27, 0, v23
	v_cvt_f32_i32_e32 v23, v23
	v_ldexp_f32 v26, v26, v27
	v_ldexp_f32 v24, v24, v27
	v_add_f32_e32 v29, 1.0, v26
	v_add_f32_e32 v27, -1.0, v26
	v_add_f32_e32 v28, -1.0, v29
	v_add_f32_e32 v30, 1.0, v27
	v_sub_f32_e32 v28, v26, v28
	v_sub_f32_e32 v26, v26, v30
	v_add_f32_e32 v28, v24, v28
	v_add_f32_e32 v24, v24, v26
	;; [unrolled: 1-line block ×4, first 2 shown]
	v_rcp_f32_e32 v26, v30
	v_sub_f32_e32 v29, v29, v30
	v_sub_f32_e32 v27, v27, v31
	v_add_f32_e32 v28, v28, v29
	v_add_f32_e32 v24, v24, v27
	v_mul_f32_e32 v32, v31, v26
	v_mul_f32_e32 v33, v30, v32
	v_fma_f32 v29, v32, v30, -v33
	v_fmac_f32_e32 v29, v32, v28
	v_add_f32_e32 v34, v33, v29
	v_sub_f32_e32 v35, v31, v34
	v_sub_f32_e32 v27, v34, v33
	;; [unrolled: 1-line block ×5, first 2 shown]
	v_add_f32_e32 v24, v24, v31
	v_add_f32_e32 v24, v27, v24
	;; [unrolled: 1-line block ×3, first 2 shown]
	v_mul_f32_e32 v29, v26, v27
	v_sub_f32_e32 v34, v35, v27
	v_mul_f32_e32 v31, v30, v29
	v_add_f32_e32 v24, v24, v34
	v_fma_f32 v30, v29, v30, -v31
	v_fmac_f32_e32 v30, v29, v28
	v_add_f32_e32 v28, v31, v30
	v_sub_f32_e32 v33, v27, v28
	v_sub_f32_e32 v31, v28, v31
	;; [unrolled: 1-line block ×5, first 2 shown]
	v_add_f32_e32 v24, v24, v27
	v_add_f32_e32 v27, v32, v29
	;; [unrolled: 1-line block ×3, first 2 shown]
	v_sub_f32_e32 v28, v27, v32
	v_add_f32_e32 v24, v33, v24
	v_sub_f32_e32 v28, v29, v28
	v_mul_f32_e32 v24, v26, v24
	v_add_f32_e32 v24, v28, v24
	v_add_f32_e32 v26, v27, v24
	v_mul_f32_e32 v28, v26, v26
	v_fmaak_f32 v29, s14, v28, 0x3ecc95a3
	v_mul_f32_e32 v30, v26, v28
	v_cmp_neq_f32_e64 s14, 0x7f800000, v25
	v_fmaak_f32 v28, v28, v29, 0x3f2aaada
	v_ldexp_f32 v29, v26, 1
	v_sub_f32_e32 v26, v26, v27
	v_mul_f32_e32 v28, v30, v28
	v_mul_f32_e32 v30, 0x3f317218, v23
	v_sub_f32_e32 v24, v24, v26
	v_add_f32_e32 v27, v29, v28
	v_ldexp_f32 v24, v24, 1
	v_sub_f32_e32 v26, v27, v29
	v_fma_f32 v29, 0x3f317218, v23, -v30
	v_sub_f32_e32 v26, v28, v26
	v_fmamk_f32 v23, v23, 0xb102e308, v29
	v_add_f32_e32 v24, v24, v26
	v_add_f32_e32 v26, v30, v23
	;; [unrolled: 1-line block ×3, first 2 shown]
	v_sub_f32_e32 v30, v26, v30
	v_add_f32_e32 v29, v26, v28
	v_sub_f32_e32 v27, v28, v27
	v_sub_f32_e32 v23, v23, v30
	;; [unrolled: 1-line block ×6, first 2 shown]
	v_add_f32_e32 v28, v23, v24
	v_sub_f32_e32 v26, v26, v32
	v_add_f32_e32 v26, v27, v26
	v_sub_f32_e32 v27, v28, v23
	;; [unrolled: 2-line block ×3, first 2 shown]
	v_sub_f32_e32 v24, v24, v27
	v_add_f32_e32 v30, v29, v26
	v_sub_f32_e32 v23, v23, v28
	v_sub_f32_e32 v27, v30, v29
	v_add_f32_e32 v23, v24, v23
	v_sub_f32_e32 v24, v26, v27
	v_add_f32_e32 v23, v23, v24
	v_add_f32_e32 v23, v30, v23
	v_cndmask_b32_e64 v23, 0x7f800000, v23, s14
	v_cmp_gt_f32_e64 s14, 0x33800000, |v25|
	v_cndmask_b32_e64 v23, v23, v25, s14
	v_add_f32_e32 v22, v22, v23
	v_cvt_f16_f32_e32 v25, v22
.LBB359_218:
	s_or_b32 exec_lo, exec_lo, s17
	v_and_b32_e32 v24, 0xffff, v25
	v_mov_b32_e32 v23, v25
.LBB359_219:
	s_or_b32 exec_lo, exec_lo, s16
	ds_swizzle_b32 v24, v24 offset:swizzle(BROADCAST,32,15)
	v_and_b32_e32 v22, 16, v21
	s_mov_b32 s16, exec_lo
	v_cmpx_ne_u32_e32 0, v22
	s_cbranch_execz .LBB359_223
; %bb.220:
	s_waitcnt lgkmcnt(0)
	v_cvt_f32_f16_e32 v22, v24
	v_cvt_f32_f16_e32 v25, v23
	v_cmp_u_f16_e64 s14, v24, v24
	v_min_f32_e32 v26, v22, v25
	v_max_f32_e32 v27, v22, v25
	v_cndmask_b32_e64 v26, v26, v22, s14
	v_cndmask_b32_e64 v22, v27, v22, s14
	v_cmp_u_f16_e64 s14, v23, v23
	v_cndmask_b32_e64 v23, v26, v25, s14
	v_cndmask_b32_e64 v22, v22, v25, s14
	v_cmp_class_f32_e64 s17, v23, 0x1f8
	v_cmp_neq_f32_e64 s14, v23, v22
	s_or_b32 s14, s14, s17
	s_and_saveexec_b32 s17, s14
	s_cbranch_execz .LBB359_222
; %bb.221:
	v_sub_f32_e32 v23, v23, v22
	v_mul_f32_e32 v24, 0x3fb8aa3b, v23
	v_cmp_ngt_f32_e64 s14, 0xc2ce8ed0, v23
	v_fma_f32 v25, 0x3fb8aa3b, v23, -v24
	v_rndne_f32_e32 v26, v24
	v_fmamk_f32 v25, v23, 0x32a5705f, v25
	v_sub_f32_e32 v24, v24, v26
	v_add_f32_e32 v24, v24, v25
	v_cvt_i32_f32_e32 v25, v26
	v_exp_f32_e32 v24, v24
	v_ldexp_f32 v24, v24, v25
	v_cndmask_b32_e64 v24, 0, v24, s14
	v_cmp_nlt_f32_e64 s14, 0x42b17218, v23
	v_cndmask_b32_e64 v25, 0x7f800000, v24, s14
	v_add_f32_e32 v26, 1.0, v25
	v_cvt_f64_f32_e32 v[23:24], v26
	v_frexp_exp_i32_f64_e32 v23, v[23:24]
	v_frexp_mant_f32_e32 v24, v26
	v_cmp_gt_f32_e64 s14, 0x3f2aaaab, v24
	v_add_f32_e32 v24, -1.0, v26
	v_sub_f32_e32 v28, v24, v26
	v_sub_f32_e32 v24, v25, v24
	v_add_f32_e32 v28, 1.0, v28
	v_add_f32_e32 v24, v24, v28
	v_subrev_co_ci_u32_e64 v23, null, 0, v23, s14
	s_mov_b32 s14, 0x3e9b6dac
	v_sub_nc_u32_e32 v27, 0, v23
	v_cvt_f32_i32_e32 v23, v23
	v_ldexp_f32 v26, v26, v27
	v_ldexp_f32 v24, v24, v27
	v_add_f32_e32 v29, 1.0, v26
	v_add_f32_e32 v27, -1.0, v26
	v_add_f32_e32 v28, -1.0, v29
	v_add_f32_e32 v30, 1.0, v27
	v_sub_f32_e32 v28, v26, v28
	v_sub_f32_e32 v26, v26, v30
	v_add_f32_e32 v28, v24, v28
	v_add_f32_e32 v24, v24, v26
	;; [unrolled: 1-line block ×4, first 2 shown]
	v_rcp_f32_e32 v26, v30
	v_sub_f32_e32 v29, v29, v30
	v_sub_f32_e32 v27, v27, v31
	v_add_f32_e32 v28, v28, v29
	v_add_f32_e32 v24, v24, v27
	v_mul_f32_e32 v32, v31, v26
	v_mul_f32_e32 v33, v30, v32
	v_fma_f32 v29, v32, v30, -v33
	v_fmac_f32_e32 v29, v32, v28
	v_add_f32_e32 v34, v33, v29
	v_sub_f32_e32 v35, v31, v34
	v_sub_f32_e32 v27, v34, v33
	;; [unrolled: 1-line block ×5, first 2 shown]
	v_add_f32_e32 v24, v24, v31
	v_add_f32_e32 v24, v27, v24
	;; [unrolled: 1-line block ×3, first 2 shown]
	v_mul_f32_e32 v29, v26, v27
	v_sub_f32_e32 v34, v35, v27
	v_mul_f32_e32 v31, v30, v29
	v_add_f32_e32 v24, v24, v34
	v_fma_f32 v30, v29, v30, -v31
	v_fmac_f32_e32 v30, v29, v28
	v_add_f32_e32 v28, v31, v30
	v_sub_f32_e32 v33, v27, v28
	v_sub_f32_e32 v31, v28, v31
	;; [unrolled: 1-line block ×5, first 2 shown]
	v_add_f32_e32 v24, v24, v27
	v_add_f32_e32 v27, v32, v29
	;; [unrolled: 1-line block ×3, first 2 shown]
	v_sub_f32_e32 v28, v27, v32
	v_add_f32_e32 v24, v33, v24
	v_sub_f32_e32 v28, v29, v28
	v_mul_f32_e32 v24, v26, v24
	v_add_f32_e32 v24, v28, v24
	v_add_f32_e32 v26, v27, v24
	v_mul_f32_e32 v28, v26, v26
	v_fmaak_f32 v29, s14, v28, 0x3ecc95a3
	v_mul_f32_e32 v30, v26, v28
	v_cmp_neq_f32_e64 s14, 0x7f800000, v25
	v_fmaak_f32 v28, v28, v29, 0x3f2aaada
	v_ldexp_f32 v29, v26, 1
	v_sub_f32_e32 v26, v26, v27
	v_mul_f32_e32 v28, v30, v28
	v_mul_f32_e32 v30, 0x3f317218, v23
	v_sub_f32_e32 v24, v24, v26
	v_add_f32_e32 v27, v29, v28
	v_ldexp_f32 v24, v24, 1
	v_sub_f32_e32 v26, v27, v29
	v_fma_f32 v29, 0x3f317218, v23, -v30
	v_sub_f32_e32 v26, v28, v26
	v_fmamk_f32 v23, v23, 0xb102e308, v29
	v_add_f32_e32 v24, v24, v26
	v_add_f32_e32 v26, v30, v23
	v_add_f32_e32 v28, v27, v24
	v_sub_f32_e32 v30, v26, v30
	v_add_f32_e32 v29, v26, v28
	v_sub_f32_e32 v27, v28, v27
	v_sub_f32_e32 v23, v23, v30
	;; [unrolled: 1-line block ×6, first 2 shown]
	v_add_f32_e32 v28, v23, v24
	v_sub_f32_e32 v26, v26, v32
	v_add_f32_e32 v26, v27, v26
	v_sub_f32_e32 v27, v28, v23
	;; [unrolled: 2-line block ×3, first 2 shown]
	v_sub_f32_e32 v24, v24, v27
	v_add_f32_e32 v30, v29, v26
	v_sub_f32_e32 v23, v23, v28
	v_sub_f32_e32 v27, v30, v29
	v_add_f32_e32 v23, v24, v23
	v_sub_f32_e32 v24, v26, v27
	v_add_f32_e32 v23, v23, v24
	v_add_f32_e32 v23, v30, v23
	v_cndmask_b32_e64 v23, 0x7f800000, v23, s14
	v_cmp_gt_f32_e64 s14, 0x33800000, |v25|
	v_cndmask_b32_e64 v23, v23, v25, s14
	v_add_f32_e32 v22, v22, v23
	v_cvt_f16_f32_e32 v24, v22
.LBB359_222:
	s_or_b32 exec_lo, exec_lo, s17
	v_mov_b32_e32 v23, v24
.LBB359_223:
	s_or_b32 exec_lo, exec_lo, s16
	v_add_nc_u32_e32 v22, -1, v21
	v_cmp_gt_i32_e64 s14, 0, v22
	v_cndmask_b32_e64 v21, v22, v21, s14
	v_and_b32_e32 v22, 0xffff, v23
	v_lshlrev_b32_e32 v21, 2, v21
	ds_bpermute_b32 v21, v21, v22
	v_max_f32_e32 v22, v20, v20
	s_waitcnt lgkmcnt(0)
	v_cvt_f32_f16_e32 v23, v21
	v_cmp_u_f16_e64 s14, v21, v21
	v_min_f32_e32 v24, v23, v22
	v_max_f32_e32 v22, v23, v22
	v_cndmask_b32_e64 v24, v24, v23, s14
	v_cndmask_b32_e64 v23, v22, v23, s14
	;; [unrolled: 1-line block ×4, first 2 shown]
	v_cmp_class_f32_e64 s14, v22, 0x1f8
	v_cmp_neq_f32_e64 s13, v22, v20
	s_or_b32 s13, s13, s14
	s_and_saveexec_b32 s14, s13
	s_cbranch_execz .LBB359_225
; %bb.224:
	v_sub_f32_e32 v21, v22, v20
	v_mul_f32_e32 v22, 0x3fb8aa3b, v21
	v_cmp_ngt_f32_e64 s13, 0xc2ce8ed0, v21
	v_fma_f32 v23, 0x3fb8aa3b, v21, -v22
	v_rndne_f32_e32 v24, v22
	v_fmamk_f32 v23, v21, 0x32a5705f, v23
	v_sub_f32_e32 v22, v22, v24
	v_add_f32_e32 v22, v22, v23
	v_cvt_i32_f32_e32 v23, v24
	v_exp_f32_e32 v22, v22
	v_ldexp_f32 v22, v22, v23
	v_cndmask_b32_e64 v22, 0, v22, s13
	v_cmp_nlt_f32_e64 s13, 0x42b17218, v21
	v_cndmask_b32_e64 v23, 0x7f800000, v22, s13
	v_add_f32_e32 v24, 1.0, v23
	v_cvt_f64_f32_e32 v[21:22], v24
	v_frexp_exp_i32_f64_e32 v21, v[21:22]
	v_frexp_mant_f32_e32 v22, v24
	v_cmp_gt_f32_e64 s13, 0x3f2aaaab, v22
	v_add_f32_e32 v22, -1.0, v24
	v_sub_f32_e32 v26, v22, v24
	v_sub_f32_e32 v22, v23, v22
	v_add_f32_e32 v26, 1.0, v26
	v_add_f32_e32 v22, v22, v26
	v_subrev_co_ci_u32_e64 v21, null, 0, v21, s13
	s_mov_b32 s13, 0x3e9b6dac
	v_sub_nc_u32_e32 v25, 0, v21
	v_cvt_f32_i32_e32 v21, v21
	v_ldexp_f32 v24, v24, v25
	v_ldexp_f32 v22, v22, v25
	v_add_f32_e32 v27, 1.0, v24
	v_add_f32_e32 v25, -1.0, v24
	v_add_f32_e32 v26, -1.0, v27
	v_add_f32_e32 v28, 1.0, v25
	v_sub_f32_e32 v26, v24, v26
	v_sub_f32_e32 v24, v24, v28
	v_add_f32_e32 v26, v22, v26
	v_add_f32_e32 v22, v22, v24
	;; [unrolled: 1-line block ×4, first 2 shown]
	v_rcp_f32_e32 v24, v28
	v_sub_f32_e32 v27, v27, v28
	v_sub_f32_e32 v25, v25, v29
	v_add_f32_e32 v26, v26, v27
	v_add_f32_e32 v22, v22, v25
	v_mul_f32_e32 v30, v29, v24
	v_mul_f32_e32 v31, v28, v30
	v_fma_f32 v27, v30, v28, -v31
	v_fmac_f32_e32 v27, v30, v26
	v_add_f32_e32 v32, v31, v27
	v_sub_f32_e32 v33, v29, v32
	v_sub_f32_e32 v25, v32, v31
	;; [unrolled: 1-line block ×5, first 2 shown]
	v_add_f32_e32 v22, v22, v29
	v_add_f32_e32 v22, v25, v22
	;; [unrolled: 1-line block ×3, first 2 shown]
	v_mul_f32_e32 v27, v24, v25
	v_sub_f32_e32 v32, v33, v25
	v_mul_f32_e32 v29, v28, v27
	v_add_f32_e32 v22, v22, v32
	v_fma_f32 v28, v27, v28, -v29
	v_fmac_f32_e32 v28, v27, v26
	v_add_f32_e32 v26, v29, v28
	v_sub_f32_e32 v31, v25, v26
	v_sub_f32_e32 v29, v26, v29
	;; [unrolled: 1-line block ×5, first 2 shown]
	v_add_f32_e32 v22, v22, v25
	v_add_f32_e32 v25, v30, v27
	;; [unrolled: 1-line block ×3, first 2 shown]
	v_sub_f32_e32 v26, v25, v30
	v_add_f32_e32 v22, v31, v22
	v_sub_f32_e32 v26, v27, v26
	v_mul_f32_e32 v22, v24, v22
	v_add_f32_e32 v22, v26, v22
	v_add_f32_e32 v24, v25, v22
	v_mul_f32_e32 v26, v24, v24
	v_fmaak_f32 v27, s13, v26, 0x3ecc95a3
	v_mul_f32_e32 v28, v24, v26
	v_cmp_neq_f32_e64 s13, 0x7f800000, v23
	v_fmaak_f32 v26, v26, v27, 0x3f2aaada
	v_ldexp_f32 v27, v24, 1
	v_sub_f32_e32 v24, v24, v25
	v_mul_f32_e32 v26, v28, v26
	v_mul_f32_e32 v28, 0x3f317218, v21
	v_sub_f32_e32 v22, v22, v24
	v_add_f32_e32 v25, v27, v26
	v_ldexp_f32 v22, v22, 1
	v_sub_f32_e32 v24, v25, v27
	v_fma_f32 v27, 0x3f317218, v21, -v28
	v_sub_f32_e32 v24, v26, v24
	v_fmamk_f32 v21, v21, 0xb102e308, v27
	v_add_f32_e32 v22, v22, v24
	v_add_f32_e32 v24, v28, v21
	v_add_f32_e32 v26, v25, v22
	v_sub_f32_e32 v28, v24, v28
	v_add_f32_e32 v27, v24, v26
	v_sub_f32_e32 v25, v26, v25
	v_sub_f32_e32 v21, v21, v28
	;; [unrolled: 1-line block ×6, first 2 shown]
	v_add_f32_e32 v26, v21, v22
	v_sub_f32_e32 v24, v24, v30
	v_add_f32_e32 v24, v25, v24
	v_sub_f32_e32 v25, v26, v21
	;; [unrolled: 2-line block ×3, first 2 shown]
	v_sub_f32_e32 v22, v22, v25
	v_add_f32_e32 v28, v27, v24
	v_sub_f32_e32 v21, v21, v26
	v_sub_f32_e32 v25, v28, v27
	v_add_f32_e32 v21, v22, v21
	v_sub_f32_e32 v22, v24, v25
	v_add_f32_e32 v21, v21, v22
	v_add_f32_e32 v21, v28, v21
	v_cndmask_b32_e64 v21, 0x7f800000, v21, s13
	v_cmp_gt_f32_e64 s13, 0x33800000, |v23|
	v_cndmask_b32_e64 v21, v21, v23, s13
	v_add_f32_e32 v20, v20, v21
	v_cvt_f16_f32_e32 v21, v20
.LBB359_225:
	s_or_b32 exec_lo, exec_lo, s14
	v_cndmask_b32_e64 v20, v21, v19, s12
	; wave barrier
	ds_write_b16 v6, v20
	; wave barrier
	ds_read_u16 v19, v6 offset:2
	v_cvt_f32_f16_e32 v21, v20
	v_cmp_u_f16_e64 s12, v20, v20
	s_waitcnt lgkmcnt(0)
	v_cvt_f32_f16_e32 v22, v19
	v_min_f32_e32 v23, v21, v22
	v_max_f32_e32 v24, v21, v22
	v_cndmask_b32_e64 v23, v23, v21, s12
	v_cndmask_b32_e64 v24, v24, v21, s12
	v_cmp_u_f16_e64 s12, v19, v19
	v_cndmask_b32_e64 v21, v23, v22, s12
	v_cndmask_b32_e64 v19, v24, v22, s12
	v_cmp_class_f32_e64 s13, v21, 0x1f8
	v_cmp_neq_f32_e64 s12, v21, v19
	s_or_b32 s12, s12, s13
	s_and_saveexec_b32 s13, s12
	s_cbranch_execz .LBB359_227
; %bb.226:
	v_sub_f32_e32 v20, v21, v19
	v_mul_f32_e32 v21, 0x3fb8aa3b, v20
	v_cmp_ngt_f32_e64 s12, 0xc2ce8ed0, v20
	v_fma_f32 v22, 0x3fb8aa3b, v20, -v21
	v_rndne_f32_e32 v23, v21
	v_fmamk_f32 v22, v20, 0x32a5705f, v22
	v_sub_f32_e32 v21, v21, v23
	v_add_f32_e32 v21, v21, v22
	v_cvt_i32_f32_e32 v22, v23
	v_exp_f32_e32 v21, v21
	v_ldexp_f32 v21, v21, v22
	v_cndmask_b32_e64 v21, 0, v21, s12
	v_cmp_nlt_f32_e64 s12, 0x42b17218, v20
	v_cndmask_b32_e64 v22, 0x7f800000, v21, s12
	v_add_f32_e32 v23, 1.0, v22
	v_cvt_f64_f32_e32 v[20:21], v23
	v_frexp_exp_i32_f64_e32 v20, v[20:21]
	v_frexp_mant_f32_e32 v21, v23
	v_cmp_gt_f32_e64 s12, 0x3f2aaaab, v21
	v_add_f32_e32 v21, -1.0, v23
	v_sub_f32_e32 v25, v21, v23
	v_sub_f32_e32 v21, v22, v21
	v_add_f32_e32 v25, 1.0, v25
	v_add_f32_e32 v21, v21, v25
	v_subrev_co_ci_u32_e64 v20, null, 0, v20, s12
	s_mov_b32 s12, 0x3e9b6dac
	v_sub_nc_u32_e32 v24, 0, v20
	v_cvt_f32_i32_e32 v20, v20
	v_ldexp_f32 v23, v23, v24
	v_ldexp_f32 v21, v21, v24
	v_add_f32_e32 v26, 1.0, v23
	v_add_f32_e32 v24, -1.0, v23
	v_add_f32_e32 v25, -1.0, v26
	v_add_f32_e32 v27, 1.0, v24
	v_sub_f32_e32 v25, v23, v25
	v_sub_f32_e32 v23, v23, v27
	v_add_f32_e32 v25, v21, v25
	v_add_f32_e32 v21, v21, v23
	;; [unrolled: 1-line block ×4, first 2 shown]
	v_rcp_f32_e32 v23, v27
	v_sub_f32_e32 v26, v26, v27
	v_sub_f32_e32 v24, v24, v28
	v_add_f32_e32 v25, v25, v26
	v_add_f32_e32 v21, v21, v24
	v_mul_f32_e32 v29, v28, v23
	v_mul_f32_e32 v30, v27, v29
	v_fma_f32 v26, v29, v27, -v30
	v_fmac_f32_e32 v26, v29, v25
	v_add_f32_e32 v31, v30, v26
	v_sub_f32_e32 v32, v28, v31
	v_sub_f32_e32 v24, v31, v30
	v_sub_f32_e32 v28, v28, v32
	v_sub_f32_e32 v24, v24, v26
	v_sub_f32_e32 v28, v28, v31
	v_add_f32_e32 v21, v21, v28
	v_add_f32_e32 v21, v24, v21
	;; [unrolled: 1-line block ×3, first 2 shown]
	v_mul_f32_e32 v26, v23, v24
	v_sub_f32_e32 v31, v32, v24
	v_mul_f32_e32 v28, v27, v26
	v_add_f32_e32 v21, v21, v31
	v_fma_f32 v27, v26, v27, -v28
	v_fmac_f32_e32 v27, v26, v25
	v_add_f32_e32 v25, v28, v27
	v_sub_f32_e32 v30, v24, v25
	v_sub_f32_e32 v28, v25, v28
	v_sub_f32_e32 v24, v24, v30
	v_sub_f32_e32 v24, v24, v25
	v_sub_f32_e32 v25, v28, v27
	v_add_f32_e32 v21, v21, v24
	v_add_f32_e32 v24, v29, v26
	;; [unrolled: 1-line block ×3, first 2 shown]
	v_sub_f32_e32 v25, v24, v29
	v_add_f32_e32 v21, v30, v21
	v_sub_f32_e32 v25, v26, v25
	v_mul_f32_e32 v21, v23, v21
	v_add_f32_e32 v21, v25, v21
	v_add_f32_e32 v23, v24, v21
	v_mul_f32_e32 v25, v23, v23
	v_fmaak_f32 v26, s12, v25, 0x3ecc95a3
	v_mul_f32_e32 v27, v23, v25
	v_cmp_neq_f32_e64 s12, 0x7f800000, v22
	v_fmaak_f32 v25, v25, v26, 0x3f2aaada
	v_ldexp_f32 v26, v23, 1
	v_sub_f32_e32 v23, v23, v24
	v_mul_f32_e32 v25, v27, v25
	v_mul_f32_e32 v27, 0x3f317218, v20
	v_sub_f32_e32 v21, v21, v23
	v_add_f32_e32 v24, v26, v25
	v_ldexp_f32 v21, v21, 1
	v_sub_f32_e32 v23, v24, v26
	v_fma_f32 v26, 0x3f317218, v20, -v27
	v_sub_f32_e32 v23, v25, v23
	v_fmamk_f32 v20, v20, 0xb102e308, v26
	v_add_f32_e32 v21, v21, v23
	v_add_f32_e32 v23, v27, v20
	;; [unrolled: 1-line block ×3, first 2 shown]
	v_sub_f32_e32 v27, v23, v27
	v_add_f32_e32 v26, v23, v25
	v_sub_f32_e32 v24, v25, v24
	v_sub_f32_e32 v20, v20, v27
	;; [unrolled: 1-line block ×6, first 2 shown]
	v_add_f32_e32 v25, v20, v21
	v_sub_f32_e32 v23, v23, v29
	v_add_f32_e32 v23, v24, v23
	v_sub_f32_e32 v24, v25, v20
	;; [unrolled: 2-line block ×3, first 2 shown]
	v_sub_f32_e32 v21, v21, v24
	v_add_f32_e32 v27, v26, v23
	v_sub_f32_e32 v20, v20, v25
	v_sub_f32_e32 v24, v27, v26
	v_add_f32_e32 v20, v21, v20
	v_sub_f32_e32 v21, v23, v24
	v_add_f32_e32 v20, v20, v21
	v_add_f32_e32 v20, v27, v20
	v_cndmask_b32_e64 v20, 0x7f800000, v20, s12
	v_cmp_gt_f32_e64 s12, 0x33800000, |v22|
	v_cndmask_b32_e64 v20, v20, v22, s12
	v_add_f32_e32 v19, v19, v20
	v_cvt_f16_f32_e32 v20, v19
.LBB359_227:
	s_or_b32 exec_lo, exec_lo, s13
	ds_write_b16 v6, v20 offset:2
.LBB359_228:
	s_or_b32 exec_lo, exec_lo, s15
	v_mov_b32_e32 v6, v7
	s_waitcnt lgkmcnt(0)
	s_barrier
	buffer_gl0_inv
	s_and_saveexec_b32 s12, s10
	s_cbranch_execz .LBB359_232
; %bb.229:
	v_add_nc_u32_e32 v6, -1, v0
	v_lshrrev_b32_e32 v7, 4, v6
	v_and_b32_e32 v7, 0xffffffe, v7
	v_lshl_add_u32 v6, v6, 1, v7
	ds_read_u16 v7, v6
	v_max_f32_e32 v6, v8, v8
	s_waitcnt lgkmcnt(0)
	v_cvt_f32_f16_e32 v19, v7
	v_cmp_u_f16_e64 s10, v7, v7
	v_min_f32_e32 v17, v19, v6
	v_max_f32_e32 v6, v19, v6
	v_cndmask_b32_e64 v17, v17, v19, s10
	v_cndmask_b32_e64 v6, v6, v19, s10
	;; [unrolled: 1-line block ×4, first 2 shown]
	v_cmp_class_f32_e64 s11, v17, 0x1f8
	v_cmp_neq_f32_e64 s10, v17, v6
	s_or_b32 s10, s10, s11
	s_and_saveexec_b32 s11, s10
	s_cbranch_execz .LBB359_231
; %bb.230:
	v_sub_f32_e32 v7, v17, v6
	v_mul_f32_e32 v8, 0x3fb8aa3b, v7
	v_cmp_ngt_f32_e64 s10, 0xc2ce8ed0, v7
	v_fma_f32 v17, 0x3fb8aa3b, v7, -v8
	v_rndne_f32_e32 v18, v8
	v_fmamk_f32 v17, v7, 0x32a5705f, v17
	v_sub_f32_e32 v8, v8, v18
	v_add_f32_e32 v8, v8, v17
	v_cvt_i32_f32_e32 v17, v18
	v_exp_f32_e32 v8, v8
	v_ldexp_f32 v8, v8, v17
	v_cndmask_b32_e64 v8, 0, v8, s10
	v_cmp_nlt_f32_e64 s10, 0x42b17218, v7
	v_cndmask_b32_e64 v17, 0x7f800000, v8, s10
	v_add_f32_e32 v18, 1.0, v17
	v_cvt_f64_f32_e32 v[7:8], v18
	v_frexp_exp_i32_f64_e32 v7, v[7:8]
	v_frexp_mant_f32_e32 v8, v18
	v_cmp_gt_f32_e64 s10, 0x3f2aaaab, v8
	v_add_f32_e32 v8, -1.0, v18
	v_sub_f32_e32 v20, v8, v18
	v_sub_f32_e32 v8, v17, v8
	v_add_f32_e32 v20, 1.0, v20
	v_add_f32_e32 v8, v8, v20
	v_subrev_co_ci_u32_e64 v7, null, 0, v7, s10
	s_mov_b32 s10, 0x3e9b6dac
	v_sub_nc_u32_e32 v19, 0, v7
	v_cvt_f32_i32_e32 v7, v7
	v_ldexp_f32 v18, v18, v19
	v_ldexp_f32 v8, v8, v19
	v_add_f32_e32 v21, 1.0, v18
	v_add_f32_e32 v19, -1.0, v18
	v_add_f32_e32 v20, -1.0, v21
	v_add_f32_e32 v22, 1.0, v19
	v_sub_f32_e32 v20, v18, v20
	v_sub_f32_e32 v18, v18, v22
	v_add_f32_e32 v20, v8, v20
	v_add_f32_e32 v8, v8, v18
	;; [unrolled: 1-line block ×4, first 2 shown]
	v_rcp_f32_e32 v18, v22
	v_sub_f32_e32 v21, v21, v22
	v_sub_f32_e32 v19, v19, v23
	v_add_f32_e32 v20, v20, v21
	v_add_f32_e32 v8, v8, v19
	v_mul_f32_e32 v24, v23, v18
	v_mul_f32_e32 v25, v22, v24
	v_fma_f32 v21, v24, v22, -v25
	v_fmac_f32_e32 v21, v24, v20
	v_add_f32_e32 v26, v25, v21
	v_sub_f32_e32 v27, v23, v26
	v_sub_f32_e32 v19, v26, v25
	;; [unrolled: 1-line block ×5, first 2 shown]
	v_add_f32_e32 v8, v8, v23
	v_add_f32_e32 v8, v19, v8
	;; [unrolled: 1-line block ×3, first 2 shown]
	v_mul_f32_e32 v21, v18, v19
	v_sub_f32_e32 v26, v27, v19
	v_mul_f32_e32 v23, v22, v21
	v_add_f32_e32 v8, v8, v26
	v_fma_f32 v22, v21, v22, -v23
	v_fmac_f32_e32 v22, v21, v20
	v_add_f32_e32 v20, v23, v22
	v_sub_f32_e32 v25, v19, v20
	v_sub_f32_e32 v23, v20, v23
	;; [unrolled: 1-line block ×5, first 2 shown]
	v_add_f32_e32 v8, v8, v19
	v_add_f32_e32 v19, v24, v21
	;; [unrolled: 1-line block ×3, first 2 shown]
	v_sub_f32_e32 v20, v19, v24
	v_add_f32_e32 v8, v25, v8
	v_sub_f32_e32 v20, v21, v20
	v_mul_f32_e32 v8, v18, v8
	v_add_f32_e32 v8, v20, v8
	v_add_f32_e32 v18, v19, v8
	v_mul_f32_e32 v20, v18, v18
	v_fmaak_f32 v21, s10, v20, 0x3ecc95a3
	v_mul_f32_e32 v22, v18, v20
	v_cmp_neq_f32_e64 s10, 0x7f800000, v17
	v_fmaak_f32 v20, v20, v21, 0x3f2aaada
	v_ldexp_f32 v21, v18, 1
	v_sub_f32_e32 v18, v18, v19
	v_mul_f32_e32 v20, v22, v20
	v_mul_f32_e32 v22, 0x3f317218, v7
	v_sub_f32_e32 v8, v8, v18
	v_add_f32_e32 v19, v21, v20
	v_ldexp_f32 v8, v8, 1
	v_sub_f32_e32 v18, v19, v21
	v_fma_f32 v21, 0x3f317218, v7, -v22
	v_sub_f32_e32 v18, v20, v18
	v_fmamk_f32 v7, v7, 0xb102e308, v21
	v_add_f32_e32 v8, v8, v18
	v_add_f32_e32 v18, v22, v7
	;; [unrolled: 1-line block ×3, first 2 shown]
	v_sub_f32_e32 v22, v18, v22
	v_add_f32_e32 v21, v18, v20
	v_sub_f32_e32 v19, v20, v19
	v_sub_f32_e32 v7, v7, v22
	;; [unrolled: 1-line block ×6, first 2 shown]
	v_add_f32_e32 v20, v7, v8
	v_sub_f32_e32 v18, v18, v24
	v_add_f32_e32 v18, v19, v18
	v_sub_f32_e32 v19, v20, v7
	;; [unrolled: 2-line block ×3, first 2 shown]
	v_sub_f32_e32 v8, v8, v19
	v_add_f32_e32 v22, v21, v18
	v_sub_f32_e32 v7, v7, v20
	v_sub_f32_e32 v19, v22, v21
	v_add_f32_e32 v7, v8, v7
	v_sub_f32_e32 v8, v18, v19
	v_add_f32_e32 v7, v7, v8
	v_add_f32_e32 v7, v22, v7
	v_cndmask_b32_e64 v7, 0x7f800000, v7, s10
	v_cmp_gt_f32_e64 s10, 0x33800000, |v17|
	v_cndmask_b32_e64 v7, v7, v17, s10
	v_add_f32_e32 v6, v6, v7
	v_cvt_f16_f32_e32 v7, v6
	v_cvt_f32_f16_e32 v19, v7
.LBB359_231:
	s_or_b32 exec_lo, exec_lo, s11
	v_max_f32_e32 v8, v14, v14
	v_max_f32_e32 v18, v19, v19
	v_mov_b32_e32 v6, v7
	;;#ASMSTART
	;;#ASMEND
	v_min_f32_e32 v17, v18, v8
	v_max_f32_e32 v18, v18, v8
	v_mov_b32_e32 v8, v19
.LBB359_232:
	s_or_b32 exec_lo, exec_lo, s12
	v_cmp_u_f16_e64 s10, v6, v6
	v_mov_b32_e32 v25, v7
	v_cndmask_b32_e64 v17, v17, v8, s10
	v_cndmask_b32_e64 v18, v18, v8, s10
	v_cndmask_b32_e32 v17, v17, v14, vcc_lo
	v_cndmask_b32_e32 v14, v18, v14, vcc_lo
	v_cmp_class_f32_e64 s10, v17, 0x1f8
	v_cmp_neq_f32_e32 vcc_lo, v17, v14
	s_or_b32 s11, vcc_lo, s10
	s_and_saveexec_b32 s10, s11
	s_cbranch_execz .LBB359_234
; %bb.233:
	v_sub_f32_e32 v6, v17, v14
	s_mov_b32 s11, 0x3e9b6dac
	v_mul_f32_e32 v8, 0x3fb8aa3b, v6
	v_cmp_ngt_f32_e32 vcc_lo, 0xc2ce8ed0, v6
	v_fma_f32 v17, 0x3fb8aa3b, v6, -v8
	v_rndne_f32_e32 v18, v8
	v_fmamk_f32 v17, v6, 0x32a5705f, v17
	v_sub_f32_e32 v8, v8, v18
	v_add_f32_e32 v8, v8, v17
	v_cvt_i32_f32_e32 v17, v18
	v_exp_f32_e32 v8, v8
	v_ldexp_f32 v8, v8, v17
	v_cndmask_b32_e32 v8, 0, v8, vcc_lo
	v_cmp_nlt_f32_e32 vcc_lo, 0x42b17218, v6
	v_cndmask_b32_e32 v6, 0x7f800000, v8, vcc_lo
	v_add_f32_e32 v8, 1.0, v6
	v_cvt_f64_f32_e32 v[17:18], v8
	v_frexp_exp_i32_f64_e32 v17, v[17:18]
	v_frexp_mant_f32_e32 v18, v8
	v_cmp_gt_f32_e32 vcc_lo, 0x3f2aaaab, v18
	v_add_f32_e32 v18, -1.0, v8
	v_sub_f32_e32 v20, v18, v8
	v_sub_f32_e32 v18, v6, v18
	v_add_f32_e32 v20, 1.0, v20
	v_add_f32_e32 v18, v18, v20
	v_subrev_co_ci_u32_e64 v17, null, 0, v17, vcc_lo
	v_cmp_neq_f32_e32 vcc_lo, 0x7f800000, v6
	v_sub_nc_u32_e32 v19, 0, v17
	v_cvt_f32_i32_e32 v17, v17
	v_ldexp_f32 v8, v8, v19
	v_ldexp_f32 v18, v18, v19
	v_add_f32_e32 v21, 1.0, v8
	v_add_f32_e32 v19, -1.0, v8
	v_add_f32_e32 v20, -1.0, v21
	v_add_f32_e32 v22, 1.0, v19
	v_sub_f32_e32 v20, v8, v20
	v_sub_f32_e32 v8, v8, v22
	v_add_f32_e32 v20, v18, v20
	v_add_f32_e32 v8, v18, v8
	;; [unrolled: 1-line block ×4, first 2 shown]
	v_rcp_f32_e32 v18, v22
	v_sub_f32_e32 v21, v21, v22
	v_sub_f32_e32 v19, v19, v23
	v_add_f32_e32 v20, v20, v21
	v_add_f32_e32 v8, v8, v19
	v_mul_f32_e32 v24, v23, v18
	v_mul_f32_e32 v25, v22, v24
	v_fma_f32 v21, v24, v22, -v25
	v_fmac_f32_e32 v21, v24, v20
	v_add_f32_e32 v26, v25, v21
	v_sub_f32_e32 v27, v23, v26
	v_sub_f32_e32 v19, v26, v25
	;; [unrolled: 1-line block ×5, first 2 shown]
	v_add_f32_e32 v8, v8, v23
	v_add_f32_e32 v8, v19, v8
	;; [unrolled: 1-line block ×3, first 2 shown]
	v_mul_f32_e32 v21, v18, v19
	v_sub_f32_e32 v26, v27, v19
	v_mul_f32_e32 v23, v22, v21
	v_add_f32_e32 v8, v8, v26
	v_fma_f32 v22, v21, v22, -v23
	v_fmac_f32_e32 v22, v21, v20
	v_add_f32_e32 v20, v23, v22
	v_sub_f32_e32 v25, v19, v20
	v_sub_f32_e32 v23, v20, v23
	;; [unrolled: 1-line block ×5, first 2 shown]
	v_add_f32_e32 v8, v8, v19
	v_add_f32_e32 v19, v24, v21
	v_add_f32_e32 v8, v20, v8
	v_sub_f32_e32 v20, v19, v24
	v_add_f32_e32 v8, v25, v8
	v_sub_f32_e32 v20, v21, v20
	v_mul_f32_e32 v8, v18, v8
	v_add_f32_e32 v8, v20, v8
	v_add_f32_e32 v18, v19, v8
	v_mul_f32_e32 v20, v18, v18
	v_fmaak_f32 v21, s11, v20, 0x3ecc95a3
	v_mul_f32_e32 v22, v18, v20
	v_fmaak_f32 v20, v20, v21, 0x3f2aaada
	v_ldexp_f32 v21, v18, 1
	v_sub_f32_e32 v18, v18, v19
	v_mul_f32_e32 v20, v22, v20
	v_mul_f32_e32 v22, 0x3f317218, v17
	v_sub_f32_e32 v8, v8, v18
	v_add_f32_e32 v19, v21, v20
	v_ldexp_f32 v8, v8, 1
	v_sub_f32_e32 v18, v19, v21
	v_fma_f32 v21, 0x3f317218, v17, -v22
	v_sub_f32_e32 v18, v20, v18
	v_fmamk_f32 v17, v17, 0xb102e308, v21
	v_add_f32_e32 v8, v8, v18
	v_add_f32_e32 v18, v22, v17
	;; [unrolled: 1-line block ×3, first 2 shown]
	v_sub_f32_e32 v22, v18, v22
	v_add_f32_e32 v21, v18, v20
	v_sub_f32_e32 v19, v20, v19
	v_sub_f32_e32 v17, v17, v22
	;; [unrolled: 1-line block ×6, first 2 shown]
	v_add_f32_e32 v20, v17, v8
	v_sub_f32_e32 v18, v18, v24
	v_add_f32_e32 v18, v19, v18
	v_sub_f32_e32 v19, v20, v17
	;; [unrolled: 2-line block ×3, first 2 shown]
	v_sub_f32_e32 v8, v8, v19
	v_add_f32_e32 v22, v21, v18
	v_sub_f32_e32 v17, v17, v20
	v_sub_f32_e32 v19, v22, v21
	v_add_f32_e32 v8, v8, v17
	v_sub_f32_e32 v17, v18, v19
	v_add_f32_e32 v8, v8, v17
	v_add_f32_e32 v8, v22, v8
	v_cndmask_b32_e32 v8, 0x7f800000, v8, vcc_lo
	v_cmp_gt_f32_e64 vcc_lo, 0x33800000, |v6|
	v_cndmask_b32_e32 v6, v8, v6, vcc_lo
	v_add_f32_e32 v6, v14, v6
	v_cvt_f16_f32_e32 v6, v6
	v_cvt_f32_f16_e32 v8, v6
	v_mov_b32_e32 v25, v6
.LBB359_234:
	s_or_b32 exec_lo, exec_lo, s10
	v_max_f32_e32 v14, v1, v1
	v_max_f32_e32 v17, v8, v8
	v_cmp_u_f16_e32 vcc_lo, v6, v6
	v_mov_b32_e32 v26, v25
	v_min_f32_e32 v18, v17, v14
	v_max_f32_e32 v14, v17, v14
	v_cndmask_b32_e32 v17, v18, v8, vcc_lo
	v_cndmask_b32_e32 v18, v14, v8, vcc_lo
	v_cndmask_b32_e64 v14, v17, v1, s0
	v_cndmask_b32_e64 v1, v18, v1, s0
	v_cmp_class_f32_e64 s0, v14, 0x1f8
	v_cmp_neq_f32_e32 vcc_lo, v14, v1
	s_or_b32 s10, vcc_lo, s0
	s_and_saveexec_b32 s0, s10
	s_cbranch_execz .LBB359_236
; %bb.235:
	v_sub_f32_e32 v6, v14, v1
	s_mov_b32 s10, 0x3e9b6dac
	v_mul_f32_e32 v8, 0x3fb8aa3b, v6
	v_cmp_ngt_f32_e32 vcc_lo, 0xc2ce8ed0, v6
	v_fma_f32 v14, 0x3fb8aa3b, v6, -v8
	v_rndne_f32_e32 v17, v8
	v_fmamk_f32 v14, v6, 0x32a5705f, v14
	v_sub_f32_e32 v8, v8, v17
	v_add_f32_e32 v8, v8, v14
	v_cvt_i32_f32_e32 v14, v17
	v_exp_f32_e32 v8, v8
	v_ldexp_f32 v8, v8, v14
	v_cndmask_b32_e32 v8, 0, v8, vcc_lo
	v_cmp_nlt_f32_e32 vcc_lo, 0x42b17218, v6
	v_cndmask_b32_e32 v6, 0x7f800000, v8, vcc_lo
	v_add_f32_e32 v8, 1.0, v6
	v_cvt_f64_f32_e32 v[17:18], v8
	v_frexp_exp_i32_f64_e32 v14, v[17:18]
	v_frexp_mant_f32_e32 v17, v8
	v_cmp_gt_f32_e32 vcc_lo, 0x3f2aaaab, v17
	v_add_f32_e32 v17, -1.0, v8
	v_sub_f32_e32 v19, v17, v8
	v_sub_f32_e32 v17, v6, v17
	v_add_f32_e32 v19, 1.0, v19
	v_add_f32_e32 v17, v17, v19
	v_subrev_co_ci_u32_e64 v14, null, 0, v14, vcc_lo
	v_cmp_neq_f32_e32 vcc_lo, 0x7f800000, v6
	v_sub_nc_u32_e32 v18, 0, v14
	v_cvt_f32_i32_e32 v14, v14
	v_ldexp_f32 v8, v8, v18
	v_ldexp_f32 v17, v17, v18
	v_add_f32_e32 v20, 1.0, v8
	v_add_f32_e32 v18, -1.0, v8
	v_add_f32_e32 v19, -1.0, v20
	v_add_f32_e32 v21, 1.0, v18
	v_sub_f32_e32 v19, v8, v19
	v_sub_f32_e32 v8, v8, v21
	v_add_f32_e32 v19, v17, v19
	v_add_f32_e32 v8, v17, v8
	;; [unrolled: 1-line block ×4, first 2 shown]
	v_rcp_f32_e32 v17, v21
	v_sub_f32_e32 v20, v20, v21
	v_sub_f32_e32 v18, v18, v22
	v_add_f32_e32 v19, v19, v20
	v_add_f32_e32 v8, v8, v18
	v_mul_f32_e32 v23, v22, v17
	v_mul_f32_e32 v24, v21, v23
	v_fma_f32 v20, v23, v21, -v24
	v_fmac_f32_e32 v20, v23, v19
	v_add_f32_e32 v26, v24, v20
	v_sub_f32_e32 v27, v22, v26
	v_sub_f32_e32 v18, v26, v24
	;; [unrolled: 1-line block ×5, first 2 shown]
	v_add_f32_e32 v8, v8, v22
	v_add_f32_e32 v8, v18, v8
	;; [unrolled: 1-line block ×3, first 2 shown]
	v_mul_f32_e32 v20, v17, v18
	v_sub_f32_e32 v26, v27, v18
	v_mul_f32_e32 v22, v21, v20
	v_add_f32_e32 v8, v8, v26
	v_fma_f32 v21, v20, v21, -v22
	v_fmac_f32_e32 v21, v20, v19
	v_add_f32_e32 v19, v22, v21
	v_sub_f32_e32 v24, v18, v19
	v_sub_f32_e32 v22, v19, v22
	;; [unrolled: 1-line block ×5, first 2 shown]
	v_add_f32_e32 v8, v8, v18
	v_add_f32_e32 v18, v23, v20
	;; [unrolled: 1-line block ×3, first 2 shown]
	v_sub_f32_e32 v19, v18, v23
	v_add_f32_e32 v8, v24, v8
	v_sub_f32_e32 v19, v20, v19
	v_mul_f32_e32 v8, v17, v8
	v_add_f32_e32 v8, v19, v8
	v_add_f32_e32 v17, v18, v8
	v_mul_f32_e32 v19, v17, v17
	v_fmaak_f32 v20, s10, v19, 0x3ecc95a3
	v_mul_f32_e32 v21, v17, v19
	v_fmaak_f32 v19, v19, v20, 0x3f2aaada
	v_ldexp_f32 v20, v17, 1
	v_sub_f32_e32 v17, v17, v18
	v_mul_f32_e32 v19, v21, v19
	v_mul_f32_e32 v21, 0x3f317218, v14
	v_sub_f32_e32 v8, v8, v17
	v_add_f32_e32 v18, v20, v19
	v_ldexp_f32 v8, v8, 1
	v_sub_f32_e32 v17, v18, v20
	v_fma_f32 v20, 0x3f317218, v14, -v21
	v_sub_f32_e32 v17, v19, v17
	v_fmamk_f32 v14, v14, 0xb102e308, v20
	v_add_f32_e32 v8, v8, v17
	v_add_f32_e32 v17, v21, v14
	;; [unrolled: 1-line block ×3, first 2 shown]
	v_sub_f32_e32 v21, v17, v21
	v_add_f32_e32 v20, v17, v19
	v_sub_f32_e32 v18, v19, v18
	v_sub_f32_e32 v14, v14, v21
	;; [unrolled: 1-line block ×6, first 2 shown]
	v_add_f32_e32 v19, v14, v8
	v_sub_f32_e32 v17, v17, v23
	v_add_f32_e32 v17, v18, v17
	v_sub_f32_e32 v18, v19, v14
	;; [unrolled: 2-line block ×3, first 2 shown]
	v_sub_f32_e32 v8, v8, v18
	v_add_f32_e32 v21, v20, v17
	v_sub_f32_e32 v14, v14, v19
	v_sub_f32_e32 v18, v21, v20
	v_add_f32_e32 v8, v8, v14
	v_sub_f32_e32 v14, v17, v18
	v_add_f32_e32 v8, v8, v14
	v_add_f32_e32 v8, v21, v8
	v_cndmask_b32_e32 v8, 0x7f800000, v8, vcc_lo
	v_cmp_gt_f32_e64 vcc_lo, 0x33800000, |v6|
	v_cndmask_b32_e32 v6, v8, v6, vcc_lo
	v_add_f32_e32 v1, v1, v6
	v_cvt_f16_f32_e32 v6, v1
	v_cvt_f32_f16_e32 v8, v6
	v_mov_b32_e32 v26, v6
.LBB359_236:
	s_or_b32 exec_lo, exec_lo, s0
	v_max_f32_e32 v1, v9, v9
	v_max_f32_e32 v14, v8, v8
	v_cmp_u_f16_e32 vcc_lo, v6, v6
	v_min_f32_e32 v17, v14, v1
	v_max_f32_e32 v1, v14, v1
	v_cndmask_b32_e32 v14, v17, v8, vcc_lo
	v_cndmask_b32_e32 v1, v1, v8, vcc_lo
	v_cndmask_b32_e64 v14, v14, v9, s1
	v_cndmask_b32_e64 v1, v1, v9, s1
	v_mov_b32_e32 v9, v26
	v_cmp_class_f32_e64 s0, v14, 0x1f8
	v_cmp_neq_f32_e32 vcc_lo, v14, v1
	s_or_b32 s1, vcc_lo, s0
	s_and_saveexec_b32 s0, s1
	s_cbranch_execz .LBB359_238
; %bb.237:
	v_sub_f32_e32 v6, v14, v1
	s_mov_b32 s1, 0x3e9b6dac
	v_mul_f32_e32 v8, 0x3fb8aa3b, v6
	v_cmp_ngt_f32_e32 vcc_lo, 0xc2ce8ed0, v6
	v_fma_f32 v9, 0x3fb8aa3b, v6, -v8
	v_rndne_f32_e32 v14, v8
	v_fmamk_f32 v9, v6, 0x32a5705f, v9
	v_sub_f32_e32 v8, v8, v14
	v_add_f32_e32 v8, v8, v9
	v_cvt_i32_f32_e32 v9, v14
	v_exp_f32_e32 v8, v8
	v_ldexp_f32 v8, v8, v9
	v_cndmask_b32_e32 v8, 0, v8, vcc_lo
	v_cmp_nlt_f32_e32 vcc_lo, 0x42b17218, v6
	v_cndmask_b32_e32 v6, 0x7f800000, v8, vcc_lo
	v_add_f32_e32 v14, 1.0, v6
	v_cvt_f64_f32_e32 v[8:9], v14
	v_frexp_exp_i32_f64_e32 v8, v[8:9]
	v_frexp_mant_f32_e32 v9, v14
	v_cmp_gt_f32_e32 vcc_lo, 0x3f2aaaab, v9
	v_add_f32_e32 v9, -1.0, v14
	v_sub_f32_e32 v18, v9, v14
	v_sub_f32_e32 v9, v6, v9
	v_add_f32_e32 v18, 1.0, v18
	v_add_f32_e32 v9, v9, v18
	v_subrev_co_ci_u32_e64 v8, null, 0, v8, vcc_lo
	v_cmp_neq_f32_e32 vcc_lo, 0x7f800000, v6
	v_sub_nc_u32_e32 v17, 0, v8
	v_cvt_f32_i32_e32 v8, v8
	v_ldexp_f32 v14, v14, v17
	v_ldexp_f32 v9, v9, v17
	v_add_f32_e32 v19, 1.0, v14
	v_add_f32_e32 v17, -1.0, v14
	v_add_f32_e32 v18, -1.0, v19
	v_add_f32_e32 v20, 1.0, v17
	v_sub_f32_e32 v18, v14, v18
	v_sub_f32_e32 v14, v14, v20
	v_add_f32_e32 v18, v9, v18
	v_add_f32_e32 v9, v9, v14
	;; [unrolled: 1-line block ×4, first 2 shown]
	v_rcp_f32_e32 v14, v20
	v_sub_f32_e32 v19, v19, v20
	v_sub_f32_e32 v17, v17, v21
	v_add_f32_e32 v18, v18, v19
	v_add_f32_e32 v9, v9, v17
	v_mul_f32_e32 v22, v21, v14
	v_mul_f32_e32 v23, v20, v22
	v_fma_f32 v19, v22, v20, -v23
	v_fmac_f32_e32 v19, v22, v18
	v_add_f32_e32 v24, v23, v19
	v_sub_f32_e32 v27, v21, v24
	v_sub_f32_e32 v17, v24, v23
	v_sub_f32_e32 v21, v21, v27
	v_sub_f32_e32 v17, v17, v19
	v_sub_f32_e32 v21, v21, v24
	v_add_f32_e32 v9, v9, v21
	v_add_f32_e32 v9, v17, v9
	;; [unrolled: 1-line block ×3, first 2 shown]
	v_mul_f32_e32 v19, v14, v17
	v_sub_f32_e32 v24, v27, v17
	v_mul_f32_e32 v21, v20, v19
	v_add_f32_e32 v9, v9, v24
	v_fma_f32 v20, v19, v20, -v21
	v_fmac_f32_e32 v20, v19, v18
	v_add_f32_e32 v18, v21, v20
	v_sub_f32_e32 v23, v17, v18
	v_sub_f32_e32 v21, v18, v21
	;; [unrolled: 1-line block ×5, first 2 shown]
	v_add_f32_e32 v9, v9, v17
	v_add_f32_e32 v17, v22, v19
	;; [unrolled: 1-line block ×3, first 2 shown]
	v_sub_f32_e32 v18, v17, v22
	v_add_f32_e32 v9, v23, v9
	v_sub_f32_e32 v18, v19, v18
	v_mul_f32_e32 v9, v14, v9
	v_add_f32_e32 v9, v18, v9
	v_add_f32_e32 v14, v17, v9
	v_mul_f32_e32 v18, v14, v14
	v_fmaak_f32 v19, s1, v18, 0x3ecc95a3
	v_mul_f32_e32 v20, v14, v18
	v_fmaak_f32 v18, v18, v19, 0x3f2aaada
	v_ldexp_f32 v19, v14, 1
	v_sub_f32_e32 v14, v14, v17
	v_mul_f32_e32 v18, v20, v18
	v_mul_f32_e32 v20, 0x3f317218, v8
	v_sub_f32_e32 v9, v9, v14
	v_add_f32_e32 v17, v19, v18
	v_ldexp_f32 v9, v9, 1
	v_sub_f32_e32 v14, v17, v19
	v_fma_f32 v19, 0x3f317218, v8, -v20
	v_sub_f32_e32 v14, v18, v14
	v_fmamk_f32 v8, v8, 0xb102e308, v19
	v_add_f32_e32 v9, v9, v14
	v_add_f32_e32 v14, v20, v8
	;; [unrolled: 1-line block ×3, first 2 shown]
	v_sub_f32_e32 v20, v14, v20
	v_add_f32_e32 v19, v14, v18
	v_sub_f32_e32 v17, v18, v17
	v_sub_f32_e32 v8, v8, v20
	;; [unrolled: 1-line block ×6, first 2 shown]
	v_add_f32_e32 v18, v8, v9
	v_sub_f32_e32 v14, v14, v22
	v_add_f32_e32 v14, v17, v14
	v_sub_f32_e32 v17, v18, v8
	;; [unrolled: 2-line block ×3, first 2 shown]
	v_sub_f32_e32 v9, v9, v17
	v_add_f32_e32 v20, v19, v14
	v_sub_f32_e32 v8, v8, v18
	v_sub_f32_e32 v17, v20, v19
	v_add_f32_e32 v8, v9, v8
	v_sub_f32_e32 v9, v14, v17
	v_add_f32_e32 v8, v8, v9
	v_add_f32_e32 v8, v20, v8
	v_cndmask_b32_e32 v8, 0x7f800000, v8, vcc_lo
	v_cmp_gt_f32_e64 vcc_lo, 0x33800000, |v6|
	v_cndmask_b32_e32 v6, v8, v6, vcc_lo
	v_add_f32_e32 v1, v1, v6
	v_cvt_f16_f32_e32 v6, v1
	v_cvt_f32_f16_e32 v8, v6
	v_mov_b32_e32 v9, v6
.LBB359_238:
	s_or_b32 exec_lo, exec_lo, s0
	v_max_f32_e32 v1, v2, v2
	v_max_f32_e32 v14, v8, v8
	v_cmp_u_f16_e32 vcc_lo, v6, v6
	v_min_f32_e32 v17, v14, v1
	v_max_f32_e32 v1, v14, v1
	v_cndmask_b32_e32 v14, v17, v8, vcc_lo
	v_cndmask_b32_e32 v1, v1, v8, vcc_lo
	v_mov_b32_e32 v17, v9
	v_cndmask_b32_e64 v14, v14, v2, s2
	v_cndmask_b32_e64 v1, v1, v2, s2
	v_cmp_class_f32_e64 s0, v14, 0x1f8
	v_cmp_neq_f32_e32 vcc_lo, v14, v1
	s_or_b32 s1, vcc_lo, s0
	s_and_saveexec_b32 s0, s1
	s_cbranch_execz .LBB359_240
; %bb.239:
	v_sub_f32_e32 v2, v14, v1
	s_mov_b32 s1, 0x3e9b6dac
	v_mul_f32_e32 v6, 0x3fb8aa3b, v2
	v_cmp_ngt_f32_e32 vcc_lo, 0xc2ce8ed0, v2
	v_fma_f32 v8, 0x3fb8aa3b, v2, -v6
	v_rndne_f32_e32 v14, v6
	v_fmamk_f32 v8, v2, 0x32a5705f, v8
	v_sub_f32_e32 v6, v6, v14
	v_add_f32_e32 v6, v6, v8
	v_cvt_i32_f32_e32 v8, v14
	v_exp_f32_e32 v6, v6
	v_ldexp_f32 v6, v6, v8
	v_cndmask_b32_e32 v6, 0, v6, vcc_lo
	v_cmp_nlt_f32_e32 vcc_lo, 0x42b17218, v2
	v_cndmask_b32_e32 v2, 0x7f800000, v6, vcc_lo
	v_add_f32_e32 v6, 1.0, v2
	v_cvt_f64_f32_e32 v[17:18], v6
	v_frexp_mant_f32_e32 v14, v6
	v_cmp_gt_f32_e32 vcc_lo, 0x3f2aaaab, v14
	v_add_f32_e32 v14, -1.0, v6
	v_frexp_exp_i32_f64_e32 v8, v[17:18]
	v_sub_f32_e32 v18, v14, v6
	v_sub_f32_e32 v14, v2, v14
	v_add_f32_e32 v18, 1.0, v18
	v_add_f32_e32 v14, v14, v18
	v_subrev_co_ci_u32_e64 v8, null, 0, v8, vcc_lo
	v_cmp_neq_f32_e32 vcc_lo, 0x7f800000, v2
	v_sub_nc_u32_e32 v17, 0, v8
	v_cvt_f32_i32_e32 v8, v8
	v_ldexp_f32 v6, v6, v17
	v_ldexp_f32 v14, v14, v17
	v_add_f32_e32 v19, 1.0, v6
	v_add_f32_e32 v17, -1.0, v6
	v_add_f32_e32 v18, -1.0, v19
	v_add_f32_e32 v20, 1.0, v17
	v_sub_f32_e32 v18, v6, v18
	v_sub_f32_e32 v6, v6, v20
	v_add_f32_e32 v18, v14, v18
	v_add_f32_e32 v6, v14, v6
	;; [unrolled: 1-line block ×4, first 2 shown]
	v_rcp_f32_e32 v14, v20
	v_sub_f32_e32 v19, v19, v20
	v_sub_f32_e32 v17, v17, v21
	v_add_f32_e32 v18, v18, v19
	v_add_f32_e32 v6, v6, v17
	v_mul_f32_e32 v22, v21, v14
	v_mul_f32_e32 v23, v20, v22
	v_fma_f32 v19, v22, v20, -v23
	v_fmac_f32_e32 v19, v22, v18
	v_add_f32_e32 v24, v23, v19
	v_sub_f32_e32 v27, v21, v24
	v_sub_f32_e32 v17, v24, v23
	v_sub_f32_e32 v21, v21, v27
	v_sub_f32_e32 v17, v17, v19
	v_sub_f32_e32 v21, v21, v24
	v_add_f32_e32 v6, v6, v21
	v_add_f32_e32 v6, v17, v6
	;; [unrolled: 1-line block ×3, first 2 shown]
	v_mul_f32_e32 v19, v14, v17
	v_sub_f32_e32 v24, v27, v17
	v_mul_f32_e32 v21, v20, v19
	v_add_f32_e32 v6, v6, v24
	v_fma_f32 v20, v19, v20, -v21
	v_fmac_f32_e32 v20, v19, v18
	v_add_f32_e32 v18, v21, v20
	v_sub_f32_e32 v23, v17, v18
	v_sub_f32_e32 v21, v18, v21
	;; [unrolled: 1-line block ×5, first 2 shown]
	v_add_f32_e32 v6, v6, v17
	v_add_f32_e32 v17, v22, v19
	;; [unrolled: 1-line block ×3, first 2 shown]
	v_sub_f32_e32 v18, v17, v22
	v_add_f32_e32 v6, v23, v6
	v_sub_f32_e32 v18, v19, v18
	v_mul_f32_e32 v6, v14, v6
	v_add_f32_e32 v6, v18, v6
	v_add_f32_e32 v14, v17, v6
	v_mul_f32_e32 v18, v14, v14
	v_fmaak_f32 v19, s1, v18, 0x3ecc95a3
	v_mul_f32_e32 v20, v14, v18
	v_fmaak_f32 v18, v18, v19, 0x3f2aaada
	v_ldexp_f32 v19, v14, 1
	v_sub_f32_e32 v14, v14, v17
	v_mul_f32_e32 v18, v20, v18
	v_mul_f32_e32 v20, 0x3f317218, v8
	v_sub_f32_e32 v6, v6, v14
	v_add_f32_e32 v17, v19, v18
	v_ldexp_f32 v6, v6, 1
	v_sub_f32_e32 v14, v17, v19
	v_fma_f32 v19, 0x3f317218, v8, -v20
	v_sub_f32_e32 v14, v18, v14
	v_fmamk_f32 v8, v8, 0xb102e308, v19
	v_add_f32_e32 v6, v6, v14
	v_add_f32_e32 v14, v20, v8
	;; [unrolled: 1-line block ×3, first 2 shown]
	v_sub_f32_e32 v20, v14, v20
	v_add_f32_e32 v19, v14, v18
	v_sub_f32_e32 v17, v18, v17
	v_sub_f32_e32 v8, v8, v20
	;; [unrolled: 1-line block ×6, first 2 shown]
	v_add_f32_e32 v18, v8, v6
	v_sub_f32_e32 v14, v14, v22
	v_add_f32_e32 v14, v17, v14
	v_sub_f32_e32 v17, v18, v8
	;; [unrolled: 2-line block ×3, first 2 shown]
	v_sub_f32_e32 v6, v6, v17
	v_add_f32_e32 v20, v19, v14
	v_sub_f32_e32 v8, v8, v18
	v_sub_f32_e32 v17, v20, v19
	v_add_f32_e32 v6, v6, v8
	v_sub_f32_e32 v8, v14, v17
	v_add_f32_e32 v6, v6, v8
	v_add_f32_e32 v6, v20, v6
	v_cndmask_b32_e32 v6, 0x7f800000, v6, vcc_lo
	v_cmp_gt_f32_e64 vcc_lo, 0x33800000, |v2|
	v_cndmask_b32_e32 v2, v6, v2, vcc_lo
	v_add_f32_e32 v1, v1, v2
	v_cvt_f16_f32_e32 v6, v1
	v_cvt_f32_f16_e32 v8, v6
	v_mov_b32_e32 v17, v6
.LBB359_240:
	s_or_b32 exec_lo, exec_lo, s0
	v_max_f32_e32 v1, v10, v10
	v_max_f32_e32 v2, v8, v8
	v_cmp_u_f16_e32 vcc_lo, v6, v6
	v_min_f32_e32 v14, v2, v1
	v_max_f32_e32 v1, v2, v1
	v_cndmask_b32_e32 v2, v14, v8, vcc_lo
	v_cndmask_b32_e32 v1, v1, v8, vcc_lo
	v_cndmask_b32_e64 v2, v2, v10, s3
	v_cndmask_b32_e64 v1, v1, v10, s3
	v_mov_b32_e32 v10, v17
	v_cmp_class_f32_e64 s0, v2, 0x1f8
	v_cmp_neq_f32_e32 vcc_lo, v2, v1
	s_or_b32 s1, vcc_lo, s0
	s_and_saveexec_b32 s0, s1
	s_cbranch_execz .LBB359_242
; %bb.241:
	v_sub_f32_e32 v2, v2, v1
	s_mov_b32 s1, 0x3e9b6dac
	v_mul_f32_e32 v6, 0x3fb8aa3b, v2
	v_cmp_ngt_f32_e32 vcc_lo, 0xc2ce8ed0, v2
	v_fma_f32 v8, 0x3fb8aa3b, v2, -v6
	v_rndne_f32_e32 v10, v6
	v_fmamk_f32 v8, v2, 0x32a5705f, v8
	v_sub_f32_e32 v6, v6, v10
	v_add_f32_e32 v6, v6, v8
	v_cvt_i32_f32_e32 v8, v10
	v_exp_f32_e32 v6, v6
	v_ldexp_f32 v6, v6, v8
	v_cndmask_b32_e32 v6, 0, v6, vcc_lo
	v_cmp_nlt_f32_e32 vcc_lo, 0x42b17218, v2
	v_cndmask_b32_e32 v2, 0x7f800000, v6, vcc_lo
	v_add_f32_e32 v6, 1.0, v2
	v_cvt_f64_f32_e32 v[18:19], v6
	v_frexp_mant_f32_e32 v10, v6
	v_cmp_gt_f32_e32 vcc_lo, 0x3f2aaaab, v10
	v_add_f32_e32 v10, -1.0, v6
	v_frexp_exp_i32_f64_e32 v8, v[18:19]
	v_sub_f32_e32 v18, v10, v6
	v_sub_f32_e32 v10, v2, v10
	v_add_f32_e32 v18, 1.0, v18
	v_add_f32_e32 v10, v10, v18
	v_subrev_co_ci_u32_e64 v8, null, 0, v8, vcc_lo
	v_cmp_neq_f32_e32 vcc_lo, 0x7f800000, v2
	v_sub_nc_u32_e32 v14, 0, v8
	v_cvt_f32_i32_e32 v8, v8
	v_ldexp_f32 v6, v6, v14
	v_ldexp_f32 v10, v10, v14
	v_add_f32_e32 v19, 1.0, v6
	v_add_f32_e32 v14, -1.0, v6
	v_add_f32_e32 v18, -1.0, v19
	v_add_f32_e32 v20, 1.0, v14
	v_sub_f32_e32 v18, v6, v18
	v_sub_f32_e32 v6, v6, v20
	v_add_f32_e32 v18, v10, v18
	v_add_f32_e32 v6, v10, v6
	;; [unrolled: 1-line block ×4, first 2 shown]
	v_rcp_f32_e32 v10, v20
	v_sub_f32_e32 v19, v19, v20
	v_sub_f32_e32 v14, v14, v21
	v_add_f32_e32 v18, v18, v19
	v_add_f32_e32 v6, v6, v14
	v_mul_f32_e32 v22, v21, v10
	v_mul_f32_e32 v23, v20, v22
	v_fma_f32 v19, v22, v20, -v23
	v_fmac_f32_e32 v19, v22, v18
	v_add_f32_e32 v24, v23, v19
	v_sub_f32_e32 v27, v21, v24
	v_sub_f32_e32 v14, v24, v23
	;; [unrolled: 1-line block ×5, first 2 shown]
	v_add_f32_e32 v6, v6, v21
	v_add_f32_e32 v6, v14, v6
	;; [unrolled: 1-line block ×3, first 2 shown]
	v_mul_f32_e32 v19, v10, v14
	v_sub_f32_e32 v24, v27, v14
	v_mul_f32_e32 v21, v20, v19
	v_add_f32_e32 v6, v6, v24
	v_fma_f32 v20, v19, v20, -v21
	v_fmac_f32_e32 v20, v19, v18
	v_add_f32_e32 v18, v21, v20
	v_sub_f32_e32 v23, v14, v18
	v_sub_f32_e32 v21, v18, v21
	;; [unrolled: 1-line block ×5, first 2 shown]
	v_add_f32_e32 v6, v6, v14
	v_add_f32_e32 v14, v22, v19
	;; [unrolled: 1-line block ×3, first 2 shown]
	v_sub_f32_e32 v18, v14, v22
	v_add_f32_e32 v6, v23, v6
	v_sub_f32_e32 v18, v19, v18
	v_mul_f32_e32 v6, v10, v6
	v_add_f32_e32 v6, v18, v6
	v_add_f32_e32 v10, v14, v6
	v_mul_f32_e32 v18, v10, v10
	v_fmaak_f32 v19, s1, v18, 0x3ecc95a3
	v_mul_f32_e32 v20, v10, v18
	v_fmaak_f32 v18, v18, v19, 0x3f2aaada
	v_ldexp_f32 v19, v10, 1
	v_sub_f32_e32 v10, v10, v14
	v_mul_f32_e32 v18, v20, v18
	v_mul_f32_e32 v20, 0x3f317218, v8
	v_sub_f32_e32 v6, v6, v10
	v_add_f32_e32 v14, v19, v18
	v_ldexp_f32 v6, v6, 1
	v_sub_f32_e32 v10, v14, v19
	v_fma_f32 v19, 0x3f317218, v8, -v20
	v_sub_f32_e32 v10, v18, v10
	v_fmamk_f32 v8, v8, 0xb102e308, v19
	v_add_f32_e32 v6, v6, v10
	v_add_f32_e32 v10, v20, v8
	;; [unrolled: 1-line block ×3, first 2 shown]
	v_sub_f32_e32 v20, v10, v20
	v_add_f32_e32 v19, v10, v18
	v_sub_f32_e32 v14, v18, v14
	v_sub_f32_e32 v8, v8, v20
	;; [unrolled: 1-line block ×6, first 2 shown]
	v_add_f32_e32 v18, v8, v6
	v_sub_f32_e32 v10, v10, v22
	v_add_f32_e32 v10, v14, v10
	v_sub_f32_e32 v14, v18, v8
	;; [unrolled: 2-line block ×3, first 2 shown]
	v_sub_f32_e32 v6, v6, v14
	v_add_f32_e32 v20, v19, v10
	v_sub_f32_e32 v8, v8, v18
	v_sub_f32_e32 v14, v20, v19
	v_add_f32_e32 v6, v6, v8
	v_sub_f32_e32 v8, v10, v14
	v_add_f32_e32 v6, v6, v8
	v_add_f32_e32 v6, v20, v6
	v_cndmask_b32_e32 v6, 0x7f800000, v6, vcc_lo
	v_cmp_gt_f32_e64 vcc_lo, 0x33800000, |v2|
	v_cndmask_b32_e32 v2, v6, v2, vcc_lo
	v_add_f32_e32 v1, v1, v2
	v_cvt_f16_f32_e32 v6, v1
	v_cvt_f32_f16_e32 v8, v6
	v_mov_b32_e32 v10, v6
.LBB359_242:
	s_or_b32 exec_lo, exec_lo, s0
	v_max_f32_e32 v1, v3, v3
	v_max_f32_e32 v2, v8, v8
	v_cmp_u_f16_e32 vcc_lo, v6, v6
	v_mov_b32_e32 v18, v10
	v_min_f32_e32 v14, v2, v1
	v_max_f32_e32 v1, v2, v1
	v_cndmask_b32_e32 v2, v14, v8, vcc_lo
	v_cndmask_b32_e32 v1, v1, v8, vcc_lo
	v_cndmask_b32_e64 v2, v2, v3, s4
	v_cndmask_b32_e64 v1, v1, v3, s4
	v_cmp_class_f32_e64 s0, v2, 0x1f8
	v_cmp_neq_f32_e32 vcc_lo, v2, v1
	s_or_b32 s1, vcc_lo, s0
	s_and_saveexec_b32 s0, s1
	s_cbranch_execz .LBB359_244
; %bb.243:
	v_sub_f32_e32 v2, v2, v1
	s_mov_b32 s1, 0x3e9b6dac
	v_mul_f32_e32 v3, 0x3fb8aa3b, v2
	v_cmp_ngt_f32_e32 vcc_lo, 0xc2ce8ed0, v2
	v_fma_f32 v6, 0x3fb8aa3b, v2, -v3
	v_rndne_f32_e32 v8, v3
	v_fmamk_f32 v6, v2, 0x32a5705f, v6
	v_sub_f32_e32 v3, v3, v8
	v_add_f32_e32 v3, v3, v6
	v_cvt_i32_f32_e32 v6, v8
	v_exp_f32_e32 v3, v3
	v_ldexp_f32 v3, v3, v6
	v_cndmask_b32_e32 v3, 0, v3, vcc_lo
	v_cmp_nlt_f32_e32 vcc_lo, 0x42b17218, v2
	v_cndmask_b32_e32 v6, 0x7f800000, v3, vcc_lo
	v_add_f32_e32 v8, 1.0, v6
	v_cvt_f64_f32_e32 v[2:3], v8
	v_frexp_exp_i32_f64_e32 v2, v[2:3]
	v_frexp_mant_f32_e32 v3, v8
	v_cmp_gt_f32_e32 vcc_lo, 0x3f2aaaab, v3
	v_add_f32_e32 v3, -1.0, v8
	v_sub_f32_e32 v18, v3, v8
	v_sub_f32_e32 v3, v6, v3
	v_add_f32_e32 v18, 1.0, v18
	v_add_f32_e32 v3, v3, v18
	v_subrev_co_ci_u32_e64 v2, null, 0, v2, vcc_lo
	v_cmp_neq_f32_e32 vcc_lo, 0x7f800000, v6
	v_sub_nc_u32_e32 v14, 0, v2
	v_cvt_f32_i32_e32 v2, v2
	v_ldexp_f32 v8, v8, v14
	v_ldexp_f32 v3, v3, v14
	v_add_f32_e32 v19, 1.0, v8
	v_add_f32_e32 v14, -1.0, v8
	v_add_f32_e32 v18, -1.0, v19
	v_add_f32_e32 v20, 1.0, v14
	v_sub_f32_e32 v18, v8, v18
	v_sub_f32_e32 v8, v8, v20
	v_add_f32_e32 v18, v3, v18
	v_add_f32_e32 v3, v3, v8
	;; [unrolled: 1-line block ×4, first 2 shown]
	v_rcp_f32_e32 v8, v20
	v_sub_f32_e32 v19, v19, v20
	v_sub_f32_e32 v14, v14, v21
	v_add_f32_e32 v18, v18, v19
	v_add_f32_e32 v3, v3, v14
	v_mul_f32_e32 v22, v21, v8
	v_mul_f32_e32 v23, v20, v22
	v_fma_f32 v19, v22, v20, -v23
	v_fmac_f32_e32 v19, v22, v18
	v_add_f32_e32 v24, v23, v19
	v_sub_f32_e32 v27, v21, v24
	v_sub_f32_e32 v14, v24, v23
	;; [unrolled: 1-line block ×5, first 2 shown]
	v_add_f32_e32 v3, v3, v21
	v_add_f32_e32 v3, v14, v3
	;; [unrolled: 1-line block ×3, first 2 shown]
	v_mul_f32_e32 v19, v8, v14
	v_sub_f32_e32 v24, v27, v14
	v_mul_f32_e32 v21, v20, v19
	v_add_f32_e32 v3, v3, v24
	v_fma_f32 v20, v19, v20, -v21
	v_fmac_f32_e32 v20, v19, v18
	v_add_f32_e32 v18, v21, v20
	v_sub_f32_e32 v23, v14, v18
	v_sub_f32_e32 v21, v18, v21
	;; [unrolled: 1-line block ×5, first 2 shown]
	v_add_f32_e32 v3, v3, v14
	v_add_f32_e32 v14, v22, v19
	;; [unrolled: 1-line block ×3, first 2 shown]
	v_sub_f32_e32 v18, v14, v22
	v_add_f32_e32 v3, v23, v3
	v_sub_f32_e32 v18, v19, v18
	v_mul_f32_e32 v3, v8, v3
	v_add_f32_e32 v3, v18, v3
	v_add_f32_e32 v8, v14, v3
	v_mul_f32_e32 v18, v8, v8
	v_fmaak_f32 v19, s1, v18, 0x3ecc95a3
	v_mul_f32_e32 v20, v8, v18
	v_fmaak_f32 v18, v18, v19, 0x3f2aaada
	v_ldexp_f32 v19, v8, 1
	v_sub_f32_e32 v8, v8, v14
	v_mul_f32_e32 v18, v20, v18
	v_mul_f32_e32 v20, 0x3f317218, v2
	v_sub_f32_e32 v3, v3, v8
	v_add_f32_e32 v14, v19, v18
	v_ldexp_f32 v3, v3, 1
	v_sub_f32_e32 v8, v14, v19
	v_fma_f32 v19, 0x3f317218, v2, -v20
	v_sub_f32_e32 v8, v18, v8
	v_fmamk_f32 v2, v2, 0xb102e308, v19
	v_add_f32_e32 v3, v3, v8
	v_add_f32_e32 v8, v20, v2
	;; [unrolled: 1-line block ×3, first 2 shown]
	v_sub_f32_e32 v20, v8, v20
	v_add_f32_e32 v19, v8, v18
	v_sub_f32_e32 v14, v18, v14
	v_sub_f32_e32 v2, v2, v20
	v_sub_f32_e32 v21, v19, v8
	v_sub_f32_e32 v3, v3, v14
	v_sub_f32_e32 v22, v19, v21
	v_sub_f32_e32 v14, v18, v21
	v_add_f32_e32 v18, v2, v3
	v_sub_f32_e32 v8, v8, v22
	v_add_f32_e32 v8, v14, v8
	v_sub_f32_e32 v14, v18, v2
	;; [unrolled: 2-line block ×3, first 2 shown]
	v_sub_f32_e32 v3, v3, v14
	v_add_f32_e32 v20, v19, v8
	v_sub_f32_e32 v2, v2, v18
	v_sub_f32_e32 v14, v20, v19
	v_add_f32_e32 v2, v3, v2
	v_sub_f32_e32 v3, v8, v14
	v_add_f32_e32 v2, v2, v3
	v_add_f32_e32 v2, v20, v2
	v_cndmask_b32_e32 v2, 0x7f800000, v2, vcc_lo
	v_cmp_gt_f32_e64 vcc_lo, 0x33800000, |v6|
	v_cndmask_b32_e32 v2, v2, v6, vcc_lo
	v_add_f32_e32 v1, v1, v2
	v_cvt_f16_f32_e32 v6, v1
	v_cvt_f32_f16_e32 v8, v6
	v_mov_b32_e32 v18, v6
.LBB359_244:
	s_or_b32 exec_lo, exec_lo, s0
	v_max_f32_e32 v1, v11, v11
	v_max_f32_e32 v2, v8, v8
	v_cmp_u_f16_e32 vcc_lo, v6, v6
	v_min_f32_e32 v3, v2, v1
	v_max_f32_e32 v1, v2, v1
	v_cndmask_b32_e32 v2, v3, v8, vcc_lo
	v_cndmask_b32_e32 v1, v1, v8, vcc_lo
	v_cndmask_b32_e64 v2, v2, v11, s5
	v_cndmask_b32_e64 v1, v1, v11, s5
	v_mov_b32_e32 v11, v18
	v_cmp_class_f32_e64 s0, v2, 0x1f8
	v_cmp_neq_f32_e32 vcc_lo, v2, v1
	s_or_b32 s1, vcc_lo, s0
	s_and_saveexec_b32 s0, s1
	s_cbranch_execz .LBB359_246
; %bb.245:
	v_sub_f32_e32 v2, v2, v1
	s_mov_b32 s1, 0x3e9b6dac
	v_mul_f32_e32 v3, 0x3fb8aa3b, v2
	v_cmp_ngt_f32_e32 vcc_lo, 0xc2ce8ed0, v2
	v_fma_f32 v6, 0x3fb8aa3b, v2, -v3
	v_rndne_f32_e32 v8, v3
	v_fmamk_f32 v6, v2, 0x32a5705f, v6
	v_sub_f32_e32 v3, v3, v8
	v_add_f32_e32 v3, v3, v6
	v_cvt_i32_f32_e32 v6, v8
	v_exp_f32_e32 v3, v3
	v_ldexp_f32 v3, v3, v6
	v_cndmask_b32_e32 v3, 0, v3, vcc_lo
	v_cmp_nlt_f32_e32 vcc_lo, 0x42b17218, v2
	v_cndmask_b32_e32 v6, 0x7f800000, v3, vcc_lo
	v_add_f32_e32 v8, 1.0, v6
	v_cvt_f64_f32_e32 v[2:3], v8
	v_frexp_exp_i32_f64_e32 v2, v[2:3]
	v_frexp_mant_f32_e32 v3, v8
	v_cmp_gt_f32_e32 vcc_lo, 0x3f2aaaab, v3
	v_add_f32_e32 v3, -1.0, v8
	v_sub_f32_e32 v14, v3, v8
	v_sub_f32_e32 v3, v6, v3
	v_add_f32_e32 v14, 1.0, v14
	v_add_f32_e32 v3, v3, v14
	v_subrev_co_ci_u32_e64 v2, null, 0, v2, vcc_lo
	v_cmp_neq_f32_e32 vcc_lo, 0x7f800000, v6
	v_sub_nc_u32_e32 v11, 0, v2
	v_cvt_f32_i32_e32 v2, v2
	v_ldexp_f32 v8, v8, v11
	v_ldexp_f32 v3, v3, v11
	v_add_f32_e32 v19, 1.0, v8
	v_add_f32_e32 v11, -1.0, v8
	v_add_f32_e32 v14, -1.0, v19
	v_add_f32_e32 v20, 1.0, v11
	v_sub_f32_e32 v14, v8, v14
	v_sub_f32_e32 v8, v8, v20
	v_add_f32_e32 v14, v3, v14
	v_add_f32_e32 v3, v3, v8
	;; [unrolled: 1-line block ×4, first 2 shown]
	v_rcp_f32_e32 v8, v20
	v_sub_f32_e32 v19, v19, v20
	v_sub_f32_e32 v11, v11, v21
	v_add_f32_e32 v14, v14, v19
	v_add_f32_e32 v3, v3, v11
	v_mul_f32_e32 v22, v21, v8
	v_mul_f32_e32 v23, v20, v22
	v_fma_f32 v19, v22, v20, -v23
	v_fmac_f32_e32 v19, v22, v14
	v_add_f32_e32 v24, v23, v19
	v_sub_f32_e32 v27, v21, v24
	v_sub_f32_e32 v11, v24, v23
	;; [unrolled: 1-line block ×5, first 2 shown]
	v_add_f32_e32 v3, v3, v21
	v_add_f32_e32 v3, v11, v3
	v_add_f32_e32 v11, v27, v3
	v_mul_f32_e32 v19, v8, v11
	v_sub_f32_e32 v24, v27, v11
	v_mul_f32_e32 v21, v20, v19
	v_add_f32_e32 v3, v3, v24
	v_fma_f32 v20, v19, v20, -v21
	v_fmac_f32_e32 v20, v19, v14
	v_add_f32_e32 v14, v21, v20
	v_sub_f32_e32 v23, v11, v14
	v_sub_f32_e32 v21, v14, v21
	;; [unrolled: 1-line block ×5, first 2 shown]
	v_add_f32_e32 v3, v3, v11
	v_add_f32_e32 v11, v22, v19
	;; [unrolled: 1-line block ×3, first 2 shown]
	v_sub_f32_e32 v14, v11, v22
	v_add_f32_e32 v3, v23, v3
	v_sub_f32_e32 v14, v19, v14
	v_mul_f32_e32 v3, v8, v3
	v_add_f32_e32 v3, v14, v3
	v_add_f32_e32 v8, v11, v3
	v_mul_f32_e32 v14, v8, v8
	v_fmaak_f32 v19, s1, v14, 0x3ecc95a3
	v_mul_f32_e32 v20, v8, v14
	v_fmaak_f32 v14, v14, v19, 0x3f2aaada
	v_ldexp_f32 v19, v8, 1
	v_sub_f32_e32 v8, v8, v11
	v_mul_f32_e32 v14, v20, v14
	v_mul_f32_e32 v20, 0x3f317218, v2
	v_sub_f32_e32 v3, v3, v8
	v_add_f32_e32 v11, v19, v14
	v_ldexp_f32 v3, v3, 1
	v_sub_f32_e32 v8, v11, v19
	v_fma_f32 v19, 0x3f317218, v2, -v20
	v_sub_f32_e32 v8, v14, v8
	v_fmamk_f32 v2, v2, 0xb102e308, v19
	v_add_f32_e32 v3, v3, v8
	v_add_f32_e32 v8, v20, v2
	;; [unrolled: 1-line block ×3, first 2 shown]
	v_sub_f32_e32 v20, v8, v20
	v_add_f32_e32 v19, v8, v14
	v_sub_f32_e32 v11, v14, v11
	v_sub_f32_e32 v2, v2, v20
	;; [unrolled: 1-line block ×6, first 2 shown]
	v_add_f32_e32 v14, v2, v3
	v_sub_f32_e32 v8, v8, v22
	v_add_f32_e32 v8, v11, v8
	v_sub_f32_e32 v11, v14, v2
	;; [unrolled: 2-line block ×3, first 2 shown]
	v_sub_f32_e32 v3, v3, v11
	v_add_f32_e32 v20, v19, v8
	v_sub_f32_e32 v2, v2, v14
	v_sub_f32_e32 v11, v20, v19
	v_add_f32_e32 v2, v3, v2
	v_sub_f32_e32 v3, v8, v11
	v_add_f32_e32 v2, v2, v3
	v_add_f32_e32 v2, v20, v2
	v_cndmask_b32_e32 v2, 0x7f800000, v2, vcc_lo
	v_cmp_gt_f32_e64 vcc_lo, 0x33800000, |v6|
	v_cndmask_b32_e32 v2, v2, v6, vcc_lo
	v_add_f32_e32 v1, v1, v2
	v_cvt_f16_f32_e32 v6, v1
	v_cvt_f32_f16_e32 v8, v6
	v_mov_b32_e32 v11, v6
.LBB359_246:
	s_or_b32 exec_lo, exec_lo, s0
	v_max_f32_e32 v1, v4, v4
	v_max_f32_e32 v2, v8, v8
	v_cmp_u_f16_e32 vcc_lo, v6, v6
	v_mov_b32_e32 v19, v11
	v_min_f32_e32 v3, v2, v1
	v_max_f32_e32 v1, v2, v1
	v_cndmask_b32_e32 v2, v3, v8, vcc_lo
	v_cndmask_b32_e32 v1, v1, v8, vcc_lo
	v_cndmask_b32_e64 v2, v2, v4, s6
	v_cndmask_b32_e64 v1, v1, v4, s6
	v_cmp_class_f32_e64 s0, v2, 0x1f8
	v_cmp_neq_f32_e32 vcc_lo, v2, v1
	s_or_b32 s1, vcc_lo, s0
	s_and_saveexec_b32 s0, s1
	s_cbranch_execz .LBB359_248
; %bb.247:
	v_sub_f32_e32 v2, v2, v1
	s_mov_b32 s1, 0x3e9b6dac
	v_mul_f32_e32 v3, 0x3fb8aa3b, v2
	v_cmp_ngt_f32_e32 vcc_lo, 0xc2ce8ed0, v2
	v_fma_f32 v4, 0x3fb8aa3b, v2, -v3
	v_rndne_f32_e32 v6, v3
	v_fmamk_f32 v4, v2, 0x32a5705f, v4
	v_sub_f32_e32 v3, v3, v6
	v_add_f32_e32 v3, v3, v4
	v_cvt_i32_f32_e32 v4, v6
	v_exp_f32_e32 v3, v3
	v_ldexp_f32 v3, v3, v4
	v_cndmask_b32_e32 v3, 0, v3, vcc_lo
	v_cmp_nlt_f32_e32 vcc_lo, 0x42b17218, v2
	v_cndmask_b32_e32 v4, 0x7f800000, v3, vcc_lo
	v_add_f32_e32 v6, 1.0, v4
	v_cvt_f64_f32_e32 v[2:3], v6
	v_frexp_exp_i32_f64_e32 v2, v[2:3]
	v_frexp_mant_f32_e32 v3, v6
	v_cmp_gt_f32_e32 vcc_lo, 0x3f2aaaab, v3
	v_add_f32_e32 v3, -1.0, v6
	v_sub_f32_e32 v14, v3, v6
	v_sub_f32_e32 v3, v4, v3
	v_add_f32_e32 v14, 1.0, v14
	v_add_f32_e32 v3, v3, v14
	v_subrev_co_ci_u32_e64 v2, null, 0, v2, vcc_lo
	v_cmp_neq_f32_e32 vcc_lo, 0x7f800000, v4
	v_sub_nc_u32_e32 v8, 0, v2
	v_cvt_f32_i32_e32 v2, v2
	v_ldexp_f32 v6, v6, v8
	v_ldexp_f32 v3, v3, v8
	v_add_f32_e32 v19, 1.0, v6
	v_add_f32_e32 v8, -1.0, v6
	v_add_f32_e32 v14, -1.0, v19
	v_add_f32_e32 v20, 1.0, v8
	v_sub_f32_e32 v14, v6, v14
	v_sub_f32_e32 v6, v6, v20
	v_add_f32_e32 v14, v3, v14
	v_add_f32_e32 v3, v3, v6
	;; [unrolled: 1-line block ×4, first 2 shown]
	v_rcp_f32_e32 v6, v20
	v_sub_f32_e32 v19, v19, v20
	v_sub_f32_e32 v8, v8, v21
	v_add_f32_e32 v14, v14, v19
	v_add_f32_e32 v3, v3, v8
	v_mul_f32_e32 v22, v21, v6
	v_mul_f32_e32 v23, v20, v22
	v_fma_f32 v19, v22, v20, -v23
	v_fmac_f32_e32 v19, v22, v14
	v_add_f32_e32 v24, v23, v19
	v_sub_f32_e32 v27, v21, v24
	v_sub_f32_e32 v8, v24, v23
	;; [unrolled: 1-line block ×5, first 2 shown]
	v_add_f32_e32 v3, v3, v21
	v_add_f32_e32 v3, v8, v3
	;; [unrolled: 1-line block ×3, first 2 shown]
	v_mul_f32_e32 v19, v6, v8
	v_sub_f32_e32 v24, v27, v8
	v_mul_f32_e32 v21, v20, v19
	v_add_f32_e32 v3, v3, v24
	v_fma_f32 v20, v19, v20, -v21
	v_fmac_f32_e32 v20, v19, v14
	v_add_f32_e32 v14, v21, v20
	v_sub_f32_e32 v23, v8, v14
	v_sub_f32_e32 v21, v14, v21
	;; [unrolled: 1-line block ×5, first 2 shown]
	v_add_f32_e32 v3, v3, v8
	v_add_f32_e32 v8, v22, v19
	;; [unrolled: 1-line block ×3, first 2 shown]
	v_sub_f32_e32 v14, v8, v22
	v_add_f32_e32 v3, v23, v3
	v_sub_f32_e32 v14, v19, v14
	v_mul_f32_e32 v3, v6, v3
	v_add_f32_e32 v3, v14, v3
	v_add_f32_e32 v6, v8, v3
	v_mul_f32_e32 v14, v6, v6
	v_fmaak_f32 v19, s1, v14, 0x3ecc95a3
	v_mul_f32_e32 v20, v6, v14
	v_fmaak_f32 v14, v14, v19, 0x3f2aaada
	v_ldexp_f32 v19, v6, 1
	v_sub_f32_e32 v6, v6, v8
	v_mul_f32_e32 v14, v20, v14
	v_mul_f32_e32 v20, 0x3f317218, v2
	v_sub_f32_e32 v3, v3, v6
	v_add_f32_e32 v8, v19, v14
	v_ldexp_f32 v3, v3, 1
	v_sub_f32_e32 v6, v8, v19
	v_fma_f32 v19, 0x3f317218, v2, -v20
	v_sub_f32_e32 v6, v14, v6
	v_fmamk_f32 v2, v2, 0xb102e308, v19
	v_add_f32_e32 v3, v3, v6
	v_add_f32_e32 v6, v20, v2
	;; [unrolled: 1-line block ×3, first 2 shown]
	v_sub_f32_e32 v20, v6, v20
	v_add_f32_e32 v19, v6, v14
	v_sub_f32_e32 v8, v14, v8
	v_sub_f32_e32 v2, v2, v20
	;; [unrolled: 1-line block ×6, first 2 shown]
	v_add_f32_e32 v14, v2, v3
	v_sub_f32_e32 v6, v6, v22
	v_add_f32_e32 v6, v8, v6
	v_sub_f32_e32 v8, v14, v2
	;; [unrolled: 2-line block ×3, first 2 shown]
	v_sub_f32_e32 v3, v3, v8
	v_add_f32_e32 v20, v19, v6
	v_sub_f32_e32 v2, v2, v14
	v_sub_f32_e32 v8, v20, v19
	v_add_f32_e32 v2, v3, v2
	v_sub_f32_e32 v3, v6, v8
	v_add_f32_e32 v2, v2, v3
	v_add_f32_e32 v2, v20, v2
	v_cndmask_b32_e32 v2, 0x7f800000, v2, vcc_lo
	v_cmp_gt_f32_e64 vcc_lo, 0x33800000, |v4|
	v_cndmask_b32_e32 v2, v2, v4, vcc_lo
	v_add_f32_e32 v1, v1, v2
	v_cvt_f16_f32_e32 v6, v1
	v_cvt_f32_f16_e32 v8, v6
	v_mov_b32_e32 v19, v6
.LBB359_248:
	s_or_b32 exec_lo, exec_lo, s0
	v_max_f32_e32 v1, v15, v15
	v_max_f32_e32 v2, v8, v8
	v_cmp_u_f16_e32 vcc_lo, v6, v6
	v_min_f32_e32 v3, v2, v1
	v_max_f32_e32 v1, v2, v1
	v_cndmask_b32_e32 v2, v3, v8, vcc_lo
	v_cndmask_b32_e32 v1, v1, v8, vcc_lo
	v_cndmask_b32_e64 v2, v2, v15, s7
	v_cndmask_b32_e64 v1, v1, v15, s7
	v_mov_b32_e32 v15, v19
	v_cmp_class_f32_e64 s0, v2, 0x1f8
	v_cmp_neq_f32_e32 vcc_lo, v2, v1
	s_or_b32 s1, vcc_lo, s0
	s_and_saveexec_b32 s0, s1
	s_cbranch_execz .LBB359_250
; %bb.249:
	v_sub_f32_e32 v2, v2, v1
	s_mov_b32 s1, 0x3e9b6dac
	v_mul_f32_e32 v3, 0x3fb8aa3b, v2
	v_cmp_ngt_f32_e32 vcc_lo, 0xc2ce8ed0, v2
	v_fma_f32 v4, 0x3fb8aa3b, v2, -v3
	v_rndne_f32_e32 v6, v3
	v_fmamk_f32 v4, v2, 0x32a5705f, v4
	v_sub_f32_e32 v3, v3, v6
	v_add_f32_e32 v3, v3, v4
	v_cvt_i32_f32_e32 v4, v6
	v_exp_f32_e32 v3, v3
	v_ldexp_f32 v3, v3, v4
	v_cndmask_b32_e32 v3, 0, v3, vcc_lo
	v_cmp_nlt_f32_e32 vcc_lo, 0x42b17218, v2
	v_cndmask_b32_e32 v4, 0x7f800000, v3, vcc_lo
	v_add_f32_e32 v6, 1.0, v4
	v_cvt_f64_f32_e32 v[2:3], v6
	v_frexp_exp_i32_f64_e32 v2, v[2:3]
	v_frexp_mant_f32_e32 v3, v6
	v_cmp_gt_f32_e32 vcc_lo, 0x3f2aaaab, v3
	v_add_f32_e32 v3, -1.0, v6
	v_sub_f32_e32 v14, v3, v6
	v_sub_f32_e32 v3, v4, v3
	v_add_f32_e32 v14, 1.0, v14
	v_add_f32_e32 v3, v3, v14
	v_subrev_co_ci_u32_e64 v2, null, 0, v2, vcc_lo
	v_cmp_neq_f32_e32 vcc_lo, 0x7f800000, v4
	v_sub_nc_u32_e32 v8, 0, v2
	v_cvt_f32_i32_e32 v2, v2
	v_ldexp_f32 v6, v6, v8
	v_ldexp_f32 v3, v3, v8
	v_add_f32_e32 v15, 1.0, v6
	v_add_f32_e32 v8, -1.0, v6
	v_add_f32_e32 v14, -1.0, v15
	v_add_f32_e32 v20, 1.0, v8
	v_sub_f32_e32 v14, v6, v14
	v_sub_f32_e32 v6, v6, v20
	v_add_f32_e32 v14, v3, v14
	v_add_f32_e32 v3, v3, v6
	v_add_f32_e32 v20, v15, v14
	v_add_f32_e32 v21, v8, v3
	v_rcp_f32_e32 v6, v20
	v_sub_f32_e32 v15, v15, v20
	v_sub_f32_e32 v8, v8, v21
	v_add_f32_e32 v14, v14, v15
	v_add_f32_e32 v3, v3, v8
	v_mul_f32_e32 v22, v21, v6
	v_mul_f32_e32 v23, v20, v22
	v_fma_f32 v15, v22, v20, -v23
	v_fmac_f32_e32 v15, v22, v14
	v_add_f32_e32 v24, v23, v15
	v_sub_f32_e32 v27, v21, v24
	v_sub_f32_e32 v8, v24, v23
	;; [unrolled: 1-line block ×5, first 2 shown]
	v_add_f32_e32 v3, v3, v21
	v_add_f32_e32 v3, v8, v3
	;; [unrolled: 1-line block ×3, first 2 shown]
	v_mul_f32_e32 v15, v6, v8
	v_sub_f32_e32 v24, v27, v8
	v_mul_f32_e32 v21, v20, v15
	v_add_f32_e32 v3, v3, v24
	v_fma_f32 v20, v15, v20, -v21
	v_fmac_f32_e32 v20, v15, v14
	v_add_f32_e32 v14, v21, v20
	v_sub_f32_e32 v23, v8, v14
	v_sub_f32_e32 v21, v14, v21
	;; [unrolled: 1-line block ×5, first 2 shown]
	v_add_f32_e32 v3, v3, v8
	v_add_f32_e32 v8, v22, v15
	;; [unrolled: 1-line block ×3, first 2 shown]
	v_sub_f32_e32 v14, v8, v22
	v_add_f32_e32 v3, v23, v3
	v_sub_f32_e32 v14, v15, v14
	v_mul_f32_e32 v3, v6, v3
	v_add_f32_e32 v3, v14, v3
	v_add_f32_e32 v6, v8, v3
	v_mul_f32_e32 v14, v6, v6
	v_fmaak_f32 v15, s1, v14, 0x3ecc95a3
	v_mul_f32_e32 v20, v6, v14
	v_fmaak_f32 v14, v14, v15, 0x3f2aaada
	v_ldexp_f32 v15, v6, 1
	v_sub_f32_e32 v6, v6, v8
	v_mul_f32_e32 v14, v20, v14
	v_mul_f32_e32 v20, 0x3f317218, v2
	v_sub_f32_e32 v3, v3, v6
	v_add_f32_e32 v8, v15, v14
	v_ldexp_f32 v3, v3, 1
	v_sub_f32_e32 v6, v8, v15
	v_fma_f32 v15, 0x3f317218, v2, -v20
	v_sub_f32_e32 v6, v14, v6
	v_fmamk_f32 v2, v2, 0xb102e308, v15
	v_add_f32_e32 v3, v3, v6
	v_add_f32_e32 v6, v20, v2
	;; [unrolled: 1-line block ×3, first 2 shown]
	v_sub_f32_e32 v20, v6, v20
	v_add_f32_e32 v15, v6, v14
	v_sub_f32_e32 v8, v14, v8
	v_sub_f32_e32 v2, v2, v20
	;; [unrolled: 1-line block ×6, first 2 shown]
	v_add_f32_e32 v14, v2, v3
	v_sub_f32_e32 v6, v6, v22
	v_add_f32_e32 v6, v8, v6
	v_sub_f32_e32 v8, v14, v2
	;; [unrolled: 2-line block ×3, first 2 shown]
	v_sub_f32_e32 v3, v3, v8
	v_add_f32_e32 v20, v15, v6
	v_sub_f32_e32 v2, v2, v14
	v_sub_f32_e32 v8, v20, v15
	v_add_f32_e32 v2, v3, v2
	v_sub_f32_e32 v3, v6, v8
	v_add_f32_e32 v2, v2, v3
	v_add_f32_e32 v2, v20, v2
	v_cndmask_b32_e32 v2, 0x7f800000, v2, vcc_lo
	v_cmp_gt_f32_e64 vcc_lo, 0x33800000, |v4|
	v_cndmask_b32_e32 v2, v2, v4, vcc_lo
	v_add_f32_e32 v1, v1, v2
	v_cvt_f16_f32_e32 v6, v1
	v_cvt_f32_f16_e32 v8, v6
	v_mov_b32_e32 v15, v6
.LBB359_250:
	s_or_b32 exec_lo, exec_lo, s0
	v_max_f32_e32 v1, v5, v5
	v_max_f32_e32 v2, v8, v8
	v_cmp_u_f16_e32 vcc_lo, v6, v6
	v_mov_b32_e32 v20, v15
	v_min_f32_e32 v3, v2, v1
	v_max_f32_e32 v1, v2, v1
	v_cndmask_b32_e32 v2, v3, v8, vcc_lo
	v_cndmask_b32_e32 v1, v1, v8, vcc_lo
	v_cndmask_b32_e64 v2, v2, v5, s8
	v_cndmask_b32_e64 v1, v1, v5, s8
	v_cmp_class_f32_e64 s0, v2, 0x1f8
	v_cmp_neq_f32_e32 vcc_lo, v2, v1
	s_or_b32 s1, vcc_lo, s0
	s_and_saveexec_b32 s0, s1
	s_cbranch_execz .LBB359_252
; %bb.251:
	v_sub_f32_e32 v2, v2, v1
	s_mov_b32 s1, 0x3e9b6dac
	v_mul_f32_e32 v3, 0x3fb8aa3b, v2
	v_cmp_ngt_f32_e32 vcc_lo, 0xc2ce8ed0, v2
	v_fma_f32 v4, 0x3fb8aa3b, v2, -v3
	v_rndne_f32_e32 v5, v3
	v_fmamk_f32 v4, v2, 0x32a5705f, v4
	v_sub_f32_e32 v3, v3, v5
	v_add_f32_e32 v3, v3, v4
	v_cvt_i32_f32_e32 v4, v5
	v_exp_f32_e32 v3, v3
	v_ldexp_f32 v3, v3, v4
	v_cndmask_b32_e32 v3, 0, v3, vcc_lo
	v_cmp_nlt_f32_e32 vcc_lo, 0x42b17218, v2
	v_cndmask_b32_e32 v4, 0x7f800000, v3, vcc_lo
	v_add_f32_e32 v5, 1.0, v4
	v_cvt_f64_f32_e32 v[2:3], v5
	v_frexp_exp_i32_f64_e32 v2, v[2:3]
	v_frexp_mant_f32_e32 v3, v5
	v_cmp_gt_f32_e32 vcc_lo, 0x3f2aaaab, v3
	v_add_f32_e32 v3, -1.0, v5
	v_sub_f32_e32 v8, v3, v5
	v_sub_f32_e32 v3, v4, v3
	v_add_f32_e32 v8, 1.0, v8
	v_add_f32_e32 v3, v3, v8
	v_subrev_co_ci_u32_e64 v2, null, 0, v2, vcc_lo
	v_cmp_neq_f32_e32 vcc_lo, 0x7f800000, v4
	v_sub_nc_u32_e32 v6, 0, v2
	v_cvt_f32_i32_e32 v2, v2
	v_ldexp_f32 v5, v5, v6
	v_ldexp_f32 v3, v3, v6
	v_add_f32_e32 v14, 1.0, v5
	v_add_f32_e32 v6, -1.0, v5
	v_add_f32_e32 v8, -1.0, v14
	v_add_f32_e32 v20, 1.0, v6
	v_sub_f32_e32 v8, v5, v8
	v_sub_f32_e32 v5, v5, v20
	v_add_f32_e32 v8, v3, v8
	v_add_f32_e32 v3, v3, v5
	;; [unrolled: 1-line block ×4, first 2 shown]
	v_rcp_f32_e32 v5, v20
	v_sub_f32_e32 v14, v14, v20
	v_sub_f32_e32 v6, v6, v21
	v_add_f32_e32 v8, v8, v14
	v_add_f32_e32 v3, v3, v6
	v_mul_f32_e32 v22, v21, v5
	v_mul_f32_e32 v23, v20, v22
	v_fma_f32 v14, v22, v20, -v23
	v_fmac_f32_e32 v14, v22, v8
	v_add_f32_e32 v24, v23, v14
	v_sub_f32_e32 v27, v21, v24
	v_sub_f32_e32 v6, v24, v23
	;; [unrolled: 1-line block ×5, first 2 shown]
	v_add_f32_e32 v3, v3, v21
	v_add_f32_e32 v3, v6, v3
	;; [unrolled: 1-line block ×3, first 2 shown]
	v_mul_f32_e32 v14, v5, v6
	v_sub_f32_e32 v24, v27, v6
	v_mul_f32_e32 v21, v20, v14
	v_add_f32_e32 v3, v3, v24
	v_fma_f32 v20, v14, v20, -v21
	v_fmac_f32_e32 v20, v14, v8
	v_add_f32_e32 v8, v21, v20
	v_sub_f32_e32 v23, v6, v8
	v_sub_f32_e32 v21, v8, v21
	;; [unrolled: 1-line block ×5, first 2 shown]
	v_add_f32_e32 v3, v3, v6
	v_add_f32_e32 v6, v22, v14
	;; [unrolled: 1-line block ×3, first 2 shown]
	v_sub_f32_e32 v8, v6, v22
	v_add_f32_e32 v3, v23, v3
	v_sub_f32_e32 v8, v14, v8
	v_mul_f32_e32 v3, v5, v3
	v_add_f32_e32 v3, v8, v3
	v_add_f32_e32 v5, v6, v3
	v_mul_f32_e32 v8, v5, v5
	v_fmaak_f32 v14, s1, v8, 0x3ecc95a3
	v_mul_f32_e32 v20, v5, v8
	v_fmaak_f32 v8, v8, v14, 0x3f2aaada
	v_ldexp_f32 v14, v5, 1
	v_sub_f32_e32 v5, v5, v6
	v_mul_f32_e32 v8, v20, v8
	v_mul_f32_e32 v20, 0x3f317218, v2
	v_sub_f32_e32 v3, v3, v5
	v_add_f32_e32 v6, v14, v8
	v_ldexp_f32 v3, v3, 1
	v_sub_f32_e32 v5, v6, v14
	v_fma_f32 v14, 0x3f317218, v2, -v20
	v_sub_f32_e32 v5, v8, v5
	v_fmamk_f32 v2, v2, 0xb102e308, v14
	v_add_f32_e32 v3, v3, v5
	v_add_f32_e32 v5, v20, v2
	v_add_f32_e32 v8, v6, v3
	v_sub_f32_e32 v20, v5, v20
	v_add_f32_e32 v14, v5, v8
	v_sub_f32_e32 v6, v8, v6
	v_sub_f32_e32 v2, v2, v20
	;; [unrolled: 1-line block ×6, first 2 shown]
	v_add_f32_e32 v8, v2, v3
	v_sub_f32_e32 v5, v5, v22
	v_add_f32_e32 v5, v6, v5
	v_sub_f32_e32 v6, v8, v2
	;; [unrolled: 2-line block ×3, first 2 shown]
	v_sub_f32_e32 v3, v3, v6
	v_add_f32_e32 v20, v14, v5
	v_sub_f32_e32 v2, v2, v8
	v_sub_f32_e32 v6, v20, v14
	v_add_f32_e32 v2, v3, v2
	v_sub_f32_e32 v3, v5, v6
	v_add_f32_e32 v2, v2, v3
	v_add_f32_e32 v2, v20, v2
	v_cndmask_b32_e32 v2, 0x7f800000, v2, vcc_lo
	v_cmp_gt_f32_e64 vcc_lo, 0x33800000, |v4|
	v_cndmask_b32_e32 v2, v2, v4, vcc_lo
	v_add_f32_e32 v1, v1, v2
	v_cvt_f16_f32_e32 v6, v1
	v_cvt_f32_f16_e32 v8, v6
	v_mov_b32_e32 v20, v6
.LBB359_252:
	s_or_b32 exec_lo, exec_lo, s0
	v_max_f32_e32 v1, v16, v16
	v_max_f32_e32 v2, v8, v8
	v_cmp_u_f16_e32 vcc_lo, v6, v6
	v_min_f32_e32 v3, v2, v1
	v_max_f32_e32 v1, v2, v1
	v_cndmask_b32_e32 v2, v3, v8, vcc_lo
	v_cndmask_b32_e32 v1, v1, v8, vcc_lo
	v_cndmask_b32_e64 v2, v2, v16, s9
	v_cndmask_b32_e64 v1, v1, v16, s9
	v_mov_b32_e32 v16, v20
	v_cmp_class_f32_e64 s0, v2, 0x1f8
	v_cmp_neq_f32_e32 vcc_lo, v2, v1
	s_or_b32 s1, vcc_lo, s0
	s_and_saveexec_b32 s0, s1
	s_cbranch_execz .LBB359_254
; %bb.253:
	v_sub_f32_e32 v2, v2, v1
	s_mov_b32 s1, 0x3e9b6dac
	v_mul_f32_e32 v3, 0x3fb8aa3b, v2
	v_cmp_ngt_f32_e32 vcc_lo, 0xc2ce8ed0, v2
	v_fma_f32 v4, 0x3fb8aa3b, v2, -v3
	v_rndne_f32_e32 v5, v3
	v_fmamk_f32 v4, v2, 0x32a5705f, v4
	v_sub_f32_e32 v3, v3, v5
	v_add_f32_e32 v3, v3, v4
	v_cvt_i32_f32_e32 v4, v5
	v_exp_f32_e32 v3, v3
	v_ldexp_f32 v3, v3, v4
	v_cndmask_b32_e32 v3, 0, v3, vcc_lo
	v_cmp_nlt_f32_e32 vcc_lo, 0x42b17218, v2
	v_cndmask_b32_e32 v4, 0x7f800000, v3, vcc_lo
	v_add_f32_e32 v5, 1.0, v4
	v_cvt_f64_f32_e32 v[2:3], v5
	v_frexp_exp_i32_f64_e32 v2, v[2:3]
	v_frexp_mant_f32_e32 v3, v5
	v_cmp_gt_f32_e32 vcc_lo, 0x3f2aaaab, v3
	v_add_f32_e32 v3, -1.0, v5
	v_sub_f32_e32 v8, v3, v5
	v_sub_f32_e32 v3, v4, v3
	v_add_f32_e32 v8, 1.0, v8
	v_add_f32_e32 v3, v3, v8
	v_subrev_co_ci_u32_e64 v2, null, 0, v2, vcc_lo
	v_cmp_neq_f32_e32 vcc_lo, 0x7f800000, v4
	v_sub_nc_u32_e32 v6, 0, v2
	v_cvt_f32_i32_e32 v2, v2
	v_ldexp_f32 v5, v5, v6
	v_ldexp_f32 v3, v3, v6
	v_add_f32_e32 v14, 1.0, v5
	v_add_f32_e32 v6, -1.0, v5
	v_add_f32_e32 v8, -1.0, v14
	v_add_f32_e32 v16, 1.0, v6
	v_sub_f32_e32 v8, v5, v8
	v_sub_f32_e32 v5, v5, v16
	v_add_f32_e32 v8, v3, v8
	v_add_f32_e32 v3, v3, v5
	;; [unrolled: 1-line block ×4, first 2 shown]
	v_rcp_f32_e32 v5, v16
	v_sub_f32_e32 v14, v14, v16
	v_sub_f32_e32 v6, v6, v21
	v_add_f32_e32 v8, v8, v14
	v_add_f32_e32 v3, v3, v6
	v_mul_f32_e32 v22, v21, v5
	v_mul_f32_e32 v23, v16, v22
	v_fma_f32 v14, v22, v16, -v23
	v_fmac_f32_e32 v14, v22, v8
	v_add_f32_e32 v24, v23, v14
	v_sub_f32_e32 v27, v21, v24
	v_sub_f32_e32 v6, v24, v23
	;; [unrolled: 1-line block ×5, first 2 shown]
	v_add_f32_e32 v3, v3, v21
	v_add_f32_e32 v3, v6, v3
	;; [unrolled: 1-line block ×3, first 2 shown]
	v_mul_f32_e32 v14, v5, v6
	v_sub_f32_e32 v24, v27, v6
	v_mul_f32_e32 v21, v16, v14
	v_add_f32_e32 v3, v3, v24
	v_fma_f32 v16, v14, v16, -v21
	v_fmac_f32_e32 v16, v14, v8
	v_add_f32_e32 v8, v21, v16
	v_sub_f32_e32 v23, v6, v8
	v_sub_f32_e32 v21, v8, v21
	;; [unrolled: 1-line block ×5, first 2 shown]
	v_add_f32_e32 v3, v3, v6
	v_add_f32_e32 v6, v22, v14
	;; [unrolled: 1-line block ×3, first 2 shown]
	v_sub_f32_e32 v8, v6, v22
	v_add_f32_e32 v3, v23, v3
	v_sub_f32_e32 v8, v14, v8
	v_mul_f32_e32 v3, v5, v3
	v_add_f32_e32 v3, v8, v3
	v_add_f32_e32 v5, v6, v3
	v_mul_f32_e32 v8, v5, v5
	v_fmaak_f32 v14, s1, v8, 0x3ecc95a3
	v_mul_f32_e32 v16, v5, v8
	v_fmaak_f32 v8, v8, v14, 0x3f2aaada
	v_ldexp_f32 v14, v5, 1
	v_sub_f32_e32 v5, v5, v6
	v_mul_f32_e32 v8, v16, v8
	v_mul_f32_e32 v16, 0x3f317218, v2
	v_sub_f32_e32 v3, v3, v5
	v_add_f32_e32 v6, v14, v8
	v_ldexp_f32 v3, v3, 1
	v_sub_f32_e32 v5, v6, v14
	v_fma_f32 v14, 0x3f317218, v2, -v16
	v_sub_f32_e32 v5, v8, v5
	v_fmamk_f32 v2, v2, 0xb102e308, v14
	v_add_f32_e32 v3, v3, v5
	v_add_f32_e32 v5, v16, v2
	;; [unrolled: 1-line block ×3, first 2 shown]
	v_sub_f32_e32 v16, v5, v16
	v_add_f32_e32 v14, v5, v8
	v_sub_f32_e32 v6, v8, v6
	v_sub_f32_e32 v2, v2, v16
	;; [unrolled: 1-line block ×6, first 2 shown]
	v_add_f32_e32 v8, v2, v3
	v_sub_f32_e32 v5, v5, v22
	v_add_f32_e32 v5, v6, v5
	v_sub_f32_e32 v6, v8, v2
	;; [unrolled: 2-line block ×3, first 2 shown]
	v_sub_f32_e32 v3, v3, v6
	v_add_f32_e32 v16, v14, v5
	v_sub_f32_e32 v2, v2, v8
	v_sub_f32_e32 v6, v16, v14
	v_add_f32_e32 v2, v3, v2
	v_sub_f32_e32 v3, v5, v6
	v_add_f32_e32 v2, v2, v3
	v_add_f32_e32 v2, v16, v2
	v_cndmask_b32_e32 v2, 0x7f800000, v2, vcc_lo
	v_cmp_gt_f32_e64 vcc_lo, 0x33800000, |v4|
	v_cndmask_b32_e32 v2, v2, v4, vcc_lo
	v_add_f32_e32 v1, v1, v2
	v_cvt_f16_f32_e32 v16, v1
.LBB359_254:
	s_or_b32 exec_lo, exec_lo, s0
	s_mov_b32 s0, exec_lo
	v_cmpx_eq_u32_e32 63, v0
	s_cbranch_execz .LBB359_256
; %bb.255:
	v_mov_b32_e32 v1, 0x20000
	v_mov_b32_e32 v2, 0
	v_or_b32_sdwa v1, v16, v1 dst_sel:DWORD dst_unused:UNUSED_PAD src0_sel:WORD_0 src1_sel:DWORD
	global_store_dword v2, v1, s[34:35] offset:128
.LBB359_256:
	s_or_b32 exec_lo, exec_lo, s0
.LBB359_257:
	s_add_u32 s0, s20, s18
	v_perm_b32 v2, v11, v18, 0x5040100
	v_perm_b32 v1, v10, v17, 0x5040100
	;; [unrolled: 1-line block ×6, first 2 shown]
	s_addc_u32 s1, s21, s19
	s_add_u32 s0, s0, s22
	s_addc_u32 s1, s1, s23
	s_and_b32 vcc_lo, exec_lo, s37
	s_mov_b32 s2, -1
	s_waitcnt lgkmcnt(0)
	s_waitcnt_vscnt null, 0x0
	s_barrier
	buffer_gl0_inv
	s_cbranch_vccz .LBB359_259
; %bb.258:
	ds_write2_b64 v13, v[5:6], v[1:2] offset1:1
	ds_write_b64 v13, v[3:4] offset:16
	s_waitcnt lgkmcnt(0)
	s_barrier
	buffer_gl0_inv
	ds_read_u16 v7, v12
	ds_read_u16 v8, v12 offset:128
	ds_read_u16 v9, v12 offset:256
	;; [unrolled: 1-line block ×11, first 2 shown]
	s_mov_b32 s2, 0
	s_waitcnt lgkmcnt(11)
	global_store_short v12, v7, s[0:1]
	s_waitcnt lgkmcnt(10)
	global_store_short v12, v8, s[0:1] offset:128
	s_waitcnt lgkmcnt(9)
	global_store_short v12, v9, s[0:1] offset:256
	;; [unrolled: 2-line block ×11, first 2 shown]
.LBB359_259:
	s_andn2_b32 vcc_lo, exec_lo, s2
	s_cbranch_vccnz .LBB359_327
; %bb.260:
	ds_write2_b64 v13, v[5:6], v[1:2] offset1:1
	ds_write_b64 v13, v[3:4] offset:16
	s_waitcnt lgkmcnt(0)
	s_waitcnt_vscnt null, 0x0
	s_barrier
	buffer_gl0_inv
	ds_read_u16 v5, v12
	ds_read_u16 v4, v12 offset:128
	ds_read_u16 v6, v12 offset:256
	;; [unrolled: 1-line block ×11, first 2 shown]
	v_add_co_u32 v2, s0, s0, v12
	v_mov_b32_e32 v1, 0
	v_add_co_ci_u32_e64 v3, null, s1, 0, s0
	s_mov_b32 s0, exec_lo
	v_cmpx_gt_u32_e64 s33, v0
	s_cbranch_execz .LBB359_262
; %bb.261:
	s_waitcnt lgkmcnt(11)
	global_store_short v[2:3], v5, off
.LBB359_262:
	s_or_b32 exec_lo, exec_lo, s0
	v_or_b32_e32 v12, 64, v0
	s_mov_b32 s0, exec_lo
	v_cmpx_gt_u32_e64 s33, v12
	s_cbranch_execz .LBB359_264
; %bb.263:
	s_waitcnt lgkmcnt(10)
	global_store_short v[2:3], v4, off offset:128
.LBB359_264:
	s_or_b32 exec_lo, exec_lo, s0
	v_or_b32_e32 v12, 0x80, v0
	s_mov_b32 s0, exec_lo
	v_cmpx_gt_u32_e64 s33, v12
	s_cbranch_execz .LBB359_266
; %bb.265:
	s_waitcnt lgkmcnt(9)
	global_store_short v[2:3], v6, off offset:256
.LBB359_266:
	;; [unrolled: 9-line block ×11, first 2 shown]
	s_or_b32 exec_lo, exec_lo, s0
	v_cmp_lt_u64_e64 s0, s[30:31], 2
	s_and_b32 vcc_lo, exec_lo, s0
	s_cbranch_vccnz .LBB359_327
; %bb.285:
	s_add_u32 s0, s33, -1
	s_addc_u32 s1, s36, -1
	s_mul_hi_u32 s5, s0, 0xaaaaaaab
	s_mul_i32 s4, s1, 0xaaaaaaab
	s_mul_hi_u32 s6, s1, 0xaaaaaaab
	s_mul_i32 s3, s0, 0xaaaaaaaa
	s_add_u32 s4, s4, s5
	s_mul_hi_u32 s2, s0, 0xaaaaaaaa
	s_addc_u32 s5, s6, 0
	s_add_u32 s3, s3, s4
	s_addc_u32 s2, s2, 0
	s_mul_i32 s4, s1, 0xaaaaaaaa
	s_add_u32 s2, s5, s2
	s_addc_u32 s3, 0, 0
	s_mul_hi_u32 s5, s1, 0xaaaaaaaa
	s_add_u32 s2, s4, s2
	s_addc_u32 s3, s5, s3
	s_lshr_b64 s[2:3], s[2:3], 3
	v_cmp_eq_u64_e32 vcc_lo, s[2:3], v[0:1]
	s_and_saveexec_b32 s2, vcc_lo
	s_cbranch_execz .LBB359_327
; %bb.286:
	v_mul_u32_u24_e32 v1, 12, v0
	v_mul_hi_u32_u24_e32 v2, 12, v0
	v_sub_co_u32 v0, vcc_lo, s0, v1
	v_sub_co_ci_u32_e64 v1, null, s1, v2, vcc_lo
	s_mov_b32 s0, exec_lo
	v_cmpx_lt_i64_e32 5, v[0:1]
	s_xor_b32 s0, exec_lo, s0
	s_cbranch_execz .LBB359_308
; %bb.287:
	s_mov_b32 s1, exec_lo
	v_cmpx_lt_i64_e32 8, v[0:1]
	s_xor_b32 s1, exec_lo, s1
	s_cbranch_execz .LBB359_297
; %bb.288:
	;; [unrolled: 5-line block ×4, first 2 shown]
	v_mov_b32_e32 v0, 0
                                        ; implicit-def: $vgpr14
	s_waitcnt lgkmcnt(0)
	global_store_short v0, v16, s[26:27]
.LBB359_291:
	s_andn2_saveexec_b32 s3, s3
	s_cbranch_execz .LBB359_293
; %bb.292:
	v_mov_b32_e32 v0, 0
	s_waitcnt lgkmcnt(1)
	global_store_short v0, v14, s[26:27]
.LBB359_293:
	s_or_b32 exec_lo, exec_lo, s3
                                        ; implicit-def: $vgpr15
.LBB359_294:
	s_andn2_saveexec_b32 s2, s2
	s_cbranch_execz .LBB359_296
; %bb.295:
	v_mov_b32_e32 v0, 0
	s_waitcnt lgkmcnt(2)
	global_store_short v0, v15, s[26:27]
.LBB359_296:
	s_or_b32 exec_lo, exec_lo, s2
                                        ; implicit-def: $vgpr11
                                        ; implicit-def: $vgpr0_vgpr1
                                        ; implicit-def: $vgpr9
                                        ; implicit-def: $vgpr13
.LBB359_297:
	s_andn2_saveexec_b32 s1, s1
	s_cbranch_execz .LBB359_307
; %bb.298:
	s_mov_b32 s2, exec_lo
	v_cmpx_lt_i64_e32 6, v[0:1]
	s_xor_b32 s2, exec_lo, s2
	s_cbranch_execz .LBB359_304
; %bb.299:
	s_mov_b32 s3, exec_lo
	v_cmpx_lt_i64_e32 7, v[0:1]
	s_xor_b32 s3, exec_lo, s3
	s_cbranch_execz .LBB359_301
; %bb.300:
	v_mov_b32_e32 v0, 0
                                        ; implicit-def: $vgpr9
	s_waitcnt lgkmcnt(3)
	global_store_short v0, v13, s[26:27]
.LBB359_301:
	s_andn2_saveexec_b32 s3, s3
	s_cbranch_execz .LBB359_303
; %bb.302:
	v_mov_b32_e32 v0, 0
	s_waitcnt lgkmcnt(4)
	global_store_short v0, v9, s[26:27]
.LBB359_303:
	s_or_b32 exec_lo, exec_lo, s3
                                        ; implicit-def: $vgpr11
.LBB359_304:
	s_andn2_saveexec_b32 s2, s2
	s_cbranch_execz .LBB359_306
; %bb.305:
	v_mov_b32_e32 v0, 0
	s_waitcnt lgkmcnt(5)
	global_store_short v0, v11, s[26:27]
.LBB359_306:
	s_or_b32 exec_lo, exec_lo, s2
.LBB359_307:
	s_or_b32 exec_lo, exec_lo, s1
                                        ; implicit-def: $vgpr0_vgpr1
                                        ; implicit-def: $vgpr8
                                        ; implicit-def: $vgpr6
                                        ; implicit-def: $vgpr4
                                        ; implicit-def: $vgpr5
                                        ; implicit-def: $vgpr7
                                        ; implicit-def: $vgpr10
.LBB359_308:
	s_andn2_saveexec_b32 s0, s0
	s_cbranch_execz .LBB359_327
; %bb.309:
	s_mov_b32 s0, exec_lo
	v_cmpx_lt_i64_e32 2, v[0:1]
	s_xor_b32 s0, exec_lo, s0
	s_cbranch_execz .LBB359_319
; %bb.310:
	s_mov_b32 s1, exec_lo
	v_cmpx_lt_i64_e32 3, v[0:1]
	s_xor_b32 s1, exec_lo, s1
	;; [unrolled: 5-line block ×3, first 2 shown]
	s_cbranch_execz .LBB359_313
; %bb.312:
	v_mov_b32_e32 v0, 0
                                        ; implicit-def: $vgpr7
	s_waitcnt lgkmcnt(6)
	global_store_short v0, v10, s[26:27]
.LBB359_313:
	s_andn2_saveexec_b32 s2, s2
	s_cbranch_execz .LBB359_315
; %bb.314:
	v_mov_b32_e32 v0, 0
	s_waitcnt lgkmcnt(7)
	global_store_short v0, v7, s[26:27]
.LBB359_315:
	s_or_b32 exec_lo, exec_lo, s2
                                        ; implicit-def: $vgpr8
.LBB359_316:
	s_andn2_saveexec_b32 s1, s1
	s_cbranch_execz .LBB359_318
; %bb.317:
	v_mov_b32_e32 v0, 0
	s_waitcnt lgkmcnt(8)
	global_store_short v0, v8, s[26:27]
.LBB359_318:
	s_or_b32 exec_lo, exec_lo, s1
                                        ; implicit-def: $vgpr0_vgpr1
                                        ; implicit-def: $vgpr6
                                        ; implicit-def: $vgpr4
                                        ; implicit-def: $vgpr5
.LBB359_319:
	s_andn2_saveexec_b32 s0, s0
	s_cbranch_execz .LBB359_327
; %bb.320:
	s_mov_b32 s0, exec_lo
	v_cmpx_lt_i64_e32 1, v[0:1]
	s_xor_b32 s0, exec_lo, s0
	s_cbranch_execz .LBB359_322
; %bb.321:
	v_mov_b32_e32 v0, 0
                                        ; implicit-def: $vgpr4
                                        ; implicit-def: $vgpr5
	s_waitcnt lgkmcnt(9)
	global_store_short v0, v6, s[26:27]
                                        ; implicit-def: $vgpr0_vgpr1
.LBB359_322:
	s_andn2_saveexec_b32 s0, s0
	s_cbranch_execz .LBB359_327
; %bb.323:
	s_mov_b32 s0, exec_lo
	v_cmpx_ne_u64_e32 1, v[0:1]
	s_xor_b32 s0, exec_lo, s0
	s_cbranch_execz .LBB359_325
; %bb.324:
	v_mov_b32_e32 v0, 0
                                        ; implicit-def: $vgpr4
	s_waitcnt lgkmcnt(11)
	global_store_short v0, v5, s[26:27]
.LBB359_325:
	s_andn2_saveexec_b32 s0, s0
	s_cbranch_execz .LBB359_327
; %bb.326:
	v_mov_b32_e32 v0, 0
	s_waitcnt lgkmcnt(10)
	global_store_short v0, v4, s[26:27]
.LBB359_327:
	s_endpgm
	.section	.rodata,"a",@progbits
	.p2align	6, 0x0
	.amdhsa_kernel _ZN7rocprim17ROCPRIM_400000_NS6detail17trampoline_kernelINS0_14default_configENS1_20scan_config_selectorIN3c104HalfEEEZZNS1_9scan_implILNS1_25lookback_scan_determinismE0ELb0ELb0ES3_PKS6_PS6_S6_ZZZN2at6native31launch_logcumsumexp_cuda_kernelERKNSD_10TensorBaseESH_lENKUlvE_clEvENKUlvE3_clEvEUlS6_S6_E_S6_EEDaPvRmT3_T4_T5_mT6_P12ihipStream_tbENKUlT_T0_E_clISt17integral_constantIbLb0EESY_EEDaST_SU_EUlST_E_NS1_11comp_targetILNS1_3genE8ELNS1_11target_archE1030ELNS1_3gpuE2ELNS1_3repE0EEENS1_30default_config_static_selectorELNS0_4arch9wavefront6targetE0EEEvT1_
		.amdhsa_group_segment_fixed_size 1536
		.amdhsa_private_segment_fixed_size 0
		.amdhsa_kernarg_size 96
		.amdhsa_user_sgpr_count 6
		.amdhsa_user_sgpr_private_segment_buffer 1
		.amdhsa_user_sgpr_dispatch_ptr 0
		.amdhsa_user_sgpr_queue_ptr 0
		.amdhsa_user_sgpr_kernarg_segment_ptr 1
		.amdhsa_user_sgpr_dispatch_id 0
		.amdhsa_user_sgpr_flat_scratch_init 0
		.amdhsa_user_sgpr_private_segment_size 0
		.amdhsa_wavefront_size32 1
		.amdhsa_uses_dynamic_stack 0
		.amdhsa_system_sgpr_private_segment_wavefront_offset 0
		.amdhsa_system_sgpr_workgroup_id_x 1
		.amdhsa_system_sgpr_workgroup_id_y 0
		.amdhsa_system_sgpr_workgroup_id_z 0
		.amdhsa_system_sgpr_workgroup_info 0
		.amdhsa_system_vgpr_workitem_id 0
		.amdhsa_next_free_vgpr 54
		.amdhsa_next_free_sgpr 38
		.amdhsa_reserve_vcc 1
		.amdhsa_reserve_flat_scratch 0
		.amdhsa_float_round_mode_32 0
		.amdhsa_float_round_mode_16_64 0
		.amdhsa_float_denorm_mode_32 3
		.amdhsa_float_denorm_mode_16_64 3
		.amdhsa_dx10_clamp 1
		.amdhsa_ieee_mode 1
		.amdhsa_fp16_overflow 0
		.amdhsa_workgroup_processor_mode 1
		.amdhsa_memory_ordered 1
		.amdhsa_forward_progress 1
		.amdhsa_shared_vgpr_count 0
		.amdhsa_exception_fp_ieee_invalid_op 0
		.amdhsa_exception_fp_denorm_src 0
		.amdhsa_exception_fp_ieee_div_zero 0
		.amdhsa_exception_fp_ieee_overflow 0
		.amdhsa_exception_fp_ieee_underflow 0
		.amdhsa_exception_fp_ieee_inexact 0
		.amdhsa_exception_int_div_zero 0
	.end_amdhsa_kernel
	.section	.text._ZN7rocprim17ROCPRIM_400000_NS6detail17trampoline_kernelINS0_14default_configENS1_20scan_config_selectorIN3c104HalfEEEZZNS1_9scan_implILNS1_25lookback_scan_determinismE0ELb0ELb0ES3_PKS6_PS6_S6_ZZZN2at6native31launch_logcumsumexp_cuda_kernelERKNSD_10TensorBaseESH_lENKUlvE_clEvENKUlvE3_clEvEUlS6_S6_E_S6_EEDaPvRmT3_T4_T5_mT6_P12ihipStream_tbENKUlT_T0_E_clISt17integral_constantIbLb0EESY_EEDaST_SU_EUlST_E_NS1_11comp_targetILNS1_3genE8ELNS1_11target_archE1030ELNS1_3gpuE2ELNS1_3repE0EEENS1_30default_config_static_selectorELNS0_4arch9wavefront6targetE0EEEvT1_,"axG",@progbits,_ZN7rocprim17ROCPRIM_400000_NS6detail17trampoline_kernelINS0_14default_configENS1_20scan_config_selectorIN3c104HalfEEEZZNS1_9scan_implILNS1_25lookback_scan_determinismE0ELb0ELb0ES3_PKS6_PS6_S6_ZZZN2at6native31launch_logcumsumexp_cuda_kernelERKNSD_10TensorBaseESH_lENKUlvE_clEvENKUlvE3_clEvEUlS6_S6_E_S6_EEDaPvRmT3_T4_T5_mT6_P12ihipStream_tbENKUlT_T0_E_clISt17integral_constantIbLb0EESY_EEDaST_SU_EUlST_E_NS1_11comp_targetILNS1_3genE8ELNS1_11target_archE1030ELNS1_3gpuE2ELNS1_3repE0EEENS1_30default_config_static_selectorELNS0_4arch9wavefront6targetE0EEEvT1_,comdat
.Lfunc_end359:
	.size	_ZN7rocprim17ROCPRIM_400000_NS6detail17trampoline_kernelINS0_14default_configENS1_20scan_config_selectorIN3c104HalfEEEZZNS1_9scan_implILNS1_25lookback_scan_determinismE0ELb0ELb0ES3_PKS6_PS6_S6_ZZZN2at6native31launch_logcumsumexp_cuda_kernelERKNSD_10TensorBaseESH_lENKUlvE_clEvENKUlvE3_clEvEUlS6_S6_E_S6_EEDaPvRmT3_T4_T5_mT6_P12ihipStream_tbENKUlT_T0_E_clISt17integral_constantIbLb0EESY_EEDaST_SU_EUlST_E_NS1_11comp_targetILNS1_3genE8ELNS1_11target_archE1030ELNS1_3gpuE2ELNS1_3repE0EEENS1_30default_config_static_selectorELNS0_4arch9wavefront6targetE0EEEvT1_, .Lfunc_end359-_ZN7rocprim17ROCPRIM_400000_NS6detail17trampoline_kernelINS0_14default_configENS1_20scan_config_selectorIN3c104HalfEEEZZNS1_9scan_implILNS1_25lookback_scan_determinismE0ELb0ELb0ES3_PKS6_PS6_S6_ZZZN2at6native31launch_logcumsumexp_cuda_kernelERKNSD_10TensorBaseESH_lENKUlvE_clEvENKUlvE3_clEvEUlS6_S6_E_S6_EEDaPvRmT3_T4_T5_mT6_P12ihipStream_tbENKUlT_T0_E_clISt17integral_constantIbLb0EESY_EEDaST_SU_EUlST_E_NS1_11comp_targetILNS1_3genE8ELNS1_11target_archE1030ELNS1_3gpuE2ELNS1_3repE0EEENS1_30default_config_static_selectorELNS0_4arch9wavefront6targetE0EEEvT1_
                                        ; -- End function
	.set _ZN7rocprim17ROCPRIM_400000_NS6detail17trampoline_kernelINS0_14default_configENS1_20scan_config_selectorIN3c104HalfEEEZZNS1_9scan_implILNS1_25lookback_scan_determinismE0ELb0ELb0ES3_PKS6_PS6_S6_ZZZN2at6native31launch_logcumsumexp_cuda_kernelERKNSD_10TensorBaseESH_lENKUlvE_clEvENKUlvE3_clEvEUlS6_S6_E_S6_EEDaPvRmT3_T4_T5_mT6_P12ihipStream_tbENKUlT_T0_E_clISt17integral_constantIbLb0EESY_EEDaST_SU_EUlST_E_NS1_11comp_targetILNS1_3genE8ELNS1_11target_archE1030ELNS1_3gpuE2ELNS1_3repE0EEENS1_30default_config_static_selectorELNS0_4arch9wavefront6targetE0EEEvT1_.num_vgpr, 54
	.set _ZN7rocprim17ROCPRIM_400000_NS6detail17trampoline_kernelINS0_14default_configENS1_20scan_config_selectorIN3c104HalfEEEZZNS1_9scan_implILNS1_25lookback_scan_determinismE0ELb0ELb0ES3_PKS6_PS6_S6_ZZZN2at6native31launch_logcumsumexp_cuda_kernelERKNSD_10TensorBaseESH_lENKUlvE_clEvENKUlvE3_clEvEUlS6_S6_E_S6_EEDaPvRmT3_T4_T5_mT6_P12ihipStream_tbENKUlT_T0_E_clISt17integral_constantIbLb0EESY_EEDaST_SU_EUlST_E_NS1_11comp_targetILNS1_3genE8ELNS1_11target_archE1030ELNS1_3gpuE2ELNS1_3repE0EEENS1_30default_config_static_selectorELNS0_4arch9wavefront6targetE0EEEvT1_.num_agpr, 0
	.set _ZN7rocprim17ROCPRIM_400000_NS6detail17trampoline_kernelINS0_14default_configENS1_20scan_config_selectorIN3c104HalfEEEZZNS1_9scan_implILNS1_25lookback_scan_determinismE0ELb0ELb0ES3_PKS6_PS6_S6_ZZZN2at6native31launch_logcumsumexp_cuda_kernelERKNSD_10TensorBaseESH_lENKUlvE_clEvENKUlvE3_clEvEUlS6_S6_E_S6_EEDaPvRmT3_T4_T5_mT6_P12ihipStream_tbENKUlT_T0_E_clISt17integral_constantIbLb0EESY_EEDaST_SU_EUlST_E_NS1_11comp_targetILNS1_3genE8ELNS1_11target_archE1030ELNS1_3gpuE2ELNS1_3repE0EEENS1_30default_config_static_selectorELNS0_4arch9wavefront6targetE0EEEvT1_.numbered_sgpr, 38
	.set _ZN7rocprim17ROCPRIM_400000_NS6detail17trampoline_kernelINS0_14default_configENS1_20scan_config_selectorIN3c104HalfEEEZZNS1_9scan_implILNS1_25lookback_scan_determinismE0ELb0ELb0ES3_PKS6_PS6_S6_ZZZN2at6native31launch_logcumsumexp_cuda_kernelERKNSD_10TensorBaseESH_lENKUlvE_clEvENKUlvE3_clEvEUlS6_S6_E_S6_EEDaPvRmT3_T4_T5_mT6_P12ihipStream_tbENKUlT_T0_E_clISt17integral_constantIbLb0EESY_EEDaST_SU_EUlST_E_NS1_11comp_targetILNS1_3genE8ELNS1_11target_archE1030ELNS1_3gpuE2ELNS1_3repE0EEENS1_30default_config_static_selectorELNS0_4arch9wavefront6targetE0EEEvT1_.num_named_barrier, 0
	.set _ZN7rocprim17ROCPRIM_400000_NS6detail17trampoline_kernelINS0_14default_configENS1_20scan_config_selectorIN3c104HalfEEEZZNS1_9scan_implILNS1_25lookback_scan_determinismE0ELb0ELb0ES3_PKS6_PS6_S6_ZZZN2at6native31launch_logcumsumexp_cuda_kernelERKNSD_10TensorBaseESH_lENKUlvE_clEvENKUlvE3_clEvEUlS6_S6_E_S6_EEDaPvRmT3_T4_T5_mT6_P12ihipStream_tbENKUlT_T0_E_clISt17integral_constantIbLb0EESY_EEDaST_SU_EUlST_E_NS1_11comp_targetILNS1_3genE8ELNS1_11target_archE1030ELNS1_3gpuE2ELNS1_3repE0EEENS1_30default_config_static_selectorELNS0_4arch9wavefront6targetE0EEEvT1_.private_seg_size, 0
	.set _ZN7rocprim17ROCPRIM_400000_NS6detail17trampoline_kernelINS0_14default_configENS1_20scan_config_selectorIN3c104HalfEEEZZNS1_9scan_implILNS1_25lookback_scan_determinismE0ELb0ELb0ES3_PKS6_PS6_S6_ZZZN2at6native31launch_logcumsumexp_cuda_kernelERKNSD_10TensorBaseESH_lENKUlvE_clEvENKUlvE3_clEvEUlS6_S6_E_S6_EEDaPvRmT3_T4_T5_mT6_P12ihipStream_tbENKUlT_T0_E_clISt17integral_constantIbLb0EESY_EEDaST_SU_EUlST_E_NS1_11comp_targetILNS1_3genE8ELNS1_11target_archE1030ELNS1_3gpuE2ELNS1_3repE0EEENS1_30default_config_static_selectorELNS0_4arch9wavefront6targetE0EEEvT1_.uses_vcc, 1
	.set _ZN7rocprim17ROCPRIM_400000_NS6detail17trampoline_kernelINS0_14default_configENS1_20scan_config_selectorIN3c104HalfEEEZZNS1_9scan_implILNS1_25lookback_scan_determinismE0ELb0ELb0ES3_PKS6_PS6_S6_ZZZN2at6native31launch_logcumsumexp_cuda_kernelERKNSD_10TensorBaseESH_lENKUlvE_clEvENKUlvE3_clEvEUlS6_S6_E_S6_EEDaPvRmT3_T4_T5_mT6_P12ihipStream_tbENKUlT_T0_E_clISt17integral_constantIbLb0EESY_EEDaST_SU_EUlST_E_NS1_11comp_targetILNS1_3genE8ELNS1_11target_archE1030ELNS1_3gpuE2ELNS1_3repE0EEENS1_30default_config_static_selectorELNS0_4arch9wavefront6targetE0EEEvT1_.uses_flat_scratch, 0
	.set _ZN7rocprim17ROCPRIM_400000_NS6detail17trampoline_kernelINS0_14default_configENS1_20scan_config_selectorIN3c104HalfEEEZZNS1_9scan_implILNS1_25lookback_scan_determinismE0ELb0ELb0ES3_PKS6_PS6_S6_ZZZN2at6native31launch_logcumsumexp_cuda_kernelERKNSD_10TensorBaseESH_lENKUlvE_clEvENKUlvE3_clEvEUlS6_S6_E_S6_EEDaPvRmT3_T4_T5_mT6_P12ihipStream_tbENKUlT_T0_E_clISt17integral_constantIbLb0EESY_EEDaST_SU_EUlST_E_NS1_11comp_targetILNS1_3genE8ELNS1_11target_archE1030ELNS1_3gpuE2ELNS1_3repE0EEENS1_30default_config_static_selectorELNS0_4arch9wavefront6targetE0EEEvT1_.has_dyn_sized_stack, 0
	.set _ZN7rocprim17ROCPRIM_400000_NS6detail17trampoline_kernelINS0_14default_configENS1_20scan_config_selectorIN3c104HalfEEEZZNS1_9scan_implILNS1_25lookback_scan_determinismE0ELb0ELb0ES3_PKS6_PS6_S6_ZZZN2at6native31launch_logcumsumexp_cuda_kernelERKNSD_10TensorBaseESH_lENKUlvE_clEvENKUlvE3_clEvEUlS6_S6_E_S6_EEDaPvRmT3_T4_T5_mT6_P12ihipStream_tbENKUlT_T0_E_clISt17integral_constantIbLb0EESY_EEDaST_SU_EUlST_E_NS1_11comp_targetILNS1_3genE8ELNS1_11target_archE1030ELNS1_3gpuE2ELNS1_3repE0EEENS1_30default_config_static_selectorELNS0_4arch9wavefront6targetE0EEEvT1_.has_recursion, 0
	.set _ZN7rocprim17ROCPRIM_400000_NS6detail17trampoline_kernelINS0_14default_configENS1_20scan_config_selectorIN3c104HalfEEEZZNS1_9scan_implILNS1_25lookback_scan_determinismE0ELb0ELb0ES3_PKS6_PS6_S6_ZZZN2at6native31launch_logcumsumexp_cuda_kernelERKNSD_10TensorBaseESH_lENKUlvE_clEvENKUlvE3_clEvEUlS6_S6_E_S6_EEDaPvRmT3_T4_T5_mT6_P12ihipStream_tbENKUlT_T0_E_clISt17integral_constantIbLb0EESY_EEDaST_SU_EUlST_E_NS1_11comp_targetILNS1_3genE8ELNS1_11target_archE1030ELNS1_3gpuE2ELNS1_3repE0EEENS1_30default_config_static_selectorELNS0_4arch9wavefront6targetE0EEEvT1_.has_indirect_call, 0
	.section	.AMDGPU.csdata,"",@progbits
; Kernel info:
; codeLenInByte = 58828
; TotalNumSgprs: 40
; NumVgprs: 54
; ScratchSize: 0
; MemoryBound: 0
; FloatMode: 240
; IeeeMode: 1
; LDSByteSize: 1536 bytes/workgroup (compile time only)
; SGPRBlocks: 0
; VGPRBlocks: 6
; NumSGPRsForWavesPerEU: 40
; NumVGPRsForWavesPerEU: 54
; Occupancy: 16
; WaveLimiterHint : 1
; COMPUTE_PGM_RSRC2:SCRATCH_EN: 0
; COMPUTE_PGM_RSRC2:USER_SGPR: 6
; COMPUTE_PGM_RSRC2:TRAP_HANDLER: 0
; COMPUTE_PGM_RSRC2:TGID_X_EN: 1
; COMPUTE_PGM_RSRC2:TGID_Y_EN: 0
; COMPUTE_PGM_RSRC2:TGID_Z_EN: 0
; COMPUTE_PGM_RSRC2:TIDIG_COMP_CNT: 0
	.section	.text._ZN7rocprim17ROCPRIM_400000_NS6detail17trampoline_kernelINS0_14default_configENS1_25transform_config_selectorIN3c104HalfELb1EEEZNS1_14transform_implILb1ES3_S7_PS6_S9_NS0_8identityIS6_EEEE10hipError_tT2_T3_mT4_P12ihipStream_tbEUlT_E_NS1_11comp_targetILNS1_3genE0ELNS1_11target_archE4294967295ELNS1_3gpuE0ELNS1_3repE0EEENS1_30default_config_static_selectorELNS0_4arch9wavefront6targetE0EEEvT1_,"axG",@progbits,_ZN7rocprim17ROCPRIM_400000_NS6detail17trampoline_kernelINS0_14default_configENS1_25transform_config_selectorIN3c104HalfELb1EEEZNS1_14transform_implILb1ES3_S7_PS6_S9_NS0_8identityIS6_EEEE10hipError_tT2_T3_mT4_P12ihipStream_tbEUlT_E_NS1_11comp_targetILNS1_3genE0ELNS1_11target_archE4294967295ELNS1_3gpuE0ELNS1_3repE0EEENS1_30default_config_static_selectorELNS0_4arch9wavefront6targetE0EEEvT1_,comdat
	.protected	_ZN7rocprim17ROCPRIM_400000_NS6detail17trampoline_kernelINS0_14default_configENS1_25transform_config_selectorIN3c104HalfELb1EEEZNS1_14transform_implILb1ES3_S7_PS6_S9_NS0_8identityIS6_EEEE10hipError_tT2_T3_mT4_P12ihipStream_tbEUlT_E_NS1_11comp_targetILNS1_3genE0ELNS1_11target_archE4294967295ELNS1_3gpuE0ELNS1_3repE0EEENS1_30default_config_static_selectorELNS0_4arch9wavefront6targetE0EEEvT1_ ; -- Begin function _ZN7rocprim17ROCPRIM_400000_NS6detail17trampoline_kernelINS0_14default_configENS1_25transform_config_selectorIN3c104HalfELb1EEEZNS1_14transform_implILb1ES3_S7_PS6_S9_NS0_8identityIS6_EEEE10hipError_tT2_T3_mT4_P12ihipStream_tbEUlT_E_NS1_11comp_targetILNS1_3genE0ELNS1_11target_archE4294967295ELNS1_3gpuE0ELNS1_3repE0EEENS1_30default_config_static_selectorELNS0_4arch9wavefront6targetE0EEEvT1_
	.globl	_ZN7rocprim17ROCPRIM_400000_NS6detail17trampoline_kernelINS0_14default_configENS1_25transform_config_selectorIN3c104HalfELb1EEEZNS1_14transform_implILb1ES3_S7_PS6_S9_NS0_8identityIS6_EEEE10hipError_tT2_T3_mT4_P12ihipStream_tbEUlT_E_NS1_11comp_targetILNS1_3genE0ELNS1_11target_archE4294967295ELNS1_3gpuE0ELNS1_3repE0EEENS1_30default_config_static_selectorELNS0_4arch9wavefront6targetE0EEEvT1_
	.p2align	8
	.type	_ZN7rocprim17ROCPRIM_400000_NS6detail17trampoline_kernelINS0_14default_configENS1_25transform_config_selectorIN3c104HalfELb1EEEZNS1_14transform_implILb1ES3_S7_PS6_S9_NS0_8identityIS6_EEEE10hipError_tT2_T3_mT4_P12ihipStream_tbEUlT_E_NS1_11comp_targetILNS1_3genE0ELNS1_11target_archE4294967295ELNS1_3gpuE0ELNS1_3repE0EEENS1_30default_config_static_selectorELNS0_4arch9wavefront6targetE0EEEvT1_,@function
_ZN7rocprim17ROCPRIM_400000_NS6detail17trampoline_kernelINS0_14default_configENS1_25transform_config_selectorIN3c104HalfELb1EEEZNS1_14transform_implILb1ES3_S7_PS6_S9_NS0_8identityIS6_EEEE10hipError_tT2_T3_mT4_P12ihipStream_tbEUlT_E_NS1_11comp_targetILNS1_3genE0ELNS1_11target_archE4294967295ELNS1_3gpuE0ELNS1_3repE0EEENS1_30default_config_static_selectorELNS0_4arch9wavefront6targetE0EEEvT1_: ; @_ZN7rocprim17ROCPRIM_400000_NS6detail17trampoline_kernelINS0_14default_configENS1_25transform_config_selectorIN3c104HalfELb1EEEZNS1_14transform_implILb1ES3_S7_PS6_S9_NS0_8identityIS6_EEEE10hipError_tT2_T3_mT4_P12ihipStream_tbEUlT_E_NS1_11comp_targetILNS1_3genE0ELNS1_11target_archE4294967295ELNS1_3gpuE0ELNS1_3repE0EEENS1_30default_config_static_selectorELNS0_4arch9wavefront6targetE0EEEvT1_
; %bb.0:
	.section	.rodata,"a",@progbits
	.p2align	6, 0x0
	.amdhsa_kernel _ZN7rocprim17ROCPRIM_400000_NS6detail17trampoline_kernelINS0_14default_configENS1_25transform_config_selectorIN3c104HalfELb1EEEZNS1_14transform_implILb1ES3_S7_PS6_S9_NS0_8identityIS6_EEEE10hipError_tT2_T3_mT4_P12ihipStream_tbEUlT_E_NS1_11comp_targetILNS1_3genE0ELNS1_11target_archE4294967295ELNS1_3gpuE0ELNS1_3repE0EEENS1_30default_config_static_selectorELNS0_4arch9wavefront6targetE0EEEvT1_
		.amdhsa_group_segment_fixed_size 0
		.amdhsa_private_segment_fixed_size 0
		.amdhsa_kernarg_size 40
		.amdhsa_user_sgpr_count 6
		.amdhsa_user_sgpr_private_segment_buffer 1
		.amdhsa_user_sgpr_dispatch_ptr 0
		.amdhsa_user_sgpr_queue_ptr 0
		.amdhsa_user_sgpr_kernarg_segment_ptr 1
		.amdhsa_user_sgpr_dispatch_id 0
		.amdhsa_user_sgpr_flat_scratch_init 0
		.amdhsa_user_sgpr_private_segment_size 0
		.amdhsa_wavefront_size32 1
		.amdhsa_uses_dynamic_stack 0
		.amdhsa_system_sgpr_private_segment_wavefront_offset 0
		.amdhsa_system_sgpr_workgroup_id_x 1
		.amdhsa_system_sgpr_workgroup_id_y 0
		.amdhsa_system_sgpr_workgroup_id_z 0
		.amdhsa_system_sgpr_workgroup_info 0
		.amdhsa_system_vgpr_workitem_id 0
		.amdhsa_next_free_vgpr 1
		.amdhsa_next_free_sgpr 1
		.amdhsa_reserve_vcc 0
		.amdhsa_reserve_flat_scratch 0
		.amdhsa_float_round_mode_32 0
		.amdhsa_float_round_mode_16_64 0
		.amdhsa_float_denorm_mode_32 3
		.amdhsa_float_denorm_mode_16_64 3
		.amdhsa_dx10_clamp 1
		.amdhsa_ieee_mode 1
		.amdhsa_fp16_overflow 0
		.amdhsa_workgroup_processor_mode 1
		.amdhsa_memory_ordered 1
		.amdhsa_forward_progress 1
		.amdhsa_shared_vgpr_count 0
		.amdhsa_exception_fp_ieee_invalid_op 0
		.amdhsa_exception_fp_denorm_src 0
		.amdhsa_exception_fp_ieee_div_zero 0
		.amdhsa_exception_fp_ieee_overflow 0
		.amdhsa_exception_fp_ieee_underflow 0
		.amdhsa_exception_fp_ieee_inexact 0
		.amdhsa_exception_int_div_zero 0
	.end_amdhsa_kernel
	.section	.text._ZN7rocprim17ROCPRIM_400000_NS6detail17trampoline_kernelINS0_14default_configENS1_25transform_config_selectorIN3c104HalfELb1EEEZNS1_14transform_implILb1ES3_S7_PS6_S9_NS0_8identityIS6_EEEE10hipError_tT2_T3_mT4_P12ihipStream_tbEUlT_E_NS1_11comp_targetILNS1_3genE0ELNS1_11target_archE4294967295ELNS1_3gpuE0ELNS1_3repE0EEENS1_30default_config_static_selectorELNS0_4arch9wavefront6targetE0EEEvT1_,"axG",@progbits,_ZN7rocprim17ROCPRIM_400000_NS6detail17trampoline_kernelINS0_14default_configENS1_25transform_config_selectorIN3c104HalfELb1EEEZNS1_14transform_implILb1ES3_S7_PS6_S9_NS0_8identityIS6_EEEE10hipError_tT2_T3_mT4_P12ihipStream_tbEUlT_E_NS1_11comp_targetILNS1_3genE0ELNS1_11target_archE4294967295ELNS1_3gpuE0ELNS1_3repE0EEENS1_30default_config_static_selectorELNS0_4arch9wavefront6targetE0EEEvT1_,comdat
.Lfunc_end360:
	.size	_ZN7rocprim17ROCPRIM_400000_NS6detail17trampoline_kernelINS0_14default_configENS1_25transform_config_selectorIN3c104HalfELb1EEEZNS1_14transform_implILb1ES3_S7_PS6_S9_NS0_8identityIS6_EEEE10hipError_tT2_T3_mT4_P12ihipStream_tbEUlT_E_NS1_11comp_targetILNS1_3genE0ELNS1_11target_archE4294967295ELNS1_3gpuE0ELNS1_3repE0EEENS1_30default_config_static_selectorELNS0_4arch9wavefront6targetE0EEEvT1_, .Lfunc_end360-_ZN7rocprim17ROCPRIM_400000_NS6detail17trampoline_kernelINS0_14default_configENS1_25transform_config_selectorIN3c104HalfELb1EEEZNS1_14transform_implILb1ES3_S7_PS6_S9_NS0_8identityIS6_EEEE10hipError_tT2_T3_mT4_P12ihipStream_tbEUlT_E_NS1_11comp_targetILNS1_3genE0ELNS1_11target_archE4294967295ELNS1_3gpuE0ELNS1_3repE0EEENS1_30default_config_static_selectorELNS0_4arch9wavefront6targetE0EEEvT1_
                                        ; -- End function
	.set _ZN7rocprim17ROCPRIM_400000_NS6detail17trampoline_kernelINS0_14default_configENS1_25transform_config_selectorIN3c104HalfELb1EEEZNS1_14transform_implILb1ES3_S7_PS6_S9_NS0_8identityIS6_EEEE10hipError_tT2_T3_mT4_P12ihipStream_tbEUlT_E_NS1_11comp_targetILNS1_3genE0ELNS1_11target_archE4294967295ELNS1_3gpuE0ELNS1_3repE0EEENS1_30default_config_static_selectorELNS0_4arch9wavefront6targetE0EEEvT1_.num_vgpr, 0
	.set _ZN7rocprim17ROCPRIM_400000_NS6detail17trampoline_kernelINS0_14default_configENS1_25transform_config_selectorIN3c104HalfELb1EEEZNS1_14transform_implILb1ES3_S7_PS6_S9_NS0_8identityIS6_EEEE10hipError_tT2_T3_mT4_P12ihipStream_tbEUlT_E_NS1_11comp_targetILNS1_3genE0ELNS1_11target_archE4294967295ELNS1_3gpuE0ELNS1_3repE0EEENS1_30default_config_static_selectorELNS0_4arch9wavefront6targetE0EEEvT1_.num_agpr, 0
	.set _ZN7rocprim17ROCPRIM_400000_NS6detail17trampoline_kernelINS0_14default_configENS1_25transform_config_selectorIN3c104HalfELb1EEEZNS1_14transform_implILb1ES3_S7_PS6_S9_NS0_8identityIS6_EEEE10hipError_tT2_T3_mT4_P12ihipStream_tbEUlT_E_NS1_11comp_targetILNS1_3genE0ELNS1_11target_archE4294967295ELNS1_3gpuE0ELNS1_3repE0EEENS1_30default_config_static_selectorELNS0_4arch9wavefront6targetE0EEEvT1_.numbered_sgpr, 0
	.set _ZN7rocprim17ROCPRIM_400000_NS6detail17trampoline_kernelINS0_14default_configENS1_25transform_config_selectorIN3c104HalfELb1EEEZNS1_14transform_implILb1ES3_S7_PS6_S9_NS0_8identityIS6_EEEE10hipError_tT2_T3_mT4_P12ihipStream_tbEUlT_E_NS1_11comp_targetILNS1_3genE0ELNS1_11target_archE4294967295ELNS1_3gpuE0ELNS1_3repE0EEENS1_30default_config_static_selectorELNS0_4arch9wavefront6targetE0EEEvT1_.num_named_barrier, 0
	.set _ZN7rocprim17ROCPRIM_400000_NS6detail17trampoline_kernelINS0_14default_configENS1_25transform_config_selectorIN3c104HalfELb1EEEZNS1_14transform_implILb1ES3_S7_PS6_S9_NS0_8identityIS6_EEEE10hipError_tT2_T3_mT4_P12ihipStream_tbEUlT_E_NS1_11comp_targetILNS1_3genE0ELNS1_11target_archE4294967295ELNS1_3gpuE0ELNS1_3repE0EEENS1_30default_config_static_selectorELNS0_4arch9wavefront6targetE0EEEvT1_.private_seg_size, 0
	.set _ZN7rocprim17ROCPRIM_400000_NS6detail17trampoline_kernelINS0_14default_configENS1_25transform_config_selectorIN3c104HalfELb1EEEZNS1_14transform_implILb1ES3_S7_PS6_S9_NS0_8identityIS6_EEEE10hipError_tT2_T3_mT4_P12ihipStream_tbEUlT_E_NS1_11comp_targetILNS1_3genE0ELNS1_11target_archE4294967295ELNS1_3gpuE0ELNS1_3repE0EEENS1_30default_config_static_selectorELNS0_4arch9wavefront6targetE0EEEvT1_.uses_vcc, 0
	.set _ZN7rocprim17ROCPRIM_400000_NS6detail17trampoline_kernelINS0_14default_configENS1_25transform_config_selectorIN3c104HalfELb1EEEZNS1_14transform_implILb1ES3_S7_PS6_S9_NS0_8identityIS6_EEEE10hipError_tT2_T3_mT4_P12ihipStream_tbEUlT_E_NS1_11comp_targetILNS1_3genE0ELNS1_11target_archE4294967295ELNS1_3gpuE0ELNS1_3repE0EEENS1_30default_config_static_selectorELNS0_4arch9wavefront6targetE0EEEvT1_.uses_flat_scratch, 0
	.set _ZN7rocprim17ROCPRIM_400000_NS6detail17trampoline_kernelINS0_14default_configENS1_25transform_config_selectorIN3c104HalfELb1EEEZNS1_14transform_implILb1ES3_S7_PS6_S9_NS0_8identityIS6_EEEE10hipError_tT2_T3_mT4_P12ihipStream_tbEUlT_E_NS1_11comp_targetILNS1_3genE0ELNS1_11target_archE4294967295ELNS1_3gpuE0ELNS1_3repE0EEENS1_30default_config_static_selectorELNS0_4arch9wavefront6targetE0EEEvT1_.has_dyn_sized_stack, 0
	.set _ZN7rocprim17ROCPRIM_400000_NS6detail17trampoline_kernelINS0_14default_configENS1_25transform_config_selectorIN3c104HalfELb1EEEZNS1_14transform_implILb1ES3_S7_PS6_S9_NS0_8identityIS6_EEEE10hipError_tT2_T3_mT4_P12ihipStream_tbEUlT_E_NS1_11comp_targetILNS1_3genE0ELNS1_11target_archE4294967295ELNS1_3gpuE0ELNS1_3repE0EEENS1_30default_config_static_selectorELNS0_4arch9wavefront6targetE0EEEvT1_.has_recursion, 0
	.set _ZN7rocprim17ROCPRIM_400000_NS6detail17trampoline_kernelINS0_14default_configENS1_25transform_config_selectorIN3c104HalfELb1EEEZNS1_14transform_implILb1ES3_S7_PS6_S9_NS0_8identityIS6_EEEE10hipError_tT2_T3_mT4_P12ihipStream_tbEUlT_E_NS1_11comp_targetILNS1_3genE0ELNS1_11target_archE4294967295ELNS1_3gpuE0ELNS1_3repE0EEENS1_30default_config_static_selectorELNS0_4arch9wavefront6targetE0EEEvT1_.has_indirect_call, 0
	.section	.AMDGPU.csdata,"",@progbits
; Kernel info:
; codeLenInByte = 0
; TotalNumSgprs: 0
; NumVgprs: 0
; ScratchSize: 0
; MemoryBound: 0
; FloatMode: 240
; IeeeMode: 1
; LDSByteSize: 0 bytes/workgroup (compile time only)
; SGPRBlocks: 0
; VGPRBlocks: 0
; NumSGPRsForWavesPerEU: 1
; NumVGPRsForWavesPerEU: 1
; Occupancy: 16
; WaveLimiterHint : 0
; COMPUTE_PGM_RSRC2:SCRATCH_EN: 0
; COMPUTE_PGM_RSRC2:USER_SGPR: 6
; COMPUTE_PGM_RSRC2:TRAP_HANDLER: 0
; COMPUTE_PGM_RSRC2:TGID_X_EN: 1
; COMPUTE_PGM_RSRC2:TGID_Y_EN: 0
; COMPUTE_PGM_RSRC2:TGID_Z_EN: 0
; COMPUTE_PGM_RSRC2:TIDIG_COMP_CNT: 0
	.section	.text._ZN7rocprim17ROCPRIM_400000_NS6detail17trampoline_kernelINS0_14default_configENS1_25transform_config_selectorIN3c104HalfELb1EEEZNS1_14transform_implILb1ES3_S7_PS6_S9_NS0_8identityIS6_EEEE10hipError_tT2_T3_mT4_P12ihipStream_tbEUlT_E_NS1_11comp_targetILNS1_3genE10ELNS1_11target_archE1201ELNS1_3gpuE5ELNS1_3repE0EEENS1_30default_config_static_selectorELNS0_4arch9wavefront6targetE0EEEvT1_,"axG",@progbits,_ZN7rocprim17ROCPRIM_400000_NS6detail17trampoline_kernelINS0_14default_configENS1_25transform_config_selectorIN3c104HalfELb1EEEZNS1_14transform_implILb1ES3_S7_PS6_S9_NS0_8identityIS6_EEEE10hipError_tT2_T3_mT4_P12ihipStream_tbEUlT_E_NS1_11comp_targetILNS1_3genE10ELNS1_11target_archE1201ELNS1_3gpuE5ELNS1_3repE0EEENS1_30default_config_static_selectorELNS0_4arch9wavefront6targetE0EEEvT1_,comdat
	.protected	_ZN7rocprim17ROCPRIM_400000_NS6detail17trampoline_kernelINS0_14default_configENS1_25transform_config_selectorIN3c104HalfELb1EEEZNS1_14transform_implILb1ES3_S7_PS6_S9_NS0_8identityIS6_EEEE10hipError_tT2_T3_mT4_P12ihipStream_tbEUlT_E_NS1_11comp_targetILNS1_3genE10ELNS1_11target_archE1201ELNS1_3gpuE5ELNS1_3repE0EEENS1_30default_config_static_selectorELNS0_4arch9wavefront6targetE0EEEvT1_ ; -- Begin function _ZN7rocprim17ROCPRIM_400000_NS6detail17trampoline_kernelINS0_14default_configENS1_25transform_config_selectorIN3c104HalfELb1EEEZNS1_14transform_implILb1ES3_S7_PS6_S9_NS0_8identityIS6_EEEE10hipError_tT2_T3_mT4_P12ihipStream_tbEUlT_E_NS1_11comp_targetILNS1_3genE10ELNS1_11target_archE1201ELNS1_3gpuE5ELNS1_3repE0EEENS1_30default_config_static_selectorELNS0_4arch9wavefront6targetE0EEEvT1_
	.globl	_ZN7rocprim17ROCPRIM_400000_NS6detail17trampoline_kernelINS0_14default_configENS1_25transform_config_selectorIN3c104HalfELb1EEEZNS1_14transform_implILb1ES3_S7_PS6_S9_NS0_8identityIS6_EEEE10hipError_tT2_T3_mT4_P12ihipStream_tbEUlT_E_NS1_11comp_targetILNS1_3genE10ELNS1_11target_archE1201ELNS1_3gpuE5ELNS1_3repE0EEENS1_30default_config_static_selectorELNS0_4arch9wavefront6targetE0EEEvT1_
	.p2align	8
	.type	_ZN7rocprim17ROCPRIM_400000_NS6detail17trampoline_kernelINS0_14default_configENS1_25transform_config_selectorIN3c104HalfELb1EEEZNS1_14transform_implILb1ES3_S7_PS6_S9_NS0_8identityIS6_EEEE10hipError_tT2_T3_mT4_P12ihipStream_tbEUlT_E_NS1_11comp_targetILNS1_3genE10ELNS1_11target_archE1201ELNS1_3gpuE5ELNS1_3repE0EEENS1_30default_config_static_selectorELNS0_4arch9wavefront6targetE0EEEvT1_,@function
_ZN7rocprim17ROCPRIM_400000_NS6detail17trampoline_kernelINS0_14default_configENS1_25transform_config_selectorIN3c104HalfELb1EEEZNS1_14transform_implILb1ES3_S7_PS6_S9_NS0_8identityIS6_EEEE10hipError_tT2_T3_mT4_P12ihipStream_tbEUlT_E_NS1_11comp_targetILNS1_3genE10ELNS1_11target_archE1201ELNS1_3gpuE5ELNS1_3repE0EEENS1_30default_config_static_selectorELNS0_4arch9wavefront6targetE0EEEvT1_: ; @_ZN7rocprim17ROCPRIM_400000_NS6detail17trampoline_kernelINS0_14default_configENS1_25transform_config_selectorIN3c104HalfELb1EEEZNS1_14transform_implILb1ES3_S7_PS6_S9_NS0_8identityIS6_EEEE10hipError_tT2_T3_mT4_P12ihipStream_tbEUlT_E_NS1_11comp_targetILNS1_3genE10ELNS1_11target_archE1201ELNS1_3gpuE5ELNS1_3repE0EEENS1_30default_config_static_selectorELNS0_4arch9wavefront6targetE0EEEvT1_
; %bb.0:
	.section	.rodata,"a",@progbits
	.p2align	6, 0x0
	.amdhsa_kernel _ZN7rocprim17ROCPRIM_400000_NS6detail17trampoline_kernelINS0_14default_configENS1_25transform_config_selectorIN3c104HalfELb1EEEZNS1_14transform_implILb1ES3_S7_PS6_S9_NS0_8identityIS6_EEEE10hipError_tT2_T3_mT4_P12ihipStream_tbEUlT_E_NS1_11comp_targetILNS1_3genE10ELNS1_11target_archE1201ELNS1_3gpuE5ELNS1_3repE0EEENS1_30default_config_static_selectorELNS0_4arch9wavefront6targetE0EEEvT1_
		.amdhsa_group_segment_fixed_size 0
		.amdhsa_private_segment_fixed_size 0
		.amdhsa_kernarg_size 40
		.amdhsa_user_sgpr_count 6
		.amdhsa_user_sgpr_private_segment_buffer 1
		.amdhsa_user_sgpr_dispatch_ptr 0
		.amdhsa_user_sgpr_queue_ptr 0
		.amdhsa_user_sgpr_kernarg_segment_ptr 1
		.amdhsa_user_sgpr_dispatch_id 0
		.amdhsa_user_sgpr_flat_scratch_init 0
		.amdhsa_user_sgpr_private_segment_size 0
		.amdhsa_wavefront_size32 1
		.amdhsa_uses_dynamic_stack 0
		.amdhsa_system_sgpr_private_segment_wavefront_offset 0
		.amdhsa_system_sgpr_workgroup_id_x 1
		.amdhsa_system_sgpr_workgroup_id_y 0
		.amdhsa_system_sgpr_workgroup_id_z 0
		.amdhsa_system_sgpr_workgroup_info 0
		.amdhsa_system_vgpr_workitem_id 0
		.amdhsa_next_free_vgpr 1
		.amdhsa_next_free_sgpr 1
		.amdhsa_reserve_vcc 0
		.amdhsa_reserve_flat_scratch 0
		.amdhsa_float_round_mode_32 0
		.amdhsa_float_round_mode_16_64 0
		.amdhsa_float_denorm_mode_32 3
		.amdhsa_float_denorm_mode_16_64 3
		.amdhsa_dx10_clamp 1
		.amdhsa_ieee_mode 1
		.amdhsa_fp16_overflow 0
		.amdhsa_workgroup_processor_mode 1
		.amdhsa_memory_ordered 1
		.amdhsa_forward_progress 1
		.amdhsa_shared_vgpr_count 0
		.amdhsa_exception_fp_ieee_invalid_op 0
		.amdhsa_exception_fp_denorm_src 0
		.amdhsa_exception_fp_ieee_div_zero 0
		.amdhsa_exception_fp_ieee_overflow 0
		.amdhsa_exception_fp_ieee_underflow 0
		.amdhsa_exception_fp_ieee_inexact 0
		.amdhsa_exception_int_div_zero 0
	.end_amdhsa_kernel
	.section	.text._ZN7rocprim17ROCPRIM_400000_NS6detail17trampoline_kernelINS0_14default_configENS1_25transform_config_selectorIN3c104HalfELb1EEEZNS1_14transform_implILb1ES3_S7_PS6_S9_NS0_8identityIS6_EEEE10hipError_tT2_T3_mT4_P12ihipStream_tbEUlT_E_NS1_11comp_targetILNS1_3genE10ELNS1_11target_archE1201ELNS1_3gpuE5ELNS1_3repE0EEENS1_30default_config_static_selectorELNS0_4arch9wavefront6targetE0EEEvT1_,"axG",@progbits,_ZN7rocprim17ROCPRIM_400000_NS6detail17trampoline_kernelINS0_14default_configENS1_25transform_config_selectorIN3c104HalfELb1EEEZNS1_14transform_implILb1ES3_S7_PS6_S9_NS0_8identityIS6_EEEE10hipError_tT2_T3_mT4_P12ihipStream_tbEUlT_E_NS1_11comp_targetILNS1_3genE10ELNS1_11target_archE1201ELNS1_3gpuE5ELNS1_3repE0EEENS1_30default_config_static_selectorELNS0_4arch9wavefront6targetE0EEEvT1_,comdat
.Lfunc_end361:
	.size	_ZN7rocprim17ROCPRIM_400000_NS6detail17trampoline_kernelINS0_14default_configENS1_25transform_config_selectorIN3c104HalfELb1EEEZNS1_14transform_implILb1ES3_S7_PS6_S9_NS0_8identityIS6_EEEE10hipError_tT2_T3_mT4_P12ihipStream_tbEUlT_E_NS1_11comp_targetILNS1_3genE10ELNS1_11target_archE1201ELNS1_3gpuE5ELNS1_3repE0EEENS1_30default_config_static_selectorELNS0_4arch9wavefront6targetE0EEEvT1_, .Lfunc_end361-_ZN7rocprim17ROCPRIM_400000_NS6detail17trampoline_kernelINS0_14default_configENS1_25transform_config_selectorIN3c104HalfELb1EEEZNS1_14transform_implILb1ES3_S7_PS6_S9_NS0_8identityIS6_EEEE10hipError_tT2_T3_mT4_P12ihipStream_tbEUlT_E_NS1_11comp_targetILNS1_3genE10ELNS1_11target_archE1201ELNS1_3gpuE5ELNS1_3repE0EEENS1_30default_config_static_selectorELNS0_4arch9wavefront6targetE0EEEvT1_
                                        ; -- End function
	.set _ZN7rocprim17ROCPRIM_400000_NS6detail17trampoline_kernelINS0_14default_configENS1_25transform_config_selectorIN3c104HalfELb1EEEZNS1_14transform_implILb1ES3_S7_PS6_S9_NS0_8identityIS6_EEEE10hipError_tT2_T3_mT4_P12ihipStream_tbEUlT_E_NS1_11comp_targetILNS1_3genE10ELNS1_11target_archE1201ELNS1_3gpuE5ELNS1_3repE0EEENS1_30default_config_static_selectorELNS0_4arch9wavefront6targetE0EEEvT1_.num_vgpr, 0
	.set _ZN7rocprim17ROCPRIM_400000_NS6detail17trampoline_kernelINS0_14default_configENS1_25transform_config_selectorIN3c104HalfELb1EEEZNS1_14transform_implILb1ES3_S7_PS6_S9_NS0_8identityIS6_EEEE10hipError_tT2_T3_mT4_P12ihipStream_tbEUlT_E_NS1_11comp_targetILNS1_3genE10ELNS1_11target_archE1201ELNS1_3gpuE5ELNS1_3repE0EEENS1_30default_config_static_selectorELNS0_4arch9wavefront6targetE0EEEvT1_.num_agpr, 0
	.set _ZN7rocprim17ROCPRIM_400000_NS6detail17trampoline_kernelINS0_14default_configENS1_25transform_config_selectorIN3c104HalfELb1EEEZNS1_14transform_implILb1ES3_S7_PS6_S9_NS0_8identityIS6_EEEE10hipError_tT2_T3_mT4_P12ihipStream_tbEUlT_E_NS1_11comp_targetILNS1_3genE10ELNS1_11target_archE1201ELNS1_3gpuE5ELNS1_3repE0EEENS1_30default_config_static_selectorELNS0_4arch9wavefront6targetE0EEEvT1_.numbered_sgpr, 0
	.set _ZN7rocprim17ROCPRIM_400000_NS6detail17trampoline_kernelINS0_14default_configENS1_25transform_config_selectorIN3c104HalfELb1EEEZNS1_14transform_implILb1ES3_S7_PS6_S9_NS0_8identityIS6_EEEE10hipError_tT2_T3_mT4_P12ihipStream_tbEUlT_E_NS1_11comp_targetILNS1_3genE10ELNS1_11target_archE1201ELNS1_3gpuE5ELNS1_3repE0EEENS1_30default_config_static_selectorELNS0_4arch9wavefront6targetE0EEEvT1_.num_named_barrier, 0
	.set _ZN7rocprim17ROCPRIM_400000_NS6detail17trampoline_kernelINS0_14default_configENS1_25transform_config_selectorIN3c104HalfELb1EEEZNS1_14transform_implILb1ES3_S7_PS6_S9_NS0_8identityIS6_EEEE10hipError_tT2_T3_mT4_P12ihipStream_tbEUlT_E_NS1_11comp_targetILNS1_3genE10ELNS1_11target_archE1201ELNS1_3gpuE5ELNS1_3repE0EEENS1_30default_config_static_selectorELNS0_4arch9wavefront6targetE0EEEvT1_.private_seg_size, 0
	.set _ZN7rocprim17ROCPRIM_400000_NS6detail17trampoline_kernelINS0_14default_configENS1_25transform_config_selectorIN3c104HalfELb1EEEZNS1_14transform_implILb1ES3_S7_PS6_S9_NS0_8identityIS6_EEEE10hipError_tT2_T3_mT4_P12ihipStream_tbEUlT_E_NS1_11comp_targetILNS1_3genE10ELNS1_11target_archE1201ELNS1_3gpuE5ELNS1_3repE0EEENS1_30default_config_static_selectorELNS0_4arch9wavefront6targetE0EEEvT1_.uses_vcc, 0
	.set _ZN7rocprim17ROCPRIM_400000_NS6detail17trampoline_kernelINS0_14default_configENS1_25transform_config_selectorIN3c104HalfELb1EEEZNS1_14transform_implILb1ES3_S7_PS6_S9_NS0_8identityIS6_EEEE10hipError_tT2_T3_mT4_P12ihipStream_tbEUlT_E_NS1_11comp_targetILNS1_3genE10ELNS1_11target_archE1201ELNS1_3gpuE5ELNS1_3repE0EEENS1_30default_config_static_selectorELNS0_4arch9wavefront6targetE0EEEvT1_.uses_flat_scratch, 0
	.set _ZN7rocprim17ROCPRIM_400000_NS6detail17trampoline_kernelINS0_14default_configENS1_25transform_config_selectorIN3c104HalfELb1EEEZNS1_14transform_implILb1ES3_S7_PS6_S9_NS0_8identityIS6_EEEE10hipError_tT2_T3_mT4_P12ihipStream_tbEUlT_E_NS1_11comp_targetILNS1_3genE10ELNS1_11target_archE1201ELNS1_3gpuE5ELNS1_3repE0EEENS1_30default_config_static_selectorELNS0_4arch9wavefront6targetE0EEEvT1_.has_dyn_sized_stack, 0
	.set _ZN7rocprim17ROCPRIM_400000_NS6detail17trampoline_kernelINS0_14default_configENS1_25transform_config_selectorIN3c104HalfELb1EEEZNS1_14transform_implILb1ES3_S7_PS6_S9_NS0_8identityIS6_EEEE10hipError_tT2_T3_mT4_P12ihipStream_tbEUlT_E_NS1_11comp_targetILNS1_3genE10ELNS1_11target_archE1201ELNS1_3gpuE5ELNS1_3repE0EEENS1_30default_config_static_selectorELNS0_4arch9wavefront6targetE0EEEvT1_.has_recursion, 0
	.set _ZN7rocprim17ROCPRIM_400000_NS6detail17trampoline_kernelINS0_14default_configENS1_25transform_config_selectorIN3c104HalfELb1EEEZNS1_14transform_implILb1ES3_S7_PS6_S9_NS0_8identityIS6_EEEE10hipError_tT2_T3_mT4_P12ihipStream_tbEUlT_E_NS1_11comp_targetILNS1_3genE10ELNS1_11target_archE1201ELNS1_3gpuE5ELNS1_3repE0EEENS1_30default_config_static_selectorELNS0_4arch9wavefront6targetE0EEEvT1_.has_indirect_call, 0
	.section	.AMDGPU.csdata,"",@progbits
; Kernel info:
; codeLenInByte = 0
; TotalNumSgprs: 0
; NumVgprs: 0
; ScratchSize: 0
; MemoryBound: 0
; FloatMode: 240
; IeeeMode: 1
; LDSByteSize: 0 bytes/workgroup (compile time only)
; SGPRBlocks: 0
; VGPRBlocks: 0
; NumSGPRsForWavesPerEU: 1
; NumVGPRsForWavesPerEU: 1
; Occupancy: 16
; WaveLimiterHint : 0
; COMPUTE_PGM_RSRC2:SCRATCH_EN: 0
; COMPUTE_PGM_RSRC2:USER_SGPR: 6
; COMPUTE_PGM_RSRC2:TRAP_HANDLER: 0
; COMPUTE_PGM_RSRC2:TGID_X_EN: 1
; COMPUTE_PGM_RSRC2:TGID_Y_EN: 0
; COMPUTE_PGM_RSRC2:TGID_Z_EN: 0
; COMPUTE_PGM_RSRC2:TIDIG_COMP_CNT: 0
	.section	.text._ZN7rocprim17ROCPRIM_400000_NS6detail17trampoline_kernelINS0_14default_configENS1_25transform_config_selectorIN3c104HalfELb1EEEZNS1_14transform_implILb1ES3_S7_PS6_S9_NS0_8identityIS6_EEEE10hipError_tT2_T3_mT4_P12ihipStream_tbEUlT_E_NS1_11comp_targetILNS1_3genE5ELNS1_11target_archE942ELNS1_3gpuE9ELNS1_3repE0EEENS1_30default_config_static_selectorELNS0_4arch9wavefront6targetE0EEEvT1_,"axG",@progbits,_ZN7rocprim17ROCPRIM_400000_NS6detail17trampoline_kernelINS0_14default_configENS1_25transform_config_selectorIN3c104HalfELb1EEEZNS1_14transform_implILb1ES3_S7_PS6_S9_NS0_8identityIS6_EEEE10hipError_tT2_T3_mT4_P12ihipStream_tbEUlT_E_NS1_11comp_targetILNS1_3genE5ELNS1_11target_archE942ELNS1_3gpuE9ELNS1_3repE0EEENS1_30default_config_static_selectorELNS0_4arch9wavefront6targetE0EEEvT1_,comdat
	.protected	_ZN7rocprim17ROCPRIM_400000_NS6detail17trampoline_kernelINS0_14default_configENS1_25transform_config_selectorIN3c104HalfELb1EEEZNS1_14transform_implILb1ES3_S7_PS6_S9_NS0_8identityIS6_EEEE10hipError_tT2_T3_mT4_P12ihipStream_tbEUlT_E_NS1_11comp_targetILNS1_3genE5ELNS1_11target_archE942ELNS1_3gpuE9ELNS1_3repE0EEENS1_30default_config_static_selectorELNS0_4arch9wavefront6targetE0EEEvT1_ ; -- Begin function _ZN7rocprim17ROCPRIM_400000_NS6detail17trampoline_kernelINS0_14default_configENS1_25transform_config_selectorIN3c104HalfELb1EEEZNS1_14transform_implILb1ES3_S7_PS6_S9_NS0_8identityIS6_EEEE10hipError_tT2_T3_mT4_P12ihipStream_tbEUlT_E_NS1_11comp_targetILNS1_3genE5ELNS1_11target_archE942ELNS1_3gpuE9ELNS1_3repE0EEENS1_30default_config_static_selectorELNS0_4arch9wavefront6targetE0EEEvT1_
	.globl	_ZN7rocprim17ROCPRIM_400000_NS6detail17trampoline_kernelINS0_14default_configENS1_25transform_config_selectorIN3c104HalfELb1EEEZNS1_14transform_implILb1ES3_S7_PS6_S9_NS0_8identityIS6_EEEE10hipError_tT2_T3_mT4_P12ihipStream_tbEUlT_E_NS1_11comp_targetILNS1_3genE5ELNS1_11target_archE942ELNS1_3gpuE9ELNS1_3repE0EEENS1_30default_config_static_selectorELNS0_4arch9wavefront6targetE0EEEvT1_
	.p2align	8
	.type	_ZN7rocprim17ROCPRIM_400000_NS6detail17trampoline_kernelINS0_14default_configENS1_25transform_config_selectorIN3c104HalfELb1EEEZNS1_14transform_implILb1ES3_S7_PS6_S9_NS0_8identityIS6_EEEE10hipError_tT2_T3_mT4_P12ihipStream_tbEUlT_E_NS1_11comp_targetILNS1_3genE5ELNS1_11target_archE942ELNS1_3gpuE9ELNS1_3repE0EEENS1_30default_config_static_selectorELNS0_4arch9wavefront6targetE0EEEvT1_,@function
_ZN7rocprim17ROCPRIM_400000_NS6detail17trampoline_kernelINS0_14default_configENS1_25transform_config_selectorIN3c104HalfELb1EEEZNS1_14transform_implILb1ES3_S7_PS6_S9_NS0_8identityIS6_EEEE10hipError_tT2_T3_mT4_P12ihipStream_tbEUlT_E_NS1_11comp_targetILNS1_3genE5ELNS1_11target_archE942ELNS1_3gpuE9ELNS1_3repE0EEENS1_30default_config_static_selectorELNS0_4arch9wavefront6targetE0EEEvT1_: ; @_ZN7rocprim17ROCPRIM_400000_NS6detail17trampoline_kernelINS0_14default_configENS1_25transform_config_selectorIN3c104HalfELb1EEEZNS1_14transform_implILb1ES3_S7_PS6_S9_NS0_8identityIS6_EEEE10hipError_tT2_T3_mT4_P12ihipStream_tbEUlT_E_NS1_11comp_targetILNS1_3genE5ELNS1_11target_archE942ELNS1_3gpuE9ELNS1_3repE0EEENS1_30default_config_static_selectorELNS0_4arch9wavefront6targetE0EEEvT1_
; %bb.0:
	.section	.rodata,"a",@progbits
	.p2align	6, 0x0
	.amdhsa_kernel _ZN7rocprim17ROCPRIM_400000_NS6detail17trampoline_kernelINS0_14default_configENS1_25transform_config_selectorIN3c104HalfELb1EEEZNS1_14transform_implILb1ES3_S7_PS6_S9_NS0_8identityIS6_EEEE10hipError_tT2_T3_mT4_P12ihipStream_tbEUlT_E_NS1_11comp_targetILNS1_3genE5ELNS1_11target_archE942ELNS1_3gpuE9ELNS1_3repE0EEENS1_30default_config_static_selectorELNS0_4arch9wavefront6targetE0EEEvT1_
		.amdhsa_group_segment_fixed_size 0
		.amdhsa_private_segment_fixed_size 0
		.amdhsa_kernarg_size 40
		.amdhsa_user_sgpr_count 6
		.amdhsa_user_sgpr_private_segment_buffer 1
		.amdhsa_user_sgpr_dispatch_ptr 0
		.amdhsa_user_sgpr_queue_ptr 0
		.amdhsa_user_sgpr_kernarg_segment_ptr 1
		.amdhsa_user_sgpr_dispatch_id 0
		.amdhsa_user_sgpr_flat_scratch_init 0
		.amdhsa_user_sgpr_private_segment_size 0
		.amdhsa_wavefront_size32 1
		.amdhsa_uses_dynamic_stack 0
		.amdhsa_system_sgpr_private_segment_wavefront_offset 0
		.amdhsa_system_sgpr_workgroup_id_x 1
		.amdhsa_system_sgpr_workgroup_id_y 0
		.amdhsa_system_sgpr_workgroup_id_z 0
		.amdhsa_system_sgpr_workgroup_info 0
		.amdhsa_system_vgpr_workitem_id 0
		.amdhsa_next_free_vgpr 1
		.amdhsa_next_free_sgpr 1
		.amdhsa_reserve_vcc 0
		.amdhsa_reserve_flat_scratch 0
		.amdhsa_float_round_mode_32 0
		.amdhsa_float_round_mode_16_64 0
		.amdhsa_float_denorm_mode_32 3
		.amdhsa_float_denorm_mode_16_64 3
		.amdhsa_dx10_clamp 1
		.amdhsa_ieee_mode 1
		.amdhsa_fp16_overflow 0
		.amdhsa_workgroup_processor_mode 1
		.amdhsa_memory_ordered 1
		.amdhsa_forward_progress 1
		.amdhsa_shared_vgpr_count 0
		.amdhsa_exception_fp_ieee_invalid_op 0
		.amdhsa_exception_fp_denorm_src 0
		.amdhsa_exception_fp_ieee_div_zero 0
		.amdhsa_exception_fp_ieee_overflow 0
		.amdhsa_exception_fp_ieee_underflow 0
		.amdhsa_exception_fp_ieee_inexact 0
		.amdhsa_exception_int_div_zero 0
	.end_amdhsa_kernel
	.section	.text._ZN7rocprim17ROCPRIM_400000_NS6detail17trampoline_kernelINS0_14default_configENS1_25transform_config_selectorIN3c104HalfELb1EEEZNS1_14transform_implILb1ES3_S7_PS6_S9_NS0_8identityIS6_EEEE10hipError_tT2_T3_mT4_P12ihipStream_tbEUlT_E_NS1_11comp_targetILNS1_3genE5ELNS1_11target_archE942ELNS1_3gpuE9ELNS1_3repE0EEENS1_30default_config_static_selectorELNS0_4arch9wavefront6targetE0EEEvT1_,"axG",@progbits,_ZN7rocprim17ROCPRIM_400000_NS6detail17trampoline_kernelINS0_14default_configENS1_25transform_config_selectorIN3c104HalfELb1EEEZNS1_14transform_implILb1ES3_S7_PS6_S9_NS0_8identityIS6_EEEE10hipError_tT2_T3_mT4_P12ihipStream_tbEUlT_E_NS1_11comp_targetILNS1_3genE5ELNS1_11target_archE942ELNS1_3gpuE9ELNS1_3repE0EEENS1_30default_config_static_selectorELNS0_4arch9wavefront6targetE0EEEvT1_,comdat
.Lfunc_end362:
	.size	_ZN7rocprim17ROCPRIM_400000_NS6detail17trampoline_kernelINS0_14default_configENS1_25transform_config_selectorIN3c104HalfELb1EEEZNS1_14transform_implILb1ES3_S7_PS6_S9_NS0_8identityIS6_EEEE10hipError_tT2_T3_mT4_P12ihipStream_tbEUlT_E_NS1_11comp_targetILNS1_3genE5ELNS1_11target_archE942ELNS1_3gpuE9ELNS1_3repE0EEENS1_30default_config_static_selectorELNS0_4arch9wavefront6targetE0EEEvT1_, .Lfunc_end362-_ZN7rocprim17ROCPRIM_400000_NS6detail17trampoline_kernelINS0_14default_configENS1_25transform_config_selectorIN3c104HalfELb1EEEZNS1_14transform_implILb1ES3_S7_PS6_S9_NS0_8identityIS6_EEEE10hipError_tT2_T3_mT4_P12ihipStream_tbEUlT_E_NS1_11comp_targetILNS1_3genE5ELNS1_11target_archE942ELNS1_3gpuE9ELNS1_3repE0EEENS1_30default_config_static_selectorELNS0_4arch9wavefront6targetE0EEEvT1_
                                        ; -- End function
	.set _ZN7rocprim17ROCPRIM_400000_NS6detail17trampoline_kernelINS0_14default_configENS1_25transform_config_selectorIN3c104HalfELb1EEEZNS1_14transform_implILb1ES3_S7_PS6_S9_NS0_8identityIS6_EEEE10hipError_tT2_T3_mT4_P12ihipStream_tbEUlT_E_NS1_11comp_targetILNS1_3genE5ELNS1_11target_archE942ELNS1_3gpuE9ELNS1_3repE0EEENS1_30default_config_static_selectorELNS0_4arch9wavefront6targetE0EEEvT1_.num_vgpr, 0
	.set _ZN7rocprim17ROCPRIM_400000_NS6detail17trampoline_kernelINS0_14default_configENS1_25transform_config_selectorIN3c104HalfELb1EEEZNS1_14transform_implILb1ES3_S7_PS6_S9_NS0_8identityIS6_EEEE10hipError_tT2_T3_mT4_P12ihipStream_tbEUlT_E_NS1_11comp_targetILNS1_3genE5ELNS1_11target_archE942ELNS1_3gpuE9ELNS1_3repE0EEENS1_30default_config_static_selectorELNS0_4arch9wavefront6targetE0EEEvT1_.num_agpr, 0
	.set _ZN7rocprim17ROCPRIM_400000_NS6detail17trampoline_kernelINS0_14default_configENS1_25transform_config_selectorIN3c104HalfELb1EEEZNS1_14transform_implILb1ES3_S7_PS6_S9_NS0_8identityIS6_EEEE10hipError_tT2_T3_mT4_P12ihipStream_tbEUlT_E_NS1_11comp_targetILNS1_3genE5ELNS1_11target_archE942ELNS1_3gpuE9ELNS1_3repE0EEENS1_30default_config_static_selectorELNS0_4arch9wavefront6targetE0EEEvT1_.numbered_sgpr, 0
	.set _ZN7rocprim17ROCPRIM_400000_NS6detail17trampoline_kernelINS0_14default_configENS1_25transform_config_selectorIN3c104HalfELb1EEEZNS1_14transform_implILb1ES3_S7_PS6_S9_NS0_8identityIS6_EEEE10hipError_tT2_T3_mT4_P12ihipStream_tbEUlT_E_NS1_11comp_targetILNS1_3genE5ELNS1_11target_archE942ELNS1_3gpuE9ELNS1_3repE0EEENS1_30default_config_static_selectorELNS0_4arch9wavefront6targetE0EEEvT1_.num_named_barrier, 0
	.set _ZN7rocprim17ROCPRIM_400000_NS6detail17trampoline_kernelINS0_14default_configENS1_25transform_config_selectorIN3c104HalfELb1EEEZNS1_14transform_implILb1ES3_S7_PS6_S9_NS0_8identityIS6_EEEE10hipError_tT2_T3_mT4_P12ihipStream_tbEUlT_E_NS1_11comp_targetILNS1_3genE5ELNS1_11target_archE942ELNS1_3gpuE9ELNS1_3repE0EEENS1_30default_config_static_selectorELNS0_4arch9wavefront6targetE0EEEvT1_.private_seg_size, 0
	.set _ZN7rocprim17ROCPRIM_400000_NS6detail17trampoline_kernelINS0_14default_configENS1_25transform_config_selectorIN3c104HalfELb1EEEZNS1_14transform_implILb1ES3_S7_PS6_S9_NS0_8identityIS6_EEEE10hipError_tT2_T3_mT4_P12ihipStream_tbEUlT_E_NS1_11comp_targetILNS1_3genE5ELNS1_11target_archE942ELNS1_3gpuE9ELNS1_3repE0EEENS1_30default_config_static_selectorELNS0_4arch9wavefront6targetE0EEEvT1_.uses_vcc, 0
	.set _ZN7rocprim17ROCPRIM_400000_NS6detail17trampoline_kernelINS0_14default_configENS1_25transform_config_selectorIN3c104HalfELb1EEEZNS1_14transform_implILb1ES3_S7_PS6_S9_NS0_8identityIS6_EEEE10hipError_tT2_T3_mT4_P12ihipStream_tbEUlT_E_NS1_11comp_targetILNS1_3genE5ELNS1_11target_archE942ELNS1_3gpuE9ELNS1_3repE0EEENS1_30default_config_static_selectorELNS0_4arch9wavefront6targetE0EEEvT1_.uses_flat_scratch, 0
	.set _ZN7rocprim17ROCPRIM_400000_NS6detail17trampoline_kernelINS0_14default_configENS1_25transform_config_selectorIN3c104HalfELb1EEEZNS1_14transform_implILb1ES3_S7_PS6_S9_NS0_8identityIS6_EEEE10hipError_tT2_T3_mT4_P12ihipStream_tbEUlT_E_NS1_11comp_targetILNS1_3genE5ELNS1_11target_archE942ELNS1_3gpuE9ELNS1_3repE0EEENS1_30default_config_static_selectorELNS0_4arch9wavefront6targetE0EEEvT1_.has_dyn_sized_stack, 0
	.set _ZN7rocprim17ROCPRIM_400000_NS6detail17trampoline_kernelINS0_14default_configENS1_25transform_config_selectorIN3c104HalfELb1EEEZNS1_14transform_implILb1ES3_S7_PS6_S9_NS0_8identityIS6_EEEE10hipError_tT2_T3_mT4_P12ihipStream_tbEUlT_E_NS1_11comp_targetILNS1_3genE5ELNS1_11target_archE942ELNS1_3gpuE9ELNS1_3repE0EEENS1_30default_config_static_selectorELNS0_4arch9wavefront6targetE0EEEvT1_.has_recursion, 0
	.set _ZN7rocprim17ROCPRIM_400000_NS6detail17trampoline_kernelINS0_14default_configENS1_25transform_config_selectorIN3c104HalfELb1EEEZNS1_14transform_implILb1ES3_S7_PS6_S9_NS0_8identityIS6_EEEE10hipError_tT2_T3_mT4_P12ihipStream_tbEUlT_E_NS1_11comp_targetILNS1_3genE5ELNS1_11target_archE942ELNS1_3gpuE9ELNS1_3repE0EEENS1_30default_config_static_selectorELNS0_4arch9wavefront6targetE0EEEvT1_.has_indirect_call, 0
	.section	.AMDGPU.csdata,"",@progbits
; Kernel info:
; codeLenInByte = 0
; TotalNumSgprs: 0
; NumVgprs: 0
; ScratchSize: 0
; MemoryBound: 0
; FloatMode: 240
; IeeeMode: 1
; LDSByteSize: 0 bytes/workgroup (compile time only)
; SGPRBlocks: 0
; VGPRBlocks: 0
; NumSGPRsForWavesPerEU: 1
; NumVGPRsForWavesPerEU: 1
; Occupancy: 16
; WaveLimiterHint : 0
; COMPUTE_PGM_RSRC2:SCRATCH_EN: 0
; COMPUTE_PGM_RSRC2:USER_SGPR: 6
; COMPUTE_PGM_RSRC2:TRAP_HANDLER: 0
; COMPUTE_PGM_RSRC2:TGID_X_EN: 1
; COMPUTE_PGM_RSRC2:TGID_Y_EN: 0
; COMPUTE_PGM_RSRC2:TGID_Z_EN: 0
; COMPUTE_PGM_RSRC2:TIDIG_COMP_CNT: 0
	.section	.text._ZN7rocprim17ROCPRIM_400000_NS6detail17trampoline_kernelINS0_14default_configENS1_25transform_config_selectorIN3c104HalfELb1EEEZNS1_14transform_implILb1ES3_S7_PS6_S9_NS0_8identityIS6_EEEE10hipError_tT2_T3_mT4_P12ihipStream_tbEUlT_E_NS1_11comp_targetILNS1_3genE4ELNS1_11target_archE910ELNS1_3gpuE8ELNS1_3repE0EEENS1_30default_config_static_selectorELNS0_4arch9wavefront6targetE0EEEvT1_,"axG",@progbits,_ZN7rocprim17ROCPRIM_400000_NS6detail17trampoline_kernelINS0_14default_configENS1_25transform_config_selectorIN3c104HalfELb1EEEZNS1_14transform_implILb1ES3_S7_PS6_S9_NS0_8identityIS6_EEEE10hipError_tT2_T3_mT4_P12ihipStream_tbEUlT_E_NS1_11comp_targetILNS1_3genE4ELNS1_11target_archE910ELNS1_3gpuE8ELNS1_3repE0EEENS1_30default_config_static_selectorELNS0_4arch9wavefront6targetE0EEEvT1_,comdat
	.protected	_ZN7rocprim17ROCPRIM_400000_NS6detail17trampoline_kernelINS0_14default_configENS1_25transform_config_selectorIN3c104HalfELb1EEEZNS1_14transform_implILb1ES3_S7_PS6_S9_NS0_8identityIS6_EEEE10hipError_tT2_T3_mT4_P12ihipStream_tbEUlT_E_NS1_11comp_targetILNS1_3genE4ELNS1_11target_archE910ELNS1_3gpuE8ELNS1_3repE0EEENS1_30default_config_static_selectorELNS0_4arch9wavefront6targetE0EEEvT1_ ; -- Begin function _ZN7rocprim17ROCPRIM_400000_NS6detail17trampoline_kernelINS0_14default_configENS1_25transform_config_selectorIN3c104HalfELb1EEEZNS1_14transform_implILb1ES3_S7_PS6_S9_NS0_8identityIS6_EEEE10hipError_tT2_T3_mT4_P12ihipStream_tbEUlT_E_NS1_11comp_targetILNS1_3genE4ELNS1_11target_archE910ELNS1_3gpuE8ELNS1_3repE0EEENS1_30default_config_static_selectorELNS0_4arch9wavefront6targetE0EEEvT1_
	.globl	_ZN7rocprim17ROCPRIM_400000_NS6detail17trampoline_kernelINS0_14default_configENS1_25transform_config_selectorIN3c104HalfELb1EEEZNS1_14transform_implILb1ES3_S7_PS6_S9_NS0_8identityIS6_EEEE10hipError_tT2_T3_mT4_P12ihipStream_tbEUlT_E_NS1_11comp_targetILNS1_3genE4ELNS1_11target_archE910ELNS1_3gpuE8ELNS1_3repE0EEENS1_30default_config_static_selectorELNS0_4arch9wavefront6targetE0EEEvT1_
	.p2align	8
	.type	_ZN7rocprim17ROCPRIM_400000_NS6detail17trampoline_kernelINS0_14default_configENS1_25transform_config_selectorIN3c104HalfELb1EEEZNS1_14transform_implILb1ES3_S7_PS6_S9_NS0_8identityIS6_EEEE10hipError_tT2_T3_mT4_P12ihipStream_tbEUlT_E_NS1_11comp_targetILNS1_3genE4ELNS1_11target_archE910ELNS1_3gpuE8ELNS1_3repE0EEENS1_30default_config_static_selectorELNS0_4arch9wavefront6targetE0EEEvT1_,@function
_ZN7rocprim17ROCPRIM_400000_NS6detail17trampoline_kernelINS0_14default_configENS1_25transform_config_selectorIN3c104HalfELb1EEEZNS1_14transform_implILb1ES3_S7_PS6_S9_NS0_8identityIS6_EEEE10hipError_tT2_T3_mT4_P12ihipStream_tbEUlT_E_NS1_11comp_targetILNS1_3genE4ELNS1_11target_archE910ELNS1_3gpuE8ELNS1_3repE0EEENS1_30default_config_static_selectorELNS0_4arch9wavefront6targetE0EEEvT1_: ; @_ZN7rocprim17ROCPRIM_400000_NS6detail17trampoline_kernelINS0_14default_configENS1_25transform_config_selectorIN3c104HalfELb1EEEZNS1_14transform_implILb1ES3_S7_PS6_S9_NS0_8identityIS6_EEEE10hipError_tT2_T3_mT4_P12ihipStream_tbEUlT_E_NS1_11comp_targetILNS1_3genE4ELNS1_11target_archE910ELNS1_3gpuE8ELNS1_3repE0EEENS1_30default_config_static_selectorELNS0_4arch9wavefront6targetE0EEEvT1_
; %bb.0:
	.section	.rodata,"a",@progbits
	.p2align	6, 0x0
	.amdhsa_kernel _ZN7rocprim17ROCPRIM_400000_NS6detail17trampoline_kernelINS0_14default_configENS1_25transform_config_selectorIN3c104HalfELb1EEEZNS1_14transform_implILb1ES3_S7_PS6_S9_NS0_8identityIS6_EEEE10hipError_tT2_T3_mT4_P12ihipStream_tbEUlT_E_NS1_11comp_targetILNS1_3genE4ELNS1_11target_archE910ELNS1_3gpuE8ELNS1_3repE0EEENS1_30default_config_static_selectorELNS0_4arch9wavefront6targetE0EEEvT1_
		.amdhsa_group_segment_fixed_size 0
		.amdhsa_private_segment_fixed_size 0
		.amdhsa_kernarg_size 40
		.amdhsa_user_sgpr_count 6
		.amdhsa_user_sgpr_private_segment_buffer 1
		.amdhsa_user_sgpr_dispatch_ptr 0
		.amdhsa_user_sgpr_queue_ptr 0
		.amdhsa_user_sgpr_kernarg_segment_ptr 1
		.amdhsa_user_sgpr_dispatch_id 0
		.amdhsa_user_sgpr_flat_scratch_init 0
		.amdhsa_user_sgpr_private_segment_size 0
		.amdhsa_wavefront_size32 1
		.amdhsa_uses_dynamic_stack 0
		.amdhsa_system_sgpr_private_segment_wavefront_offset 0
		.amdhsa_system_sgpr_workgroup_id_x 1
		.amdhsa_system_sgpr_workgroup_id_y 0
		.amdhsa_system_sgpr_workgroup_id_z 0
		.amdhsa_system_sgpr_workgroup_info 0
		.amdhsa_system_vgpr_workitem_id 0
		.amdhsa_next_free_vgpr 1
		.amdhsa_next_free_sgpr 1
		.amdhsa_reserve_vcc 0
		.amdhsa_reserve_flat_scratch 0
		.amdhsa_float_round_mode_32 0
		.amdhsa_float_round_mode_16_64 0
		.amdhsa_float_denorm_mode_32 3
		.amdhsa_float_denorm_mode_16_64 3
		.amdhsa_dx10_clamp 1
		.amdhsa_ieee_mode 1
		.amdhsa_fp16_overflow 0
		.amdhsa_workgroup_processor_mode 1
		.amdhsa_memory_ordered 1
		.amdhsa_forward_progress 1
		.amdhsa_shared_vgpr_count 0
		.amdhsa_exception_fp_ieee_invalid_op 0
		.amdhsa_exception_fp_denorm_src 0
		.amdhsa_exception_fp_ieee_div_zero 0
		.amdhsa_exception_fp_ieee_overflow 0
		.amdhsa_exception_fp_ieee_underflow 0
		.amdhsa_exception_fp_ieee_inexact 0
		.amdhsa_exception_int_div_zero 0
	.end_amdhsa_kernel
	.section	.text._ZN7rocprim17ROCPRIM_400000_NS6detail17trampoline_kernelINS0_14default_configENS1_25transform_config_selectorIN3c104HalfELb1EEEZNS1_14transform_implILb1ES3_S7_PS6_S9_NS0_8identityIS6_EEEE10hipError_tT2_T3_mT4_P12ihipStream_tbEUlT_E_NS1_11comp_targetILNS1_3genE4ELNS1_11target_archE910ELNS1_3gpuE8ELNS1_3repE0EEENS1_30default_config_static_selectorELNS0_4arch9wavefront6targetE0EEEvT1_,"axG",@progbits,_ZN7rocprim17ROCPRIM_400000_NS6detail17trampoline_kernelINS0_14default_configENS1_25transform_config_selectorIN3c104HalfELb1EEEZNS1_14transform_implILb1ES3_S7_PS6_S9_NS0_8identityIS6_EEEE10hipError_tT2_T3_mT4_P12ihipStream_tbEUlT_E_NS1_11comp_targetILNS1_3genE4ELNS1_11target_archE910ELNS1_3gpuE8ELNS1_3repE0EEENS1_30default_config_static_selectorELNS0_4arch9wavefront6targetE0EEEvT1_,comdat
.Lfunc_end363:
	.size	_ZN7rocprim17ROCPRIM_400000_NS6detail17trampoline_kernelINS0_14default_configENS1_25transform_config_selectorIN3c104HalfELb1EEEZNS1_14transform_implILb1ES3_S7_PS6_S9_NS0_8identityIS6_EEEE10hipError_tT2_T3_mT4_P12ihipStream_tbEUlT_E_NS1_11comp_targetILNS1_3genE4ELNS1_11target_archE910ELNS1_3gpuE8ELNS1_3repE0EEENS1_30default_config_static_selectorELNS0_4arch9wavefront6targetE0EEEvT1_, .Lfunc_end363-_ZN7rocprim17ROCPRIM_400000_NS6detail17trampoline_kernelINS0_14default_configENS1_25transform_config_selectorIN3c104HalfELb1EEEZNS1_14transform_implILb1ES3_S7_PS6_S9_NS0_8identityIS6_EEEE10hipError_tT2_T3_mT4_P12ihipStream_tbEUlT_E_NS1_11comp_targetILNS1_3genE4ELNS1_11target_archE910ELNS1_3gpuE8ELNS1_3repE0EEENS1_30default_config_static_selectorELNS0_4arch9wavefront6targetE0EEEvT1_
                                        ; -- End function
	.set _ZN7rocprim17ROCPRIM_400000_NS6detail17trampoline_kernelINS0_14default_configENS1_25transform_config_selectorIN3c104HalfELb1EEEZNS1_14transform_implILb1ES3_S7_PS6_S9_NS0_8identityIS6_EEEE10hipError_tT2_T3_mT4_P12ihipStream_tbEUlT_E_NS1_11comp_targetILNS1_3genE4ELNS1_11target_archE910ELNS1_3gpuE8ELNS1_3repE0EEENS1_30default_config_static_selectorELNS0_4arch9wavefront6targetE0EEEvT1_.num_vgpr, 0
	.set _ZN7rocprim17ROCPRIM_400000_NS6detail17trampoline_kernelINS0_14default_configENS1_25transform_config_selectorIN3c104HalfELb1EEEZNS1_14transform_implILb1ES3_S7_PS6_S9_NS0_8identityIS6_EEEE10hipError_tT2_T3_mT4_P12ihipStream_tbEUlT_E_NS1_11comp_targetILNS1_3genE4ELNS1_11target_archE910ELNS1_3gpuE8ELNS1_3repE0EEENS1_30default_config_static_selectorELNS0_4arch9wavefront6targetE0EEEvT1_.num_agpr, 0
	.set _ZN7rocprim17ROCPRIM_400000_NS6detail17trampoline_kernelINS0_14default_configENS1_25transform_config_selectorIN3c104HalfELb1EEEZNS1_14transform_implILb1ES3_S7_PS6_S9_NS0_8identityIS6_EEEE10hipError_tT2_T3_mT4_P12ihipStream_tbEUlT_E_NS1_11comp_targetILNS1_3genE4ELNS1_11target_archE910ELNS1_3gpuE8ELNS1_3repE0EEENS1_30default_config_static_selectorELNS0_4arch9wavefront6targetE0EEEvT1_.numbered_sgpr, 0
	.set _ZN7rocprim17ROCPRIM_400000_NS6detail17trampoline_kernelINS0_14default_configENS1_25transform_config_selectorIN3c104HalfELb1EEEZNS1_14transform_implILb1ES3_S7_PS6_S9_NS0_8identityIS6_EEEE10hipError_tT2_T3_mT4_P12ihipStream_tbEUlT_E_NS1_11comp_targetILNS1_3genE4ELNS1_11target_archE910ELNS1_3gpuE8ELNS1_3repE0EEENS1_30default_config_static_selectorELNS0_4arch9wavefront6targetE0EEEvT1_.num_named_barrier, 0
	.set _ZN7rocprim17ROCPRIM_400000_NS6detail17trampoline_kernelINS0_14default_configENS1_25transform_config_selectorIN3c104HalfELb1EEEZNS1_14transform_implILb1ES3_S7_PS6_S9_NS0_8identityIS6_EEEE10hipError_tT2_T3_mT4_P12ihipStream_tbEUlT_E_NS1_11comp_targetILNS1_3genE4ELNS1_11target_archE910ELNS1_3gpuE8ELNS1_3repE0EEENS1_30default_config_static_selectorELNS0_4arch9wavefront6targetE0EEEvT1_.private_seg_size, 0
	.set _ZN7rocprim17ROCPRIM_400000_NS6detail17trampoline_kernelINS0_14default_configENS1_25transform_config_selectorIN3c104HalfELb1EEEZNS1_14transform_implILb1ES3_S7_PS6_S9_NS0_8identityIS6_EEEE10hipError_tT2_T3_mT4_P12ihipStream_tbEUlT_E_NS1_11comp_targetILNS1_3genE4ELNS1_11target_archE910ELNS1_3gpuE8ELNS1_3repE0EEENS1_30default_config_static_selectorELNS0_4arch9wavefront6targetE0EEEvT1_.uses_vcc, 0
	.set _ZN7rocprim17ROCPRIM_400000_NS6detail17trampoline_kernelINS0_14default_configENS1_25transform_config_selectorIN3c104HalfELb1EEEZNS1_14transform_implILb1ES3_S7_PS6_S9_NS0_8identityIS6_EEEE10hipError_tT2_T3_mT4_P12ihipStream_tbEUlT_E_NS1_11comp_targetILNS1_3genE4ELNS1_11target_archE910ELNS1_3gpuE8ELNS1_3repE0EEENS1_30default_config_static_selectorELNS0_4arch9wavefront6targetE0EEEvT1_.uses_flat_scratch, 0
	.set _ZN7rocprim17ROCPRIM_400000_NS6detail17trampoline_kernelINS0_14default_configENS1_25transform_config_selectorIN3c104HalfELb1EEEZNS1_14transform_implILb1ES3_S7_PS6_S9_NS0_8identityIS6_EEEE10hipError_tT2_T3_mT4_P12ihipStream_tbEUlT_E_NS1_11comp_targetILNS1_3genE4ELNS1_11target_archE910ELNS1_3gpuE8ELNS1_3repE0EEENS1_30default_config_static_selectorELNS0_4arch9wavefront6targetE0EEEvT1_.has_dyn_sized_stack, 0
	.set _ZN7rocprim17ROCPRIM_400000_NS6detail17trampoline_kernelINS0_14default_configENS1_25transform_config_selectorIN3c104HalfELb1EEEZNS1_14transform_implILb1ES3_S7_PS6_S9_NS0_8identityIS6_EEEE10hipError_tT2_T3_mT4_P12ihipStream_tbEUlT_E_NS1_11comp_targetILNS1_3genE4ELNS1_11target_archE910ELNS1_3gpuE8ELNS1_3repE0EEENS1_30default_config_static_selectorELNS0_4arch9wavefront6targetE0EEEvT1_.has_recursion, 0
	.set _ZN7rocprim17ROCPRIM_400000_NS6detail17trampoline_kernelINS0_14default_configENS1_25transform_config_selectorIN3c104HalfELb1EEEZNS1_14transform_implILb1ES3_S7_PS6_S9_NS0_8identityIS6_EEEE10hipError_tT2_T3_mT4_P12ihipStream_tbEUlT_E_NS1_11comp_targetILNS1_3genE4ELNS1_11target_archE910ELNS1_3gpuE8ELNS1_3repE0EEENS1_30default_config_static_selectorELNS0_4arch9wavefront6targetE0EEEvT1_.has_indirect_call, 0
	.section	.AMDGPU.csdata,"",@progbits
; Kernel info:
; codeLenInByte = 0
; TotalNumSgprs: 0
; NumVgprs: 0
; ScratchSize: 0
; MemoryBound: 0
; FloatMode: 240
; IeeeMode: 1
; LDSByteSize: 0 bytes/workgroup (compile time only)
; SGPRBlocks: 0
; VGPRBlocks: 0
; NumSGPRsForWavesPerEU: 1
; NumVGPRsForWavesPerEU: 1
; Occupancy: 16
; WaveLimiterHint : 0
; COMPUTE_PGM_RSRC2:SCRATCH_EN: 0
; COMPUTE_PGM_RSRC2:USER_SGPR: 6
; COMPUTE_PGM_RSRC2:TRAP_HANDLER: 0
; COMPUTE_PGM_RSRC2:TGID_X_EN: 1
; COMPUTE_PGM_RSRC2:TGID_Y_EN: 0
; COMPUTE_PGM_RSRC2:TGID_Z_EN: 0
; COMPUTE_PGM_RSRC2:TIDIG_COMP_CNT: 0
	.section	.text._ZN7rocprim17ROCPRIM_400000_NS6detail17trampoline_kernelINS0_14default_configENS1_25transform_config_selectorIN3c104HalfELb1EEEZNS1_14transform_implILb1ES3_S7_PS6_S9_NS0_8identityIS6_EEEE10hipError_tT2_T3_mT4_P12ihipStream_tbEUlT_E_NS1_11comp_targetILNS1_3genE3ELNS1_11target_archE908ELNS1_3gpuE7ELNS1_3repE0EEENS1_30default_config_static_selectorELNS0_4arch9wavefront6targetE0EEEvT1_,"axG",@progbits,_ZN7rocprim17ROCPRIM_400000_NS6detail17trampoline_kernelINS0_14default_configENS1_25transform_config_selectorIN3c104HalfELb1EEEZNS1_14transform_implILb1ES3_S7_PS6_S9_NS0_8identityIS6_EEEE10hipError_tT2_T3_mT4_P12ihipStream_tbEUlT_E_NS1_11comp_targetILNS1_3genE3ELNS1_11target_archE908ELNS1_3gpuE7ELNS1_3repE0EEENS1_30default_config_static_selectorELNS0_4arch9wavefront6targetE0EEEvT1_,comdat
	.protected	_ZN7rocprim17ROCPRIM_400000_NS6detail17trampoline_kernelINS0_14default_configENS1_25transform_config_selectorIN3c104HalfELb1EEEZNS1_14transform_implILb1ES3_S7_PS6_S9_NS0_8identityIS6_EEEE10hipError_tT2_T3_mT4_P12ihipStream_tbEUlT_E_NS1_11comp_targetILNS1_3genE3ELNS1_11target_archE908ELNS1_3gpuE7ELNS1_3repE0EEENS1_30default_config_static_selectorELNS0_4arch9wavefront6targetE0EEEvT1_ ; -- Begin function _ZN7rocprim17ROCPRIM_400000_NS6detail17trampoline_kernelINS0_14default_configENS1_25transform_config_selectorIN3c104HalfELb1EEEZNS1_14transform_implILb1ES3_S7_PS6_S9_NS0_8identityIS6_EEEE10hipError_tT2_T3_mT4_P12ihipStream_tbEUlT_E_NS1_11comp_targetILNS1_3genE3ELNS1_11target_archE908ELNS1_3gpuE7ELNS1_3repE0EEENS1_30default_config_static_selectorELNS0_4arch9wavefront6targetE0EEEvT1_
	.globl	_ZN7rocprim17ROCPRIM_400000_NS6detail17trampoline_kernelINS0_14default_configENS1_25transform_config_selectorIN3c104HalfELb1EEEZNS1_14transform_implILb1ES3_S7_PS6_S9_NS0_8identityIS6_EEEE10hipError_tT2_T3_mT4_P12ihipStream_tbEUlT_E_NS1_11comp_targetILNS1_3genE3ELNS1_11target_archE908ELNS1_3gpuE7ELNS1_3repE0EEENS1_30default_config_static_selectorELNS0_4arch9wavefront6targetE0EEEvT1_
	.p2align	8
	.type	_ZN7rocprim17ROCPRIM_400000_NS6detail17trampoline_kernelINS0_14default_configENS1_25transform_config_selectorIN3c104HalfELb1EEEZNS1_14transform_implILb1ES3_S7_PS6_S9_NS0_8identityIS6_EEEE10hipError_tT2_T3_mT4_P12ihipStream_tbEUlT_E_NS1_11comp_targetILNS1_3genE3ELNS1_11target_archE908ELNS1_3gpuE7ELNS1_3repE0EEENS1_30default_config_static_selectorELNS0_4arch9wavefront6targetE0EEEvT1_,@function
_ZN7rocprim17ROCPRIM_400000_NS6detail17trampoline_kernelINS0_14default_configENS1_25transform_config_selectorIN3c104HalfELb1EEEZNS1_14transform_implILb1ES3_S7_PS6_S9_NS0_8identityIS6_EEEE10hipError_tT2_T3_mT4_P12ihipStream_tbEUlT_E_NS1_11comp_targetILNS1_3genE3ELNS1_11target_archE908ELNS1_3gpuE7ELNS1_3repE0EEENS1_30default_config_static_selectorELNS0_4arch9wavefront6targetE0EEEvT1_: ; @_ZN7rocprim17ROCPRIM_400000_NS6detail17trampoline_kernelINS0_14default_configENS1_25transform_config_selectorIN3c104HalfELb1EEEZNS1_14transform_implILb1ES3_S7_PS6_S9_NS0_8identityIS6_EEEE10hipError_tT2_T3_mT4_P12ihipStream_tbEUlT_E_NS1_11comp_targetILNS1_3genE3ELNS1_11target_archE908ELNS1_3gpuE7ELNS1_3repE0EEENS1_30default_config_static_selectorELNS0_4arch9wavefront6targetE0EEEvT1_
; %bb.0:
	.section	.rodata,"a",@progbits
	.p2align	6, 0x0
	.amdhsa_kernel _ZN7rocprim17ROCPRIM_400000_NS6detail17trampoline_kernelINS0_14default_configENS1_25transform_config_selectorIN3c104HalfELb1EEEZNS1_14transform_implILb1ES3_S7_PS6_S9_NS0_8identityIS6_EEEE10hipError_tT2_T3_mT4_P12ihipStream_tbEUlT_E_NS1_11comp_targetILNS1_3genE3ELNS1_11target_archE908ELNS1_3gpuE7ELNS1_3repE0EEENS1_30default_config_static_selectorELNS0_4arch9wavefront6targetE0EEEvT1_
		.amdhsa_group_segment_fixed_size 0
		.amdhsa_private_segment_fixed_size 0
		.amdhsa_kernarg_size 40
		.amdhsa_user_sgpr_count 6
		.amdhsa_user_sgpr_private_segment_buffer 1
		.amdhsa_user_sgpr_dispatch_ptr 0
		.amdhsa_user_sgpr_queue_ptr 0
		.amdhsa_user_sgpr_kernarg_segment_ptr 1
		.amdhsa_user_sgpr_dispatch_id 0
		.amdhsa_user_sgpr_flat_scratch_init 0
		.amdhsa_user_sgpr_private_segment_size 0
		.amdhsa_wavefront_size32 1
		.amdhsa_uses_dynamic_stack 0
		.amdhsa_system_sgpr_private_segment_wavefront_offset 0
		.amdhsa_system_sgpr_workgroup_id_x 1
		.amdhsa_system_sgpr_workgroup_id_y 0
		.amdhsa_system_sgpr_workgroup_id_z 0
		.amdhsa_system_sgpr_workgroup_info 0
		.amdhsa_system_vgpr_workitem_id 0
		.amdhsa_next_free_vgpr 1
		.amdhsa_next_free_sgpr 1
		.amdhsa_reserve_vcc 0
		.amdhsa_reserve_flat_scratch 0
		.amdhsa_float_round_mode_32 0
		.amdhsa_float_round_mode_16_64 0
		.amdhsa_float_denorm_mode_32 3
		.amdhsa_float_denorm_mode_16_64 3
		.amdhsa_dx10_clamp 1
		.amdhsa_ieee_mode 1
		.amdhsa_fp16_overflow 0
		.amdhsa_workgroup_processor_mode 1
		.amdhsa_memory_ordered 1
		.amdhsa_forward_progress 1
		.amdhsa_shared_vgpr_count 0
		.amdhsa_exception_fp_ieee_invalid_op 0
		.amdhsa_exception_fp_denorm_src 0
		.amdhsa_exception_fp_ieee_div_zero 0
		.amdhsa_exception_fp_ieee_overflow 0
		.amdhsa_exception_fp_ieee_underflow 0
		.amdhsa_exception_fp_ieee_inexact 0
		.amdhsa_exception_int_div_zero 0
	.end_amdhsa_kernel
	.section	.text._ZN7rocprim17ROCPRIM_400000_NS6detail17trampoline_kernelINS0_14default_configENS1_25transform_config_selectorIN3c104HalfELb1EEEZNS1_14transform_implILb1ES3_S7_PS6_S9_NS0_8identityIS6_EEEE10hipError_tT2_T3_mT4_P12ihipStream_tbEUlT_E_NS1_11comp_targetILNS1_3genE3ELNS1_11target_archE908ELNS1_3gpuE7ELNS1_3repE0EEENS1_30default_config_static_selectorELNS0_4arch9wavefront6targetE0EEEvT1_,"axG",@progbits,_ZN7rocprim17ROCPRIM_400000_NS6detail17trampoline_kernelINS0_14default_configENS1_25transform_config_selectorIN3c104HalfELb1EEEZNS1_14transform_implILb1ES3_S7_PS6_S9_NS0_8identityIS6_EEEE10hipError_tT2_T3_mT4_P12ihipStream_tbEUlT_E_NS1_11comp_targetILNS1_3genE3ELNS1_11target_archE908ELNS1_3gpuE7ELNS1_3repE0EEENS1_30default_config_static_selectorELNS0_4arch9wavefront6targetE0EEEvT1_,comdat
.Lfunc_end364:
	.size	_ZN7rocprim17ROCPRIM_400000_NS6detail17trampoline_kernelINS0_14default_configENS1_25transform_config_selectorIN3c104HalfELb1EEEZNS1_14transform_implILb1ES3_S7_PS6_S9_NS0_8identityIS6_EEEE10hipError_tT2_T3_mT4_P12ihipStream_tbEUlT_E_NS1_11comp_targetILNS1_3genE3ELNS1_11target_archE908ELNS1_3gpuE7ELNS1_3repE0EEENS1_30default_config_static_selectorELNS0_4arch9wavefront6targetE0EEEvT1_, .Lfunc_end364-_ZN7rocprim17ROCPRIM_400000_NS6detail17trampoline_kernelINS0_14default_configENS1_25transform_config_selectorIN3c104HalfELb1EEEZNS1_14transform_implILb1ES3_S7_PS6_S9_NS0_8identityIS6_EEEE10hipError_tT2_T3_mT4_P12ihipStream_tbEUlT_E_NS1_11comp_targetILNS1_3genE3ELNS1_11target_archE908ELNS1_3gpuE7ELNS1_3repE0EEENS1_30default_config_static_selectorELNS0_4arch9wavefront6targetE0EEEvT1_
                                        ; -- End function
	.set _ZN7rocprim17ROCPRIM_400000_NS6detail17trampoline_kernelINS0_14default_configENS1_25transform_config_selectorIN3c104HalfELb1EEEZNS1_14transform_implILb1ES3_S7_PS6_S9_NS0_8identityIS6_EEEE10hipError_tT2_T3_mT4_P12ihipStream_tbEUlT_E_NS1_11comp_targetILNS1_3genE3ELNS1_11target_archE908ELNS1_3gpuE7ELNS1_3repE0EEENS1_30default_config_static_selectorELNS0_4arch9wavefront6targetE0EEEvT1_.num_vgpr, 0
	.set _ZN7rocprim17ROCPRIM_400000_NS6detail17trampoline_kernelINS0_14default_configENS1_25transform_config_selectorIN3c104HalfELb1EEEZNS1_14transform_implILb1ES3_S7_PS6_S9_NS0_8identityIS6_EEEE10hipError_tT2_T3_mT4_P12ihipStream_tbEUlT_E_NS1_11comp_targetILNS1_3genE3ELNS1_11target_archE908ELNS1_3gpuE7ELNS1_3repE0EEENS1_30default_config_static_selectorELNS0_4arch9wavefront6targetE0EEEvT1_.num_agpr, 0
	.set _ZN7rocprim17ROCPRIM_400000_NS6detail17trampoline_kernelINS0_14default_configENS1_25transform_config_selectorIN3c104HalfELb1EEEZNS1_14transform_implILb1ES3_S7_PS6_S9_NS0_8identityIS6_EEEE10hipError_tT2_T3_mT4_P12ihipStream_tbEUlT_E_NS1_11comp_targetILNS1_3genE3ELNS1_11target_archE908ELNS1_3gpuE7ELNS1_3repE0EEENS1_30default_config_static_selectorELNS0_4arch9wavefront6targetE0EEEvT1_.numbered_sgpr, 0
	.set _ZN7rocprim17ROCPRIM_400000_NS6detail17trampoline_kernelINS0_14default_configENS1_25transform_config_selectorIN3c104HalfELb1EEEZNS1_14transform_implILb1ES3_S7_PS6_S9_NS0_8identityIS6_EEEE10hipError_tT2_T3_mT4_P12ihipStream_tbEUlT_E_NS1_11comp_targetILNS1_3genE3ELNS1_11target_archE908ELNS1_3gpuE7ELNS1_3repE0EEENS1_30default_config_static_selectorELNS0_4arch9wavefront6targetE0EEEvT1_.num_named_barrier, 0
	.set _ZN7rocprim17ROCPRIM_400000_NS6detail17trampoline_kernelINS0_14default_configENS1_25transform_config_selectorIN3c104HalfELb1EEEZNS1_14transform_implILb1ES3_S7_PS6_S9_NS0_8identityIS6_EEEE10hipError_tT2_T3_mT4_P12ihipStream_tbEUlT_E_NS1_11comp_targetILNS1_3genE3ELNS1_11target_archE908ELNS1_3gpuE7ELNS1_3repE0EEENS1_30default_config_static_selectorELNS0_4arch9wavefront6targetE0EEEvT1_.private_seg_size, 0
	.set _ZN7rocprim17ROCPRIM_400000_NS6detail17trampoline_kernelINS0_14default_configENS1_25transform_config_selectorIN3c104HalfELb1EEEZNS1_14transform_implILb1ES3_S7_PS6_S9_NS0_8identityIS6_EEEE10hipError_tT2_T3_mT4_P12ihipStream_tbEUlT_E_NS1_11comp_targetILNS1_3genE3ELNS1_11target_archE908ELNS1_3gpuE7ELNS1_3repE0EEENS1_30default_config_static_selectorELNS0_4arch9wavefront6targetE0EEEvT1_.uses_vcc, 0
	.set _ZN7rocprim17ROCPRIM_400000_NS6detail17trampoline_kernelINS0_14default_configENS1_25transform_config_selectorIN3c104HalfELb1EEEZNS1_14transform_implILb1ES3_S7_PS6_S9_NS0_8identityIS6_EEEE10hipError_tT2_T3_mT4_P12ihipStream_tbEUlT_E_NS1_11comp_targetILNS1_3genE3ELNS1_11target_archE908ELNS1_3gpuE7ELNS1_3repE0EEENS1_30default_config_static_selectorELNS0_4arch9wavefront6targetE0EEEvT1_.uses_flat_scratch, 0
	.set _ZN7rocprim17ROCPRIM_400000_NS6detail17trampoline_kernelINS0_14default_configENS1_25transform_config_selectorIN3c104HalfELb1EEEZNS1_14transform_implILb1ES3_S7_PS6_S9_NS0_8identityIS6_EEEE10hipError_tT2_T3_mT4_P12ihipStream_tbEUlT_E_NS1_11comp_targetILNS1_3genE3ELNS1_11target_archE908ELNS1_3gpuE7ELNS1_3repE0EEENS1_30default_config_static_selectorELNS0_4arch9wavefront6targetE0EEEvT1_.has_dyn_sized_stack, 0
	.set _ZN7rocprim17ROCPRIM_400000_NS6detail17trampoline_kernelINS0_14default_configENS1_25transform_config_selectorIN3c104HalfELb1EEEZNS1_14transform_implILb1ES3_S7_PS6_S9_NS0_8identityIS6_EEEE10hipError_tT2_T3_mT4_P12ihipStream_tbEUlT_E_NS1_11comp_targetILNS1_3genE3ELNS1_11target_archE908ELNS1_3gpuE7ELNS1_3repE0EEENS1_30default_config_static_selectorELNS0_4arch9wavefront6targetE0EEEvT1_.has_recursion, 0
	.set _ZN7rocprim17ROCPRIM_400000_NS6detail17trampoline_kernelINS0_14default_configENS1_25transform_config_selectorIN3c104HalfELb1EEEZNS1_14transform_implILb1ES3_S7_PS6_S9_NS0_8identityIS6_EEEE10hipError_tT2_T3_mT4_P12ihipStream_tbEUlT_E_NS1_11comp_targetILNS1_3genE3ELNS1_11target_archE908ELNS1_3gpuE7ELNS1_3repE0EEENS1_30default_config_static_selectorELNS0_4arch9wavefront6targetE0EEEvT1_.has_indirect_call, 0
	.section	.AMDGPU.csdata,"",@progbits
; Kernel info:
; codeLenInByte = 0
; TotalNumSgprs: 0
; NumVgprs: 0
; ScratchSize: 0
; MemoryBound: 0
; FloatMode: 240
; IeeeMode: 1
; LDSByteSize: 0 bytes/workgroup (compile time only)
; SGPRBlocks: 0
; VGPRBlocks: 0
; NumSGPRsForWavesPerEU: 1
; NumVGPRsForWavesPerEU: 1
; Occupancy: 16
; WaveLimiterHint : 0
; COMPUTE_PGM_RSRC2:SCRATCH_EN: 0
; COMPUTE_PGM_RSRC2:USER_SGPR: 6
; COMPUTE_PGM_RSRC2:TRAP_HANDLER: 0
; COMPUTE_PGM_RSRC2:TGID_X_EN: 1
; COMPUTE_PGM_RSRC2:TGID_Y_EN: 0
; COMPUTE_PGM_RSRC2:TGID_Z_EN: 0
; COMPUTE_PGM_RSRC2:TIDIG_COMP_CNT: 0
	.section	.text._ZN7rocprim17ROCPRIM_400000_NS6detail17trampoline_kernelINS0_14default_configENS1_25transform_config_selectorIN3c104HalfELb1EEEZNS1_14transform_implILb1ES3_S7_PS6_S9_NS0_8identityIS6_EEEE10hipError_tT2_T3_mT4_P12ihipStream_tbEUlT_E_NS1_11comp_targetILNS1_3genE2ELNS1_11target_archE906ELNS1_3gpuE6ELNS1_3repE0EEENS1_30default_config_static_selectorELNS0_4arch9wavefront6targetE0EEEvT1_,"axG",@progbits,_ZN7rocprim17ROCPRIM_400000_NS6detail17trampoline_kernelINS0_14default_configENS1_25transform_config_selectorIN3c104HalfELb1EEEZNS1_14transform_implILb1ES3_S7_PS6_S9_NS0_8identityIS6_EEEE10hipError_tT2_T3_mT4_P12ihipStream_tbEUlT_E_NS1_11comp_targetILNS1_3genE2ELNS1_11target_archE906ELNS1_3gpuE6ELNS1_3repE0EEENS1_30default_config_static_selectorELNS0_4arch9wavefront6targetE0EEEvT1_,comdat
	.protected	_ZN7rocprim17ROCPRIM_400000_NS6detail17trampoline_kernelINS0_14default_configENS1_25transform_config_selectorIN3c104HalfELb1EEEZNS1_14transform_implILb1ES3_S7_PS6_S9_NS0_8identityIS6_EEEE10hipError_tT2_T3_mT4_P12ihipStream_tbEUlT_E_NS1_11comp_targetILNS1_3genE2ELNS1_11target_archE906ELNS1_3gpuE6ELNS1_3repE0EEENS1_30default_config_static_selectorELNS0_4arch9wavefront6targetE0EEEvT1_ ; -- Begin function _ZN7rocprim17ROCPRIM_400000_NS6detail17trampoline_kernelINS0_14default_configENS1_25transform_config_selectorIN3c104HalfELb1EEEZNS1_14transform_implILb1ES3_S7_PS6_S9_NS0_8identityIS6_EEEE10hipError_tT2_T3_mT4_P12ihipStream_tbEUlT_E_NS1_11comp_targetILNS1_3genE2ELNS1_11target_archE906ELNS1_3gpuE6ELNS1_3repE0EEENS1_30default_config_static_selectorELNS0_4arch9wavefront6targetE0EEEvT1_
	.globl	_ZN7rocprim17ROCPRIM_400000_NS6detail17trampoline_kernelINS0_14default_configENS1_25transform_config_selectorIN3c104HalfELb1EEEZNS1_14transform_implILb1ES3_S7_PS6_S9_NS0_8identityIS6_EEEE10hipError_tT2_T3_mT4_P12ihipStream_tbEUlT_E_NS1_11comp_targetILNS1_3genE2ELNS1_11target_archE906ELNS1_3gpuE6ELNS1_3repE0EEENS1_30default_config_static_selectorELNS0_4arch9wavefront6targetE0EEEvT1_
	.p2align	8
	.type	_ZN7rocprim17ROCPRIM_400000_NS6detail17trampoline_kernelINS0_14default_configENS1_25transform_config_selectorIN3c104HalfELb1EEEZNS1_14transform_implILb1ES3_S7_PS6_S9_NS0_8identityIS6_EEEE10hipError_tT2_T3_mT4_P12ihipStream_tbEUlT_E_NS1_11comp_targetILNS1_3genE2ELNS1_11target_archE906ELNS1_3gpuE6ELNS1_3repE0EEENS1_30default_config_static_selectorELNS0_4arch9wavefront6targetE0EEEvT1_,@function
_ZN7rocprim17ROCPRIM_400000_NS6detail17trampoline_kernelINS0_14default_configENS1_25transform_config_selectorIN3c104HalfELb1EEEZNS1_14transform_implILb1ES3_S7_PS6_S9_NS0_8identityIS6_EEEE10hipError_tT2_T3_mT4_P12ihipStream_tbEUlT_E_NS1_11comp_targetILNS1_3genE2ELNS1_11target_archE906ELNS1_3gpuE6ELNS1_3repE0EEENS1_30default_config_static_selectorELNS0_4arch9wavefront6targetE0EEEvT1_: ; @_ZN7rocprim17ROCPRIM_400000_NS6detail17trampoline_kernelINS0_14default_configENS1_25transform_config_selectorIN3c104HalfELb1EEEZNS1_14transform_implILb1ES3_S7_PS6_S9_NS0_8identityIS6_EEEE10hipError_tT2_T3_mT4_P12ihipStream_tbEUlT_E_NS1_11comp_targetILNS1_3genE2ELNS1_11target_archE906ELNS1_3gpuE6ELNS1_3repE0EEENS1_30default_config_static_selectorELNS0_4arch9wavefront6targetE0EEEvT1_
; %bb.0:
	.section	.rodata,"a",@progbits
	.p2align	6, 0x0
	.amdhsa_kernel _ZN7rocprim17ROCPRIM_400000_NS6detail17trampoline_kernelINS0_14default_configENS1_25transform_config_selectorIN3c104HalfELb1EEEZNS1_14transform_implILb1ES3_S7_PS6_S9_NS0_8identityIS6_EEEE10hipError_tT2_T3_mT4_P12ihipStream_tbEUlT_E_NS1_11comp_targetILNS1_3genE2ELNS1_11target_archE906ELNS1_3gpuE6ELNS1_3repE0EEENS1_30default_config_static_selectorELNS0_4arch9wavefront6targetE0EEEvT1_
		.amdhsa_group_segment_fixed_size 0
		.amdhsa_private_segment_fixed_size 0
		.amdhsa_kernarg_size 40
		.amdhsa_user_sgpr_count 6
		.amdhsa_user_sgpr_private_segment_buffer 1
		.amdhsa_user_sgpr_dispatch_ptr 0
		.amdhsa_user_sgpr_queue_ptr 0
		.amdhsa_user_sgpr_kernarg_segment_ptr 1
		.amdhsa_user_sgpr_dispatch_id 0
		.amdhsa_user_sgpr_flat_scratch_init 0
		.amdhsa_user_sgpr_private_segment_size 0
		.amdhsa_wavefront_size32 1
		.amdhsa_uses_dynamic_stack 0
		.amdhsa_system_sgpr_private_segment_wavefront_offset 0
		.amdhsa_system_sgpr_workgroup_id_x 1
		.amdhsa_system_sgpr_workgroup_id_y 0
		.amdhsa_system_sgpr_workgroup_id_z 0
		.amdhsa_system_sgpr_workgroup_info 0
		.amdhsa_system_vgpr_workitem_id 0
		.amdhsa_next_free_vgpr 1
		.amdhsa_next_free_sgpr 1
		.amdhsa_reserve_vcc 0
		.amdhsa_reserve_flat_scratch 0
		.amdhsa_float_round_mode_32 0
		.amdhsa_float_round_mode_16_64 0
		.amdhsa_float_denorm_mode_32 3
		.amdhsa_float_denorm_mode_16_64 3
		.amdhsa_dx10_clamp 1
		.amdhsa_ieee_mode 1
		.amdhsa_fp16_overflow 0
		.amdhsa_workgroup_processor_mode 1
		.amdhsa_memory_ordered 1
		.amdhsa_forward_progress 1
		.amdhsa_shared_vgpr_count 0
		.amdhsa_exception_fp_ieee_invalid_op 0
		.amdhsa_exception_fp_denorm_src 0
		.amdhsa_exception_fp_ieee_div_zero 0
		.amdhsa_exception_fp_ieee_overflow 0
		.amdhsa_exception_fp_ieee_underflow 0
		.amdhsa_exception_fp_ieee_inexact 0
		.amdhsa_exception_int_div_zero 0
	.end_amdhsa_kernel
	.section	.text._ZN7rocprim17ROCPRIM_400000_NS6detail17trampoline_kernelINS0_14default_configENS1_25transform_config_selectorIN3c104HalfELb1EEEZNS1_14transform_implILb1ES3_S7_PS6_S9_NS0_8identityIS6_EEEE10hipError_tT2_T3_mT4_P12ihipStream_tbEUlT_E_NS1_11comp_targetILNS1_3genE2ELNS1_11target_archE906ELNS1_3gpuE6ELNS1_3repE0EEENS1_30default_config_static_selectorELNS0_4arch9wavefront6targetE0EEEvT1_,"axG",@progbits,_ZN7rocprim17ROCPRIM_400000_NS6detail17trampoline_kernelINS0_14default_configENS1_25transform_config_selectorIN3c104HalfELb1EEEZNS1_14transform_implILb1ES3_S7_PS6_S9_NS0_8identityIS6_EEEE10hipError_tT2_T3_mT4_P12ihipStream_tbEUlT_E_NS1_11comp_targetILNS1_3genE2ELNS1_11target_archE906ELNS1_3gpuE6ELNS1_3repE0EEENS1_30default_config_static_selectorELNS0_4arch9wavefront6targetE0EEEvT1_,comdat
.Lfunc_end365:
	.size	_ZN7rocprim17ROCPRIM_400000_NS6detail17trampoline_kernelINS0_14default_configENS1_25transform_config_selectorIN3c104HalfELb1EEEZNS1_14transform_implILb1ES3_S7_PS6_S9_NS0_8identityIS6_EEEE10hipError_tT2_T3_mT4_P12ihipStream_tbEUlT_E_NS1_11comp_targetILNS1_3genE2ELNS1_11target_archE906ELNS1_3gpuE6ELNS1_3repE0EEENS1_30default_config_static_selectorELNS0_4arch9wavefront6targetE0EEEvT1_, .Lfunc_end365-_ZN7rocprim17ROCPRIM_400000_NS6detail17trampoline_kernelINS0_14default_configENS1_25transform_config_selectorIN3c104HalfELb1EEEZNS1_14transform_implILb1ES3_S7_PS6_S9_NS0_8identityIS6_EEEE10hipError_tT2_T3_mT4_P12ihipStream_tbEUlT_E_NS1_11comp_targetILNS1_3genE2ELNS1_11target_archE906ELNS1_3gpuE6ELNS1_3repE0EEENS1_30default_config_static_selectorELNS0_4arch9wavefront6targetE0EEEvT1_
                                        ; -- End function
	.set _ZN7rocprim17ROCPRIM_400000_NS6detail17trampoline_kernelINS0_14default_configENS1_25transform_config_selectorIN3c104HalfELb1EEEZNS1_14transform_implILb1ES3_S7_PS6_S9_NS0_8identityIS6_EEEE10hipError_tT2_T3_mT4_P12ihipStream_tbEUlT_E_NS1_11comp_targetILNS1_3genE2ELNS1_11target_archE906ELNS1_3gpuE6ELNS1_3repE0EEENS1_30default_config_static_selectorELNS0_4arch9wavefront6targetE0EEEvT1_.num_vgpr, 0
	.set _ZN7rocprim17ROCPRIM_400000_NS6detail17trampoline_kernelINS0_14default_configENS1_25transform_config_selectorIN3c104HalfELb1EEEZNS1_14transform_implILb1ES3_S7_PS6_S9_NS0_8identityIS6_EEEE10hipError_tT2_T3_mT4_P12ihipStream_tbEUlT_E_NS1_11comp_targetILNS1_3genE2ELNS1_11target_archE906ELNS1_3gpuE6ELNS1_3repE0EEENS1_30default_config_static_selectorELNS0_4arch9wavefront6targetE0EEEvT1_.num_agpr, 0
	.set _ZN7rocprim17ROCPRIM_400000_NS6detail17trampoline_kernelINS0_14default_configENS1_25transform_config_selectorIN3c104HalfELb1EEEZNS1_14transform_implILb1ES3_S7_PS6_S9_NS0_8identityIS6_EEEE10hipError_tT2_T3_mT4_P12ihipStream_tbEUlT_E_NS1_11comp_targetILNS1_3genE2ELNS1_11target_archE906ELNS1_3gpuE6ELNS1_3repE0EEENS1_30default_config_static_selectorELNS0_4arch9wavefront6targetE0EEEvT1_.numbered_sgpr, 0
	.set _ZN7rocprim17ROCPRIM_400000_NS6detail17trampoline_kernelINS0_14default_configENS1_25transform_config_selectorIN3c104HalfELb1EEEZNS1_14transform_implILb1ES3_S7_PS6_S9_NS0_8identityIS6_EEEE10hipError_tT2_T3_mT4_P12ihipStream_tbEUlT_E_NS1_11comp_targetILNS1_3genE2ELNS1_11target_archE906ELNS1_3gpuE6ELNS1_3repE0EEENS1_30default_config_static_selectorELNS0_4arch9wavefront6targetE0EEEvT1_.num_named_barrier, 0
	.set _ZN7rocprim17ROCPRIM_400000_NS6detail17trampoline_kernelINS0_14default_configENS1_25transform_config_selectorIN3c104HalfELb1EEEZNS1_14transform_implILb1ES3_S7_PS6_S9_NS0_8identityIS6_EEEE10hipError_tT2_T3_mT4_P12ihipStream_tbEUlT_E_NS1_11comp_targetILNS1_3genE2ELNS1_11target_archE906ELNS1_3gpuE6ELNS1_3repE0EEENS1_30default_config_static_selectorELNS0_4arch9wavefront6targetE0EEEvT1_.private_seg_size, 0
	.set _ZN7rocprim17ROCPRIM_400000_NS6detail17trampoline_kernelINS0_14default_configENS1_25transform_config_selectorIN3c104HalfELb1EEEZNS1_14transform_implILb1ES3_S7_PS6_S9_NS0_8identityIS6_EEEE10hipError_tT2_T3_mT4_P12ihipStream_tbEUlT_E_NS1_11comp_targetILNS1_3genE2ELNS1_11target_archE906ELNS1_3gpuE6ELNS1_3repE0EEENS1_30default_config_static_selectorELNS0_4arch9wavefront6targetE0EEEvT1_.uses_vcc, 0
	.set _ZN7rocprim17ROCPRIM_400000_NS6detail17trampoline_kernelINS0_14default_configENS1_25transform_config_selectorIN3c104HalfELb1EEEZNS1_14transform_implILb1ES3_S7_PS6_S9_NS0_8identityIS6_EEEE10hipError_tT2_T3_mT4_P12ihipStream_tbEUlT_E_NS1_11comp_targetILNS1_3genE2ELNS1_11target_archE906ELNS1_3gpuE6ELNS1_3repE0EEENS1_30default_config_static_selectorELNS0_4arch9wavefront6targetE0EEEvT1_.uses_flat_scratch, 0
	.set _ZN7rocprim17ROCPRIM_400000_NS6detail17trampoline_kernelINS0_14default_configENS1_25transform_config_selectorIN3c104HalfELb1EEEZNS1_14transform_implILb1ES3_S7_PS6_S9_NS0_8identityIS6_EEEE10hipError_tT2_T3_mT4_P12ihipStream_tbEUlT_E_NS1_11comp_targetILNS1_3genE2ELNS1_11target_archE906ELNS1_3gpuE6ELNS1_3repE0EEENS1_30default_config_static_selectorELNS0_4arch9wavefront6targetE0EEEvT1_.has_dyn_sized_stack, 0
	.set _ZN7rocprim17ROCPRIM_400000_NS6detail17trampoline_kernelINS0_14default_configENS1_25transform_config_selectorIN3c104HalfELb1EEEZNS1_14transform_implILb1ES3_S7_PS6_S9_NS0_8identityIS6_EEEE10hipError_tT2_T3_mT4_P12ihipStream_tbEUlT_E_NS1_11comp_targetILNS1_3genE2ELNS1_11target_archE906ELNS1_3gpuE6ELNS1_3repE0EEENS1_30default_config_static_selectorELNS0_4arch9wavefront6targetE0EEEvT1_.has_recursion, 0
	.set _ZN7rocprim17ROCPRIM_400000_NS6detail17trampoline_kernelINS0_14default_configENS1_25transform_config_selectorIN3c104HalfELb1EEEZNS1_14transform_implILb1ES3_S7_PS6_S9_NS0_8identityIS6_EEEE10hipError_tT2_T3_mT4_P12ihipStream_tbEUlT_E_NS1_11comp_targetILNS1_3genE2ELNS1_11target_archE906ELNS1_3gpuE6ELNS1_3repE0EEENS1_30default_config_static_selectorELNS0_4arch9wavefront6targetE0EEEvT1_.has_indirect_call, 0
	.section	.AMDGPU.csdata,"",@progbits
; Kernel info:
; codeLenInByte = 0
; TotalNumSgprs: 0
; NumVgprs: 0
; ScratchSize: 0
; MemoryBound: 0
; FloatMode: 240
; IeeeMode: 1
; LDSByteSize: 0 bytes/workgroup (compile time only)
; SGPRBlocks: 0
; VGPRBlocks: 0
; NumSGPRsForWavesPerEU: 1
; NumVGPRsForWavesPerEU: 1
; Occupancy: 16
; WaveLimiterHint : 0
; COMPUTE_PGM_RSRC2:SCRATCH_EN: 0
; COMPUTE_PGM_RSRC2:USER_SGPR: 6
; COMPUTE_PGM_RSRC2:TRAP_HANDLER: 0
; COMPUTE_PGM_RSRC2:TGID_X_EN: 1
; COMPUTE_PGM_RSRC2:TGID_Y_EN: 0
; COMPUTE_PGM_RSRC2:TGID_Z_EN: 0
; COMPUTE_PGM_RSRC2:TIDIG_COMP_CNT: 0
	.section	.text._ZN7rocprim17ROCPRIM_400000_NS6detail17trampoline_kernelINS0_14default_configENS1_25transform_config_selectorIN3c104HalfELb1EEEZNS1_14transform_implILb1ES3_S7_PS6_S9_NS0_8identityIS6_EEEE10hipError_tT2_T3_mT4_P12ihipStream_tbEUlT_E_NS1_11comp_targetILNS1_3genE9ELNS1_11target_archE1100ELNS1_3gpuE3ELNS1_3repE0EEENS1_30default_config_static_selectorELNS0_4arch9wavefront6targetE0EEEvT1_,"axG",@progbits,_ZN7rocprim17ROCPRIM_400000_NS6detail17trampoline_kernelINS0_14default_configENS1_25transform_config_selectorIN3c104HalfELb1EEEZNS1_14transform_implILb1ES3_S7_PS6_S9_NS0_8identityIS6_EEEE10hipError_tT2_T3_mT4_P12ihipStream_tbEUlT_E_NS1_11comp_targetILNS1_3genE9ELNS1_11target_archE1100ELNS1_3gpuE3ELNS1_3repE0EEENS1_30default_config_static_selectorELNS0_4arch9wavefront6targetE0EEEvT1_,comdat
	.protected	_ZN7rocprim17ROCPRIM_400000_NS6detail17trampoline_kernelINS0_14default_configENS1_25transform_config_selectorIN3c104HalfELb1EEEZNS1_14transform_implILb1ES3_S7_PS6_S9_NS0_8identityIS6_EEEE10hipError_tT2_T3_mT4_P12ihipStream_tbEUlT_E_NS1_11comp_targetILNS1_3genE9ELNS1_11target_archE1100ELNS1_3gpuE3ELNS1_3repE0EEENS1_30default_config_static_selectorELNS0_4arch9wavefront6targetE0EEEvT1_ ; -- Begin function _ZN7rocprim17ROCPRIM_400000_NS6detail17trampoline_kernelINS0_14default_configENS1_25transform_config_selectorIN3c104HalfELb1EEEZNS1_14transform_implILb1ES3_S7_PS6_S9_NS0_8identityIS6_EEEE10hipError_tT2_T3_mT4_P12ihipStream_tbEUlT_E_NS1_11comp_targetILNS1_3genE9ELNS1_11target_archE1100ELNS1_3gpuE3ELNS1_3repE0EEENS1_30default_config_static_selectorELNS0_4arch9wavefront6targetE0EEEvT1_
	.globl	_ZN7rocprim17ROCPRIM_400000_NS6detail17trampoline_kernelINS0_14default_configENS1_25transform_config_selectorIN3c104HalfELb1EEEZNS1_14transform_implILb1ES3_S7_PS6_S9_NS0_8identityIS6_EEEE10hipError_tT2_T3_mT4_P12ihipStream_tbEUlT_E_NS1_11comp_targetILNS1_3genE9ELNS1_11target_archE1100ELNS1_3gpuE3ELNS1_3repE0EEENS1_30default_config_static_selectorELNS0_4arch9wavefront6targetE0EEEvT1_
	.p2align	8
	.type	_ZN7rocprim17ROCPRIM_400000_NS6detail17trampoline_kernelINS0_14default_configENS1_25transform_config_selectorIN3c104HalfELb1EEEZNS1_14transform_implILb1ES3_S7_PS6_S9_NS0_8identityIS6_EEEE10hipError_tT2_T3_mT4_P12ihipStream_tbEUlT_E_NS1_11comp_targetILNS1_3genE9ELNS1_11target_archE1100ELNS1_3gpuE3ELNS1_3repE0EEENS1_30default_config_static_selectorELNS0_4arch9wavefront6targetE0EEEvT1_,@function
_ZN7rocprim17ROCPRIM_400000_NS6detail17trampoline_kernelINS0_14default_configENS1_25transform_config_selectorIN3c104HalfELb1EEEZNS1_14transform_implILb1ES3_S7_PS6_S9_NS0_8identityIS6_EEEE10hipError_tT2_T3_mT4_P12ihipStream_tbEUlT_E_NS1_11comp_targetILNS1_3genE9ELNS1_11target_archE1100ELNS1_3gpuE3ELNS1_3repE0EEENS1_30default_config_static_selectorELNS0_4arch9wavefront6targetE0EEEvT1_: ; @_ZN7rocprim17ROCPRIM_400000_NS6detail17trampoline_kernelINS0_14default_configENS1_25transform_config_selectorIN3c104HalfELb1EEEZNS1_14transform_implILb1ES3_S7_PS6_S9_NS0_8identityIS6_EEEE10hipError_tT2_T3_mT4_P12ihipStream_tbEUlT_E_NS1_11comp_targetILNS1_3genE9ELNS1_11target_archE1100ELNS1_3gpuE3ELNS1_3repE0EEENS1_30default_config_static_selectorELNS0_4arch9wavefront6targetE0EEEvT1_
; %bb.0:
	.section	.rodata,"a",@progbits
	.p2align	6, 0x0
	.amdhsa_kernel _ZN7rocprim17ROCPRIM_400000_NS6detail17trampoline_kernelINS0_14default_configENS1_25transform_config_selectorIN3c104HalfELb1EEEZNS1_14transform_implILb1ES3_S7_PS6_S9_NS0_8identityIS6_EEEE10hipError_tT2_T3_mT4_P12ihipStream_tbEUlT_E_NS1_11comp_targetILNS1_3genE9ELNS1_11target_archE1100ELNS1_3gpuE3ELNS1_3repE0EEENS1_30default_config_static_selectorELNS0_4arch9wavefront6targetE0EEEvT1_
		.amdhsa_group_segment_fixed_size 0
		.amdhsa_private_segment_fixed_size 0
		.amdhsa_kernarg_size 40
		.amdhsa_user_sgpr_count 6
		.amdhsa_user_sgpr_private_segment_buffer 1
		.amdhsa_user_sgpr_dispatch_ptr 0
		.amdhsa_user_sgpr_queue_ptr 0
		.amdhsa_user_sgpr_kernarg_segment_ptr 1
		.amdhsa_user_sgpr_dispatch_id 0
		.amdhsa_user_sgpr_flat_scratch_init 0
		.amdhsa_user_sgpr_private_segment_size 0
		.amdhsa_wavefront_size32 1
		.amdhsa_uses_dynamic_stack 0
		.amdhsa_system_sgpr_private_segment_wavefront_offset 0
		.amdhsa_system_sgpr_workgroup_id_x 1
		.amdhsa_system_sgpr_workgroup_id_y 0
		.amdhsa_system_sgpr_workgroup_id_z 0
		.amdhsa_system_sgpr_workgroup_info 0
		.amdhsa_system_vgpr_workitem_id 0
		.amdhsa_next_free_vgpr 1
		.amdhsa_next_free_sgpr 1
		.amdhsa_reserve_vcc 0
		.amdhsa_reserve_flat_scratch 0
		.amdhsa_float_round_mode_32 0
		.amdhsa_float_round_mode_16_64 0
		.amdhsa_float_denorm_mode_32 3
		.amdhsa_float_denorm_mode_16_64 3
		.amdhsa_dx10_clamp 1
		.amdhsa_ieee_mode 1
		.amdhsa_fp16_overflow 0
		.amdhsa_workgroup_processor_mode 1
		.amdhsa_memory_ordered 1
		.amdhsa_forward_progress 1
		.amdhsa_shared_vgpr_count 0
		.amdhsa_exception_fp_ieee_invalid_op 0
		.amdhsa_exception_fp_denorm_src 0
		.amdhsa_exception_fp_ieee_div_zero 0
		.amdhsa_exception_fp_ieee_overflow 0
		.amdhsa_exception_fp_ieee_underflow 0
		.amdhsa_exception_fp_ieee_inexact 0
		.amdhsa_exception_int_div_zero 0
	.end_amdhsa_kernel
	.section	.text._ZN7rocprim17ROCPRIM_400000_NS6detail17trampoline_kernelINS0_14default_configENS1_25transform_config_selectorIN3c104HalfELb1EEEZNS1_14transform_implILb1ES3_S7_PS6_S9_NS0_8identityIS6_EEEE10hipError_tT2_T3_mT4_P12ihipStream_tbEUlT_E_NS1_11comp_targetILNS1_3genE9ELNS1_11target_archE1100ELNS1_3gpuE3ELNS1_3repE0EEENS1_30default_config_static_selectorELNS0_4arch9wavefront6targetE0EEEvT1_,"axG",@progbits,_ZN7rocprim17ROCPRIM_400000_NS6detail17trampoline_kernelINS0_14default_configENS1_25transform_config_selectorIN3c104HalfELb1EEEZNS1_14transform_implILb1ES3_S7_PS6_S9_NS0_8identityIS6_EEEE10hipError_tT2_T3_mT4_P12ihipStream_tbEUlT_E_NS1_11comp_targetILNS1_3genE9ELNS1_11target_archE1100ELNS1_3gpuE3ELNS1_3repE0EEENS1_30default_config_static_selectorELNS0_4arch9wavefront6targetE0EEEvT1_,comdat
.Lfunc_end366:
	.size	_ZN7rocprim17ROCPRIM_400000_NS6detail17trampoline_kernelINS0_14default_configENS1_25transform_config_selectorIN3c104HalfELb1EEEZNS1_14transform_implILb1ES3_S7_PS6_S9_NS0_8identityIS6_EEEE10hipError_tT2_T3_mT4_P12ihipStream_tbEUlT_E_NS1_11comp_targetILNS1_3genE9ELNS1_11target_archE1100ELNS1_3gpuE3ELNS1_3repE0EEENS1_30default_config_static_selectorELNS0_4arch9wavefront6targetE0EEEvT1_, .Lfunc_end366-_ZN7rocprim17ROCPRIM_400000_NS6detail17trampoline_kernelINS0_14default_configENS1_25transform_config_selectorIN3c104HalfELb1EEEZNS1_14transform_implILb1ES3_S7_PS6_S9_NS0_8identityIS6_EEEE10hipError_tT2_T3_mT4_P12ihipStream_tbEUlT_E_NS1_11comp_targetILNS1_3genE9ELNS1_11target_archE1100ELNS1_3gpuE3ELNS1_3repE0EEENS1_30default_config_static_selectorELNS0_4arch9wavefront6targetE0EEEvT1_
                                        ; -- End function
	.set _ZN7rocprim17ROCPRIM_400000_NS6detail17trampoline_kernelINS0_14default_configENS1_25transform_config_selectorIN3c104HalfELb1EEEZNS1_14transform_implILb1ES3_S7_PS6_S9_NS0_8identityIS6_EEEE10hipError_tT2_T3_mT4_P12ihipStream_tbEUlT_E_NS1_11comp_targetILNS1_3genE9ELNS1_11target_archE1100ELNS1_3gpuE3ELNS1_3repE0EEENS1_30default_config_static_selectorELNS0_4arch9wavefront6targetE0EEEvT1_.num_vgpr, 0
	.set _ZN7rocprim17ROCPRIM_400000_NS6detail17trampoline_kernelINS0_14default_configENS1_25transform_config_selectorIN3c104HalfELb1EEEZNS1_14transform_implILb1ES3_S7_PS6_S9_NS0_8identityIS6_EEEE10hipError_tT2_T3_mT4_P12ihipStream_tbEUlT_E_NS1_11comp_targetILNS1_3genE9ELNS1_11target_archE1100ELNS1_3gpuE3ELNS1_3repE0EEENS1_30default_config_static_selectorELNS0_4arch9wavefront6targetE0EEEvT1_.num_agpr, 0
	.set _ZN7rocprim17ROCPRIM_400000_NS6detail17trampoline_kernelINS0_14default_configENS1_25transform_config_selectorIN3c104HalfELb1EEEZNS1_14transform_implILb1ES3_S7_PS6_S9_NS0_8identityIS6_EEEE10hipError_tT2_T3_mT4_P12ihipStream_tbEUlT_E_NS1_11comp_targetILNS1_3genE9ELNS1_11target_archE1100ELNS1_3gpuE3ELNS1_3repE0EEENS1_30default_config_static_selectorELNS0_4arch9wavefront6targetE0EEEvT1_.numbered_sgpr, 0
	.set _ZN7rocprim17ROCPRIM_400000_NS6detail17trampoline_kernelINS0_14default_configENS1_25transform_config_selectorIN3c104HalfELb1EEEZNS1_14transform_implILb1ES3_S7_PS6_S9_NS0_8identityIS6_EEEE10hipError_tT2_T3_mT4_P12ihipStream_tbEUlT_E_NS1_11comp_targetILNS1_3genE9ELNS1_11target_archE1100ELNS1_3gpuE3ELNS1_3repE0EEENS1_30default_config_static_selectorELNS0_4arch9wavefront6targetE0EEEvT1_.num_named_barrier, 0
	.set _ZN7rocprim17ROCPRIM_400000_NS6detail17trampoline_kernelINS0_14default_configENS1_25transform_config_selectorIN3c104HalfELb1EEEZNS1_14transform_implILb1ES3_S7_PS6_S9_NS0_8identityIS6_EEEE10hipError_tT2_T3_mT4_P12ihipStream_tbEUlT_E_NS1_11comp_targetILNS1_3genE9ELNS1_11target_archE1100ELNS1_3gpuE3ELNS1_3repE0EEENS1_30default_config_static_selectorELNS0_4arch9wavefront6targetE0EEEvT1_.private_seg_size, 0
	.set _ZN7rocprim17ROCPRIM_400000_NS6detail17trampoline_kernelINS0_14default_configENS1_25transform_config_selectorIN3c104HalfELb1EEEZNS1_14transform_implILb1ES3_S7_PS6_S9_NS0_8identityIS6_EEEE10hipError_tT2_T3_mT4_P12ihipStream_tbEUlT_E_NS1_11comp_targetILNS1_3genE9ELNS1_11target_archE1100ELNS1_3gpuE3ELNS1_3repE0EEENS1_30default_config_static_selectorELNS0_4arch9wavefront6targetE0EEEvT1_.uses_vcc, 0
	.set _ZN7rocprim17ROCPRIM_400000_NS6detail17trampoline_kernelINS0_14default_configENS1_25transform_config_selectorIN3c104HalfELb1EEEZNS1_14transform_implILb1ES3_S7_PS6_S9_NS0_8identityIS6_EEEE10hipError_tT2_T3_mT4_P12ihipStream_tbEUlT_E_NS1_11comp_targetILNS1_3genE9ELNS1_11target_archE1100ELNS1_3gpuE3ELNS1_3repE0EEENS1_30default_config_static_selectorELNS0_4arch9wavefront6targetE0EEEvT1_.uses_flat_scratch, 0
	.set _ZN7rocprim17ROCPRIM_400000_NS6detail17trampoline_kernelINS0_14default_configENS1_25transform_config_selectorIN3c104HalfELb1EEEZNS1_14transform_implILb1ES3_S7_PS6_S9_NS0_8identityIS6_EEEE10hipError_tT2_T3_mT4_P12ihipStream_tbEUlT_E_NS1_11comp_targetILNS1_3genE9ELNS1_11target_archE1100ELNS1_3gpuE3ELNS1_3repE0EEENS1_30default_config_static_selectorELNS0_4arch9wavefront6targetE0EEEvT1_.has_dyn_sized_stack, 0
	.set _ZN7rocprim17ROCPRIM_400000_NS6detail17trampoline_kernelINS0_14default_configENS1_25transform_config_selectorIN3c104HalfELb1EEEZNS1_14transform_implILb1ES3_S7_PS6_S9_NS0_8identityIS6_EEEE10hipError_tT2_T3_mT4_P12ihipStream_tbEUlT_E_NS1_11comp_targetILNS1_3genE9ELNS1_11target_archE1100ELNS1_3gpuE3ELNS1_3repE0EEENS1_30default_config_static_selectorELNS0_4arch9wavefront6targetE0EEEvT1_.has_recursion, 0
	.set _ZN7rocprim17ROCPRIM_400000_NS6detail17trampoline_kernelINS0_14default_configENS1_25transform_config_selectorIN3c104HalfELb1EEEZNS1_14transform_implILb1ES3_S7_PS6_S9_NS0_8identityIS6_EEEE10hipError_tT2_T3_mT4_P12ihipStream_tbEUlT_E_NS1_11comp_targetILNS1_3genE9ELNS1_11target_archE1100ELNS1_3gpuE3ELNS1_3repE0EEENS1_30default_config_static_selectorELNS0_4arch9wavefront6targetE0EEEvT1_.has_indirect_call, 0
	.section	.AMDGPU.csdata,"",@progbits
; Kernel info:
; codeLenInByte = 0
; TotalNumSgprs: 0
; NumVgprs: 0
; ScratchSize: 0
; MemoryBound: 0
; FloatMode: 240
; IeeeMode: 1
; LDSByteSize: 0 bytes/workgroup (compile time only)
; SGPRBlocks: 0
; VGPRBlocks: 0
; NumSGPRsForWavesPerEU: 1
; NumVGPRsForWavesPerEU: 1
; Occupancy: 16
; WaveLimiterHint : 0
; COMPUTE_PGM_RSRC2:SCRATCH_EN: 0
; COMPUTE_PGM_RSRC2:USER_SGPR: 6
; COMPUTE_PGM_RSRC2:TRAP_HANDLER: 0
; COMPUTE_PGM_RSRC2:TGID_X_EN: 1
; COMPUTE_PGM_RSRC2:TGID_Y_EN: 0
; COMPUTE_PGM_RSRC2:TGID_Z_EN: 0
; COMPUTE_PGM_RSRC2:TIDIG_COMP_CNT: 0
	.section	.text._ZN7rocprim17ROCPRIM_400000_NS6detail17trampoline_kernelINS0_14default_configENS1_25transform_config_selectorIN3c104HalfELb1EEEZNS1_14transform_implILb1ES3_S7_PS6_S9_NS0_8identityIS6_EEEE10hipError_tT2_T3_mT4_P12ihipStream_tbEUlT_E_NS1_11comp_targetILNS1_3genE8ELNS1_11target_archE1030ELNS1_3gpuE2ELNS1_3repE0EEENS1_30default_config_static_selectorELNS0_4arch9wavefront6targetE0EEEvT1_,"axG",@progbits,_ZN7rocprim17ROCPRIM_400000_NS6detail17trampoline_kernelINS0_14default_configENS1_25transform_config_selectorIN3c104HalfELb1EEEZNS1_14transform_implILb1ES3_S7_PS6_S9_NS0_8identityIS6_EEEE10hipError_tT2_T3_mT4_P12ihipStream_tbEUlT_E_NS1_11comp_targetILNS1_3genE8ELNS1_11target_archE1030ELNS1_3gpuE2ELNS1_3repE0EEENS1_30default_config_static_selectorELNS0_4arch9wavefront6targetE0EEEvT1_,comdat
	.protected	_ZN7rocprim17ROCPRIM_400000_NS6detail17trampoline_kernelINS0_14default_configENS1_25transform_config_selectorIN3c104HalfELb1EEEZNS1_14transform_implILb1ES3_S7_PS6_S9_NS0_8identityIS6_EEEE10hipError_tT2_T3_mT4_P12ihipStream_tbEUlT_E_NS1_11comp_targetILNS1_3genE8ELNS1_11target_archE1030ELNS1_3gpuE2ELNS1_3repE0EEENS1_30default_config_static_selectorELNS0_4arch9wavefront6targetE0EEEvT1_ ; -- Begin function _ZN7rocprim17ROCPRIM_400000_NS6detail17trampoline_kernelINS0_14default_configENS1_25transform_config_selectorIN3c104HalfELb1EEEZNS1_14transform_implILb1ES3_S7_PS6_S9_NS0_8identityIS6_EEEE10hipError_tT2_T3_mT4_P12ihipStream_tbEUlT_E_NS1_11comp_targetILNS1_3genE8ELNS1_11target_archE1030ELNS1_3gpuE2ELNS1_3repE0EEENS1_30default_config_static_selectorELNS0_4arch9wavefront6targetE0EEEvT1_
	.globl	_ZN7rocprim17ROCPRIM_400000_NS6detail17trampoline_kernelINS0_14default_configENS1_25transform_config_selectorIN3c104HalfELb1EEEZNS1_14transform_implILb1ES3_S7_PS6_S9_NS0_8identityIS6_EEEE10hipError_tT2_T3_mT4_P12ihipStream_tbEUlT_E_NS1_11comp_targetILNS1_3genE8ELNS1_11target_archE1030ELNS1_3gpuE2ELNS1_3repE0EEENS1_30default_config_static_selectorELNS0_4arch9wavefront6targetE0EEEvT1_
	.p2align	8
	.type	_ZN7rocprim17ROCPRIM_400000_NS6detail17trampoline_kernelINS0_14default_configENS1_25transform_config_selectorIN3c104HalfELb1EEEZNS1_14transform_implILb1ES3_S7_PS6_S9_NS0_8identityIS6_EEEE10hipError_tT2_T3_mT4_P12ihipStream_tbEUlT_E_NS1_11comp_targetILNS1_3genE8ELNS1_11target_archE1030ELNS1_3gpuE2ELNS1_3repE0EEENS1_30default_config_static_selectorELNS0_4arch9wavefront6targetE0EEEvT1_,@function
_ZN7rocprim17ROCPRIM_400000_NS6detail17trampoline_kernelINS0_14default_configENS1_25transform_config_selectorIN3c104HalfELb1EEEZNS1_14transform_implILb1ES3_S7_PS6_S9_NS0_8identityIS6_EEEE10hipError_tT2_T3_mT4_P12ihipStream_tbEUlT_E_NS1_11comp_targetILNS1_3genE8ELNS1_11target_archE1030ELNS1_3gpuE2ELNS1_3repE0EEENS1_30default_config_static_selectorELNS0_4arch9wavefront6targetE0EEEvT1_: ; @_ZN7rocprim17ROCPRIM_400000_NS6detail17trampoline_kernelINS0_14default_configENS1_25transform_config_selectorIN3c104HalfELb1EEEZNS1_14transform_implILb1ES3_S7_PS6_S9_NS0_8identityIS6_EEEE10hipError_tT2_T3_mT4_P12ihipStream_tbEUlT_E_NS1_11comp_targetILNS1_3genE8ELNS1_11target_archE1030ELNS1_3gpuE2ELNS1_3repE0EEENS1_30default_config_static_selectorELNS0_4arch9wavefront6targetE0EEEvT1_
; %bb.0:
	s_clause 0x1
	s_load_dword s0, s[4:5], 0x28
	s_load_dword s1, s[4:5], 0x10
	s_waitcnt lgkmcnt(0)
	s_add_i32 s2, s0, -1
	s_lshl_b32 s0, s6, 10
	s_cmp_lg_u32 s6, s2
	s_cselect_b32 s2, -1, 0
	s_sub_i32 s1, s1, s0
	v_cmp_gt_u32_e32 vcc_lo, s1, v0
	s_or_b32 s1, vcc_lo, s2
	s_and_saveexec_b32 s2, s1
	s_cbranch_execz .LBB367_2
; %bb.1:
	s_clause 0x1
	s_load_dwordx4 s[8:11], s[4:5], 0x0
	s_load_dwordx2 s[2:3], s[4:5], 0x18
	s_mov_b32 s1, 0
	v_lshlrev_b32_e32 v0, 1, v0
	s_waitcnt lgkmcnt(0)
	s_lshl_b64 s[4:5], s[10:11], 1
	s_add_u32 s6, s8, s4
	s_addc_u32 s7, s9, s5
	s_lshl_b64 s[0:1], s[0:1], 1
	s_add_u32 s6, s6, s0
	s_addc_u32 s7, s7, s1
	s_add_u32 s2, s2, s4
	global_load_ushort v1, v0, s[6:7]
	s_addc_u32 s3, s3, s5
	s_add_u32 s0, s2, s0
	s_addc_u32 s1, s3, s1
	s_waitcnt vmcnt(0)
	global_store_short v0, v1, s[0:1]
.LBB367_2:
	s_endpgm
	.section	.rodata,"a",@progbits
	.p2align	6, 0x0
	.amdhsa_kernel _ZN7rocprim17ROCPRIM_400000_NS6detail17trampoline_kernelINS0_14default_configENS1_25transform_config_selectorIN3c104HalfELb1EEEZNS1_14transform_implILb1ES3_S7_PS6_S9_NS0_8identityIS6_EEEE10hipError_tT2_T3_mT4_P12ihipStream_tbEUlT_E_NS1_11comp_targetILNS1_3genE8ELNS1_11target_archE1030ELNS1_3gpuE2ELNS1_3repE0EEENS1_30default_config_static_selectorELNS0_4arch9wavefront6targetE0EEEvT1_
		.amdhsa_group_segment_fixed_size 0
		.amdhsa_private_segment_fixed_size 0
		.amdhsa_kernarg_size 296
		.amdhsa_user_sgpr_count 6
		.amdhsa_user_sgpr_private_segment_buffer 1
		.amdhsa_user_sgpr_dispatch_ptr 0
		.amdhsa_user_sgpr_queue_ptr 0
		.amdhsa_user_sgpr_kernarg_segment_ptr 1
		.amdhsa_user_sgpr_dispatch_id 0
		.amdhsa_user_sgpr_flat_scratch_init 0
		.amdhsa_user_sgpr_private_segment_size 0
		.amdhsa_wavefront_size32 1
		.amdhsa_uses_dynamic_stack 0
		.amdhsa_system_sgpr_private_segment_wavefront_offset 0
		.amdhsa_system_sgpr_workgroup_id_x 1
		.amdhsa_system_sgpr_workgroup_id_y 0
		.amdhsa_system_sgpr_workgroup_id_z 0
		.amdhsa_system_sgpr_workgroup_info 0
		.amdhsa_system_vgpr_workitem_id 0
		.amdhsa_next_free_vgpr 2
		.amdhsa_next_free_sgpr 12
		.amdhsa_reserve_vcc 1
		.amdhsa_reserve_flat_scratch 0
		.amdhsa_float_round_mode_32 0
		.amdhsa_float_round_mode_16_64 0
		.amdhsa_float_denorm_mode_32 3
		.amdhsa_float_denorm_mode_16_64 3
		.amdhsa_dx10_clamp 1
		.amdhsa_ieee_mode 1
		.amdhsa_fp16_overflow 0
		.amdhsa_workgroup_processor_mode 1
		.amdhsa_memory_ordered 1
		.amdhsa_forward_progress 1
		.amdhsa_shared_vgpr_count 0
		.amdhsa_exception_fp_ieee_invalid_op 0
		.amdhsa_exception_fp_denorm_src 0
		.amdhsa_exception_fp_ieee_div_zero 0
		.amdhsa_exception_fp_ieee_overflow 0
		.amdhsa_exception_fp_ieee_underflow 0
		.amdhsa_exception_fp_ieee_inexact 0
		.amdhsa_exception_int_div_zero 0
	.end_amdhsa_kernel
	.section	.text._ZN7rocprim17ROCPRIM_400000_NS6detail17trampoline_kernelINS0_14default_configENS1_25transform_config_selectorIN3c104HalfELb1EEEZNS1_14transform_implILb1ES3_S7_PS6_S9_NS0_8identityIS6_EEEE10hipError_tT2_T3_mT4_P12ihipStream_tbEUlT_E_NS1_11comp_targetILNS1_3genE8ELNS1_11target_archE1030ELNS1_3gpuE2ELNS1_3repE0EEENS1_30default_config_static_selectorELNS0_4arch9wavefront6targetE0EEEvT1_,"axG",@progbits,_ZN7rocprim17ROCPRIM_400000_NS6detail17trampoline_kernelINS0_14default_configENS1_25transform_config_selectorIN3c104HalfELb1EEEZNS1_14transform_implILb1ES3_S7_PS6_S9_NS0_8identityIS6_EEEE10hipError_tT2_T3_mT4_P12ihipStream_tbEUlT_E_NS1_11comp_targetILNS1_3genE8ELNS1_11target_archE1030ELNS1_3gpuE2ELNS1_3repE0EEENS1_30default_config_static_selectorELNS0_4arch9wavefront6targetE0EEEvT1_,comdat
.Lfunc_end367:
	.size	_ZN7rocprim17ROCPRIM_400000_NS6detail17trampoline_kernelINS0_14default_configENS1_25transform_config_selectorIN3c104HalfELb1EEEZNS1_14transform_implILb1ES3_S7_PS6_S9_NS0_8identityIS6_EEEE10hipError_tT2_T3_mT4_P12ihipStream_tbEUlT_E_NS1_11comp_targetILNS1_3genE8ELNS1_11target_archE1030ELNS1_3gpuE2ELNS1_3repE0EEENS1_30default_config_static_selectorELNS0_4arch9wavefront6targetE0EEEvT1_, .Lfunc_end367-_ZN7rocprim17ROCPRIM_400000_NS6detail17trampoline_kernelINS0_14default_configENS1_25transform_config_selectorIN3c104HalfELb1EEEZNS1_14transform_implILb1ES3_S7_PS6_S9_NS0_8identityIS6_EEEE10hipError_tT2_T3_mT4_P12ihipStream_tbEUlT_E_NS1_11comp_targetILNS1_3genE8ELNS1_11target_archE1030ELNS1_3gpuE2ELNS1_3repE0EEENS1_30default_config_static_selectorELNS0_4arch9wavefront6targetE0EEEvT1_
                                        ; -- End function
	.set _ZN7rocprim17ROCPRIM_400000_NS6detail17trampoline_kernelINS0_14default_configENS1_25transform_config_selectorIN3c104HalfELb1EEEZNS1_14transform_implILb1ES3_S7_PS6_S9_NS0_8identityIS6_EEEE10hipError_tT2_T3_mT4_P12ihipStream_tbEUlT_E_NS1_11comp_targetILNS1_3genE8ELNS1_11target_archE1030ELNS1_3gpuE2ELNS1_3repE0EEENS1_30default_config_static_selectorELNS0_4arch9wavefront6targetE0EEEvT1_.num_vgpr, 2
	.set _ZN7rocprim17ROCPRIM_400000_NS6detail17trampoline_kernelINS0_14default_configENS1_25transform_config_selectorIN3c104HalfELb1EEEZNS1_14transform_implILb1ES3_S7_PS6_S9_NS0_8identityIS6_EEEE10hipError_tT2_T3_mT4_P12ihipStream_tbEUlT_E_NS1_11comp_targetILNS1_3genE8ELNS1_11target_archE1030ELNS1_3gpuE2ELNS1_3repE0EEENS1_30default_config_static_selectorELNS0_4arch9wavefront6targetE0EEEvT1_.num_agpr, 0
	.set _ZN7rocprim17ROCPRIM_400000_NS6detail17trampoline_kernelINS0_14default_configENS1_25transform_config_selectorIN3c104HalfELb1EEEZNS1_14transform_implILb1ES3_S7_PS6_S9_NS0_8identityIS6_EEEE10hipError_tT2_T3_mT4_P12ihipStream_tbEUlT_E_NS1_11comp_targetILNS1_3genE8ELNS1_11target_archE1030ELNS1_3gpuE2ELNS1_3repE0EEENS1_30default_config_static_selectorELNS0_4arch9wavefront6targetE0EEEvT1_.numbered_sgpr, 12
	.set _ZN7rocprim17ROCPRIM_400000_NS6detail17trampoline_kernelINS0_14default_configENS1_25transform_config_selectorIN3c104HalfELb1EEEZNS1_14transform_implILb1ES3_S7_PS6_S9_NS0_8identityIS6_EEEE10hipError_tT2_T3_mT4_P12ihipStream_tbEUlT_E_NS1_11comp_targetILNS1_3genE8ELNS1_11target_archE1030ELNS1_3gpuE2ELNS1_3repE0EEENS1_30default_config_static_selectorELNS0_4arch9wavefront6targetE0EEEvT1_.num_named_barrier, 0
	.set _ZN7rocprim17ROCPRIM_400000_NS6detail17trampoline_kernelINS0_14default_configENS1_25transform_config_selectorIN3c104HalfELb1EEEZNS1_14transform_implILb1ES3_S7_PS6_S9_NS0_8identityIS6_EEEE10hipError_tT2_T3_mT4_P12ihipStream_tbEUlT_E_NS1_11comp_targetILNS1_3genE8ELNS1_11target_archE1030ELNS1_3gpuE2ELNS1_3repE0EEENS1_30default_config_static_selectorELNS0_4arch9wavefront6targetE0EEEvT1_.private_seg_size, 0
	.set _ZN7rocprim17ROCPRIM_400000_NS6detail17trampoline_kernelINS0_14default_configENS1_25transform_config_selectorIN3c104HalfELb1EEEZNS1_14transform_implILb1ES3_S7_PS6_S9_NS0_8identityIS6_EEEE10hipError_tT2_T3_mT4_P12ihipStream_tbEUlT_E_NS1_11comp_targetILNS1_3genE8ELNS1_11target_archE1030ELNS1_3gpuE2ELNS1_3repE0EEENS1_30default_config_static_selectorELNS0_4arch9wavefront6targetE0EEEvT1_.uses_vcc, 1
	.set _ZN7rocprim17ROCPRIM_400000_NS6detail17trampoline_kernelINS0_14default_configENS1_25transform_config_selectorIN3c104HalfELb1EEEZNS1_14transform_implILb1ES3_S7_PS6_S9_NS0_8identityIS6_EEEE10hipError_tT2_T3_mT4_P12ihipStream_tbEUlT_E_NS1_11comp_targetILNS1_3genE8ELNS1_11target_archE1030ELNS1_3gpuE2ELNS1_3repE0EEENS1_30default_config_static_selectorELNS0_4arch9wavefront6targetE0EEEvT1_.uses_flat_scratch, 0
	.set _ZN7rocprim17ROCPRIM_400000_NS6detail17trampoline_kernelINS0_14default_configENS1_25transform_config_selectorIN3c104HalfELb1EEEZNS1_14transform_implILb1ES3_S7_PS6_S9_NS0_8identityIS6_EEEE10hipError_tT2_T3_mT4_P12ihipStream_tbEUlT_E_NS1_11comp_targetILNS1_3genE8ELNS1_11target_archE1030ELNS1_3gpuE2ELNS1_3repE0EEENS1_30default_config_static_selectorELNS0_4arch9wavefront6targetE0EEEvT1_.has_dyn_sized_stack, 0
	.set _ZN7rocprim17ROCPRIM_400000_NS6detail17trampoline_kernelINS0_14default_configENS1_25transform_config_selectorIN3c104HalfELb1EEEZNS1_14transform_implILb1ES3_S7_PS6_S9_NS0_8identityIS6_EEEE10hipError_tT2_T3_mT4_P12ihipStream_tbEUlT_E_NS1_11comp_targetILNS1_3genE8ELNS1_11target_archE1030ELNS1_3gpuE2ELNS1_3repE0EEENS1_30default_config_static_selectorELNS0_4arch9wavefront6targetE0EEEvT1_.has_recursion, 0
	.set _ZN7rocprim17ROCPRIM_400000_NS6detail17trampoline_kernelINS0_14default_configENS1_25transform_config_selectorIN3c104HalfELb1EEEZNS1_14transform_implILb1ES3_S7_PS6_S9_NS0_8identityIS6_EEEE10hipError_tT2_T3_mT4_P12ihipStream_tbEUlT_E_NS1_11comp_targetILNS1_3genE8ELNS1_11target_archE1030ELNS1_3gpuE2ELNS1_3repE0EEENS1_30default_config_static_selectorELNS0_4arch9wavefront6targetE0EEEvT1_.has_indirect_call, 0
	.section	.AMDGPU.csdata,"",@progbits
; Kernel info:
; codeLenInByte = 156
; TotalNumSgprs: 14
; NumVgprs: 2
; ScratchSize: 0
; MemoryBound: 0
; FloatMode: 240
; IeeeMode: 1
; LDSByteSize: 0 bytes/workgroup (compile time only)
; SGPRBlocks: 0
; VGPRBlocks: 0
; NumSGPRsForWavesPerEU: 14
; NumVGPRsForWavesPerEU: 2
; Occupancy: 16
; WaveLimiterHint : 0
; COMPUTE_PGM_RSRC2:SCRATCH_EN: 0
; COMPUTE_PGM_RSRC2:USER_SGPR: 6
; COMPUTE_PGM_RSRC2:TRAP_HANDLER: 0
; COMPUTE_PGM_RSRC2:TGID_X_EN: 1
; COMPUTE_PGM_RSRC2:TGID_Y_EN: 0
; COMPUTE_PGM_RSRC2:TGID_Z_EN: 0
; COMPUTE_PGM_RSRC2:TIDIG_COMP_CNT: 0
	.section	.text._ZN7rocprim17ROCPRIM_400000_NS6detail17trampoline_kernelINS0_14default_configENS1_20scan_config_selectorIN3c104HalfEEEZZNS1_9scan_implILNS1_25lookback_scan_determinismE0ELb0ELb0ES3_PKS6_PS6_S6_ZZZN2at6native31launch_logcumsumexp_cuda_kernelERKNSD_10TensorBaseESH_lENKUlvE_clEvENKUlvE3_clEvEUlS6_S6_E_S6_EEDaPvRmT3_T4_T5_mT6_P12ihipStream_tbENKUlT_T0_E_clISt17integral_constantIbLb0EESY_EEDaST_SU_EUlST_E0_NS1_11comp_targetILNS1_3genE0ELNS1_11target_archE4294967295ELNS1_3gpuE0ELNS1_3repE0EEENS1_30default_config_static_selectorELNS0_4arch9wavefront6targetE0EEEvT1_,"axG",@progbits,_ZN7rocprim17ROCPRIM_400000_NS6detail17trampoline_kernelINS0_14default_configENS1_20scan_config_selectorIN3c104HalfEEEZZNS1_9scan_implILNS1_25lookback_scan_determinismE0ELb0ELb0ES3_PKS6_PS6_S6_ZZZN2at6native31launch_logcumsumexp_cuda_kernelERKNSD_10TensorBaseESH_lENKUlvE_clEvENKUlvE3_clEvEUlS6_S6_E_S6_EEDaPvRmT3_T4_T5_mT6_P12ihipStream_tbENKUlT_T0_E_clISt17integral_constantIbLb0EESY_EEDaST_SU_EUlST_E0_NS1_11comp_targetILNS1_3genE0ELNS1_11target_archE4294967295ELNS1_3gpuE0ELNS1_3repE0EEENS1_30default_config_static_selectorELNS0_4arch9wavefront6targetE0EEEvT1_,comdat
	.globl	_ZN7rocprim17ROCPRIM_400000_NS6detail17trampoline_kernelINS0_14default_configENS1_20scan_config_selectorIN3c104HalfEEEZZNS1_9scan_implILNS1_25lookback_scan_determinismE0ELb0ELb0ES3_PKS6_PS6_S6_ZZZN2at6native31launch_logcumsumexp_cuda_kernelERKNSD_10TensorBaseESH_lENKUlvE_clEvENKUlvE3_clEvEUlS6_S6_E_S6_EEDaPvRmT3_T4_T5_mT6_P12ihipStream_tbENKUlT_T0_E_clISt17integral_constantIbLb0EESY_EEDaST_SU_EUlST_E0_NS1_11comp_targetILNS1_3genE0ELNS1_11target_archE4294967295ELNS1_3gpuE0ELNS1_3repE0EEENS1_30default_config_static_selectorELNS0_4arch9wavefront6targetE0EEEvT1_ ; -- Begin function _ZN7rocprim17ROCPRIM_400000_NS6detail17trampoline_kernelINS0_14default_configENS1_20scan_config_selectorIN3c104HalfEEEZZNS1_9scan_implILNS1_25lookback_scan_determinismE0ELb0ELb0ES3_PKS6_PS6_S6_ZZZN2at6native31launch_logcumsumexp_cuda_kernelERKNSD_10TensorBaseESH_lENKUlvE_clEvENKUlvE3_clEvEUlS6_S6_E_S6_EEDaPvRmT3_T4_T5_mT6_P12ihipStream_tbENKUlT_T0_E_clISt17integral_constantIbLb0EESY_EEDaST_SU_EUlST_E0_NS1_11comp_targetILNS1_3genE0ELNS1_11target_archE4294967295ELNS1_3gpuE0ELNS1_3repE0EEENS1_30default_config_static_selectorELNS0_4arch9wavefront6targetE0EEEvT1_
	.p2align	8
	.type	_ZN7rocprim17ROCPRIM_400000_NS6detail17trampoline_kernelINS0_14default_configENS1_20scan_config_selectorIN3c104HalfEEEZZNS1_9scan_implILNS1_25lookback_scan_determinismE0ELb0ELb0ES3_PKS6_PS6_S6_ZZZN2at6native31launch_logcumsumexp_cuda_kernelERKNSD_10TensorBaseESH_lENKUlvE_clEvENKUlvE3_clEvEUlS6_S6_E_S6_EEDaPvRmT3_T4_T5_mT6_P12ihipStream_tbENKUlT_T0_E_clISt17integral_constantIbLb0EESY_EEDaST_SU_EUlST_E0_NS1_11comp_targetILNS1_3genE0ELNS1_11target_archE4294967295ELNS1_3gpuE0ELNS1_3repE0EEENS1_30default_config_static_selectorELNS0_4arch9wavefront6targetE0EEEvT1_,@function
_ZN7rocprim17ROCPRIM_400000_NS6detail17trampoline_kernelINS0_14default_configENS1_20scan_config_selectorIN3c104HalfEEEZZNS1_9scan_implILNS1_25lookback_scan_determinismE0ELb0ELb0ES3_PKS6_PS6_S6_ZZZN2at6native31launch_logcumsumexp_cuda_kernelERKNSD_10TensorBaseESH_lENKUlvE_clEvENKUlvE3_clEvEUlS6_S6_E_S6_EEDaPvRmT3_T4_T5_mT6_P12ihipStream_tbENKUlT_T0_E_clISt17integral_constantIbLb0EESY_EEDaST_SU_EUlST_E0_NS1_11comp_targetILNS1_3genE0ELNS1_11target_archE4294967295ELNS1_3gpuE0ELNS1_3repE0EEENS1_30default_config_static_selectorELNS0_4arch9wavefront6targetE0EEEvT1_: ; @_ZN7rocprim17ROCPRIM_400000_NS6detail17trampoline_kernelINS0_14default_configENS1_20scan_config_selectorIN3c104HalfEEEZZNS1_9scan_implILNS1_25lookback_scan_determinismE0ELb0ELb0ES3_PKS6_PS6_S6_ZZZN2at6native31launch_logcumsumexp_cuda_kernelERKNSD_10TensorBaseESH_lENKUlvE_clEvENKUlvE3_clEvEUlS6_S6_E_S6_EEDaPvRmT3_T4_T5_mT6_P12ihipStream_tbENKUlT_T0_E_clISt17integral_constantIbLb0EESY_EEDaST_SU_EUlST_E0_NS1_11comp_targetILNS1_3genE0ELNS1_11target_archE4294967295ELNS1_3gpuE0ELNS1_3repE0EEENS1_30default_config_static_selectorELNS0_4arch9wavefront6targetE0EEEvT1_
; %bb.0:
	.section	.rodata,"a",@progbits
	.p2align	6, 0x0
	.amdhsa_kernel _ZN7rocprim17ROCPRIM_400000_NS6detail17trampoline_kernelINS0_14default_configENS1_20scan_config_selectorIN3c104HalfEEEZZNS1_9scan_implILNS1_25lookback_scan_determinismE0ELb0ELb0ES3_PKS6_PS6_S6_ZZZN2at6native31launch_logcumsumexp_cuda_kernelERKNSD_10TensorBaseESH_lENKUlvE_clEvENKUlvE3_clEvEUlS6_S6_E_S6_EEDaPvRmT3_T4_T5_mT6_P12ihipStream_tbENKUlT_T0_E_clISt17integral_constantIbLb0EESY_EEDaST_SU_EUlST_E0_NS1_11comp_targetILNS1_3genE0ELNS1_11target_archE4294967295ELNS1_3gpuE0ELNS1_3repE0EEENS1_30default_config_static_selectorELNS0_4arch9wavefront6targetE0EEEvT1_
		.amdhsa_group_segment_fixed_size 0
		.amdhsa_private_segment_fixed_size 0
		.amdhsa_kernarg_size 32
		.amdhsa_user_sgpr_count 6
		.amdhsa_user_sgpr_private_segment_buffer 1
		.amdhsa_user_sgpr_dispatch_ptr 0
		.amdhsa_user_sgpr_queue_ptr 0
		.amdhsa_user_sgpr_kernarg_segment_ptr 1
		.amdhsa_user_sgpr_dispatch_id 0
		.amdhsa_user_sgpr_flat_scratch_init 0
		.amdhsa_user_sgpr_private_segment_size 0
		.amdhsa_wavefront_size32 1
		.amdhsa_uses_dynamic_stack 0
		.amdhsa_system_sgpr_private_segment_wavefront_offset 0
		.amdhsa_system_sgpr_workgroup_id_x 1
		.amdhsa_system_sgpr_workgroup_id_y 0
		.amdhsa_system_sgpr_workgroup_id_z 0
		.amdhsa_system_sgpr_workgroup_info 0
		.amdhsa_system_vgpr_workitem_id 0
		.amdhsa_next_free_vgpr 1
		.amdhsa_next_free_sgpr 1
		.amdhsa_reserve_vcc 0
		.amdhsa_reserve_flat_scratch 0
		.amdhsa_float_round_mode_32 0
		.amdhsa_float_round_mode_16_64 0
		.amdhsa_float_denorm_mode_32 3
		.amdhsa_float_denorm_mode_16_64 3
		.amdhsa_dx10_clamp 1
		.amdhsa_ieee_mode 1
		.amdhsa_fp16_overflow 0
		.amdhsa_workgroup_processor_mode 1
		.amdhsa_memory_ordered 1
		.amdhsa_forward_progress 1
		.amdhsa_shared_vgpr_count 0
		.amdhsa_exception_fp_ieee_invalid_op 0
		.amdhsa_exception_fp_denorm_src 0
		.amdhsa_exception_fp_ieee_div_zero 0
		.amdhsa_exception_fp_ieee_overflow 0
		.amdhsa_exception_fp_ieee_underflow 0
		.amdhsa_exception_fp_ieee_inexact 0
		.amdhsa_exception_int_div_zero 0
	.end_amdhsa_kernel
	.section	.text._ZN7rocprim17ROCPRIM_400000_NS6detail17trampoline_kernelINS0_14default_configENS1_20scan_config_selectorIN3c104HalfEEEZZNS1_9scan_implILNS1_25lookback_scan_determinismE0ELb0ELb0ES3_PKS6_PS6_S6_ZZZN2at6native31launch_logcumsumexp_cuda_kernelERKNSD_10TensorBaseESH_lENKUlvE_clEvENKUlvE3_clEvEUlS6_S6_E_S6_EEDaPvRmT3_T4_T5_mT6_P12ihipStream_tbENKUlT_T0_E_clISt17integral_constantIbLb0EESY_EEDaST_SU_EUlST_E0_NS1_11comp_targetILNS1_3genE0ELNS1_11target_archE4294967295ELNS1_3gpuE0ELNS1_3repE0EEENS1_30default_config_static_selectorELNS0_4arch9wavefront6targetE0EEEvT1_,"axG",@progbits,_ZN7rocprim17ROCPRIM_400000_NS6detail17trampoline_kernelINS0_14default_configENS1_20scan_config_selectorIN3c104HalfEEEZZNS1_9scan_implILNS1_25lookback_scan_determinismE0ELb0ELb0ES3_PKS6_PS6_S6_ZZZN2at6native31launch_logcumsumexp_cuda_kernelERKNSD_10TensorBaseESH_lENKUlvE_clEvENKUlvE3_clEvEUlS6_S6_E_S6_EEDaPvRmT3_T4_T5_mT6_P12ihipStream_tbENKUlT_T0_E_clISt17integral_constantIbLb0EESY_EEDaST_SU_EUlST_E0_NS1_11comp_targetILNS1_3genE0ELNS1_11target_archE4294967295ELNS1_3gpuE0ELNS1_3repE0EEENS1_30default_config_static_selectorELNS0_4arch9wavefront6targetE0EEEvT1_,comdat
.Lfunc_end368:
	.size	_ZN7rocprim17ROCPRIM_400000_NS6detail17trampoline_kernelINS0_14default_configENS1_20scan_config_selectorIN3c104HalfEEEZZNS1_9scan_implILNS1_25lookback_scan_determinismE0ELb0ELb0ES3_PKS6_PS6_S6_ZZZN2at6native31launch_logcumsumexp_cuda_kernelERKNSD_10TensorBaseESH_lENKUlvE_clEvENKUlvE3_clEvEUlS6_S6_E_S6_EEDaPvRmT3_T4_T5_mT6_P12ihipStream_tbENKUlT_T0_E_clISt17integral_constantIbLb0EESY_EEDaST_SU_EUlST_E0_NS1_11comp_targetILNS1_3genE0ELNS1_11target_archE4294967295ELNS1_3gpuE0ELNS1_3repE0EEENS1_30default_config_static_selectorELNS0_4arch9wavefront6targetE0EEEvT1_, .Lfunc_end368-_ZN7rocprim17ROCPRIM_400000_NS6detail17trampoline_kernelINS0_14default_configENS1_20scan_config_selectorIN3c104HalfEEEZZNS1_9scan_implILNS1_25lookback_scan_determinismE0ELb0ELb0ES3_PKS6_PS6_S6_ZZZN2at6native31launch_logcumsumexp_cuda_kernelERKNSD_10TensorBaseESH_lENKUlvE_clEvENKUlvE3_clEvEUlS6_S6_E_S6_EEDaPvRmT3_T4_T5_mT6_P12ihipStream_tbENKUlT_T0_E_clISt17integral_constantIbLb0EESY_EEDaST_SU_EUlST_E0_NS1_11comp_targetILNS1_3genE0ELNS1_11target_archE4294967295ELNS1_3gpuE0ELNS1_3repE0EEENS1_30default_config_static_selectorELNS0_4arch9wavefront6targetE0EEEvT1_
                                        ; -- End function
	.set _ZN7rocprim17ROCPRIM_400000_NS6detail17trampoline_kernelINS0_14default_configENS1_20scan_config_selectorIN3c104HalfEEEZZNS1_9scan_implILNS1_25lookback_scan_determinismE0ELb0ELb0ES3_PKS6_PS6_S6_ZZZN2at6native31launch_logcumsumexp_cuda_kernelERKNSD_10TensorBaseESH_lENKUlvE_clEvENKUlvE3_clEvEUlS6_S6_E_S6_EEDaPvRmT3_T4_T5_mT6_P12ihipStream_tbENKUlT_T0_E_clISt17integral_constantIbLb0EESY_EEDaST_SU_EUlST_E0_NS1_11comp_targetILNS1_3genE0ELNS1_11target_archE4294967295ELNS1_3gpuE0ELNS1_3repE0EEENS1_30default_config_static_selectorELNS0_4arch9wavefront6targetE0EEEvT1_.num_vgpr, 0
	.set _ZN7rocprim17ROCPRIM_400000_NS6detail17trampoline_kernelINS0_14default_configENS1_20scan_config_selectorIN3c104HalfEEEZZNS1_9scan_implILNS1_25lookback_scan_determinismE0ELb0ELb0ES3_PKS6_PS6_S6_ZZZN2at6native31launch_logcumsumexp_cuda_kernelERKNSD_10TensorBaseESH_lENKUlvE_clEvENKUlvE3_clEvEUlS6_S6_E_S6_EEDaPvRmT3_T4_T5_mT6_P12ihipStream_tbENKUlT_T0_E_clISt17integral_constantIbLb0EESY_EEDaST_SU_EUlST_E0_NS1_11comp_targetILNS1_3genE0ELNS1_11target_archE4294967295ELNS1_3gpuE0ELNS1_3repE0EEENS1_30default_config_static_selectorELNS0_4arch9wavefront6targetE0EEEvT1_.num_agpr, 0
	.set _ZN7rocprim17ROCPRIM_400000_NS6detail17trampoline_kernelINS0_14default_configENS1_20scan_config_selectorIN3c104HalfEEEZZNS1_9scan_implILNS1_25lookback_scan_determinismE0ELb0ELb0ES3_PKS6_PS6_S6_ZZZN2at6native31launch_logcumsumexp_cuda_kernelERKNSD_10TensorBaseESH_lENKUlvE_clEvENKUlvE3_clEvEUlS6_S6_E_S6_EEDaPvRmT3_T4_T5_mT6_P12ihipStream_tbENKUlT_T0_E_clISt17integral_constantIbLb0EESY_EEDaST_SU_EUlST_E0_NS1_11comp_targetILNS1_3genE0ELNS1_11target_archE4294967295ELNS1_3gpuE0ELNS1_3repE0EEENS1_30default_config_static_selectorELNS0_4arch9wavefront6targetE0EEEvT1_.numbered_sgpr, 0
	.set _ZN7rocprim17ROCPRIM_400000_NS6detail17trampoline_kernelINS0_14default_configENS1_20scan_config_selectorIN3c104HalfEEEZZNS1_9scan_implILNS1_25lookback_scan_determinismE0ELb0ELb0ES3_PKS6_PS6_S6_ZZZN2at6native31launch_logcumsumexp_cuda_kernelERKNSD_10TensorBaseESH_lENKUlvE_clEvENKUlvE3_clEvEUlS6_S6_E_S6_EEDaPvRmT3_T4_T5_mT6_P12ihipStream_tbENKUlT_T0_E_clISt17integral_constantIbLb0EESY_EEDaST_SU_EUlST_E0_NS1_11comp_targetILNS1_3genE0ELNS1_11target_archE4294967295ELNS1_3gpuE0ELNS1_3repE0EEENS1_30default_config_static_selectorELNS0_4arch9wavefront6targetE0EEEvT1_.num_named_barrier, 0
	.set _ZN7rocprim17ROCPRIM_400000_NS6detail17trampoline_kernelINS0_14default_configENS1_20scan_config_selectorIN3c104HalfEEEZZNS1_9scan_implILNS1_25lookback_scan_determinismE0ELb0ELb0ES3_PKS6_PS6_S6_ZZZN2at6native31launch_logcumsumexp_cuda_kernelERKNSD_10TensorBaseESH_lENKUlvE_clEvENKUlvE3_clEvEUlS6_S6_E_S6_EEDaPvRmT3_T4_T5_mT6_P12ihipStream_tbENKUlT_T0_E_clISt17integral_constantIbLb0EESY_EEDaST_SU_EUlST_E0_NS1_11comp_targetILNS1_3genE0ELNS1_11target_archE4294967295ELNS1_3gpuE0ELNS1_3repE0EEENS1_30default_config_static_selectorELNS0_4arch9wavefront6targetE0EEEvT1_.private_seg_size, 0
	.set _ZN7rocprim17ROCPRIM_400000_NS6detail17trampoline_kernelINS0_14default_configENS1_20scan_config_selectorIN3c104HalfEEEZZNS1_9scan_implILNS1_25lookback_scan_determinismE0ELb0ELb0ES3_PKS6_PS6_S6_ZZZN2at6native31launch_logcumsumexp_cuda_kernelERKNSD_10TensorBaseESH_lENKUlvE_clEvENKUlvE3_clEvEUlS6_S6_E_S6_EEDaPvRmT3_T4_T5_mT6_P12ihipStream_tbENKUlT_T0_E_clISt17integral_constantIbLb0EESY_EEDaST_SU_EUlST_E0_NS1_11comp_targetILNS1_3genE0ELNS1_11target_archE4294967295ELNS1_3gpuE0ELNS1_3repE0EEENS1_30default_config_static_selectorELNS0_4arch9wavefront6targetE0EEEvT1_.uses_vcc, 0
	.set _ZN7rocprim17ROCPRIM_400000_NS6detail17trampoline_kernelINS0_14default_configENS1_20scan_config_selectorIN3c104HalfEEEZZNS1_9scan_implILNS1_25lookback_scan_determinismE0ELb0ELb0ES3_PKS6_PS6_S6_ZZZN2at6native31launch_logcumsumexp_cuda_kernelERKNSD_10TensorBaseESH_lENKUlvE_clEvENKUlvE3_clEvEUlS6_S6_E_S6_EEDaPvRmT3_T4_T5_mT6_P12ihipStream_tbENKUlT_T0_E_clISt17integral_constantIbLb0EESY_EEDaST_SU_EUlST_E0_NS1_11comp_targetILNS1_3genE0ELNS1_11target_archE4294967295ELNS1_3gpuE0ELNS1_3repE0EEENS1_30default_config_static_selectorELNS0_4arch9wavefront6targetE0EEEvT1_.uses_flat_scratch, 0
	.set _ZN7rocprim17ROCPRIM_400000_NS6detail17trampoline_kernelINS0_14default_configENS1_20scan_config_selectorIN3c104HalfEEEZZNS1_9scan_implILNS1_25lookback_scan_determinismE0ELb0ELb0ES3_PKS6_PS6_S6_ZZZN2at6native31launch_logcumsumexp_cuda_kernelERKNSD_10TensorBaseESH_lENKUlvE_clEvENKUlvE3_clEvEUlS6_S6_E_S6_EEDaPvRmT3_T4_T5_mT6_P12ihipStream_tbENKUlT_T0_E_clISt17integral_constantIbLb0EESY_EEDaST_SU_EUlST_E0_NS1_11comp_targetILNS1_3genE0ELNS1_11target_archE4294967295ELNS1_3gpuE0ELNS1_3repE0EEENS1_30default_config_static_selectorELNS0_4arch9wavefront6targetE0EEEvT1_.has_dyn_sized_stack, 0
	.set _ZN7rocprim17ROCPRIM_400000_NS6detail17trampoline_kernelINS0_14default_configENS1_20scan_config_selectorIN3c104HalfEEEZZNS1_9scan_implILNS1_25lookback_scan_determinismE0ELb0ELb0ES3_PKS6_PS6_S6_ZZZN2at6native31launch_logcumsumexp_cuda_kernelERKNSD_10TensorBaseESH_lENKUlvE_clEvENKUlvE3_clEvEUlS6_S6_E_S6_EEDaPvRmT3_T4_T5_mT6_P12ihipStream_tbENKUlT_T0_E_clISt17integral_constantIbLb0EESY_EEDaST_SU_EUlST_E0_NS1_11comp_targetILNS1_3genE0ELNS1_11target_archE4294967295ELNS1_3gpuE0ELNS1_3repE0EEENS1_30default_config_static_selectorELNS0_4arch9wavefront6targetE0EEEvT1_.has_recursion, 0
	.set _ZN7rocprim17ROCPRIM_400000_NS6detail17trampoline_kernelINS0_14default_configENS1_20scan_config_selectorIN3c104HalfEEEZZNS1_9scan_implILNS1_25lookback_scan_determinismE0ELb0ELb0ES3_PKS6_PS6_S6_ZZZN2at6native31launch_logcumsumexp_cuda_kernelERKNSD_10TensorBaseESH_lENKUlvE_clEvENKUlvE3_clEvEUlS6_S6_E_S6_EEDaPvRmT3_T4_T5_mT6_P12ihipStream_tbENKUlT_T0_E_clISt17integral_constantIbLb0EESY_EEDaST_SU_EUlST_E0_NS1_11comp_targetILNS1_3genE0ELNS1_11target_archE4294967295ELNS1_3gpuE0ELNS1_3repE0EEENS1_30default_config_static_selectorELNS0_4arch9wavefront6targetE0EEEvT1_.has_indirect_call, 0
	.section	.AMDGPU.csdata,"",@progbits
; Kernel info:
; codeLenInByte = 0
; TotalNumSgprs: 0
; NumVgprs: 0
; ScratchSize: 0
; MemoryBound: 0
; FloatMode: 240
; IeeeMode: 1
; LDSByteSize: 0 bytes/workgroup (compile time only)
; SGPRBlocks: 0
; VGPRBlocks: 0
; NumSGPRsForWavesPerEU: 1
; NumVGPRsForWavesPerEU: 1
; Occupancy: 16
; WaveLimiterHint : 0
; COMPUTE_PGM_RSRC2:SCRATCH_EN: 0
; COMPUTE_PGM_RSRC2:USER_SGPR: 6
; COMPUTE_PGM_RSRC2:TRAP_HANDLER: 0
; COMPUTE_PGM_RSRC2:TGID_X_EN: 1
; COMPUTE_PGM_RSRC2:TGID_Y_EN: 0
; COMPUTE_PGM_RSRC2:TGID_Z_EN: 0
; COMPUTE_PGM_RSRC2:TIDIG_COMP_CNT: 0
	.section	.text._ZN7rocprim17ROCPRIM_400000_NS6detail17trampoline_kernelINS0_14default_configENS1_20scan_config_selectorIN3c104HalfEEEZZNS1_9scan_implILNS1_25lookback_scan_determinismE0ELb0ELb0ES3_PKS6_PS6_S6_ZZZN2at6native31launch_logcumsumexp_cuda_kernelERKNSD_10TensorBaseESH_lENKUlvE_clEvENKUlvE3_clEvEUlS6_S6_E_S6_EEDaPvRmT3_T4_T5_mT6_P12ihipStream_tbENKUlT_T0_E_clISt17integral_constantIbLb0EESY_EEDaST_SU_EUlST_E0_NS1_11comp_targetILNS1_3genE5ELNS1_11target_archE942ELNS1_3gpuE9ELNS1_3repE0EEENS1_30default_config_static_selectorELNS0_4arch9wavefront6targetE0EEEvT1_,"axG",@progbits,_ZN7rocprim17ROCPRIM_400000_NS6detail17trampoline_kernelINS0_14default_configENS1_20scan_config_selectorIN3c104HalfEEEZZNS1_9scan_implILNS1_25lookback_scan_determinismE0ELb0ELb0ES3_PKS6_PS6_S6_ZZZN2at6native31launch_logcumsumexp_cuda_kernelERKNSD_10TensorBaseESH_lENKUlvE_clEvENKUlvE3_clEvEUlS6_S6_E_S6_EEDaPvRmT3_T4_T5_mT6_P12ihipStream_tbENKUlT_T0_E_clISt17integral_constantIbLb0EESY_EEDaST_SU_EUlST_E0_NS1_11comp_targetILNS1_3genE5ELNS1_11target_archE942ELNS1_3gpuE9ELNS1_3repE0EEENS1_30default_config_static_selectorELNS0_4arch9wavefront6targetE0EEEvT1_,comdat
	.globl	_ZN7rocprim17ROCPRIM_400000_NS6detail17trampoline_kernelINS0_14default_configENS1_20scan_config_selectorIN3c104HalfEEEZZNS1_9scan_implILNS1_25lookback_scan_determinismE0ELb0ELb0ES3_PKS6_PS6_S6_ZZZN2at6native31launch_logcumsumexp_cuda_kernelERKNSD_10TensorBaseESH_lENKUlvE_clEvENKUlvE3_clEvEUlS6_S6_E_S6_EEDaPvRmT3_T4_T5_mT6_P12ihipStream_tbENKUlT_T0_E_clISt17integral_constantIbLb0EESY_EEDaST_SU_EUlST_E0_NS1_11comp_targetILNS1_3genE5ELNS1_11target_archE942ELNS1_3gpuE9ELNS1_3repE0EEENS1_30default_config_static_selectorELNS0_4arch9wavefront6targetE0EEEvT1_ ; -- Begin function _ZN7rocprim17ROCPRIM_400000_NS6detail17trampoline_kernelINS0_14default_configENS1_20scan_config_selectorIN3c104HalfEEEZZNS1_9scan_implILNS1_25lookback_scan_determinismE0ELb0ELb0ES3_PKS6_PS6_S6_ZZZN2at6native31launch_logcumsumexp_cuda_kernelERKNSD_10TensorBaseESH_lENKUlvE_clEvENKUlvE3_clEvEUlS6_S6_E_S6_EEDaPvRmT3_T4_T5_mT6_P12ihipStream_tbENKUlT_T0_E_clISt17integral_constantIbLb0EESY_EEDaST_SU_EUlST_E0_NS1_11comp_targetILNS1_3genE5ELNS1_11target_archE942ELNS1_3gpuE9ELNS1_3repE0EEENS1_30default_config_static_selectorELNS0_4arch9wavefront6targetE0EEEvT1_
	.p2align	8
	.type	_ZN7rocprim17ROCPRIM_400000_NS6detail17trampoline_kernelINS0_14default_configENS1_20scan_config_selectorIN3c104HalfEEEZZNS1_9scan_implILNS1_25lookback_scan_determinismE0ELb0ELb0ES3_PKS6_PS6_S6_ZZZN2at6native31launch_logcumsumexp_cuda_kernelERKNSD_10TensorBaseESH_lENKUlvE_clEvENKUlvE3_clEvEUlS6_S6_E_S6_EEDaPvRmT3_T4_T5_mT6_P12ihipStream_tbENKUlT_T0_E_clISt17integral_constantIbLb0EESY_EEDaST_SU_EUlST_E0_NS1_11comp_targetILNS1_3genE5ELNS1_11target_archE942ELNS1_3gpuE9ELNS1_3repE0EEENS1_30default_config_static_selectorELNS0_4arch9wavefront6targetE0EEEvT1_,@function
_ZN7rocprim17ROCPRIM_400000_NS6detail17trampoline_kernelINS0_14default_configENS1_20scan_config_selectorIN3c104HalfEEEZZNS1_9scan_implILNS1_25lookback_scan_determinismE0ELb0ELb0ES3_PKS6_PS6_S6_ZZZN2at6native31launch_logcumsumexp_cuda_kernelERKNSD_10TensorBaseESH_lENKUlvE_clEvENKUlvE3_clEvEUlS6_S6_E_S6_EEDaPvRmT3_T4_T5_mT6_P12ihipStream_tbENKUlT_T0_E_clISt17integral_constantIbLb0EESY_EEDaST_SU_EUlST_E0_NS1_11comp_targetILNS1_3genE5ELNS1_11target_archE942ELNS1_3gpuE9ELNS1_3repE0EEENS1_30default_config_static_selectorELNS0_4arch9wavefront6targetE0EEEvT1_: ; @_ZN7rocprim17ROCPRIM_400000_NS6detail17trampoline_kernelINS0_14default_configENS1_20scan_config_selectorIN3c104HalfEEEZZNS1_9scan_implILNS1_25lookback_scan_determinismE0ELb0ELb0ES3_PKS6_PS6_S6_ZZZN2at6native31launch_logcumsumexp_cuda_kernelERKNSD_10TensorBaseESH_lENKUlvE_clEvENKUlvE3_clEvEUlS6_S6_E_S6_EEDaPvRmT3_T4_T5_mT6_P12ihipStream_tbENKUlT_T0_E_clISt17integral_constantIbLb0EESY_EEDaST_SU_EUlST_E0_NS1_11comp_targetILNS1_3genE5ELNS1_11target_archE942ELNS1_3gpuE9ELNS1_3repE0EEENS1_30default_config_static_selectorELNS0_4arch9wavefront6targetE0EEEvT1_
; %bb.0:
	.section	.rodata,"a",@progbits
	.p2align	6, 0x0
	.amdhsa_kernel _ZN7rocprim17ROCPRIM_400000_NS6detail17trampoline_kernelINS0_14default_configENS1_20scan_config_selectorIN3c104HalfEEEZZNS1_9scan_implILNS1_25lookback_scan_determinismE0ELb0ELb0ES3_PKS6_PS6_S6_ZZZN2at6native31launch_logcumsumexp_cuda_kernelERKNSD_10TensorBaseESH_lENKUlvE_clEvENKUlvE3_clEvEUlS6_S6_E_S6_EEDaPvRmT3_T4_T5_mT6_P12ihipStream_tbENKUlT_T0_E_clISt17integral_constantIbLb0EESY_EEDaST_SU_EUlST_E0_NS1_11comp_targetILNS1_3genE5ELNS1_11target_archE942ELNS1_3gpuE9ELNS1_3repE0EEENS1_30default_config_static_selectorELNS0_4arch9wavefront6targetE0EEEvT1_
		.amdhsa_group_segment_fixed_size 0
		.amdhsa_private_segment_fixed_size 0
		.amdhsa_kernarg_size 32
		.amdhsa_user_sgpr_count 6
		.amdhsa_user_sgpr_private_segment_buffer 1
		.amdhsa_user_sgpr_dispatch_ptr 0
		.amdhsa_user_sgpr_queue_ptr 0
		.amdhsa_user_sgpr_kernarg_segment_ptr 1
		.amdhsa_user_sgpr_dispatch_id 0
		.amdhsa_user_sgpr_flat_scratch_init 0
		.amdhsa_user_sgpr_private_segment_size 0
		.amdhsa_wavefront_size32 1
		.amdhsa_uses_dynamic_stack 0
		.amdhsa_system_sgpr_private_segment_wavefront_offset 0
		.amdhsa_system_sgpr_workgroup_id_x 1
		.amdhsa_system_sgpr_workgroup_id_y 0
		.amdhsa_system_sgpr_workgroup_id_z 0
		.amdhsa_system_sgpr_workgroup_info 0
		.amdhsa_system_vgpr_workitem_id 0
		.amdhsa_next_free_vgpr 1
		.amdhsa_next_free_sgpr 1
		.amdhsa_reserve_vcc 0
		.amdhsa_reserve_flat_scratch 0
		.amdhsa_float_round_mode_32 0
		.amdhsa_float_round_mode_16_64 0
		.amdhsa_float_denorm_mode_32 3
		.amdhsa_float_denorm_mode_16_64 3
		.amdhsa_dx10_clamp 1
		.amdhsa_ieee_mode 1
		.amdhsa_fp16_overflow 0
		.amdhsa_workgroup_processor_mode 1
		.amdhsa_memory_ordered 1
		.amdhsa_forward_progress 1
		.amdhsa_shared_vgpr_count 0
		.amdhsa_exception_fp_ieee_invalid_op 0
		.amdhsa_exception_fp_denorm_src 0
		.amdhsa_exception_fp_ieee_div_zero 0
		.amdhsa_exception_fp_ieee_overflow 0
		.amdhsa_exception_fp_ieee_underflow 0
		.amdhsa_exception_fp_ieee_inexact 0
		.amdhsa_exception_int_div_zero 0
	.end_amdhsa_kernel
	.section	.text._ZN7rocprim17ROCPRIM_400000_NS6detail17trampoline_kernelINS0_14default_configENS1_20scan_config_selectorIN3c104HalfEEEZZNS1_9scan_implILNS1_25lookback_scan_determinismE0ELb0ELb0ES3_PKS6_PS6_S6_ZZZN2at6native31launch_logcumsumexp_cuda_kernelERKNSD_10TensorBaseESH_lENKUlvE_clEvENKUlvE3_clEvEUlS6_S6_E_S6_EEDaPvRmT3_T4_T5_mT6_P12ihipStream_tbENKUlT_T0_E_clISt17integral_constantIbLb0EESY_EEDaST_SU_EUlST_E0_NS1_11comp_targetILNS1_3genE5ELNS1_11target_archE942ELNS1_3gpuE9ELNS1_3repE0EEENS1_30default_config_static_selectorELNS0_4arch9wavefront6targetE0EEEvT1_,"axG",@progbits,_ZN7rocprim17ROCPRIM_400000_NS6detail17trampoline_kernelINS0_14default_configENS1_20scan_config_selectorIN3c104HalfEEEZZNS1_9scan_implILNS1_25lookback_scan_determinismE0ELb0ELb0ES3_PKS6_PS6_S6_ZZZN2at6native31launch_logcumsumexp_cuda_kernelERKNSD_10TensorBaseESH_lENKUlvE_clEvENKUlvE3_clEvEUlS6_S6_E_S6_EEDaPvRmT3_T4_T5_mT6_P12ihipStream_tbENKUlT_T0_E_clISt17integral_constantIbLb0EESY_EEDaST_SU_EUlST_E0_NS1_11comp_targetILNS1_3genE5ELNS1_11target_archE942ELNS1_3gpuE9ELNS1_3repE0EEENS1_30default_config_static_selectorELNS0_4arch9wavefront6targetE0EEEvT1_,comdat
.Lfunc_end369:
	.size	_ZN7rocprim17ROCPRIM_400000_NS6detail17trampoline_kernelINS0_14default_configENS1_20scan_config_selectorIN3c104HalfEEEZZNS1_9scan_implILNS1_25lookback_scan_determinismE0ELb0ELb0ES3_PKS6_PS6_S6_ZZZN2at6native31launch_logcumsumexp_cuda_kernelERKNSD_10TensorBaseESH_lENKUlvE_clEvENKUlvE3_clEvEUlS6_S6_E_S6_EEDaPvRmT3_T4_T5_mT6_P12ihipStream_tbENKUlT_T0_E_clISt17integral_constantIbLb0EESY_EEDaST_SU_EUlST_E0_NS1_11comp_targetILNS1_3genE5ELNS1_11target_archE942ELNS1_3gpuE9ELNS1_3repE0EEENS1_30default_config_static_selectorELNS0_4arch9wavefront6targetE0EEEvT1_, .Lfunc_end369-_ZN7rocprim17ROCPRIM_400000_NS6detail17trampoline_kernelINS0_14default_configENS1_20scan_config_selectorIN3c104HalfEEEZZNS1_9scan_implILNS1_25lookback_scan_determinismE0ELb0ELb0ES3_PKS6_PS6_S6_ZZZN2at6native31launch_logcumsumexp_cuda_kernelERKNSD_10TensorBaseESH_lENKUlvE_clEvENKUlvE3_clEvEUlS6_S6_E_S6_EEDaPvRmT3_T4_T5_mT6_P12ihipStream_tbENKUlT_T0_E_clISt17integral_constantIbLb0EESY_EEDaST_SU_EUlST_E0_NS1_11comp_targetILNS1_3genE5ELNS1_11target_archE942ELNS1_3gpuE9ELNS1_3repE0EEENS1_30default_config_static_selectorELNS0_4arch9wavefront6targetE0EEEvT1_
                                        ; -- End function
	.set _ZN7rocprim17ROCPRIM_400000_NS6detail17trampoline_kernelINS0_14default_configENS1_20scan_config_selectorIN3c104HalfEEEZZNS1_9scan_implILNS1_25lookback_scan_determinismE0ELb0ELb0ES3_PKS6_PS6_S6_ZZZN2at6native31launch_logcumsumexp_cuda_kernelERKNSD_10TensorBaseESH_lENKUlvE_clEvENKUlvE3_clEvEUlS6_S6_E_S6_EEDaPvRmT3_T4_T5_mT6_P12ihipStream_tbENKUlT_T0_E_clISt17integral_constantIbLb0EESY_EEDaST_SU_EUlST_E0_NS1_11comp_targetILNS1_3genE5ELNS1_11target_archE942ELNS1_3gpuE9ELNS1_3repE0EEENS1_30default_config_static_selectorELNS0_4arch9wavefront6targetE0EEEvT1_.num_vgpr, 0
	.set _ZN7rocprim17ROCPRIM_400000_NS6detail17trampoline_kernelINS0_14default_configENS1_20scan_config_selectorIN3c104HalfEEEZZNS1_9scan_implILNS1_25lookback_scan_determinismE0ELb0ELb0ES3_PKS6_PS6_S6_ZZZN2at6native31launch_logcumsumexp_cuda_kernelERKNSD_10TensorBaseESH_lENKUlvE_clEvENKUlvE3_clEvEUlS6_S6_E_S6_EEDaPvRmT3_T4_T5_mT6_P12ihipStream_tbENKUlT_T0_E_clISt17integral_constantIbLb0EESY_EEDaST_SU_EUlST_E0_NS1_11comp_targetILNS1_3genE5ELNS1_11target_archE942ELNS1_3gpuE9ELNS1_3repE0EEENS1_30default_config_static_selectorELNS0_4arch9wavefront6targetE0EEEvT1_.num_agpr, 0
	.set _ZN7rocprim17ROCPRIM_400000_NS6detail17trampoline_kernelINS0_14default_configENS1_20scan_config_selectorIN3c104HalfEEEZZNS1_9scan_implILNS1_25lookback_scan_determinismE0ELb0ELb0ES3_PKS6_PS6_S6_ZZZN2at6native31launch_logcumsumexp_cuda_kernelERKNSD_10TensorBaseESH_lENKUlvE_clEvENKUlvE3_clEvEUlS6_S6_E_S6_EEDaPvRmT3_T4_T5_mT6_P12ihipStream_tbENKUlT_T0_E_clISt17integral_constantIbLb0EESY_EEDaST_SU_EUlST_E0_NS1_11comp_targetILNS1_3genE5ELNS1_11target_archE942ELNS1_3gpuE9ELNS1_3repE0EEENS1_30default_config_static_selectorELNS0_4arch9wavefront6targetE0EEEvT1_.numbered_sgpr, 0
	.set _ZN7rocprim17ROCPRIM_400000_NS6detail17trampoline_kernelINS0_14default_configENS1_20scan_config_selectorIN3c104HalfEEEZZNS1_9scan_implILNS1_25lookback_scan_determinismE0ELb0ELb0ES3_PKS6_PS6_S6_ZZZN2at6native31launch_logcumsumexp_cuda_kernelERKNSD_10TensorBaseESH_lENKUlvE_clEvENKUlvE3_clEvEUlS6_S6_E_S6_EEDaPvRmT3_T4_T5_mT6_P12ihipStream_tbENKUlT_T0_E_clISt17integral_constantIbLb0EESY_EEDaST_SU_EUlST_E0_NS1_11comp_targetILNS1_3genE5ELNS1_11target_archE942ELNS1_3gpuE9ELNS1_3repE0EEENS1_30default_config_static_selectorELNS0_4arch9wavefront6targetE0EEEvT1_.num_named_barrier, 0
	.set _ZN7rocprim17ROCPRIM_400000_NS6detail17trampoline_kernelINS0_14default_configENS1_20scan_config_selectorIN3c104HalfEEEZZNS1_9scan_implILNS1_25lookback_scan_determinismE0ELb0ELb0ES3_PKS6_PS6_S6_ZZZN2at6native31launch_logcumsumexp_cuda_kernelERKNSD_10TensorBaseESH_lENKUlvE_clEvENKUlvE3_clEvEUlS6_S6_E_S6_EEDaPvRmT3_T4_T5_mT6_P12ihipStream_tbENKUlT_T0_E_clISt17integral_constantIbLb0EESY_EEDaST_SU_EUlST_E0_NS1_11comp_targetILNS1_3genE5ELNS1_11target_archE942ELNS1_3gpuE9ELNS1_3repE0EEENS1_30default_config_static_selectorELNS0_4arch9wavefront6targetE0EEEvT1_.private_seg_size, 0
	.set _ZN7rocprim17ROCPRIM_400000_NS6detail17trampoline_kernelINS0_14default_configENS1_20scan_config_selectorIN3c104HalfEEEZZNS1_9scan_implILNS1_25lookback_scan_determinismE0ELb0ELb0ES3_PKS6_PS6_S6_ZZZN2at6native31launch_logcumsumexp_cuda_kernelERKNSD_10TensorBaseESH_lENKUlvE_clEvENKUlvE3_clEvEUlS6_S6_E_S6_EEDaPvRmT3_T4_T5_mT6_P12ihipStream_tbENKUlT_T0_E_clISt17integral_constantIbLb0EESY_EEDaST_SU_EUlST_E0_NS1_11comp_targetILNS1_3genE5ELNS1_11target_archE942ELNS1_3gpuE9ELNS1_3repE0EEENS1_30default_config_static_selectorELNS0_4arch9wavefront6targetE0EEEvT1_.uses_vcc, 0
	.set _ZN7rocprim17ROCPRIM_400000_NS6detail17trampoline_kernelINS0_14default_configENS1_20scan_config_selectorIN3c104HalfEEEZZNS1_9scan_implILNS1_25lookback_scan_determinismE0ELb0ELb0ES3_PKS6_PS6_S6_ZZZN2at6native31launch_logcumsumexp_cuda_kernelERKNSD_10TensorBaseESH_lENKUlvE_clEvENKUlvE3_clEvEUlS6_S6_E_S6_EEDaPvRmT3_T4_T5_mT6_P12ihipStream_tbENKUlT_T0_E_clISt17integral_constantIbLb0EESY_EEDaST_SU_EUlST_E0_NS1_11comp_targetILNS1_3genE5ELNS1_11target_archE942ELNS1_3gpuE9ELNS1_3repE0EEENS1_30default_config_static_selectorELNS0_4arch9wavefront6targetE0EEEvT1_.uses_flat_scratch, 0
	.set _ZN7rocprim17ROCPRIM_400000_NS6detail17trampoline_kernelINS0_14default_configENS1_20scan_config_selectorIN3c104HalfEEEZZNS1_9scan_implILNS1_25lookback_scan_determinismE0ELb0ELb0ES3_PKS6_PS6_S6_ZZZN2at6native31launch_logcumsumexp_cuda_kernelERKNSD_10TensorBaseESH_lENKUlvE_clEvENKUlvE3_clEvEUlS6_S6_E_S6_EEDaPvRmT3_T4_T5_mT6_P12ihipStream_tbENKUlT_T0_E_clISt17integral_constantIbLb0EESY_EEDaST_SU_EUlST_E0_NS1_11comp_targetILNS1_3genE5ELNS1_11target_archE942ELNS1_3gpuE9ELNS1_3repE0EEENS1_30default_config_static_selectorELNS0_4arch9wavefront6targetE0EEEvT1_.has_dyn_sized_stack, 0
	.set _ZN7rocprim17ROCPRIM_400000_NS6detail17trampoline_kernelINS0_14default_configENS1_20scan_config_selectorIN3c104HalfEEEZZNS1_9scan_implILNS1_25lookback_scan_determinismE0ELb0ELb0ES3_PKS6_PS6_S6_ZZZN2at6native31launch_logcumsumexp_cuda_kernelERKNSD_10TensorBaseESH_lENKUlvE_clEvENKUlvE3_clEvEUlS6_S6_E_S6_EEDaPvRmT3_T4_T5_mT6_P12ihipStream_tbENKUlT_T0_E_clISt17integral_constantIbLb0EESY_EEDaST_SU_EUlST_E0_NS1_11comp_targetILNS1_3genE5ELNS1_11target_archE942ELNS1_3gpuE9ELNS1_3repE0EEENS1_30default_config_static_selectorELNS0_4arch9wavefront6targetE0EEEvT1_.has_recursion, 0
	.set _ZN7rocprim17ROCPRIM_400000_NS6detail17trampoline_kernelINS0_14default_configENS1_20scan_config_selectorIN3c104HalfEEEZZNS1_9scan_implILNS1_25lookback_scan_determinismE0ELb0ELb0ES3_PKS6_PS6_S6_ZZZN2at6native31launch_logcumsumexp_cuda_kernelERKNSD_10TensorBaseESH_lENKUlvE_clEvENKUlvE3_clEvEUlS6_S6_E_S6_EEDaPvRmT3_T4_T5_mT6_P12ihipStream_tbENKUlT_T0_E_clISt17integral_constantIbLb0EESY_EEDaST_SU_EUlST_E0_NS1_11comp_targetILNS1_3genE5ELNS1_11target_archE942ELNS1_3gpuE9ELNS1_3repE0EEENS1_30default_config_static_selectorELNS0_4arch9wavefront6targetE0EEEvT1_.has_indirect_call, 0
	.section	.AMDGPU.csdata,"",@progbits
; Kernel info:
; codeLenInByte = 0
; TotalNumSgprs: 0
; NumVgprs: 0
; ScratchSize: 0
; MemoryBound: 0
; FloatMode: 240
; IeeeMode: 1
; LDSByteSize: 0 bytes/workgroup (compile time only)
; SGPRBlocks: 0
; VGPRBlocks: 0
; NumSGPRsForWavesPerEU: 1
; NumVGPRsForWavesPerEU: 1
; Occupancy: 16
; WaveLimiterHint : 0
; COMPUTE_PGM_RSRC2:SCRATCH_EN: 0
; COMPUTE_PGM_RSRC2:USER_SGPR: 6
; COMPUTE_PGM_RSRC2:TRAP_HANDLER: 0
; COMPUTE_PGM_RSRC2:TGID_X_EN: 1
; COMPUTE_PGM_RSRC2:TGID_Y_EN: 0
; COMPUTE_PGM_RSRC2:TGID_Z_EN: 0
; COMPUTE_PGM_RSRC2:TIDIG_COMP_CNT: 0
	.section	.text._ZN7rocprim17ROCPRIM_400000_NS6detail17trampoline_kernelINS0_14default_configENS1_20scan_config_selectorIN3c104HalfEEEZZNS1_9scan_implILNS1_25lookback_scan_determinismE0ELb0ELb0ES3_PKS6_PS6_S6_ZZZN2at6native31launch_logcumsumexp_cuda_kernelERKNSD_10TensorBaseESH_lENKUlvE_clEvENKUlvE3_clEvEUlS6_S6_E_S6_EEDaPvRmT3_T4_T5_mT6_P12ihipStream_tbENKUlT_T0_E_clISt17integral_constantIbLb0EESY_EEDaST_SU_EUlST_E0_NS1_11comp_targetILNS1_3genE4ELNS1_11target_archE910ELNS1_3gpuE8ELNS1_3repE0EEENS1_30default_config_static_selectorELNS0_4arch9wavefront6targetE0EEEvT1_,"axG",@progbits,_ZN7rocprim17ROCPRIM_400000_NS6detail17trampoline_kernelINS0_14default_configENS1_20scan_config_selectorIN3c104HalfEEEZZNS1_9scan_implILNS1_25lookback_scan_determinismE0ELb0ELb0ES3_PKS6_PS6_S6_ZZZN2at6native31launch_logcumsumexp_cuda_kernelERKNSD_10TensorBaseESH_lENKUlvE_clEvENKUlvE3_clEvEUlS6_S6_E_S6_EEDaPvRmT3_T4_T5_mT6_P12ihipStream_tbENKUlT_T0_E_clISt17integral_constantIbLb0EESY_EEDaST_SU_EUlST_E0_NS1_11comp_targetILNS1_3genE4ELNS1_11target_archE910ELNS1_3gpuE8ELNS1_3repE0EEENS1_30default_config_static_selectorELNS0_4arch9wavefront6targetE0EEEvT1_,comdat
	.globl	_ZN7rocprim17ROCPRIM_400000_NS6detail17trampoline_kernelINS0_14default_configENS1_20scan_config_selectorIN3c104HalfEEEZZNS1_9scan_implILNS1_25lookback_scan_determinismE0ELb0ELb0ES3_PKS6_PS6_S6_ZZZN2at6native31launch_logcumsumexp_cuda_kernelERKNSD_10TensorBaseESH_lENKUlvE_clEvENKUlvE3_clEvEUlS6_S6_E_S6_EEDaPvRmT3_T4_T5_mT6_P12ihipStream_tbENKUlT_T0_E_clISt17integral_constantIbLb0EESY_EEDaST_SU_EUlST_E0_NS1_11comp_targetILNS1_3genE4ELNS1_11target_archE910ELNS1_3gpuE8ELNS1_3repE0EEENS1_30default_config_static_selectorELNS0_4arch9wavefront6targetE0EEEvT1_ ; -- Begin function _ZN7rocprim17ROCPRIM_400000_NS6detail17trampoline_kernelINS0_14default_configENS1_20scan_config_selectorIN3c104HalfEEEZZNS1_9scan_implILNS1_25lookback_scan_determinismE0ELb0ELb0ES3_PKS6_PS6_S6_ZZZN2at6native31launch_logcumsumexp_cuda_kernelERKNSD_10TensorBaseESH_lENKUlvE_clEvENKUlvE3_clEvEUlS6_S6_E_S6_EEDaPvRmT3_T4_T5_mT6_P12ihipStream_tbENKUlT_T0_E_clISt17integral_constantIbLb0EESY_EEDaST_SU_EUlST_E0_NS1_11comp_targetILNS1_3genE4ELNS1_11target_archE910ELNS1_3gpuE8ELNS1_3repE0EEENS1_30default_config_static_selectorELNS0_4arch9wavefront6targetE0EEEvT1_
	.p2align	8
	.type	_ZN7rocprim17ROCPRIM_400000_NS6detail17trampoline_kernelINS0_14default_configENS1_20scan_config_selectorIN3c104HalfEEEZZNS1_9scan_implILNS1_25lookback_scan_determinismE0ELb0ELb0ES3_PKS6_PS6_S6_ZZZN2at6native31launch_logcumsumexp_cuda_kernelERKNSD_10TensorBaseESH_lENKUlvE_clEvENKUlvE3_clEvEUlS6_S6_E_S6_EEDaPvRmT3_T4_T5_mT6_P12ihipStream_tbENKUlT_T0_E_clISt17integral_constantIbLb0EESY_EEDaST_SU_EUlST_E0_NS1_11comp_targetILNS1_3genE4ELNS1_11target_archE910ELNS1_3gpuE8ELNS1_3repE0EEENS1_30default_config_static_selectorELNS0_4arch9wavefront6targetE0EEEvT1_,@function
_ZN7rocprim17ROCPRIM_400000_NS6detail17trampoline_kernelINS0_14default_configENS1_20scan_config_selectorIN3c104HalfEEEZZNS1_9scan_implILNS1_25lookback_scan_determinismE0ELb0ELb0ES3_PKS6_PS6_S6_ZZZN2at6native31launch_logcumsumexp_cuda_kernelERKNSD_10TensorBaseESH_lENKUlvE_clEvENKUlvE3_clEvEUlS6_S6_E_S6_EEDaPvRmT3_T4_T5_mT6_P12ihipStream_tbENKUlT_T0_E_clISt17integral_constantIbLb0EESY_EEDaST_SU_EUlST_E0_NS1_11comp_targetILNS1_3genE4ELNS1_11target_archE910ELNS1_3gpuE8ELNS1_3repE0EEENS1_30default_config_static_selectorELNS0_4arch9wavefront6targetE0EEEvT1_: ; @_ZN7rocprim17ROCPRIM_400000_NS6detail17trampoline_kernelINS0_14default_configENS1_20scan_config_selectorIN3c104HalfEEEZZNS1_9scan_implILNS1_25lookback_scan_determinismE0ELb0ELb0ES3_PKS6_PS6_S6_ZZZN2at6native31launch_logcumsumexp_cuda_kernelERKNSD_10TensorBaseESH_lENKUlvE_clEvENKUlvE3_clEvEUlS6_S6_E_S6_EEDaPvRmT3_T4_T5_mT6_P12ihipStream_tbENKUlT_T0_E_clISt17integral_constantIbLb0EESY_EEDaST_SU_EUlST_E0_NS1_11comp_targetILNS1_3genE4ELNS1_11target_archE910ELNS1_3gpuE8ELNS1_3repE0EEENS1_30default_config_static_selectorELNS0_4arch9wavefront6targetE0EEEvT1_
; %bb.0:
	.section	.rodata,"a",@progbits
	.p2align	6, 0x0
	.amdhsa_kernel _ZN7rocprim17ROCPRIM_400000_NS6detail17trampoline_kernelINS0_14default_configENS1_20scan_config_selectorIN3c104HalfEEEZZNS1_9scan_implILNS1_25lookback_scan_determinismE0ELb0ELb0ES3_PKS6_PS6_S6_ZZZN2at6native31launch_logcumsumexp_cuda_kernelERKNSD_10TensorBaseESH_lENKUlvE_clEvENKUlvE3_clEvEUlS6_S6_E_S6_EEDaPvRmT3_T4_T5_mT6_P12ihipStream_tbENKUlT_T0_E_clISt17integral_constantIbLb0EESY_EEDaST_SU_EUlST_E0_NS1_11comp_targetILNS1_3genE4ELNS1_11target_archE910ELNS1_3gpuE8ELNS1_3repE0EEENS1_30default_config_static_selectorELNS0_4arch9wavefront6targetE0EEEvT1_
		.amdhsa_group_segment_fixed_size 0
		.amdhsa_private_segment_fixed_size 0
		.amdhsa_kernarg_size 32
		.amdhsa_user_sgpr_count 6
		.amdhsa_user_sgpr_private_segment_buffer 1
		.amdhsa_user_sgpr_dispatch_ptr 0
		.amdhsa_user_sgpr_queue_ptr 0
		.amdhsa_user_sgpr_kernarg_segment_ptr 1
		.amdhsa_user_sgpr_dispatch_id 0
		.amdhsa_user_sgpr_flat_scratch_init 0
		.amdhsa_user_sgpr_private_segment_size 0
		.amdhsa_wavefront_size32 1
		.amdhsa_uses_dynamic_stack 0
		.amdhsa_system_sgpr_private_segment_wavefront_offset 0
		.amdhsa_system_sgpr_workgroup_id_x 1
		.amdhsa_system_sgpr_workgroup_id_y 0
		.amdhsa_system_sgpr_workgroup_id_z 0
		.amdhsa_system_sgpr_workgroup_info 0
		.amdhsa_system_vgpr_workitem_id 0
		.amdhsa_next_free_vgpr 1
		.amdhsa_next_free_sgpr 1
		.amdhsa_reserve_vcc 0
		.amdhsa_reserve_flat_scratch 0
		.amdhsa_float_round_mode_32 0
		.amdhsa_float_round_mode_16_64 0
		.amdhsa_float_denorm_mode_32 3
		.amdhsa_float_denorm_mode_16_64 3
		.amdhsa_dx10_clamp 1
		.amdhsa_ieee_mode 1
		.amdhsa_fp16_overflow 0
		.amdhsa_workgroup_processor_mode 1
		.amdhsa_memory_ordered 1
		.amdhsa_forward_progress 1
		.amdhsa_shared_vgpr_count 0
		.amdhsa_exception_fp_ieee_invalid_op 0
		.amdhsa_exception_fp_denorm_src 0
		.amdhsa_exception_fp_ieee_div_zero 0
		.amdhsa_exception_fp_ieee_overflow 0
		.amdhsa_exception_fp_ieee_underflow 0
		.amdhsa_exception_fp_ieee_inexact 0
		.amdhsa_exception_int_div_zero 0
	.end_amdhsa_kernel
	.section	.text._ZN7rocprim17ROCPRIM_400000_NS6detail17trampoline_kernelINS0_14default_configENS1_20scan_config_selectorIN3c104HalfEEEZZNS1_9scan_implILNS1_25lookback_scan_determinismE0ELb0ELb0ES3_PKS6_PS6_S6_ZZZN2at6native31launch_logcumsumexp_cuda_kernelERKNSD_10TensorBaseESH_lENKUlvE_clEvENKUlvE3_clEvEUlS6_S6_E_S6_EEDaPvRmT3_T4_T5_mT6_P12ihipStream_tbENKUlT_T0_E_clISt17integral_constantIbLb0EESY_EEDaST_SU_EUlST_E0_NS1_11comp_targetILNS1_3genE4ELNS1_11target_archE910ELNS1_3gpuE8ELNS1_3repE0EEENS1_30default_config_static_selectorELNS0_4arch9wavefront6targetE0EEEvT1_,"axG",@progbits,_ZN7rocprim17ROCPRIM_400000_NS6detail17trampoline_kernelINS0_14default_configENS1_20scan_config_selectorIN3c104HalfEEEZZNS1_9scan_implILNS1_25lookback_scan_determinismE0ELb0ELb0ES3_PKS6_PS6_S6_ZZZN2at6native31launch_logcumsumexp_cuda_kernelERKNSD_10TensorBaseESH_lENKUlvE_clEvENKUlvE3_clEvEUlS6_S6_E_S6_EEDaPvRmT3_T4_T5_mT6_P12ihipStream_tbENKUlT_T0_E_clISt17integral_constantIbLb0EESY_EEDaST_SU_EUlST_E0_NS1_11comp_targetILNS1_3genE4ELNS1_11target_archE910ELNS1_3gpuE8ELNS1_3repE0EEENS1_30default_config_static_selectorELNS0_4arch9wavefront6targetE0EEEvT1_,comdat
.Lfunc_end370:
	.size	_ZN7rocprim17ROCPRIM_400000_NS6detail17trampoline_kernelINS0_14default_configENS1_20scan_config_selectorIN3c104HalfEEEZZNS1_9scan_implILNS1_25lookback_scan_determinismE0ELb0ELb0ES3_PKS6_PS6_S6_ZZZN2at6native31launch_logcumsumexp_cuda_kernelERKNSD_10TensorBaseESH_lENKUlvE_clEvENKUlvE3_clEvEUlS6_S6_E_S6_EEDaPvRmT3_T4_T5_mT6_P12ihipStream_tbENKUlT_T0_E_clISt17integral_constantIbLb0EESY_EEDaST_SU_EUlST_E0_NS1_11comp_targetILNS1_3genE4ELNS1_11target_archE910ELNS1_3gpuE8ELNS1_3repE0EEENS1_30default_config_static_selectorELNS0_4arch9wavefront6targetE0EEEvT1_, .Lfunc_end370-_ZN7rocprim17ROCPRIM_400000_NS6detail17trampoline_kernelINS0_14default_configENS1_20scan_config_selectorIN3c104HalfEEEZZNS1_9scan_implILNS1_25lookback_scan_determinismE0ELb0ELb0ES3_PKS6_PS6_S6_ZZZN2at6native31launch_logcumsumexp_cuda_kernelERKNSD_10TensorBaseESH_lENKUlvE_clEvENKUlvE3_clEvEUlS6_S6_E_S6_EEDaPvRmT3_T4_T5_mT6_P12ihipStream_tbENKUlT_T0_E_clISt17integral_constantIbLb0EESY_EEDaST_SU_EUlST_E0_NS1_11comp_targetILNS1_3genE4ELNS1_11target_archE910ELNS1_3gpuE8ELNS1_3repE0EEENS1_30default_config_static_selectorELNS0_4arch9wavefront6targetE0EEEvT1_
                                        ; -- End function
	.set _ZN7rocprim17ROCPRIM_400000_NS6detail17trampoline_kernelINS0_14default_configENS1_20scan_config_selectorIN3c104HalfEEEZZNS1_9scan_implILNS1_25lookback_scan_determinismE0ELb0ELb0ES3_PKS6_PS6_S6_ZZZN2at6native31launch_logcumsumexp_cuda_kernelERKNSD_10TensorBaseESH_lENKUlvE_clEvENKUlvE3_clEvEUlS6_S6_E_S6_EEDaPvRmT3_T4_T5_mT6_P12ihipStream_tbENKUlT_T0_E_clISt17integral_constantIbLb0EESY_EEDaST_SU_EUlST_E0_NS1_11comp_targetILNS1_3genE4ELNS1_11target_archE910ELNS1_3gpuE8ELNS1_3repE0EEENS1_30default_config_static_selectorELNS0_4arch9wavefront6targetE0EEEvT1_.num_vgpr, 0
	.set _ZN7rocprim17ROCPRIM_400000_NS6detail17trampoline_kernelINS0_14default_configENS1_20scan_config_selectorIN3c104HalfEEEZZNS1_9scan_implILNS1_25lookback_scan_determinismE0ELb0ELb0ES3_PKS6_PS6_S6_ZZZN2at6native31launch_logcumsumexp_cuda_kernelERKNSD_10TensorBaseESH_lENKUlvE_clEvENKUlvE3_clEvEUlS6_S6_E_S6_EEDaPvRmT3_T4_T5_mT6_P12ihipStream_tbENKUlT_T0_E_clISt17integral_constantIbLb0EESY_EEDaST_SU_EUlST_E0_NS1_11comp_targetILNS1_3genE4ELNS1_11target_archE910ELNS1_3gpuE8ELNS1_3repE0EEENS1_30default_config_static_selectorELNS0_4arch9wavefront6targetE0EEEvT1_.num_agpr, 0
	.set _ZN7rocprim17ROCPRIM_400000_NS6detail17trampoline_kernelINS0_14default_configENS1_20scan_config_selectorIN3c104HalfEEEZZNS1_9scan_implILNS1_25lookback_scan_determinismE0ELb0ELb0ES3_PKS6_PS6_S6_ZZZN2at6native31launch_logcumsumexp_cuda_kernelERKNSD_10TensorBaseESH_lENKUlvE_clEvENKUlvE3_clEvEUlS6_S6_E_S6_EEDaPvRmT3_T4_T5_mT6_P12ihipStream_tbENKUlT_T0_E_clISt17integral_constantIbLb0EESY_EEDaST_SU_EUlST_E0_NS1_11comp_targetILNS1_3genE4ELNS1_11target_archE910ELNS1_3gpuE8ELNS1_3repE0EEENS1_30default_config_static_selectorELNS0_4arch9wavefront6targetE0EEEvT1_.numbered_sgpr, 0
	.set _ZN7rocprim17ROCPRIM_400000_NS6detail17trampoline_kernelINS0_14default_configENS1_20scan_config_selectorIN3c104HalfEEEZZNS1_9scan_implILNS1_25lookback_scan_determinismE0ELb0ELb0ES3_PKS6_PS6_S6_ZZZN2at6native31launch_logcumsumexp_cuda_kernelERKNSD_10TensorBaseESH_lENKUlvE_clEvENKUlvE3_clEvEUlS6_S6_E_S6_EEDaPvRmT3_T4_T5_mT6_P12ihipStream_tbENKUlT_T0_E_clISt17integral_constantIbLb0EESY_EEDaST_SU_EUlST_E0_NS1_11comp_targetILNS1_3genE4ELNS1_11target_archE910ELNS1_3gpuE8ELNS1_3repE0EEENS1_30default_config_static_selectorELNS0_4arch9wavefront6targetE0EEEvT1_.num_named_barrier, 0
	.set _ZN7rocprim17ROCPRIM_400000_NS6detail17trampoline_kernelINS0_14default_configENS1_20scan_config_selectorIN3c104HalfEEEZZNS1_9scan_implILNS1_25lookback_scan_determinismE0ELb0ELb0ES3_PKS6_PS6_S6_ZZZN2at6native31launch_logcumsumexp_cuda_kernelERKNSD_10TensorBaseESH_lENKUlvE_clEvENKUlvE3_clEvEUlS6_S6_E_S6_EEDaPvRmT3_T4_T5_mT6_P12ihipStream_tbENKUlT_T0_E_clISt17integral_constantIbLb0EESY_EEDaST_SU_EUlST_E0_NS1_11comp_targetILNS1_3genE4ELNS1_11target_archE910ELNS1_3gpuE8ELNS1_3repE0EEENS1_30default_config_static_selectorELNS0_4arch9wavefront6targetE0EEEvT1_.private_seg_size, 0
	.set _ZN7rocprim17ROCPRIM_400000_NS6detail17trampoline_kernelINS0_14default_configENS1_20scan_config_selectorIN3c104HalfEEEZZNS1_9scan_implILNS1_25lookback_scan_determinismE0ELb0ELb0ES3_PKS6_PS6_S6_ZZZN2at6native31launch_logcumsumexp_cuda_kernelERKNSD_10TensorBaseESH_lENKUlvE_clEvENKUlvE3_clEvEUlS6_S6_E_S6_EEDaPvRmT3_T4_T5_mT6_P12ihipStream_tbENKUlT_T0_E_clISt17integral_constantIbLb0EESY_EEDaST_SU_EUlST_E0_NS1_11comp_targetILNS1_3genE4ELNS1_11target_archE910ELNS1_3gpuE8ELNS1_3repE0EEENS1_30default_config_static_selectorELNS0_4arch9wavefront6targetE0EEEvT1_.uses_vcc, 0
	.set _ZN7rocprim17ROCPRIM_400000_NS6detail17trampoline_kernelINS0_14default_configENS1_20scan_config_selectorIN3c104HalfEEEZZNS1_9scan_implILNS1_25lookback_scan_determinismE0ELb0ELb0ES3_PKS6_PS6_S6_ZZZN2at6native31launch_logcumsumexp_cuda_kernelERKNSD_10TensorBaseESH_lENKUlvE_clEvENKUlvE3_clEvEUlS6_S6_E_S6_EEDaPvRmT3_T4_T5_mT6_P12ihipStream_tbENKUlT_T0_E_clISt17integral_constantIbLb0EESY_EEDaST_SU_EUlST_E0_NS1_11comp_targetILNS1_3genE4ELNS1_11target_archE910ELNS1_3gpuE8ELNS1_3repE0EEENS1_30default_config_static_selectorELNS0_4arch9wavefront6targetE0EEEvT1_.uses_flat_scratch, 0
	.set _ZN7rocprim17ROCPRIM_400000_NS6detail17trampoline_kernelINS0_14default_configENS1_20scan_config_selectorIN3c104HalfEEEZZNS1_9scan_implILNS1_25lookback_scan_determinismE0ELb0ELb0ES3_PKS6_PS6_S6_ZZZN2at6native31launch_logcumsumexp_cuda_kernelERKNSD_10TensorBaseESH_lENKUlvE_clEvENKUlvE3_clEvEUlS6_S6_E_S6_EEDaPvRmT3_T4_T5_mT6_P12ihipStream_tbENKUlT_T0_E_clISt17integral_constantIbLb0EESY_EEDaST_SU_EUlST_E0_NS1_11comp_targetILNS1_3genE4ELNS1_11target_archE910ELNS1_3gpuE8ELNS1_3repE0EEENS1_30default_config_static_selectorELNS0_4arch9wavefront6targetE0EEEvT1_.has_dyn_sized_stack, 0
	.set _ZN7rocprim17ROCPRIM_400000_NS6detail17trampoline_kernelINS0_14default_configENS1_20scan_config_selectorIN3c104HalfEEEZZNS1_9scan_implILNS1_25lookback_scan_determinismE0ELb0ELb0ES3_PKS6_PS6_S6_ZZZN2at6native31launch_logcumsumexp_cuda_kernelERKNSD_10TensorBaseESH_lENKUlvE_clEvENKUlvE3_clEvEUlS6_S6_E_S6_EEDaPvRmT3_T4_T5_mT6_P12ihipStream_tbENKUlT_T0_E_clISt17integral_constantIbLb0EESY_EEDaST_SU_EUlST_E0_NS1_11comp_targetILNS1_3genE4ELNS1_11target_archE910ELNS1_3gpuE8ELNS1_3repE0EEENS1_30default_config_static_selectorELNS0_4arch9wavefront6targetE0EEEvT1_.has_recursion, 0
	.set _ZN7rocprim17ROCPRIM_400000_NS6detail17trampoline_kernelINS0_14default_configENS1_20scan_config_selectorIN3c104HalfEEEZZNS1_9scan_implILNS1_25lookback_scan_determinismE0ELb0ELb0ES3_PKS6_PS6_S6_ZZZN2at6native31launch_logcumsumexp_cuda_kernelERKNSD_10TensorBaseESH_lENKUlvE_clEvENKUlvE3_clEvEUlS6_S6_E_S6_EEDaPvRmT3_T4_T5_mT6_P12ihipStream_tbENKUlT_T0_E_clISt17integral_constantIbLb0EESY_EEDaST_SU_EUlST_E0_NS1_11comp_targetILNS1_3genE4ELNS1_11target_archE910ELNS1_3gpuE8ELNS1_3repE0EEENS1_30default_config_static_selectorELNS0_4arch9wavefront6targetE0EEEvT1_.has_indirect_call, 0
	.section	.AMDGPU.csdata,"",@progbits
; Kernel info:
; codeLenInByte = 0
; TotalNumSgprs: 0
; NumVgprs: 0
; ScratchSize: 0
; MemoryBound: 0
; FloatMode: 240
; IeeeMode: 1
; LDSByteSize: 0 bytes/workgroup (compile time only)
; SGPRBlocks: 0
; VGPRBlocks: 0
; NumSGPRsForWavesPerEU: 1
; NumVGPRsForWavesPerEU: 1
; Occupancy: 16
; WaveLimiterHint : 0
; COMPUTE_PGM_RSRC2:SCRATCH_EN: 0
; COMPUTE_PGM_RSRC2:USER_SGPR: 6
; COMPUTE_PGM_RSRC2:TRAP_HANDLER: 0
; COMPUTE_PGM_RSRC2:TGID_X_EN: 1
; COMPUTE_PGM_RSRC2:TGID_Y_EN: 0
; COMPUTE_PGM_RSRC2:TGID_Z_EN: 0
; COMPUTE_PGM_RSRC2:TIDIG_COMP_CNT: 0
	.section	.text._ZN7rocprim17ROCPRIM_400000_NS6detail17trampoline_kernelINS0_14default_configENS1_20scan_config_selectorIN3c104HalfEEEZZNS1_9scan_implILNS1_25lookback_scan_determinismE0ELb0ELb0ES3_PKS6_PS6_S6_ZZZN2at6native31launch_logcumsumexp_cuda_kernelERKNSD_10TensorBaseESH_lENKUlvE_clEvENKUlvE3_clEvEUlS6_S6_E_S6_EEDaPvRmT3_T4_T5_mT6_P12ihipStream_tbENKUlT_T0_E_clISt17integral_constantIbLb0EESY_EEDaST_SU_EUlST_E0_NS1_11comp_targetILNS1_3genE3ELNS1_11target_archE908ELNS1_3gpuE7ELNS1_3repE0EEENS1_30default_config_static_selectorELNS0_4arch9wavefront6targetE0EEEvT1_,"axG",@progbits,_ZN7rocprim17ROCPRIM_400000_NS6detail17trampoline_kernelINS0_14default_configENS1_20scan_config_selectorIN3c104HalfEEEZZNS1_9scan_implILNS1_25lookback_scan_determinismE0ELb0ELb0ES3_PKS6_PS6_S6_ZZZN2at6native31launch_logcumsumexp_cuda_kernelERKNSD_10TensorBaseESH_lENKUlvE_clEvENKUlvE3_clEvEUlS6_S6_E_S6_EEDaPvRmT3_T4_T5_mT6_P12ihipStream_tbENKUlT_T0_E_clISt17integral_constantIbLb0EESY_EEDaST_SU_EUlST_E0_NS1_11comp_targetILNS1_3genE3ELNS1_11target_archE908ELNS1_3gpuE7ELNS1_3repE0EEENS1_30default_config_static_selectorELNS0_4arch9wavefront6targetE0EEEvT1_,comdat
	.globl	_ZN7rocprim17ROCPRIM_400000_NS6detail17trampoline_kernelINS0_14default_configENS1_20scan_config_selectorIN3c104HalfEEEZZNS1_9scan_implILNS1_25lookback_scan_determinismE0ELb0ELb0ES3_PKS6_PS6_S6_ZZZN2at6native31launch_logcumsumexp_cuda_kernelERKNSD_10TensorBaseESH_lENKUlvE_clEvENKUlvE3_clEvEUlS6_S6_E_S6_EEDaPvRmT3_T4_T5_mT6_P12ihipStream_tbENKUlT_T0_E_clISt17integral_constantIbLb0EESY_EEDaST_SU_EUlST_E0_NS1_11comp_targetILNS1_3genE3ELNS1_11target_archE908ELNS1_3gpuE7ELNS1_3repE0EEENS1_30default_config_static_selectorELNS0_4arch9wavefront6targetE0EEEvT1_ ; -- Begin function _ZN7rocprim17ROCPRIM_400000_NS6detail17trampoline_kernelINS0_14default_configENS1_20scan_config_selectorIN3c104HalfEEEZZNS1_9scan_implILNS1_25lookback_scan_determinismE0ELb0ELb0ES3_PKS6_PS6_S6_ZZZN2at6native31launch_logcumsumexp_cuda_kernelERKNSD_10TensorBaseESH_lENKUlvE_clEvENKUlvE3_clEvEUlS6_S6_E_S6_EEDaPvRmT3_T4_T5_mT6_P12ihipStream_tbENKUlT_T0_E_clISt17integral_constantIbLb0EESY_EEDaST_SU_EUlST_E0_NS1_11comp_targetILNS1_3genE3ELNS1_11target_archE908ELNS1_3gpuE7ELNS1_3repE0EEENS1_30default_config_static_selectorELNS0_4arch9wavefront6targetE0EEEvT1_
	.p2align	8
	.type	_ZN7rocprim17ROCPRIM_400000_NS6detail17trampoline_kernelINS0_14default_configENS1_20scan_config_selectorIN3c104HalfEEEZZNS1_9scan_implILNS1_25lookback_scan_determinismE0ELb0ELb0ES3_PKS6_PS6_S6_ZZZN2at6native31launch_logcumsumexp_cuda_kernelERKNSD_10TensorBaseESH_lENKUlvE_clEvENKUlvE3_clEvEUlS6_S6_E_S6_EEDaPvRmT3_T4_T5_mT6_P12ihipStream_tbENKUlT_T0_E_clISt17integral_constantIbLb0EESY_EEDaST_SU_EUlST_E0_NS1_11comp_targetILNS1_3genE3ELNS1_11target_archE908ELNS1_3gpuE7ELNS1_3repE0EEENS1_30default_config_static_selectorELNS0_4arch9wavefront6targetE0EEEvT1_,@function
_ZN7rocprim17ROCPRIM_400000_NS6detail17trampoline_kernelINS0_14default_configENS1_20scan_config_selectorIN3c104HalfEEEZZNS1_9scan_implILNS1_25lookback_scan_determinismE0ELb0ELb0ES3_PKS6_PS6_S6_ZZZN2at6native31launch_logcumsumexp_cuda_kernelERKNSD_10TensorBaseESH_lENKUlvE_clEvENKUlvE3_clEvEUlS6_S6_E_S6_EEDaPvRmT3_T4_T5_mT6_P12ihipStream_tbENKUlT_T0_E_clISt17integral_constantIbLb0EESY_EEDaST_SU_EUlST_E0_NS1_11comp_targetILNS1_3genE3ELNS1_11target_archE908ELNS1_3gpuE7ELNS1_3repE0EEENS1_30default_config_static_selectorELNS0_4arch9wavefront6targetE0EEEvT1_: ; @_ZN7rocprim17ROCPRIM_400000_NS6detail17trampoline_kernelINS0_14default_configENS1_20scan_config_selectorIN3c104HalfEEEZZNS1_9scan_implILNS1_25lookback_scan_determinismE0ELb0ELb0ES3_PKS6_PS6_S6_ZZZN2at6native31launch_logcumsumexp_cuda_kernelERKNSD_10TensorBaseESH_lENKUlvE_clEvENKUlvE3_clEvEUlS6_S6_E_S6_EEDaPvRmT3_T4_T5_mT6_P12ihipStream_tbENKUlT_T0_E_clISt17integral_constantIbLb0EESY_EEDaST_SU_EUlST_E0_NS1_11comp_targetILNS1_3genE3ELNS1_11target_archE908ELNS1_3gpuE7ELNS1_3repE0EEENS1_30default_config_static_selectorELNS0_4arch9wavefront6targetE0EEEvT1_
; %bb.0:
	.section	.rodata,"a",@progbits
	.p2align	6, 0x0
	.amdhsa_kernel _ZN7rocprim17ROCPRIM_400000_NS6detail17trampoline_kernelINS0_14default_configENS1_20scan_config_selectorIN3c104HalfEEEZZNS1_9scan_implILNS1_25lookback_scan_determinismE0ELb0ELb0ES3_PKS6_PS6_S6_ZZZN2at6native31launch_logcumsumexp_cuda_kernelERKNSD_10TensorBaseESH_lENKUlvE_clEvENKUlvE3_clEvEUlS6_S6_E_S6_EEDaPvRmT3_T4_T5_mT6_P12ihipStream_tbENKUlT_T0_E_clISt17integral_constantIbLb0EESY_EEDaST_SU_EUlST_E0_NS1_11comp_targetILNS1_3genE3ELNS1_11target_archE908ELNS1_3gpuE7ELNS1_3repE0EEENS1_30default_config_static_selectorELNS0_4arch9wavefront6targetE0EEEvT1_
		.amdhsa_group_segment_fixed_size 0
		.amdhsa_private_segment_fixed_size 0
		.amdhsa_kernarg_size 32
		.amdhsa_user_sgpr_count 6
		.amdhsa_user_sgpr_private_segment_buffer 1
		.amdhsa_user_sgpr_dispatch_ptr 0
		.amdhsa_user_sgpr_queue_ptr 0
		.amdhsa_user_sgpr_kernarg_segment_ptr 1
		.amdhsa_user_sgpr_dispatch_id 0
		.amdhsa_user_sgpr_flat_scratch_init 0
		.amdhsa_user_sgpr_private_segment_size 0
		.amdhsa_wavefront_size32 1
		.amdhsa_uses_dynamic_stack 0
		.amdhsa_system_sgpr_private_segment_wavefront_offset 0
		.amdhsa_system_sgpr_workgroup_id_x 1
		.amdhsa_system_sgpr_workgroup_id_y 0
		.amdhsa_system_sgpr_workgroup_id_z 0
		.amdhsa_system_sgpr_workgroup_info 0
		.amdhsa_system_vgpr_workitem_id 0
		.amdhsa_next_free_vgpr 1
		.amdhsa_next_free_sgpr 1
		.amdhsa_reserve_vcc 0
		.amdhsa_reserve_flat_scratch 0
		.amdhsa_float_round_mode_32 0
		.amdhsa_float_round_mode_16_64 0
		.amdhsa_float_denorm_mode_32 3
		.amdhsa_float_denorm_mode_16_64 3
		.amdhsa_dx10_clamp 1
		.amdhsa_ieee_mode 1
		.amdhsa_fp16_overflow 0
		.amdhsa_workgroup_processor_mode 1
		.amdhsa_memory_ordered 1
		.amdhsa_forward_progress 1
		.amdhsa_shared_vgpr_count 0
		.amdhsa_exception_fp_ieee_invalid_op 0
		.amdhsa_exception_fp_denorm_src 0
		.amdhsa_exception_fp_ieee_div_zero 0
		.amdhsa_exception_fp_ieee_overflow 0
		.amdhsa_exception_fp_ieee_underflow 0
		.amdhsa_exception_fp_ieee_inexact 0
		.amdhsa_exception_int_div_zero 0
	.end_amdhsa_kernel
	.section	.text._ZN7rocprim17ROCPRIM_400000_NS6detail17trampoline_kernelINS0_14default_configENS1_20scan_config_selectorIN3c104HalfEEEZZNS1_9scan_implILNS1_25lookback_scan_determinismE0ELb0ELb0ES3_PKS6_PS6_S6_ZZZN2at6native31launch_logcumsumexp_cuda_kernelERKNSD_10TensorBaseESH_lENKUlvE_clEvENKUlvE3_clEvEUlS6_S6_E_S6_EEDaPvRmT3_T4_T5_mT6_P12ihipStream_tbENKUlT_T0_E_clISt17integral_constantIbLb0EESY_EEDaST_SU_EUlST_E0_NS1_11comp_targetILNS1_3genE3ELNS1_11target_archE908ELNS1_3gpuE7ELNS1_3repE0EEENS1_30default_config_static_selectorELNS0_4arch9wavefront6targetE0EEEvT1_,"axG",@progbits,_ZN7rocprim17ROCPRIM_400000_NS6detail17trampoline_kernelINS0_14default_configENS1_20scan_config_selectorIN3c104HalfEEEZZNS1_9scan_implILNS1_25lookback_scan_determinismE0ELb0ELb0ES3_PKS6_PS6_S6_ZZZN2at6native31launch_logcumsumexp_cuda_kernelERKNSD_10TensorBaseESH_lENKUlvE_clEvENKUlvE3_clEvEUlS6_S6_E_S6_EEDaPvRmT3_T4_T5_mT6_P12ihipStream_tbENKUlT_T0_E_clISt17integral_constantIbLb0EESY_EEDaST_SU_EUlST_E0_NS1_11comp_targetILNS1_3genE3ELNS1_11target_archE908ELNS1_3gpuE7ELNS1_3repE0EEENS1_30default_config_static_selectorELNS0_4arch9wavefront6targetE0EEEvT1_,comdat
.Lfunc_end371:
	.size	_ZN7rocprim17ROCPRIM_400000_NS6detail17trampoline_kernelINS0_14default_configENS1_20scan_config_selectorIN3c104HalfEEEZZNS1_9scan_implILNS1_25lookback_scan_determinismE0ELb0ELb0ES3_PKS6_PS6_S6_ZZZN2at6native31launch_logcumsumexp_cuda_kernelERKNSD_10TensorBaseESH_lENKUlvE_clEvENKUlvE3_clEvEUlS6_S6_E_S6_EEDaPvRmT3_T4_T5_mT6_P12ihipStream_tbENKUlT_T0_E_clISt17integral_constantIbLb0EESY_EEDaST_SU_EUlST_E0_NS1_11comp_targetILNS1_3genE3ELNS1_11target_archE908ELNS1_3gpuE7ELNS1_3repE0EEENS1_30default_config_static_selectorELNS0_4arch9wavefront6targetE0EEEvT1_, .Lfunc_end371-_ZN7rocprim17ROCPRIM_400000_NS6detail17trampoline_kernelINS0_14default_configENS1_20scan_config_selectorIN3c104HalfEEEZZNS1_9scan_implILNS1_25lookback_scan_determinismE0ELb0ELb0ES3_PKS6_PS6_S6_ZZZN2at6native31launch_logcumsumexp_cuda_kernelERKNSD_10TensorBaseESH_lENKUlvE_clEvENKUlvE3_clEvEUlS6_S6_E_S6_EEDaPvRmT3_T4_T5_mT6_P12ihipStream_tbENKUlT_T0_E_clISt17integral_constantIbLb0EESY_EEDaST_SU_EUlST_E0_NS1_11comp_targetILNS1_3genE3ELNS1_11target_archE908ELNS1_3gpuE7ELNS1_3repE0EEENS1_30default_config_static_selectorELNS0_4arch9wavefront6targetE0EEEvT1_
                                        ; -- End function
	.set _ZN7rocprim17ROCPRIM_400000_NS6detail17trampoline_kernelINS0_14default_configENS1_20scan_config_selectorIN3c104HalfEEEZZNS1_9scan_implILNS1_25lookback_scan_determinismE0ELb0ELb0ES3_PKS6_PS6_S6_ZZZN2at6native31launch_logcumsumexp_cuda_kernelERKNSD_10TensorBaseESH_lENKUlvE_clEvENKUlvE3_clEvEUlS6_S6_E_S6_EEDaPvRmT3_T4_T5_mT6_P12ihipStream_tbENKUlT_T0_E_clISt17integral_constantIbLb0EESY_EEDaST_SU_EUlST_E0_NS1_11comp_targetILNS1_3genE3ELNS1_11target_archE908ELNS1_3gpuE7ELNS1_3repE0EEENS1_30default_config_static_selectorELNS0_4arch9wavefront6targetE0EEEvT1_.num_vgpr, 0
	.set _ZN7rocprim17ROCPRIM_400000_NS6detail17trampoline_kernelINS0_14default_configENS1_20scan_config_selectorIN3c104HalfEEEZZNS1_9scan_implILNS1_25lookback_scan_determinismE0ELb0ELb0ES3_PKS6_PS6_S6_ZZZN2at6native31launch_logcumsumexp_cuda_kernelERKNSD_10TensorBaseESH_lENKUlvE_clEvENKUlvE3_clEvEUlS6_S6_E_S6_EEDaPvRmT3_T4_T5_mT6_P12ihipStream_tbENKUlT_T0_E_clISt17integral_constantIbLb0EESY_EEDaST_SU_EUlST_E0_NS1_11comp_targetILNS1_3genE3ELNS1_11target_archE908ELNS1_3gpuE7ELNS1_3repE0EEENS1_30default_config_static_selectorELNS0_4arch9wavefront6targetE0EEEvT1_.num_agpr, 0
	.set _ZN7rocprim17ROCPRIM_400000_NS6detail17trampoline_kernelINS0_14default_configENS1_20scan_config_selectorIN3c104HalfEEEZZNS1_9scan_implILNS1_25lookback_scan_determinismE0ELb0ELb0ES3_PKS6_PS6_S6_ZZZN2at6native31launch_logcumsumexp_cuda_kernelERKNSD_10TensorBaseESH_lENKUlvE_clEvENKUlvE3_clEvEUlS6_S6_E_S6_EEDaPvRmT3_T4_T5_mT6_P12ihipStream_tbENKUlT_T0_E_clISt17integral_constantIbLb0EESY_EEDaST_SU_EUlST_E0_NS1_11comp_targetILNS1_3genE3ELNS1_11target_archE908ELNS1_3gpuE7ELNS1_3repE0EEENS1_30default_config_static_selectorELNS0_4arch9wavefront6targetE0EEEvT1_.numbered_sgpr, 0
	.set _ZN7rocprim17ROCPRIM_400000_NS6detail17trampoline_kernelINS0_14default_configENS1_20scan_config_selectorIN3c104HalfEEEZZNS1_9scan_implILNS1_25lookback_scan_determinismE0ELb0ELb0ES3_PKS6_PS6_S6_ZZZN2at6native31launch_logcumsumexp_cuda_kernelERKNSD_10TensorBaseESH_lENKUlvE_clEvENKUlvE3_clEvEUlS6_S6_E_S6_EEDaPvRmT3_T4_T5_mT6_P12ihipStream_tbENKUlT_T0_E_clISt17integral_constantIbLb0EESY_EEDaST_SU_EUlST_E0_NS1_11comp_targetILNS1_3genE3ELNS1_11target_archE908ELNS1_3gpuE7ELNS1_3repE0EEENS1_30default_config_static_selectorELNS0_4arch9wavefront6targetE0EEEvT1_.num_named_barrier, 0
	.set _ZN7rocprim17ROCPRIM_400000_NS6detail17trampoline_kernelINS0_14default_configENS1_20scan_config_selectorIN3c104HalfEEEZZNS1_9scan_implILNS1_25lookback_scan_determinismE0ELb0ELb0ES3_PKS6_PS6_S6_ZZZN2at6native31launch_logcumsumexp_cuda_kernelERKNSD_10TensorBaseESH_lENKUlvE_clEvENKUlvE3_clEvEUlS6_S6_E_S6_EEDaPvRmT3_T4_T5_mT6_P12ihipStream_tbENKUlT_T0_E_clISt17integral_constantIbLb0EESY_EEDaST_SU_EUlST_E0_NS1_11comp_targetILNS1_3genE3ELNS1_11target_archE908ELNS1_3gpuE7ELNS1_3repE0EEENS1_30default_config_static_selectorELNS0_4arch9wavefront6targetE0EEEvT1_.private_seg_size, 0
	.set _ZN7rocprim17ROCPRIM_400000_NS6detail17trampoline_kernelINS0_14default_configENS1_20scan_config_selectorIN3c104HalfEEEZZNS1_9scan_implILNS1_25lookback_scan_determinismE0ELb0ELb0ES3_PKS6_PS6_S6_ZZZN2at6native31launch_logcumsumexp_cuda_kernelERKNSD_10TensorBaseESH_lENKUlvE_clEvENKUlvE3_clEvEUlS6_S6_E_S6_EEDaPvRmT3_T4_T5_mT6_P12ihipStream_tbENKUlT_T0_E_clISt17integral_constantIbLb0EESY_EEDaST_SU_EUlST_E0_NS1_11comp_targetILNS1_3genE3ELNS1_11target_archE908ELNS1_3gpuE7ELNS1_3repE0EEENS1_30default_config_static_selectorELNS0_4arch9wavefront6targetE0EEEvT1_.uses_vcc, 0
	.set _ZN7rocprim17ROCPRIM_400000_NS6detail17trampoline_kernelINS0_14default_configENS1_20scan_config_selectorIN3c104HalfEEEZZNS1_9scan_implILNS1_25lookback_scan_determinismE0ELb0ELb0ES3_PKS6_PS6_S6_ZZZN2at6native31launch_logcumsumexp_cuda_kernelERKNSD_10TensorBaseESH_lENKUlvE_clEvENKUlvE3_clEvEUlS6_S6_E_S6_EEDaPvRmT3_T4_T5_mT6_P12ihipStream_tbENKUlT_T0_E_clISt17integral_constantIbLb0EESY_EEDaST_SU_EUlST_E0_NS1_11comp_targetILNS1_3genE3ELNS1_11target_archE908ELNS1_3gpuE7ELNS1_3repE0EEENS1_30default_config_static_selectorELNS0_4arch9wavefront6targetE0EEEvT1_.uses_flat_scratch, 0
	.set _ZN7rocprim17ROCPRIM_400000_NS6detail17trampoline_kernelINS0_14default_configENS1_20scan_config_selectorIN3c104HalfEEEZZNS1_9scan_implILNS1_25lookback_scan_determinismE0ELb0ELb0ES3_PKS6_PS6_S6_ZZZN2at6native31launch_logcumsumexp_cuda_kernelERKNSD_10TensorBaseESH_lENKUlvE_clEvENKUlvE3_clEvEUlS6_S6_E_S6_EEDaPvRmT3_T4_T5_mT6_P12ihipStream_tbENKUlT_T0_E_clISt17integral_constantIbLb0EESY_EEDaST_SU_EUlST_E0_NS1_11comp_targetILNS1_3genE3ELNS1_11target_archE908ELNS1_3gpuE7ELNS1_3repE0EEENS1_30default_config_static_selectorELNS0_4arch9wavefront6targetE0EEEvT1_.has_dyn_sized_stack, 0
	.set _ZN7rocprim17ROCPRIM_400000_NS6detail17trampoline_kernelINS0_14default_configENS1_20scan_config_selectorIN3c104HalfEEEZZNS1_9scan_implILNS1_25lookback_scan_determinismE0ELb0ELb0ES3_PKS6_PS6_S6_ZZZN2at6native31launch_logcumsumexp_cuda_kernelERKNSD_10TensorBaseESH_lENKUlvE_clEvENKUlvE3_clEvEUlS6_S6_E_S6_EEDaPvRmT3_T4_T5_mT6_P12ihipStream_tbENKUlT_T0_E_clISt17integral_constantIbLb0EESY_EEDaST_SU_EUlST_E0_NS1_11comp_targetILNS1_3genE3ELNS1_11target_archE908ELNS1_3gpuE7ELNS1_3repE0EEENS1_30default_config_static_selectorELNS0_4arch9wavefront6targetE0EEEvT1_.has_recursion, 0
	.set _ZN7rocprim17ROCPRIM_400000_NS6detail17trampoline_kernelINS0_14default_configENS1_20scan_config_selectorIN3c104HalfEEEZZNS1_9scan_implILNS1_25lookback_scan_determinismE0ELb0ELb0ES3_PKS6_PS6_S6_ZZZN2at6native31launch_logcumsumexp_cuda_kernelERKNSD_10TensorBaseESH_lENKUlvE_clEvENKUlvE3_clEvEUlS6_S6_E_S6_EEDaPvRmT3_T4_T5_mT6_P12ihipStream_tbENKUlT_T0_E_clISt17integral_constantIbLb0EESY_EEDaST_SU_EUlST_E0_NS1_11comp_targetILNS1_3genE3ELNS1_11target_archE908ELNS1_3gpuE7ELNS1_3repE0EEENS1_30default_config_static_selectorELNS0_4arch9wavefront6targetE0EEEvT1_.has_indirect_call, 0
	.section	.AMDGPU.csdata,"",@progbits
; Kernel info:
; codeLenInByte = 0
; TotalNumSgprs: 0
; NumVgprs: 0
; ScratchSize: 0
; MemoryBound: 0
; FloatMode: 240
; IeeeMode: 1
; LDSByteSize: 0 bytes/workgroup (compile time only)
; SGPRBlocks: 0
; VGPRBlocks: 0
; NumSGPRsForWavesPerEU: 1
; NumVGPRsForWavesPerEU: 1
; Occupancy: 16
; WaveLimiterHint : 0
; COMPUTE_PGM_RSRC2:SCRATCH_EN: 0
; COMPUTE_PGM_RSRC2:USER_SGPR: 6
; COMPUTE_PGM_RSRC2:TRAP_HANDLER: 0
; COMPUTE_PGM_RSRC2:TGID_X_EN: 1
; COMPUTE_PGM_RSRC2:TGID_Y_EN: 0
; COMPUTE_PGM_RSRC2:TGID_Z_EN: 0
; COMPUTE_PGM_RSRC2:TIDIG_COMP_CNT: 0
	.section	.text._ZN7rocprim17ROCPRIM_400000_NS6detail17trampoline_kernelINS0_14default_configENS1_20scan_config_selectorIN3c104HalfEEEZZNS1_9scan_implILNS1_25lookback_scan_determinismE0ELb0ELb0ES3_PKS6_PS6_S6_ZZZN2at6native31launch_logcumsumexp_cuda_kernelERKNSD_10TensorBaseESH_lENKUlvE_clEvENKUlvE3_clEvEUlS6_S6_E_S6_EEDaPvRmT3_T4_T5_mT6_P12ihipStream_tbENKUlT_T0_E_clISt17integral_constantIbLb0EESY_EEDaST_SU_EUlST_E0_NS1_11comp_targetILNS1_3genE2ELNS1_11target_archE906ELNS1_3gpuE6ELNS1_3repE0EEENS1_30default_config_static_selectorELNS0_4arch9wavefront6targetE0EEEvT1_,"axG",@progbits,_ZN7rocprim17ROCPRIM_400000_NS6detail17trampoline_kernelINS0_14default_configENS1_20scan_config_selectorIN3c104HalfEEEZZNS1_9scan_implILNS1_25lookback_scan_determinismE0ELb0ELb0ES3_PKS6_PS6_S6_ZZZN2at6native31launch_logcumsumexp_cuda_kernelERKNSD_10TensorBaseESH_lENKUlvE_clEvENKUlvE3_clEvEUlS6_S6_E_S6_EEDaPvRmT3_T4_T5_mT6_P12ihipStream_tbENKUlT_T0_E_clISt17integral_constantIbLb0EESY_EEDaST_SU_EUlST_E0_NS1_11comp_targetILNS1_3genE2ELNS1_11target_archE906ELNS1_3gpuE6ELNS1_3repE0EEENS1_30default_config_static_selectorELNS0_4arch9wavefront6targetE0EEEvT1_,comdat
	.globl	_ZN7rocprim17ROCPRIM_400000_NS6detail17trampoline_kernelINS0_14default_configENS1_20scan_config_selectorIN3c104HalfEEEZZNS1_9scan_implILNS1_25lookback_scan_determinismE0ELb0ELb0ES3_PKS6_PS6_S6_ZZZN2at6native31launch_logcumsumexp_cuda_kernelERKNSD_10TensorBaseESH_lENKUlvE_clEvENKUlvE3_clEvEUlS6_S6_E_S6_EEDaPvRmT3_T4_T5_mT6_P12ihipStream_tbENKUlT_T0_E_clISt17integral_constantIbLb0EESY_EEDaST_SU_EUlST_E0_NS1_11comp_targetILNS1_3genE2ELNS1_11target_archE906ELNS1_3gpuE6ELNS1_3repE0EEENS1_30default_config_static_selectorELNS0_4arch9wavefront6targetE0EEEvT1_ ; -- Begin function _ZN7rocprim17ROCPRIM_400000_NS6detail17trampoline_kernelINS0_14default_configENS1_20scan_config_selectorIN3c104HalfEEEZZNS1_9scan_implILNS1_25lookback_scan_determinismE0ELb0ELb0ES3_PKS6_PS6_S6_ZZZN2at6native31launch_logcumsumexp_cuda_kernelERKNSD_10TensorBaseESH_lENKUlvE_clEvENKUlvE3_clEvEUlS6_S6_E_S6_EEDaPvRmT3_T4_T5_mT6_P12ihipStream_tbENKUlT_T0_E_clISt17integral_constantIbLb0EESY_EEDaST_SU_EUlST_E0_NS1_11comp_targetILNS1_3genE2ELNS1_11target_archE906ELNS1_3gpuE6ELNS1_3repE0EEENS1_30default_config_static_selectorELNS0_4arch9wavefront6targetE0EEEvT1_
	.p2align	8
	.type	_ZN7rocprim17ROCPRIM_400000_NS6detail17trampoline_kernelINS0_14default_configENS1_20scan_config_selectorIN3c104HalfEEEZZNS1_9scan_implILNS1_25lookback_scan_determinismE0ELb0ELb0ES3_PKS6_PS6_S6_ZZZN2at6native31launch_logcumsumexp_cuda_kernelERKNSD_10TensorBaseESH_lENKUlvE_clEvENKUlvE3_clEvEUlS6_S6_E_S6_EEDaPvRmT3_T4_T5_mT6_P12ihipStream_tbENKUlT_T0_E_clISt17integral_constantIbLb0EESY_EEDaST_SU_EUlST_E0_NS1_11comp_targetILNS1_3genE2ELNS1_11target_archE906ELNS1_3gpuE6ELNS1_3repE0EEENS1_30default_config_static_selectorELNS0_4arch9wavefront6targetE0EEEvT1_,@function
_ZN7rocprim17ROCPRIM_400000_NS6detail17trampoline_kernelINS0_14default_configENS1_20scan_config_selectorIN3c104HalfEEEZZNS1_9scan_implILNS1_25lookback_scan_determinismE0ELb0ELb0ES3_PKS6_PS6_S6_ZZZN2at6native31launch_logcumsumexp_cuda_kernelERKNSD_10TensorBaseESH_lENKUlvE_clEvENKUlvE3_clEvEUlS6_S6_E_S6_EEDaPvRmT3_T4_T5_mT6_P12ihipStream_tbENKUlT_T0_E_clISt17integral_constantIbLb0EESY_EEDaST_SU_EUlST_E0_NS1_11comp_targetILNS1_3genE2ELNS1_11target_archE906ELNS1_3gpuE6ELNS1_3repE0EEENS1_30default_config_static_selectorELNS0_4arch9wavefront6targetE0EEEvT1_: ; @_ZN7rocprim17ROCPRIM_400000_NS6detail17trampoline_kernelINS0_14default_configENS1_20scan_config_selectorIN3c104HalfEEEZZNS1_9scan_implILNS1_25lookback_scan_determinismE0ELb0ELb0ES3_PKS6_PS6_S6_ZZZN2at6native31launch_logcumsumexp_cuda_kernelERKNSD_10TensorBaseESH_lENKUlvE_clEvENKUlvE3_clEvEUlS6_S6_E_S6_EEDaPvRmT3_T4_T5_mT6_P12ihipStream_tbENKUlT_T0_E_clISt17integral_constantIbLb0EESY_EEDaST_SU_EUlST_E0_NS1_11comp_targetILNS1_3genE2ELNS1_11target_archE906ELNS1_3gpuE6ELNS1_3repE0EEENS1_30default_config_static_selectorELNS0_4arch9wavefront6targetE0EEEvT1_
; %bb.0:
	.section	.rodata,"a",@progbits
	.p2align	6, 0x0
	.amdhsa_kernel _ZN7rocprim17ROCPRIM_400000_NS6detail17trampoline_kernelINS0_14default_configENS1_20scan_config_selectorIN3c104HalfEEEZZNS1_9scan_implILNS1_25lookback_scan_determinismE0ELb0ELb0ES3_PKS6_PS6_S6_ZZZN2at6native31launch_logcumsumexp_cuda_kernelERKNSD_10TensorBaseESH_lENKUlvE_clEvENKUlvE3_clEvEUlS6_S6_E_S6_EEDaPvRmT3_T4_T5_mT6_P12ihipStream_tbENKUlT_T0_E_clISt17integral_constantIbLb0EESY_EEDaST_SU_EUlST_E0_NS1_11comp_targetILNS1_3genE2ELNS1_11target_archE906ELNS1_3gpuE6ELNS1_3repE0EEENS1_30default_config_static_selectorELNS0_4arch9wavefront6targetE0EEEvT1_
		.amdhsa_group_segment_fixed_size 0
		.amdhsa_private_segment_fixed_size 0
		.amdhsa_kernarg_size 32
		.amdhsa_user_sgpr_count 6
		.amdhsa_user_sgpr_private_segment_buffer 1
		.amdhsa_user_sgpr_dispatch_ptr 0
		.amdhsa_user_sgpr_queue_ptr 0
		.amdhsa_user_sgpr_kernarg_segment_ptr 1
		.amdhsa_user_sgpr_dispatch_id 0
		.amdhsa_user_sgpr_flat_scratch_init 0
		.amdhsa_user_sgpr_private_segment_size 0
		.amdhsa_wavefront_size32 1
		.amdhsa_uses_dynamic_stack 0
		.amdhsa_system_sgpr_private_segment_wavefront_offset 0
		.amdhsa_system_sgpr_workgroup_id_x 1
		.amdhsa_system_sgpr_workgroup_id_y 0
		.amdhsa_system_sgpr_workgroup_id_z 0
		.amdhsa_system_sgpr_workgroup_info 0
		.amdhsa_system_vgpr_workitem_id 0
		.amdhsa_next_free_vgpr 1
		.amdhsa_next_free_sgpr 1
		.amdhsa_reserve_vcc 0
		.amdhsa_reserve_flat_scratch 0
		.amdhsa_float_round_mode_32 0
		.amdhsa_float_round_mode_16_64 0
		.amdhsa_float_denorm_mode_32 3
		.amdhsa_float_denorm_mode_16_64 3
		.amdhsa_dx10_clamp 1
		.amdhsa_ieee_mode 1
		.amdhsa_fp16_overflow 0
		.amdhsa_workgroup_processor_mode 1
		.amdhsa_memory_ordered 1
		.amdhsa_forward_progress 1
		.amdhsa_shared_vgpr_count 0
		.amdhsa_exception_fp_ieee_invalid_op 0
		.amdhsa_exception_fp_denorm_src 0
		.amdhsa_exception_fp_ieee_div_zero 0
		.amdhsa_exception_fp_ieee_overflow 0
		.amdhsa_exception_fp_ieee_underflow 0
		.amdhsa_exception_fp_ieee_inexact 0
		.amdhsa_exception_int_div_zero 0
	.end_amdhsa_kernel
	.section	.text._ZN7rocprim17ROCPRIM_400000_NS6detail17trampoline_kernelINS0_14default_configENS1_20scan_config_selectorIN3c104HalfEEEZZNS1_9scan_implILNS1_25lookback_scan_determinismE0ELb0ELb0ES3_PKS6_PS6_S6_ZZZN2at6native31launch_logcumsumexp_cuda_kernelERKNSD_10TensorBaseESH_lENKUlvE_clEvENKUlvE3_clEvEUlS6_S6_E_S6_EEDaPvRmT3_T4_T5_mT6_P12ihipStream_tbENKUlT_T0_E_clISt17integral_constantIbLb0EESY_EEDaST_SU_EUlST_E0_NS1_11comp_targetILNS1_3genE2ELNS1_11target_archE906ELNS1_3gpuE6ELNS1_3repE0EEENS1_30default_config_static_selectorELNS0_4arch9wavefront6targetE0EEEvT1_,"axG",@progbits,_ZN7rocprim17ROCPRIM_400000_NS6detail17trampoline_kernelINS0_14default_configENS1_20scan_config_selectorIN3c104HalfEEEZZNS1_9scan_implILNS1_25lookback_scan_determinismE0ELb0ELb0ES3_PKS6_PS6_S6_ZZZN2at6native31launch_logcumsumexp_cuda_kernelERKNSD_10TensorBaseESH_lENKUlvE_clEvENKUlvE3_clEvEUlS6_S6_E_S6_EEDaPvRmT3_T4_T5_mT6_P12ihipStream_tbENKUlT_T0_E_clISt17integral_constantIbLb0EESY_EEDaST_SU_EUlST_E0_NS1_11comp_targetILNS1_3genE2ELNS1_11target_archE906ELNS1_3gpuE6ELNS1_3repE0EEENS1_30default_config_static_selectorELNS0_4arch9wavefront6targetE0EEEvT1_,comdat
.Lfunc_end372:
	.size	_ZN7rocprim17ROCPRIM_400000_NS6detail17trampoline_kernelINS0_14default_configENS1_20scan_config_selectorIN3c104HalfEEEZZNS1_9scan_implILNS1_25lookback_scan_determinismE0ELb0ELb0ES3_PKS6_PS6_S6_ZZZN2at6native31launch_logcumsumexp_cuda_kernelERKNSD_10TensorBaseESH_lENKUlvE_clEvENKUlvE3_clEvEUlS6_S6_E_S6_EEDaPvRmT3_T4_T5_mT6_P12ihipStream_tbENKUlT_T0_E_clISt17integral_constantIbLb0EESY_EEDaST_SU_EUlST_E0_NS1_11comp_targetILNS1_3genE2ELNS1_11target_archE906ELNS1_3gpuE6ELNS1_3repE0EEENS1_30default_config_static_selectorELNS0_4arch9wavefront6targetE0EEEvT1_, .Lfunc_end372-_ZN7rocprim17ROCPRIM_400000_NS6detail17trampoline_kernelINS0_14default_configENS1_20scan_config_selectorIN3c104HalfEEEZZNS1_9scan_implILNS1_25lookback_scan_determinismE0ELb0ELb0ES3_PKS6_PS6_S6_ZZZN2at6native31launch_logcumsumexp_cuda_kernelERKNSD_10TensorBaseESH_lENKUlvE_clEvENKUlvE3_clEvEUlS6_S6_E_S6_EEDaPvRmT3_T4_T5_mT6_P12ihipStream_tbENKUlT_T0_E_clISt17integral_constantIbLb0EESY_EEDaST_SU_EUlST_E0_NS1_11comp_targetILNS1_3genE2ELNS1_11target_archE906ELNS1_3gpuE6ELNS1_3repE0EEENS1_30default_config_static_selectorELNS0_4arch9wavefront6targetE0EEEvT1_
                                        ; -- End function
	.set _ZN7rocprim17ROCPRIM_400000_NS6detail17trampoline_kernelINS0_14default_configENS1_20scan_config_selectorIN3c104HalfEEEZZNS1_9scan_implILNS1_25lookback_scan_determinismE0ELb0ELb0ES3_PKS6_PS6_S6_ZZZN2at6native31launch_logcumsumexp_cuda_kernelERKNSD_10TensorBaseESH_lENKUlvE_clEvENKUlvE3_clEvEUlS6_S6_E_S6_EEDaPvRmT3_T4_T5_mT6_P12ihipStream_tbENKUlT_T0_E_clISt17integral_constantIbLb0EESY_EEDaST_SU_EUlST_E0_NS1_11comp_targetILNS1_3genE2ELNS1_11target_archE906ELNS1_3gpuE6ELNS1_3repE0EEENS1_30default_config_static_selectorELNS0_4arch9wavefront6targetE0EEEvT1_.num_vgpr, 0
	.set _ZN7rocprim17ROCPRIM_400000_NS6detail17trampoline_kernelINS0_14default_configENS1_20scan_config_selectorIN3c104HalfEEEZZNS1_9scan_implILNS1_25lookback_scan_determinismE0ELb0ELb0ES3_PKS6_PS6_S6_ZZZN2at6native31launch_logcumsumexp_cuda_kernelERKNSD_10TensorBaseESH_lENKUlvE_clEvENKUlvE3_clEvEUlS6_S6_E_S6_EEDaPvRmT3_T4_T5_mT6_P12ihipStream_tbENKUlT_T0_E_clISt17integral_constantIbLb0EESY_EEDaST_SU_EUlST_E0_NS1_11comp_targetILNS1_3genE2ELNS1_11target_archE906ELNS1_3gpuE6ELNS1_3repE0EEENS1_30default_config_static_selectorELNS0_4arch9wavefront6targetE0EEEvT1_.num_agpr, 0
	.set _ZN7rocprim17ROCPRIM_400000_NS6detail17trampoline_kernelINS0_14default_configENS1_20scan_config_selectorIN3c104HalfEEEZZNS1_9scan_implILNS1_25lookback_scan_determinismE0ELb0ELb0ES3_PKS6_PS6_S6_ZZZN2at6native31launch_logcumsumexp_cuda_kernelERKNSD_10TensorBaseESH_lENKUlvE_clEvENKUlvE3_clEvEUlS6_S6_E_S6_EEDaPvRmT3_T4_T5_mT6_P12ihipStream_tbENKUlT_T0_E_clISt17integral_constantIbLb0EESY_EEDaST_SU_EUlST_E0_NS1_11comp_targetILNS1_3genE2ELNS1_11target_archE906ELNS1_3gpuE6ELNS1_3repE0EEENS1_30default_config_static_selectorELNS0_4arch9wavefront6targetE0EEEvT1_.numbered_sgpr, 0
	.set _ZN7rocprim17ROCPRIM_400000_NS6detail17trampoline_kernelINS0_14default_configENS1_20scan_config_selectorIN3c104HalfEEEZZNS1_9scan_implILNS1_25lookback_scan_determinismE0ELb0ELb0ES3_PKS6_PS6_S6_ZZZN2at6native31launch_logcumsumexp_cuda_kernelERKNSD_10TensorBaseESH_lENKUlvE_clEvENKUlvE3_clEvEUlS6_S6_E_S6_EEDaPvRmT3_T4_T5_mT6_P12ihipStream_tbENKUlT_T0_E_clISt17integral_constantIbLb0EESY_EEDaST_SU_EUlST_E0_NS1_11comp_targetILNS1_3genE2ELNS1_11target_archE906ELNS1_3gpuE6ELNS1_3repE0EEENS1_30default_config_static_selectorELNS0_4arch9wavefront6targetE0EEEvT1_.num_named_barrier, 0
	.set _ZN7rocprim17ROCPRIM_400000_NS6detail17trampoline_kernelINS0_14default_configENS1_20scan_config_selectorIN3c104HalfEEEZZNS1_9scan_implILNS1_25lookback_scan_determinismE0ELb0ELb0ES3_PKS6_PS6_S6_ZZZN2at6native31launch_logcumsumexp_cuda_kernelERKNSD_10TensorBaseESH_lENKUlvE_clEvENKUlvE3_clEvEUlS6_S6_E_S6_EEDaPvRmT3_T4_T5_mT6_P12ihipStream_tbENKUlT_T0_E_clISt17integral_constantIbLb0EESY_EEDaST_SU_EUlST_E0_NS1_11comp_targetILNS1_3genE2ELNS1_11target_archE906ELNS1_3gpuE6ELNS1_3repE0EEENS1_30default_config_static_selectorELNS0_4arch9wavefront6targetE0EEEvT1_.private_seg_size, 0
	.set _ZN7rocprim17ROCPRIM_400000_NS6detail17trampoline_kernelINS0_14default_configENS1_20scan_config_selectorIN3c104HalfEEEZZNS1_9scan_implILNS1_25lookback_scan_determinismE0ELb0ELb0ES3_PKS6_PS6_S6_ZZZN2at6native31launch_logcumsumexp_cuda_kernelERKNSD_10TensorBaseESH_lENKUlvE_clEvENKUlvE3_clEvEUlS6_S6_E_S6_EEDaPvRmT3_T4_T5_mT6_P12ihipStream_tbENKUlT_T0_E_clISt17integral_constantIbLb0EESY_EEDaST_SU_EUlST_E0_NS1_11comp_targetILNS1_3genE2ELNS1_11target_archE906ELNS1_3gpuE6ELNS1_3repE0EEENS1_30default_config_static_selectorELNS0_4arch9wavefront6targetE0EEEvT1_.uses_vcc, 0
	.set _ZN7rocprim17ROCPRIM_400000_NS6detail17trampoline_kernelINS0_14default_configENS1_20scan_config_selectorIN3c104HalfEEEZZNS1_9scan_implILNS1_25lookback_scan_determinismE0ELb0ELb0ES3_PKS6_PS6_S6_ZZZN2at6native31launch_logcumsumexp_cuda_kernelERKNSD_10TensorBaseESH_lENKUlvE_clEvENKUlvE3_clEvEUlS6_S6_E_S6_EEDaPvRmT3_T4_T5_mT6_P12ihipStream_tbENKUlT_T0_E_clISt17integral_constantIbLb0EESY_EEDaST_SU_EUlST_E0_NS1_11comp_targetILNS1_3genE2ELNS1_11target_archE906ELNS1_3gpuE6ELNS1_3repE0EEENS1_30default_config_static_selectorELNS0_4arch9wavefront6targetE0EEEvT1_.uses_flat_scratch, 0
	.set _ZN7rocprim17ROCPRIM_400000_NS6detail17trampoline_kernelINS0_14default_configENS1_20scan_config_selectorIN3c104HalfEEEZZNS1_9scan_implILNS1_25lookback_scan_determinismE0ELb0ELb0ES3_PKS6_PS6_S6_ZZZN2at6native31launch_logcumsumexp_cuda_kernelERKNSD_10TensorBaseESH_lENKUlvE_clEvENKUlvE3_clEvEUlS6_S6_E_S6_EEDaPvRmT3_T4_T5_mT6_P12ihipStream_tbENKUlT_T0_E_clISt17integral_constantIbLb0EESY_EEDaST_SU_EUlST_E0_NS1_11comp_targetILNS1_3genE2ELNS1_11target_archE906ELNS1_3gpuE6ELNS1_3repE0EEENS1_30default_config_static_selectorELNS0_4arch9wavefront6targetE0EEEvT1_.has_dyn_sized_stack, 0
	.set _ZN7rocprim17ROCPRIM_400000_NS6detail17trampoline_kernelINS0_14default_configENS1_20scan_config_selectorIN3c104HalfEEEZZNS1_9scan_implILNS1_25lookback_scan_determinismE0ELb0ELb0ES3_PKS6_PS6_S6_ZZZN2at6native31launch_logcumsumexp_cuda_kernelERKNSD_10TensorBaseESH_lENKUlvE_clEvENKUlvE3_clEvEUlS6_S6_E_S6_EEDaPvRmT3_T4_T5_mT6_P12ihipStream_tbENKUlT_T0_E_clISt17integral_constantIbLb0EESY_EEDaST_SU_EUlST_E0_NS1_11comp_targetILNS1_3genE2ELNS1_11target_archE906ELNS1_3gpuE6ELNS1_3repE0EEENS1_30default_config_static_selectorELNS0_4arch9wavefront6targetE0EEEvT1_.has_recursion, 0
	.set _ZN7rocprim17ROCPRIM_400000_NS6detail17trampoline_kernelINS0_14default_configENS1_20scan_config_selectorIN3c104HalfEEEZZNS1_9scan_implILNS1_25lookback_scan_determinismE0ELb0ELb0ES3_PKS6_PS6_S6_ZZZN2at6native31launch_logcumsumexp_cuda_kernelERKNSD_10TensorBaseESH_lENKUlvE_clEvENKUlvE3_clEvEUlS6_S6_E_S6_EEDaPvRmT3_T4_T5_mT6_P12ihipStream_tbENKUlT_T0_E_clISt17integral_constantIbLb0EESY_EEDaST_SU_EUlST_E0_NS1_11comp_targetILNS1_3genE2ELNS1_11target_archE906ELNS1_3gpuE6ELNS1_3repE0EEENS1_30default_config_static_selectorELNS0_4arch9wavefront6targetE0EEEvT1_.has_indirect_call, 0
	.section	.AMDGPU.csdata,"",@progbits
; Kernel info:
; codeLenInByte = 0
; TotalNumSgprs: 0
; NumVgprs: 0
; ScratchSize: 0
; MemoryBound: 0
; FloatMode: 240
; IeeeMode: 1
; LDSByteSize: 0 bytes/workgroup (compile time only)
; SGPRBlocks: 0
; VGPRBlocks: 0
; NumSGPRsForWavesPerEU: 1
; NumVGPRsForWavesPerEU: 1
; Occupancy: 16
; WaveLimiterHint : 0
; COMPUTE_PGM_RSRC2:SCRATCH_EN: 0
; COMPUTE_PGM_RSRC2:USER_SGPR: 6
; COMPUTE_PGM_RSRC2:TRAP_HANDLER: 0
; COMPUTE_PGM_RSRC2:TGID_X_EN: 1
; COMPUTE_PGM_RSRC2:TGID_Y_EN: 0
; COMPUTE_PGM_RSRC2:TGID_Z_EN: 0
; COMPUTE_PGM_RSRC2:TIDIG_COMP_CNT: 0
	.section	.text._ZN7rocprim17ROCPRIM_400000_NS6detail17trampoline_kernelINS0_14default_configENS1_20scan_config_selectorIN3c104HalfEEEZZNS1_9scan_implILNS1_25lookback_scan_determinismE0ELb0ELb0ES3_PKS6_PS6_S6_ZZZN2at6native31launch_logcumsumexp_cuda_kernelERKNSD_10TensorBaseESH_lENKUlvE_clEvENKUlvE3_clEvEUlS6_S6_E_S6_EEDaPvRmT3_T4_T5_mT6_P12ihipStream_tbENKUlT_T0_E_clISt17integral_constantIbLb0EESY_EEDaST_SU_EUlST_E0_NS1_11comp_targetILNS1_3genE10ELNS1_11target_archE1201ELNS1_3gpuE5ELNS1_3repE0EEENS1_30default_config_static_selectorELNS0_4arch9wavefront6targetE0EEEvT1_,"axG",@progbits,_ZN7rocprim17ROCPRIM_400000_NS6detail17trampoline_kernelINS0_14default_configENS1_20scan_config_selectorIN3c104HalfEEEZZNS1_9scan_implILNS1_25lookback_scan_determinismE0ELb0ELb0ES3_PKS6_PS6_S6_ZZZN2at6native31launch_logcumsumexp_cuda_kernelERKNSD_10TensorBaseESH_lENKUlvE_clEvENKUlvE3_clEvEUlS6_S6_E_S6_EEDaPvRmT3_T4_T5_mT6_P12ihipStream_tbENKUlT_T0_E_clISt17integral_constantIbLb0EESY_EEDaST_SU_EUlST_E0_NS1_11comp_targetILNS1_3genE10ELNS1_11target_archE1201ELNS1_3gpuE5ELNS1_3repE0EEENS1_30default_config_static_selectorELNS0_4arch9wavefront6targetE0EEEvT1_,comdat
	.globl	_ZN7rocprim17ROCPRIM_400000_NS6detail17trampoline_kernelINS0_14default_configENS1_20scan_config_selectorIN3c104HalfEEEZZNS1_9scan_implILNS1_25lookback_scan_determinismE0ELb0ELb0ES3_PKS6_PS6_S6_ZZZN2at6native31launch_logcumsumexp_cuda_kernelERKNSD_10TensorBaseESH_lENKUlvE_clEvENKUlvE3_clEvEUlS6_S6_E_S6_EEDaPvRmT3_T4_T5_mT6_P12ihipStream_tbENKUlT_T0_E_clISt17integral_constantIbLb0EESY_EEDaST_SU_EUlST_E0_NS1_11comp_targetILNS1_3genE10ELNS1_11target_archE1201ELNS1_3gpuE5ELNS1_3repE0EEENS1_30default_config_static_selectorELNS0_4arch9wavefront6targetE0EEEvT1_ ; -- Begin function _ZN7rocprim17ROCPRIM_400000_NS6detail17trampoline_kernelINS0_14default_configENS1_20scan_config_selectorIN3c104HalfEEEZZNS1_9scan_implILNS1_25lookback_scan_determinismE0ELb0ELb0ES3_PKS6_PS6_S6_ZZZN2at6native31launch_logcumsumexp_cuda_kernelERKNSD_10TensorBaseESH_lENKUlvE_clEvENKUlvE3_clEvEUlS6_S6_E_S6_EEDaPvRmT3_T4_T5_mT6_P12ihipStream_tbENKUlT_T0_E_clISt17integral_constantIbLb0EESY_EEDaST_SU_EUlST_E0_NS1_11comp_targetILNS1_3genE10ELNS1_11target_archE1201ELNS1_3gpuE5ELNS1_3repE0EEENS1_30default_config_static_selectorELNS0_4arch9wavefront6targetE0EEEvT1_
	.p2align	8
	.type	_ZN7rocprim17ROCPRIM_400000_NS6detail17trampoline_kernelINS0_14default_configENS1_20scan_config_selectorIN3c104HalfEEEZZNS1_9scan_implILNS1_25lookback_scan_determinismE0ELb0ELb0ES3_PKS6_PS6_S6_ZZZN2at6native31launch_logcumsumexp_cuda_kernelERKNSD_10TensorBaseESH_lENKUlvE_clEvENKUlvE3_clEvEUlS6_S6_E_S6_EEDaPvRmT3_T4_T5_mT6_P12ihipStream_tbENKUlT_T0_E_clISt17integral_constantIbLb0EESY_EEDaST_SU_EUlST_E0_NS1_11comp_targetILNS1_3genE10ELNS1_11target_archE1201ELNS1_3gpuE5ELNS1_3repE0EEENS1_30default_config_static_selectorELNS0_4arch9wavefront6targetE0EEEvT1_,@function
_ZN7rocprim17ROCPRIM_400000_NS6detail17trampoline_kernelINS0_14default_configENS1_20scan_config_selectorIN3c104HalfEEEZZNS1_9scan_implILNS1_25lookback_scan_determinismE0ELb0ELb0ES3_PKS6_PS6_S6_ZZZN2at6native31launch_logcumsumexp_cuda_kernelERKNSD_10TensorBaseESH_lENKUlvE_clEvENKUlvE3_clEvEUlS6_S6_E_S6_EEDaPvRmT3_T4_T5_mT6_P12ihipStream_tbENKUlT_T0_E_clISt17integral_constantIbLb0EESY_EEDaST_SU_EUlST_E0_NS1_11comp_targetILNS1_3genE10ELNS1_11target_archE1201ELNS1_3gpuE5ELNS1_3repE0EEENS1_30default_config_static_selectorELNS0_4arch9wavefront6targetE0EEEvT1_: ; @_ZN7rocprim17ROCPRIM_400000_NS6detail17trampoline_kernelINS0_14default_configENS1_20scan_config_selectorIN3c104HalfEEEZZNS1_9scan_implILNS1_25lookback_scan_determinismE0ELb0ELb0ES3_PKS6_PS6_S6_ZZZN2at6native31launch_logcumsumexp_cuda_kernelERKNSD_10TensorBaseESH_lENKUlvE_clEvENKUlvE3_clEvEUlS6_S6_E_S6_EEDaPvRmT3_T4_T5_mT6_P12ihipStream_tbENKUlT_T0_E_clISt17integral_constantIbLb0EESY_EEDaST_SU_EUlST_E0_NS1_11comp_targetILNS1_3genE10ELNS1_11target_archE1201ELNS1_3gpuE5ELNS1_3repE0EEENS1_30default_config_static_selectorELNS0_4arch9wavefront6targetE0EEEvT1_
; %bb.0:
	.section	.rodata,"a",@progbits
	.p2align	6, 0x0
	.amdhsa_kernel _ZN7rocprim17ROCPRIM_400000_NS6detail17trampoline_kernelINS0_14default_configENS1_20scan_config_selectorIN3c104HalfEEEZZNS1_9scan_implILNS1_25lookback_scan_determinismE0ELb0ELb0ES3_PKS6_PS6_S6_ZZZN2at6native31launch_logcumsumexp_cuda_kernelERKNSD_10TensorBaseESH_lENKUlvE_clEvENKUlvE3_clEvEUlS6_S6_E_S6_EEDaPvRmT3_T4_T5_mT6_P12ihipStream_tbENKUlT_T0_E_clISt17integral_constantIbLb0EESY_EEDaST_SU_EUlST_E0_NS1_11comp_targetILNS1_3genE10ELNS1_11target_archE1201ELNS1_3gpuE5ELNS1_3repE0EEENS1_30default_config_static_selectorELNS0_4arch9wavefront6targetE0EEEvT1_
		.amdhsa_group_segment_fixed_size 0
		.amdhsa_private_segment_fixed_size 0
		.amdhsa_kernarg_size 32
		.amdhsa_user_sgpr_count 6
		.amdhsa_user_sgpr_private_segment_buffer 1
		.amdhsa_user_sgpr_dispatch_ptr 0
		.amdhsa_user_sgpr_queue_ptr 0
		.amdhsa_user_sgpr_kernarg_segment_ptr 1
		.amdhsa_user_sgpr_dispatch_id 0
		.amdhsa_user_sgpr_flat_scratch_init 0
		.amdhsa_user_sgpr_private_segment_size 0
		.amdhsa_wavefront_size32 1
		.amdhsa_uses_dynamic_stack 0
		.amdhsa_system_sgpr_private_segment_wavefront_offset 0
		.amdhsa_system_sgpr_workgroup_id_x 1
		.amdhsa_system_sgpr_workgroup_id_y 0
		.amdhsa_system_sgpr_workgroup_id_z 0
		.amdhsa_system_sgpr_workgroup_info 0
		.amdhsa_system_vgpr_workitem_id 0
		.amdhsa_next_free_vgpr 1
		.amdhsa_next_free_sgpr 1
		.amdhsa_reserve_vcc 0
		.amdhsa_reserve_flat_scratch 0
		.amdhsa_float_round_mode_32 0
		.amdhsa_float_round_mode_16_64 0
		.amdhsa_float_denorm_mode_32 3
		.amdhsa_float_denorm_mode_16_64 3
		.amdhsa_dx10_clamp 1
		.amdhsa_ieee_mode 1
		.amdhsa_fp16_overflow 0
		.amdhsa_workgroup_processor_mode 1
		.amdhsa_memory_ordered 1
		.amdhsa_forward_progress 1
		.amdhsa_shared_vgpr_count 0
		.amdhsa_exception_fp_ieee_invalid_op 0
		.amdhsa_exception_fp_denorm_src 0
		.amdhsa_exception_fp_ieee_div_zero 0
		.amdhsa_exception_fp_ieee_overflow 0
		.amdhsa_exception_fp_ieee_underflow 0
		.amdhsa_exception_fp_ieee_inexact 0
		.amdhsa_exception_int_div_zero 0
	.end_amdhsa_kernel
	.section	.text._ZN7rocprim17ROCPRIM_400000_NS6detail17trampoline_kernelINS0_14default_configENS1_20scan_config_selectorIN3c104HalfEEEZZNS1_9scan_implILNS1_25lookback_scan_determinismE0ELb0ELb0ES3_PKS6_PS6_S6_ZZZN2at6native31launch_logcumsumexp_cuda_kernelERKNSD_10TensorBaseESH_lENKUlvE_clEvENKUlvE3_clEvEUlS6_S6_E_S6_EEDaPvRmT3_T4_T5_mT6_P12ihipStream_tbENKUlT_T0_E_clISt17integral_constantIbLb0EESY_EEDaST_SU_EUlST_E0_NS1_11comp_targetILNS1_3genE10ELNS1_11target_archE1201ELNS1_3gpuE5ELNS1_3repE0EEENS1_30default_config_static_selectorELNS0_4arch9wavefront6targetE0EEEvT1_,"axG",@progbits,_ZN7rocprim17ROCPRIM_400000_NS6detail17trampoline_kernelINS0_14default_configENS1_20scan_config_selectorIN3c104HalfEEEZZNS1_9scan_implILNS1_25lookback_scan_determinismE0ELb0ELb0ES3_PKS6_PS6_S6_ZZZN2at6native31launch_logcumsumexp_cuda_kernelERKNSD_10TensorBaseESH_lENKUlvE_clEvENKUlvE3_clEvEUlS6_S6_E_S6_EEDaPvRmT3_T4_T5_mT6_P12ihipStream_tbENKUlT_T0_E_clISt17integral_constantIbLb0EESY_EEDaST_SU_EUlST_E0_NS1_11comp_targetILNS1_3genE10ELNS1_11target_archE1201ELNS1_3gpuE5ELNS1_3repE0EEENS1_30default_config_static_selectorELNS0_4arch9wavefront6targetE0EEEvT1_,comdat
.Lfunc_end373:
	.size	_ZN7rocprim17ROCPRIM_400000_NS6detail17trampoline_kernelINS0_14default_configENS1_20scan_config_selectorIN3c104HalfEEEZZNS1_9scan_implILNS1_25lookback_scan_determinismE0ELb0ELb0ES3_PKS6_PS6_S6_ZZZN2at6native31launch_logcumsumexp_cuda_kernelERKNSD_10TensorBaseESH_lENKUlvE_clEvENKUlvE3_clEvEUlS6_S6_E_S6_EEDaPvRmT3_T4_T5_mT6_P12ihipStream_tbENKUlT_T0_E_clISt17integral_constantIbLb0EESY_EEDaST_SU_EUlST_E0_NS1_11comp_targetILNS1_3genE10ELNS1_11target_archE1201ELNS1_3gpuE5ELNS1_3repE0EEENS1_30default_config_static_selectorELNS0_4arch9wavefront6targetE0EEEvT1_, .Lfunc_end373-_ZN7rocprim17ROCPRIM_400000_NS6detail17trampoline_kernelINS0_14default_configENS1_20scan_config_selectorIN3c104HalfEEEZZNS1_9scan_implILNS1_25lookback_scan_determinismE0ELb0ELb0ES3_PKS6_PS6_S6_ZZZN2at6native31launch_logcumsumexp_cuda_kernelERKNSD_10TensorBaseESH_lENKUlvE_clEvENKUlvE3_clEvEUlS6_S6_E_S6_EEDaPvRmT3_T4_T5_mT6_P12ihipStream_tbENKUlT_T0_E_clISt17integral_constantIbLb0EESY_EEDaST_SU_EUlST_E0_NS1_11comp_targetILNS1_3genE10ELNS1_11target_archE1201ELNS1_3gpuE5ELNS1_3repE0EEENS1_30default_config_static_selectorELNS0_4arch9wavefront6targetE0EEEvT1_
                                        ; -- End function
	.set _ZN7rocprim17ROCPRIM_400000_NS6detail17trampoline_kernelINS0_14default_configENS1_20scan_config_selectorIN3c104HalfEEEZZNS1_9scan_implILNS1_25lookback_scan_determinismE0ELb0ELb0ES3_PKS6_PS6_S6_ZZZN2at6native31launch_logcumsumexp_cuda_kernelERKNSD_10TensorBaseESH_lENKUlvE_clEvENKUlvE3_clEvEUlS6_S6_E_S6_EEDaPvRmT3_T4_T5_mT6_P12ihipStream_tbENKUlT_T0_E_clISt17integral_constantIbLb0EESY_EEDaST_SU_EUlST_E0_NS1_11comp_targetILNS1_3genE10ELNS1_11target_archE1201ELNS1_3gpuE5ELNS1_3repE0EEENS1_30default_config_static_selectorELNS0_4arch9wavefront6targetE0EEEvT1_.num_vgpr, 0
	.set _ZN7rocprim17ROCPRIM_400000_NS6detail17trampoline_kernelINS0_14default_configENS1_20scan_config_selectorIN3c104HalfEEEZZNS1_9scan_implILNS1_25lookback_scan_determinismE0ELb0ELb0ES3_PKS6_PS6_S6_ZZZN2at6native31launch_logcumsumexp_cuda_kernelERKNSD_10TensorBaseESH_lENKUlvE_clEvENKUlvE3_clEvEUlS6_S6_E_S6_EEDaPvRmT3_T4_T5_mT6_P12ihipStream_tbENKUlT_T0_E_clISt17integral_constantIbLb0EESY_EEDaST_SU_EUlST_E0_NS1_11comp_targetILNS1_3genE10ELNS1_11target_archE1201ELNS1_3gpuE5ELNS1_3repE0EEENS1_30default_config_static_selectorELNS0_4arch9wavefront6targetE0EEEvT1_.num_agpr, 0
	.set _ZN7rocprim17ROCPRIM_400000_NS6detail17trampoline_kernelINS0_14default_configENS1_20scan_config_selectorIN3c104HalfEEEZZNS1_9scan_implILNS1_25lookback_scan_determinismE0ELb0ELb0ES3_PKS6_PS6_S6_ZZZN2at6native31launch_logcumsumexp_cuda_kernelERKNSD_10TensorBaseESH_lENKUlvE_clEvENKUlvE3_clEvEUlS6_S6_E_S6_EEDaPvRmT3_T4_T5_mT6_P12ihipStream_tbENKUlT_T0_E_clISt17integral_constantIbLb0EESY_EEDaST_SU_EUlST_E0_NS1_11comp_targetILNS1_3genE10ELNS1_11target_archE1201ELNS1_3gpuE5ELNS1_3repE0EEENS1_30default_config_static_selectorELNS0_4arch9wavefront6targetE0EEEvT1_.numbered_sgpr, 0
	.set _ZN7rocprim17ROCPRIM_400000_NS6detail17trampoline_kernelINS0_14default_configENS1_20scan_config_selectorIN3c104HalfEEEZZNS1_9scan_implILNS1_25lookback_scan_determinismE0ELb0ELb0ES3_PKS6_PS6_S6_ZZZN2at6native31launch_logcumsumexp_cuda_kernelERKNSD_10TensorBaseESH_lENKUlvE_clEvENKUlvE3_clEvEUlS6_S6_E_S6_EEDaPvRmT3_T4_T5_mT6_P12ihipStream_tbENKUlT_T0_E_clISt17integral_constantIbLb0EESY_EEDaST_SU_EUlST_E0_NS1_11comp_targetILNS1_3genE10ELNS1_11target_archE1201ELNS1_3gpuE5ELNS1_3repE0EEENS1_30default_config_static_selectorELNS0_4arch9wavefront6targetE0EEEvT1_.num_named_barrier, 0
	.set _ZN7rocprim17ROCPRIM_400000_NS6detail17trampoline_kernelINS0_14default_configENS1_20scan_config_selectorIN3c104HalfEEEZZNS1_9scan_implILNS1_25lookback_scan_determinismE0ELb0ELb0ES3_PKS6_PS6_S6_ZZZN2at6native31launch_logcumsumexp_cuda_kernelERKNSD_10TensorBaseESH_lENKUlvE_clEvENKUlvE3_clEvEUlS6_S6_E_S6_EEDaPvRmT3_T4_T5_mT6_P12ihipStream_tbENKUlT_T0_E_clISt17integral_constantIbLb0EESY_EEDaST_SU_EUlST_E0_NS1_11comp_targetILNS1_3genE10ELNS1_11target_archE1201ELNS1_3gpuE5ELNS1_3repE0EEENS1_30default_config_static_selectorELNS0_4arch9wavefront6targetE0EEEvT1_.private_seg_size, 0
	.set _ZN7rocprim17ROCPRIM_400000_NS6detail17trampoline_kernelINS0_14default_configENS1_20scan_config_selectorIN3c104HalfEEEZZNS1_9scan_implILNS1_25lookback_scan_determinismE0ELb0ELb0ES3_PKS6_PS6_S6_ZZZN2at6native31launch_logcumsumexp_cuda_kernelERKNSD_10TensorBaseESH_lENKUlvE_clEvENKUlvE3_clEvEUlS6_S6_E_S6_EEDaPvRmT3_T4_T5_mT6_P12ihipStream_tbENKUlT_T0_E_clISt17integral_constantIbLb0EESY_EEDaST_SU_EUlST_E0_NS1_11comp_targetILNS1_3genE10ELNS1_11target_archE1201ELNS1_3gpuE5ELNS1_3repE0EEENS1_30default_config_static_selectorELNS0_4arch9wavefront6targetE0EEEvT1_.uses_vcc, 0
	.set _ZN7rocprim17ROCPRIM_400000_NS6detail17trampoline_kernelINS0_14default_configENS1_20scan_config_selectorIN3c104HalfEEEZZNS1_9scan_implILNS1_25lookback_scan_determinismE0ELb0ELb0ES3_PKS6_PS6_S6_ZZZN2at6native31launch_logcumsumexp_cuda_kernelERKNSD_10TensorBaseESH_lENKUlvE_clEvENKUlvE3_clEvEUlS6_S6_E_S6_EEDaPvRmT3_T4_T5_mT6_P12ihipStream_tbENKUlT_T0_E_clISt17integral_constantIbLb0EESY_EEDaST_SU_EUlST_E0_NS1_11comp_targetILNS1_3genE10ELNS1_11target_archE1201ELNS1_3gpuE5ELNS1_3repE0EEENS1_30default_config_static_selectorELNS0_4arch9wavefront6targetE0EEEvT1_.uses_flat_scratch, 0
	.set _ZN7rocprim17ROCPRIM_400000_NS6detail17trampoline_kernelINS0_14default_configENS1_20scan_config_selectorIN3c104HalfEEEZZNS1_9scan_implILNS1_25lookback_scan_determinismE0ELb0ELb0ES3_PKS6_PS6_S6_ZZZN2at6native31launch_logcumsumexp_cuda_kernelERKNSD_10TensorBaseESH_lENKUlvE_clEvENKUlvE3_clEvEUlS6_S6_E_S6_EEDaPvRmT3_T4_T5_mT6_P12ihipStream_tbENKUlT_T0_E_clISt17integral_constantIbLb0EESY_EEDaST_SU_EUlST_E0_NS1_11comp_targetILNS1_3genE10ELNS1_11target_archE1201ELNS1_3gpuE5ELNS1_3repE0EEENS1_30default_config_static_selectorELNS0_4arch9wavefront6targetE0EEEvT1_.has_dyn_sized_stack, 0
	.set _ZN7rocprim17ROCPRIM_400000_NS6detail17trampoline_kernelINS0_14default_configENS1_20scan_config_selectorIN3c104HalfEEEZZNS1_9scan_implILNS1_25lookback_scan_determinismE0ELb0ELb0ES3_PKS6_PS6_S6_ZZZN2at6native31launch_logcumsumexp_cuda_kernelERKNSD_10TensorBaseESH_lENKUlvE_clEvENKUlvE3_clEvEUlS6_S6_E_S6_EEDaPvRmT3_T4_T5_mT6_P12ihipStream_tbENKUlT_T0_E_clISt17integral_constantIbLb0EESY_EEDaST_SU_EUlST_E0_NS1_11comp_targetILNS1_3genE10ELNS1_11target_archE1201ELNS1_3gpuE5ELNS1_3repE0EEENS1_30default_config_static_selectorELNS0_4arch9wavefront6targetE0EEEvT1_.has_recursion, 0
	.set _ZN7rocprim17ROCPRIM_400000_NS6detail17trampoline_kernelINS0_14default_configENS1_20scan_config_selectorIN3c104HalfEEEZZNS1_9scan_implILNS1_25lookback_scan_determinismE0ELb0ELb0ES3_PKS6_PS6_S6_ZZZN2at6native31launch_logcumsumexp_cuda_kernelERKNSD_10TensorBaseESH_lENKUlvE_clEvENKUlvE3_clEvEUlS6_S6_E_S6_EEDaPvRmT3_T4_T5_mT6_P12ihipStream_tbENKUlT_T0_E_clISt17integral_constantIbLb0EESY_EEDaST_SU_EUlST_E0_NS1_11comp_targetILNS1_3genE10ELNS1_11target_archE1201ELNS1_3gpuE5ELNS1_3repE0EEENS1_30default_config_static_selectorELNS0_4arch9wavefront6targetE0EEEvT1_.has_indirect_call, 0
	.section	.AMDGPU.csdata,"",@progbits
; Kernel info:
; codeLenInByte = 0
; TotalNumSgprs: 0
; NumVgprs: 0
; ScratchSize: 0
; MemoryBound: 0
; FloatMode: 240
; IeeeMode: 1
; LDSByteSize: 0 bytes/workgroup (compile time only)
; SGPRBlocks: 0
; VGPRBlocks: 0
; NumSGPRsForWavesPerEU: 1
; NumVGPRsForWavesPerEU: 1
; Occupancy: 16
; WaveLimiterHint : 0
; COMPUTE_PGM_RSRC2:SCRATCH_EN: 0
; COMPUTE_PGM_RSRC2:USER_SGPR: 6
; COMPUTE_PGM_RSRC2:TRAP_HANDLER: 0
; COMPUTE_PGM_RSRC2:TGID_X_EN: 1
; COMPUTE_PGM_RSRC2:TGID_Y_EN: 0
; COMPUTE_PGM_RSRC2:TGID_Z_EN: 0
; COMPUTE_PGM_RSRC2:TIDIG_COMP_CNT: 0
	.section	.text._ZN7rocprim17ROCPRIM_400000_NS6detail17trampoline_kernelINS0_14default_configENS1_20scan_config_selectorIN3c104HalfEEEZZNS1_9scan_implILNS1_25lookback_scan_determinismE0ELb0ELb0ES3_PKS6_PS6_S6_ZZZN2at6native31launch_logcumsumexp_cuda_kernelERKNSD_10TensorBaseESH_lENKUlvE_clEvENKUlvE3_clEvEUlS6_S6_E_S6_EEDaPvRmT3_T4_T5_mT6_P12ihipStream_tbENKUlT_T0_E_clISt17integral_constantIbLb0EESY_EEDaST_SU_EUlST_E0_NS1_11comp_targetILNS1_3genE10ELNS1_11target_archE1200ELNS1_3gpuE4ELNS1_3repE0EEENS1_30default_config_static_selectorELNS0_4arch9wavefront6targetE0EEEvT1_,"axG",@progbits,_ZN7rocprim17ROCPRIM_400000_NS6detail17trampoline_kernelINS0_14default_configENS1_20scan_config_selectorIN3c104HalfEEEZZNS1_9scan_implILNS1_25lookback_scan_determinismE0ELb0ELb0ES3_PKS6_PS6_S6_ZZZN2at6native31launch_logcumsumexp_cuda_kernelERKNSD_10TensorBaseESH_lENKUlvE_clEvENKUlvE3_clEvEUlS6_S6_E_S6_EEDaPvRmT3_T4_T5_mT6_P12ihipStream_tbENKUlT_T0_E_clISt17integral_constantIbLb0EESY_EEDaST_SU_EUlST_E0_NS1_11comp_targetILNS1_3genE10ELNS1_11target_archE1200ELNS1_3gpuE4ELNS1_3repE0EEENS1_30default_config_static_selectorELNS0_4arch9wavefront6targetE0EEEvT1_,comdat
	.globl	_ZN7rocprim17ROCPRIM_400000_NS6detail17trampoline_kernelINS0_14default_configENS1_20scan_config_selectorIN3c104HalfEEEZZNS1_9scan_implILNS1_25lookback_scan_determinismE0ELb0ELb0ES3_PKS6_PS6_S6_ZZZN2at6native31launch_logcumsumexp_cuda_kernelERKNSD_10TensorBaseESH_lENKUlvE_clEvENKUlvE3_clEvEUlS6_S6_E_S6_EEDaPvRmT3_T4_T5_mT6_P12ihipStream_tbENKUlT_T0_E_clISt17integral_constantIbLb0EESY_EEDaST_SU_EUlST_E0_NS1_11comp_targetILNS1_3genE10ELNS1_11target_archE1200ELNS1_3gpuE4ELNS1_3repE0EEENS1_30default_config_static_selectorELNS0_4arch9wavefront6targetE0EEEvT1_ ; -- Begin function _ZN7rocprim17ROCPRIM_400000_NS6detail17trampoline_kernelINS0_14default_configENS1_20scan_config_selectorIN3c104HalfEEEZZNS1_9scan_implILNS1_25lookback_scan_determinismE0ELb0ELb0ES3_PKS6_PS6_S6_ZZZN2at6native31launch_logcumsumexp_cuda_kernelERKNSD_10TensorBaseESH_lENKUlvE_clEvENKUlvE3_clEvEUlS6_S6_E_S6_EEDaPvRmT3_T4_T5_mT6_P12ihipStream_tbENKUlT_T0_E_clISt17integral_constantIbLb0EESY_EEDaST_SU_EUlST_E0_NS1_11comp_targetILNS1_3genE10ELNS1_11target_archE1200ELNS1_3gpuE4ELNS1_3repE0EEENS1_30default_config_static_selectorELNS0_4arch9wavefront6targetE0EEEvT1_
	.p2align	8
	.type	_ZN7rocprim17ROCPRIM_400000_NS6detail17trampoline_kernelINS0_14default_configENS1_20scan_config_selectorIN3c104HalfEEEZZNS1_9scan_implILNS1_25lookback_scan_determinismE0ELb0ELb0ES3_PKS6_PS6_S6_ZZZN2at6native31launch_logcumsumexp_cuda_kernelERKNSD_10TensorBaseESH_lENKUlvE_clEvENKUlvE3_clEvEUlS6_S6_E_S6_EEDaPvRmT3_T4_T5_mT6_P12ihipStream_tbENKUlT_T0_E_clISt17integral_constantIbLb0EESY_EEDaST_SU_EUlST_E0_NS1_11comp_targetILNS1_3genE10ELNS1_11target_archE1200ELNS1_3gpuE4ELNS1_3repE0EEENS1_30default_config_static_selectorELNS0_4arch9wavefront6targetE0EEEvT1_,@function
_ZN7rocprim17ROCPRIM_400000_NS6detail17trampoline_kernelINS0_14default_configENS1_20scan_config_selectorIN3c104HalfEEEZZNS1_9scan_implILNS1_25lookback_scan_determinismE0ELb0ELb0ES3_PKS6_PS6_S6_ZZZN2at6native31launch_logcumsumexp_cuda_kernelERKNSD_10TensorBaseESH_lENKUlvE_clEvENKUlvE3_clEvEUlS6_S6_E_S6_EEDaPvRmT3_T4_T5_mT6_P12ihipStream_tbENKUlT_T0_E_clISt17integral_constantIbLb0EESY_EEDaST_SU_EUlST_E0_NS1_11comp_targetILNS1_3genE10ELNS1_11target_archE1200ELNS1_3gpuE4ELNS1_3repE0EEENS1_30default_config_static_selectorELNS0_4arch9wavefront6targetE0EEEvT1_: ; @_ZN7rocprim17ROCPRIM_400000_NS6detail17trampoline_kernelINS0_14default_configENS1_20scan_config_selectorIN3c104HalfEEEZZNS1_9scan_implILNS1_25lookback_scan_determinismE0ELb0ELb0ES3_PKS6_PS6_S6_ZZZN2at6native31launch_logcumsumexp_cuda_kernelERKNSD_10TensorBaseESH_lENKUlvE_clEvENKUlvE3_clEvEUlS6_S6_E_S6_EEDaPvRmT3_T4_T5_mT6_P12ihipStream_tbENKUlT_T0_E_clISt17integral_constantIbLb0EESY_EEDaST_SU_EUlST_E0_NS1_11comp_targetILNS1_3genE10ELNS1_11target_archE1200ELNS1_3gpuE4ELNS1_3repE0EEENS1_30default_config_static_selectorELNS0_4arch9wavefront6targetE0EEEvT1_
; %bb.0:
	.section	.rodata,"a",@progbits
	.p2align	6, 0x0
	.amdhsa_kernel _ZN7rocprim17ROCPRIM_400000_NS6detail17trampoline_kernelINS0_14default_configENS1_20scan_config_selectorIN3c104HalfEEEZZNS1_9scan_implILNS1_25lookback_scan_determinismE0ELb0ELb0ES3_PKS6_PS6_S6_ZZZN2at6native31launch_logcumsumexp_cuda_kernelERKNSD_10TensorBaseESH_lENKUlvE_clEvENKUlvE3_clEvEUlS6_S6_E_S6_EEDaPvRmT3_T4_T5_mT6_P12ihipStream_tbENKUlT_T0_E_clISt17integral_constantIbLb0EESY_EEDaST_SU_EUlST_E0_NS1_11comp_targetILNS1_3genE10ELNS1_11target_archE1200ELNS1_3gpuE4ELNS1_3repE0EEENS1_30default_config_static_selectorELNS0_4arch9wavefront6targetE0EEEvT1_
		.amdhsa_group_segment_fixed_size 0
		.amdhsa_private_segment_fixed_size 0
		.amdhsa_kernarg_size 32
		.amdhsa_user_sgpr_count 6
		.amdhsa_user_sgpr_private_segment_buffer 1
		.amdhsa_user_sgpr_dispatch_ptr 0
		.amdhsa_user_sgpr_queue_ptr 0
		.amdhsa_user_sgpr_kernarg_segment_ptr 1
		.amdhsa_user_sgpr_dispatch_id 0
		.amdhsa_user_sgpr_flat_scratch_init 0
		.amdhsa_user_sgpr_private_segment_size 0
		.amdhsa_wavefront_size32 1
		.amdhsa_uses_dynamic_stack 0
		.amdhsa_system_sgpr_private_segment_wavefront_offset 0
		.amdhsa_system_sgpr_workgroup_id_x 1
		.amdhsa_system_sgpr_workgroup_id_y 0
		.amdhsa_system_sgpr_workgroup_id_z 0
		.amdhsa_system_sgpr_workgroup_info 0
		.amdhsa_system_vgpr_workitem_id 0
		.amdhsa_next_free_vgpr 1
		.amdhsa_next_free_sgpr 1
		.amdhsa_reserve_vcc 0
		.amdhsa_reserve_flat_scratch 0
		.amdhsa_float_round_mode_32 0
		.amdhsa_float_round_mode_16_64 0
		.amdhsa_float_denorm_mode_32 3
		.amdhsa_float_denorm_mode_16_64 3
		.amdhsa_dx10_clamp 1
		.amdhsa_ieee_mode 1
		.amdhsa_fp16_overflow 0
		.amdhsa_workgroup_processor_mode 1
		.amdhsa_memory_ordered 1
		.amdhsa_forward_progress 1
		.amdhsa_shared_vgpr_count 0
		.amdhsa_exception_fp_ieee_invalid_op 0
		.amdhsa_exception_fp_denorm_src 0
		.amdhsa_exception_fp_ieee_div_zero 0
		.amdhsa_exception_fp_ieee_overflow 0
		.amdhsa_exception_fp_ieee_underflow 0
		.amdhsa_exception_fp_ieee_inexact 0
		.amdhsa_exception_int_div_zero 0
	.end_amdhsa_kernel
	.section	.text._ZN7rocprim17ROCPRIM_400000_NS6detail17trampoline_kernelINS0_14default_configENS1_20scan_config_selectorIN3c104HalfEEEZZNS1_9scan_implILNS1_25lookback_scan_determinismE0ELb0ELb0ES3_PKS6_PS6_S6_ZZZN2at6native31launch_logcumsumexp_cuda_kernelERKNSD_10TensorBaseESH_lENKUlvE_clEvENKUlvE3_clEvEUlS6_S6_E_S6_EEDaPvRmT3_T4_T5_mT6_P12ihipStream_tbENKUlT_T0_E_clISt17integral_constantIbLb0EESY_EEDaST_SU_EUlST_E0_NS1_11comp_targetILNS1_3genE10ELNS1_11target_archE1200ELNS1_3gpuE4ELNS1_3repE0EEENS1_30default_config_static_selectorELNS0_4arch9wavefront6targetE0EEEvT1_,"axG",@progbits,_ZN7rocprim17ROCPRIM_400000_NS6detail17trampoline_kernelINS0_14default_configENS1_20scan_config_selectorIN3c104HalfEEEZZNS1_9scan_implILNS1_25lookback_scan_determinismE0ELb0ELb0ES3_PKS6_PS6_S6_ZZZN2at6native31launch_logcumsumexp_cuda_kernelERKNSD_10TensorBaseESH_lENKUlvE_clEvENKUlvE3_clEvEUlS6_S6_E_S6_EEDaPvRmT3_T4_T5_mT6_P12ihipStream_tbENKUlT_T0_E_clISt17integral_constantIbLb0EESY_EEDaST_SU_EUlST_E0_NS1_11comp_targetILNS1_3genE10ELNS1_11target_archE1200ELNS1_3gpuE4ELNS1_3repE0EEENS1_30default_config_static_selectorELNS0_4arch9wavefront6targetE0EEEvT1_,comdat
.Lfunc_end374:
	.size	_ZN7rocprim17ROCPRIM_400000_NS6detail17trampoline_kernelINS0_14default_configENS1_20scan_config_selectorIN3c104HalfEEEZZNS1_9scan_implILNS1_25lookback_scan_determinismE0ELb0ELb0ES3_PKS6_PS6_S6_ZZZN2at6native31launch_logcumsumexp_cuda_kernelERKNSD_10TensorBaseESH_lENKUlvE_clEvENKUlvE3_clEvEUlS6_S6_E_S6_EEDaPvRmT3_T4_T5_mT6_P12ihipStream_tbENKUlT_T0_E_clISt17integral_constantIbLb0EESY_EEDaST_SU_EUlST_E0_NS1_11comp_targetILNS1_3genE10ELNS1_11target_archE1200ELNS1_3gpuE4ELNS1_3repE0EEENS1_30default_config_static_selectorELNS0_4arch9wavefront6targetE0EEEvT1_, .Lfunc_end374-_ZN7rocprim17ROCPRIM_400000_NS6detail17trampoline_kernelINS0_14default_configENS1_20scan_config_selectorIN3c104HalfEEEZZNS1_9scan_implILNS1_25lookback_scan_determinismE0ELb0ELb0ES3_PKS6_PS6_S6_ZZZN2at6native31launch_logcumsumexp_cuda_kernelERKNSD_10TensorBaseESH_lENKUlvE_clEvENKUlvE3_clEvEUlS6_S6_E_S6_EEDaPvRmT3_T4_T5_mT6_P12ihipStream_tbENKUlT_T0_E_clISt17integral_constantIbLb0EESY_EEDaST_SU_EUlST_E0_NS1_11comp_targetILNS1_3genE10ELNS1_11target_archE1200ELNS1_3gpuE4ELNS1_3repE0EEENS1_30default_config_static_selectorELNS0_4arch9wavefront6targetE0EEEvT1_
                                        ; -- End function
	.set _ZN7rocprim17ROCPRIM_400000_NS6detail17trampoline_kernelINS0_14default_configENS1_20scan_config_selectorIN3c104HalfEEEZZNS1_9scan_implILNS1_25lookback_scan_determinismE0ELb0ELb0ES3_PKS6_PS6_S6_ZZZN2at6native31launch_logcumsumexp_cuda_kernelERKNSD_10TensorBaseESH_lENKUlvE_clEvENKUlvE3_clEvEUlS6_S6_E_S6_EEDaPvRmT3_T4_T5_mT6_P12ihipStream_tbENKUlT_T0_E_clISt17integral_constantIbLb0EESY_EEDaST_SU_EUlST_E0_NS1_11comp_targetILNS1_3genE10ELNS1_11target_archE1200ELNS1_3gpuE4ELNS1_3repE0EEENS1_30default_config_static_selectorELNS0_4arch9wavefront6targetE0EEEvT1_.num_vgpr, 0
	.set _ZN7rocprim17ROCPRIM_400000_NS6detail17trampoline_kernelINS0_14default_configENS1_20scan_config_selectorIN3c104HalfEEEZZNS1_9scan_implILNS1_25lookback_scan_determinismE0ELb0ELb0ES3_PKS6_PS6_S6_ZZZN2at6native31launch_logcumsumexp_cuda_kernelERKNSD_10TensorBaseESH_lENKUlvE_clEvENKUlvE3_clEvEUlS6_S6_E_S6_EEDaPvRmT3_T4_T5_mT6_P12ihipStream_tbENKUlT_T0_E_clISt17integral_constantIbLb0EESY_EEDaST_SU_EUlST_E0_NS1_11comp_targetILNS1_3genE10ELNS1_11target_archE1200ELNS1_3gpuE4ELNS1_3repE0EEENS1_30default_config_static_selectorELNS0_4arch9wavefront6targetE0EEEvT1_.num_agpr, 0
	.set _ZN7rocprim17ROCPRIM_400000_NS6detail17trampoline_kernelINS0_14default_configENS1_20scan_config_selectorIN3c104HalfEEEZZNS1_9scan_implILNS1_25lookback_scan_determinismE0ELb0ELb0ES3_PKS6_PS6_S6_ZZZN2at6native31launch_logcumsumexp_cuda_kernelERKNSD_10TensorBaseESH_lENKUlvE_clEvENKUlvE3_clEvEUlS6_S6_E_S6_EEDaPvRmT3_T4_T5_mT6_P12ihipStream_tbENKUlT_T0_E_clISt17integral_constantIbLb0EESY_EEDaST_SU_EUlST_E0_NS1_11comp_targetILNS1_3genE10ELNS1_11target_archE1200ELNS1_3gpuE4ELNS1_3repE0EEENS1_30default_config_static_selectorELNS0_4arch9wavefront6targetE0EEEvT1_.numbered_sgpr, 0
	.set _ZN7rocprim17ROCPRIM_400000_NS6detail17trampoline_kernelINS0_14default_configENS1_20scan_config_selectorIN3c104HalfEEEZZNS1_9scan_implILNS1_25lookback_scan_determinismE0ELb0ELb0ES3_PKS6_PS6_S6_ZZZN2at6native31launch_logcumsumexp_cuda_kernelERKNSD_10TensorBaseESH_lENKUlvE_clEvENKUlvE3_clEvEUlS6_S6_E_S6_EEDaPvRmT3_T4_T5_mT6_P12ihipStream_tbENKUlT_T0_E_clISt17integral_constantIbLb0EESY_EEDaST_SU_EUlST_E0_NS1_11comp_targetILNS1_3genE10ELNS1_11target_archE1200ELNS1_3gpuE4ELNS1_3repE0EEENS1_30default_config_static_selectorELNS0_4arch9wavefront6targetE0EEEvT1_.num_named_barrier, 0
	.set _ZN7rocprim17ROCPRIM_400000_NS6detail17trampoline_kernelINS0_14default_configENS1_20scan_config_selectorIN3c104HalfEEEZZNS1_9scan_implILNS1_25lookback_scan_determinismE0ELb0ELb0ES3_PKS6_PS6_S6_ZZZN2at6native31launch_logcumsumexp_cuda_kernelERKNSD_10TensorBaseESH_lENKUlvE_clEvENKUlvE3_clEvEUlS6_S6_E_S6_EEDaPvRmT3_T4_T5_mT6_P12ihipStream_tbENKUlT_T0_E_clISt17integral_constantIbLb0EESY_EEDaST_SU_EUlST_E0_NS1_11comp_targetILNS1_3genE10ELNS1_11target_archE1200ELNS1_3gpuE4ELNS1_3repE0EEENS1_30default_config_static_selectorELNS0_4arch9wavefront6targetE0EEEvT1_.private_seg_size, 0
	.set _ZN7rocprim17ROCPRIM_400000_NS6detail17trampoline_kernelINS0_14default_configENS1_20scan_config_selectorIN3c104HalfEEEZZNS1_9scan_implILNS1_25lookback_scan_determinismE0ELb0ELb0ES3_PKS6_PS6_S6_ZZZN2at6native31launch_logcumsumexp_cuda_kernelERKNSD_10TensorBaseESH_lENKUlvE_clEvENKUlvE3_clEvEUlS6_S6_E_S6_EEDaPvRmT3_T4_T5_mT6_P12ihipStream_tbENKUlT_T0_E_clISt17integral_constantIbLb0EESY_EEDaST_SU_EUlST_E0_NS1_11comp_targetILNS1_3genE10ELNS1_11target_archE1200ELNS1_3gpuE4ELNS1_3repE0EEENS1_30default_config_static_selectorELNS0_4arch9wavefront6targetE0EEEvT1_.uses_vcc, 0
	.set _ZN7rocprim17ROCPRIM_400000_NS6detail17trampoline_kernelINS0_14default_configENS1_20scan_config_selectorIN3c104HalfEEEZZNS1_9scan_implILNS1_25lookback_scan_determinismE0ELb0ELb0ES3_PKS6_PS6_S6_ZZZN2at6native31launch_logcumsumexp_cuda_kernelERKNSD_10TensorBaseESH_lENKUlvE_clEvENKUlvE3_clEvEUlS6_S6_E_S6_EEDaPvRmT3_T4_T5_mT6_P12ihipStream_tbENKUlT_T0_E_clISt17integral_constantIbLb0EESY_EEDaST_SU_EUlST_E0_NS1_11comp_targetILNS1_3genE10ELNS1_11target_archE1200ELNS1_3gpuE4ELNS1_3repE0EEENS1_30default_config_static_selectorELNS0_4arch9wavefront6targetE0EEEvT1_.uses_flat_scratch, 0
	.set _ZN7rocprim17ROCPRIM_400000_NS6detail17trampoline_kernelINS0_14default_configENS1_20scan_config_selectorIN3c104HalfEEEZZNS1_9scan_implILNS1_25lookback_scan_determinismE0ELb0ELb0ES3_PKS6_PS6_S6_ZZZN2at6native31launch_logcumsumexp_cuda_kernelERKNSD_10TensorBaseESH_lENKUlvE_clEvENKUlvE3_clEvEUlS6_S6_E_S6_EEDaPvRmT3_T4_T5_mT6_P12ihipStream_tbENKUlT_T0_E_clISt17integral_constantIbLb0EESY_EEDaST_SU_EUlST_E0_NS1_11comp_targetILNS1_3genE10ELNS1_11target_archE1200ELNS1_3gpuE4ELNS1_3repE0EEENS1_30default_config_static_selectorELNS0_4arch9wavefront6targetE0EEEvT1_.has_dyn_sized_stack, 0
	.set _ZN7rocprim17ROCPRIM_400000_NS6detail17trampoline_kernelINS0_14default_configENS1_20scan_config_selectorIN3c104HalfEEEZZNS1_9scan_implILNS1_25lookback_scan_determinismE0ELb0ELb0ES3_PKS6_PS6_S6_ZZZN2at6native31launch_logcumsumexp_cuda_kernelERKNSD_10TensorBaseESH_lENKUlvE_clEvENKUlvE3_clEvEUlS6_S6_E_S6_EEDaPvRmT3_T4_T5_mT6_P12ihipStream_tbENKUlT_T0_E_clISt17integral_constantIbLb0EESY_EEDaST_SU_EUlST_E0_NS1_11comp_targetILNS1_3genE10ELNS1_11target_archE1200ELNS1_3gpuE4ELNS1_3repE0EEENS1_30default_config_static_selectorELNS0_4arch9wavefront6targetE0EEEvT1_.has_recursion, 0
	.set _ZN7rocprim17ROCPRIM_400000_NS6detail17trampoline_kernelINS0_14default_configENS1_20scan_config_selectorIN3c104HalfEEEZZNS1_9scan_implILNS1_25lookback_scan_determinismE0ELb0ELb0ES3_PKS6_PS6_S6_ZZZN2at6native31launch_logcumsumexp_cuda_kernelERKNSD_10TensorBaseESH_lENKUlvE_clEvENKUlvE3_clEvEUlS6_S6_E_S6_EEDaPvRmT3_T4_T5_mT6_P12ihipStream_tbENKUlT_T0_E_clISt17integral_constantIbLb0EESY_EEDaST_SU_EUlST_E0_NS1_11comp_targetILNS1_3genE10ELNS1_11target_archE1200ELNS1_3gpuE4ELNS1_3repE0EEENS1_30default_config_static_selectorELNS0_4arch9wavefront6targetE0EEEvT1_.has_indirect_call, 0
	.section	.AMDGPU.csdata,"",@progbits
; Kernel info:
; codeLenInByte = 0
; TotalNumSgprs: 0
; NumVgprs: 0
; ScratchSize: 0
; MemoryBound: 0
; FloatMode: 240
; IeeeMode: 1
; LDSByteSize: 0 bytes/workgroup (compile time only)
; SGPRBlocks: 0
; VGPRBlocks: 0
; NumSGPRsForWavesPerEU: 1
; NumVGPRsForWavesPerEU: 1
; Occupancy: 16
; WaveLimiterHint : 0
; COMPUTE_PGM_RSRC2:SCRATCH_EN: 0
; COMPUTE_PGM_RSRC2:USER_SGPR: 6
; COMPUTE_PGM_RSRC2:TRAP_HANDLER: 0
; COMPUTE_PGM_RSRC2:TGID_X_EN: 1
; COMPUTE_PGM_RSRC2:TGID_Y_EN: 0
; COMPUTE_PGM_RSRC2:TGID_Z_EN: 0
; COMPUTE_PGM_RSRC2:TIDIG_COMP_CNT: 0
	.section	.text._ZN7rocprim17ROCPRIM_400000_NS6detail17trampoline_kernelINS0_14default_configENS1_20scan_config_selectorIN3c104HalfEEEZZNS1_9scan_implILNS1_25lookback_scan_determinismE0ELb0ELb0ES3_PKS6_PS6_S6_ZZZN2at6native31launch_logcumsumexp_cuda_kernelERKNSD_10TensorBaseESH_lENKUlvE_clEvENKUlvE3_clEvEUlS6_S6_E_S6_EEDaPvRmT3_T4_T5_mT6_P12ihipStream_tbENKUlT_T0_E_clISt17integral_constantIbLb0EESY_EEDaST_SU_EUlST_E0_NS1_11comp_targetILNS1_3genE9ELNS1_11target_archE1100ELNS1_3gpuE3ELNS1_3repE0EEENS1_30default_config_static_selectorELNS0_4arch9wavefront6targetE0EEEvT1_,"axG",@progbits,_ZN7rocprim17ROCPRIM_400000_NS6detail17trampoline_kernelINS0_14default_configENS1_20scan_config_selectorIN3c104HalfEEEZZNS1_9scan_implILNS1_25lookback_scan_determinismE0ELb0ELb0ES3_PKS6_PS6_S6_ZZZN2at6native31launch_logcumsumexp_cuda_kernelERKNSD_10TensorBaseESH_lENKUlvE_clEvENKUlvE3_clEvEUlS6_S6_E_S6_EEDaPvRmT3_T4_T5_mT6_P12ihipStream_tbENKUlT_T0_E_clISt17integral_constantIbLb0EESY_EEDaST_SU_EUlST_E0_NS1_11comp_targetILNS1_3genE9ELNS1_11target_archE1100ELNS1_3gpuE3ELNS1_3repE0EEENS1_30default_config_static_selectorELNS0_4arch9wavefront6targetE0EEEvT1_,comdat
	.globl	_ZN7rocprim17ROCPRIM_400000_NS6detail17trampoline_kernelINS0_14default_configENS1_20scan_config_selectorIN3c104HalfEEEZZNS1_9scan_implILNS1_25lookback_scan_determinismE0ELb0ELb0ES3_PKS6_PS6_S6_ZZZN2at6native31launch_logcumsumexp_cuda_kernelERKNSD_10TensorBaseESH_lENKUlvE_clEvENKUlvE3_clEvEUlS6_S6_E_S6_EEDaPvRmT3_T4_T5_mT6_P12ihipStream_tbENKUlT_T0_E_clISt17integral_constantIbLb0EESY_EEDaST_SU_EUlST_E0_NS1_11comp_targetILNS1_3genE9ELNS1_11target_archE1100ELNS1_3gpuE3ELNS1_3repE0EEENS1_30default_config_static_selectorELNS0_4arch9wavefront6targetE0EEEvT1_ ; -- Begin function _ZN7rocprim17ROCPRIM_400000_NS6detail17trampoline_kernelINS0_14default_configENS1_20scan_config_selectorIN3c104HalfEEEZZNS1_9scan_implILNS1_25lookback_scan_determinismE0ELb0ELb0ES3_PKS6_PS6_S6_ZZZN2at6native31launch_logcumsumexp_cuda_kernelERKNSD_10TensorBaseESH_lENKUlvE_clEvENKUlvE3_clEvEUlS6_S6_E_S6_EEDaPvRmT3_T4_T5_mT6_P12ihipStream_tbENKUlT_T0_E_clISt17integral_constantIbLb0EESY_EEDaST_SU_EUlST_E0_NS1_11comp_targetILNS1_3genE9ELNS1_11target_archE1100ELNS1_3gpuE3ELNS1_3repE0EEENS1_30default_config_static_selectorELNS0_4arch9wavefront6targetE0EEEvT1_
	.p2align	8
	.type	_ZN7rocprim17ROCPRIM_400000_NS6detail17trampoline_kernelINS0_14default_configENS1_20scan_config_selectorIN3c104HalfEEEZZNS1_9scan_implILNS1_25lookback_scan_determinismE0ELb0ELb0ES3_PKS6_PS6_S6_ZZZN2at6native31launch_logcumsumexp_cuda_kernelERKNSD_10TensorBaseESH_lENKUlvE_clEvENKUlvE3_clEvEUlS6_S6_E_S6_EEDaPvRmT3_T4_T5_mT6_P12ihipStream_tbENKUlT_T0_E_clISt17integral_constantIbLb0EESY_EEDaST_SU_EUlST_E0_NS1_11comp_targetILNS1_3genE9ELNS1_11target_archE1100ELNS1_3gpuE3ELNS1_3repE0EEENS1_30default_config_static_selectorELNS0_4arch9wavefront6targetE0EEEvT1_,@function
_ZN7rocprim17ROCPRIM_400000_NS6detail17trampoline_kernelINS0_14default_configENS1_20scan_config_selectorIN3c104HalfEEEZZNS1_9scan_implILNS1_25lookback_scan_determinismE0ELb0ELb0ES3_PKS6_PS6_S6_ZZZN2at6native31launch_logcumsumexp_cuda_kernelERKNSD_10TensorBaseESH_lENKUlvE_clEvENKUlvE3_clEvEUlS6_S6_E_S6_EEDaPvRmT3_T4_T5_mT6_P12ihipStream_tbENKUlT_T0_E_clISt17integral_constantIbLb0EESY_EEDaST_SU_EUlST_E0_NS1_11comp_targetILNS1_3genE9ELNS1_11target_archE1100ELNS1_3gpuE3ELNS1_3repE0EEENS1_30default_config_static_selectorELNS0_4arch9wavefront6targetE0EEEvT1_: ; @_ZN7rocprim17ROCPRIM_400000_NS6detail17trampoline_kernelINS0_14default_configENS1_20scan_config_selectorIN3c104HalfEEEZZNS1_9scan_implILNS1_25lookback_scan_determinismE0ELb0ELb0ES3_PKS6_PS6_S6_ZZZN2at6native31launch_logcumsumexp_cuda_kernelERKNSD_10TensorBaseESH_lENKUlvE_clEvENKUlvE3_clEvEUlS6_S6_E_S6_EEDaPvRmT3_T4_T5_mT6_P12ihipStream_tbENKUlT_T0_E_clISt17integral_constantIbLb0EESY_EEDaST_SU_EUlST_E0_NS1_11comp_targetILNS1_3genE9ELNS1_11target_archE1100ELNS1_3gpuE3ELNS1_3repE0EEENS1_30default_config_static_selectorELNS0_4arch9wavefront6targetE0EEEvT1_
; %bb.0:
	.section	.rodata,"a",@progbits
	.p2align	6, 0x0
	.amdhsa_kernel _ZN7rocprim17ROCPRIM_400000_NS6detail17trampoline_kernelINS0_14default_configENS1_20scan_config_selectorIN3c104HalfEEEZZNS1_9scan_implILNS1_25lookback_scan_determinismE0ELb0ELb0ES3_PKS6_PS6_S6_ZZZN2at6native31launch_logcumsumexp_cuda_kernelERKNSD_10TensorBaseESH_lENKUlvE_clEvENKUlvE3_clEvEUlS6_S6_E_S6_EEDaPvRmT3_T4_T5_mT6_P12ihipStream_tbENKUlT_T0_E_clISt17integral_constantIbLb0EESY_EEDaST_SU_EUlST_E0_NS1_11comp_targetILNS1_3genE9ELNS1_11target_archE1100ELNS1_3gpuE3ELNS1_3repE0EEENS1_30default_config_static_selectorELNS0_4arch9wavefront6targetE0EEEvT1_
		.amdhsa_group_segment_fixed_size 0
		.amdhsa_private_segment_fixed_size 0
		.amdhsa_kernarg_size 32
		.amdhsa_user_sgpr_count 6
		.amdhsa_user_sgpr_private_segment_buffer 1
		.amdhsa_user_sgpr_dispatch_ptr 0
		.amdhsa_user_sgpr_queue_ptr 0
		.amdhsa_user_sgpr_kernarg_segment_ptr 1
		.amdhsa_user_sgpr_dispatch_id 0
		.amdhsa_user_sgpr_flat_scratch_init 0
		.amdhsa_user_sgpr_private_segment_size 0
		.amdhsa_wavefront_size32 1
		.amdhsa_uses_dynamic_stack 0
		.amdhsa_system_sgpr_private_segment_wavefront_offset 0
		.amdhsa_system_sgpr_workgroup_id_x 1
		.amdhsa_system_sgpr_workgroup_id_y 0
		.amdhsa_system_sgpr_workgroup_id_z 0
		.amdhsa_system_sgpr_workgroup_info 0
		.amdhsa_system_vgpr_workitem_id 0
		.amdhsa_next_free_vgpr 1
		.amdhsa_next_free_sgpr 1
		.amdhsa_reserve_vcc 0
		.amdhsa_reserve_flat_scratch 0
		.amdhsa_float_round_mode_32 0
		.amdhsa_float_round_mode_16_64 0
		.amdhsa_float_denorm_mode_32 3
		.amdhsa_float_denorm_mode_16_64 3
		.amdhsa_dx10_clamp 1
		.amdhsa_ieee_mode 1
		.amdhsa_fp16_overflow 0
		.amdhsa_workgroup_processor_mode 1
		.amdhsa_memory_ordered 1
		.amdhsa_forward_progress 1
		.amdhsa_shared_vgpr_count 0
		.amdhsa_exception_fp_ieee_invalid_op 0
		.amdhsa_exception_fp_denorm_src 0
		.amdhsa_exception_fp_ieee_div_zero 0
		.amdhsa_exception_fp_ieee_overflow 0
		.amdhsa_exception_fp_ieee_underflow 0
		.amdhsa_exception_fp_ieee_inexact 0
		.amdhsa_exception_int_div_zero 0
	.end_amdhsa_kernel
	.section	.text._ZN7rocprim17ROCPRIM_400000_NS6detail17trampoline_kernelINS0_14default_configENS1_20scan_config_selectorIN3c104HalfEEEZZNS1_9scan_implILNS1_25lookback_scan_determinismE0ELb0ELb0ES3_PKS6_PS6_S6_ZZZN2at6native31launch_logcumsumexp_cuda_kernelERKNSD_10TensorBaseESH_lENKUlvE_clEvENKUlvE3_clEvEUlS6_S6_E_S6_EEDaPvRmT3_T4_T5_mT6_P12ihipStream_tbENKUlT_T0_E_clISt17integral_constantIbLb0EESY_EEDaST_SU_EUlST_E0_NS1_11comp_targetILNS1_3genE9ELNS1_11target_archE1100ELNS1_3gpuE3ELNS1_3repE0EEENS1_30default_config_static_selectorELNS0_4arch9wavefront6targetE0EEEvT1_,"axG",@progbits,_ZN7rocprim17ROCPRIM_400000_NS6detail17trampoline_kernelINS0_14default_configENS1_20scan_config_selectorIN3c104HalfEEEZZNS1_9scan_implILNS1_25lookback_scan_determinismE0ELb0ELb0ES3_PKS6_PS6_S6_ZZZN2at6native31launch_logcumsumexp_cuda_kernelERKNSD_10TensorBaseESH_lENKUlvE_clEvENKUlvE3_clEvEUlS6_S6_E_S6_EEDaPvRmT3_T4_T5_mT6_P12ihipStream_tbENKUlT_T0_E_clISt17integral_constantIbLb0EESY_EEDaST_SU_EUlST_E0_NS1_11comp_targetILNS1_3genE9ELNS1_11target_archE1100ELNS1_3gpuE3ELNS1_3repE0EEENS1_30default_config_static_selectorELNS0_4arch9wavefront6targetE0EEEvT1_,comdat
.Lfunc_end375:
	.size	_ZN7rocprim17ROCPRIM_400000_NS6detail17trampoline_kernelINS0_14default_configENS1_20scan_config_selectorIN3c104HalfEEEZZNS1_9scan_implILNS1_25lookback_scan_determinismE0ELb0ELb0ES3_PKS6_PS6_S6_ZZZN2at6native31launch_logcumsumexp_cuda_kernelERKNSD_10TensorBaseESH_lENKUlvE_clEvENKUlvE3_clEvEUlS6_S6_E_S6_EEDaPvRmT3_T4_T5_mT6_P12ihipStream_tbENKUlT_T0_E_clISt17integral_constantIbLb0EESY_EEDaST_SU_EUlST_E0_NS1_11comp_targetILNS1_3genE9ELNS1_11target_archE1100ELNS1_3gpuE3ELNS1_3repE0EEENS1_30default_config_static_selectorELNS0_4arch9wavefront6targetE0EEEvT1_, .Lfunc_end375-_ZN7rocprim17ROCPRIM_400000_NS6detail17trampoline_kernelINS0_14default_configENS1_20scan_config_selectorIN3c104HalfEEEZZNS1_9scan_implILNS1_25lookback_scan_determinismE0ELb0ELb0ES3_PKS6_PS6_S6_ZZZN2at6native31launch_logcumsumexp_cuda_kernelERKNSD_10TensorBaseESH_lENKUlvE_clEvENKUlvE3_clEvEUlS6_S6_E_S6_EEDaPvRmT3_T4_T5_mT6_P12ihipStream_tbENKUlT_T0_E_clISt17integral_constantIbLb0EESY_EEDaST_SU_EUlST_E0_NS1_11comp_targetILNS1_3genE9ELNS1_11target_archE1100ELNS1_3gpuE3ELNS1_3repE0EEENS1_30default_config_static_selectorELNS0_4arch9wavefront6targetE0EEEvT1_
                                        ; -- End function
	.set _ZN7rocprim17ROCPRIM_400000_NS6detail17trampoline_kernelINS0_14default_configENS1_20scan_config_selectorIN3c104HalfEEEZZNS1_9scan_implILNS1_25lookback_scan_determinismE0ELb0ELb0ES3_PKS6_PS6_S6_ZZZN2at6native31launch_logcumsumexp_cuda_kernelERKNSD_10TensorBaseESH_lENKUlvE_clEvENKUlvE3_clEvEUlS6_S6_E_S6_EEDaPvRmT3_T4_T5_mT6_P12ihipStream_tbENKUlT_T0_E_clISt17integral_constantIbLb0EESY_EEDaST_SU_EUlST_E0_NS1_11comp_targetILNS1_3genE9ELNS1_11target_archE1100ELNS1_3gpuE3ELNS1_3repE0EEENS1_30default_config_static_selectorELNS0_4arch9wavefront6targetE0EEEvT1_.num_vgpr, 0
	.set _ZN7rocprim17ROCPRIM_400000_NS6detail17trampoline_kernelINS0_14default_configENS1_20scan_config_selectorIN3c104HalfEEEZZNS1_9scan_implILNS1_25lookback_scan_determinismE0ELb0ELb0ES3_PKS6_PS6_S6_ZZZN2at6native31launch_logcumsumexp_cuda_kernelERKNSD_10TensorBaseESH_lENKUlvE_clEvENKUlvE3_clEvEUlS6_S6_E_S6_EEDaPvRmT3_T4_T5_mT6_P12ihipStream_tbENKUlT_T0_E_clISt17integral_constantIbLb0EESY_EEDaST_SU_EUlST_E0_NS1_11comp_targetILNS1_3genE9ELNS1_11target_archE1100ELNS1_3gpuE3ELNS1_3repE0EEENS1_30default_config_static_selectorELNS0_4arch9wavefront6targetE0EEEvT1_.num_agpr, 0
	.set _ZN7rocprim17ROCPRIM_400000_NS6detail17trampoline_kernelINS0_14default_configENS1_20scan_config_selectorIN3c104HalfEEEZZNS1_9scan_implILNS1_25lookback_scan_determinismE0ELb0ELb0ES3_PKS6_PS6_S6_ZZZN2at6native31launch_logcumsumexp_cuda_kernelERKNSD_10TensorBaseESH_lENKUlvE_clEvENKUlvE3_clEvEUlS6_S6_E_S6_EEDaPvRmT3_T4_T5_mT6_P12ihipStream_tbENKUlT_T0_E_clISt17integral_constantIbLb0EESY_EEDaST_SU_EUlST_E0_NS1_11comp_targetILNS1_3genE9ELNS1_11target_archE1100ELNS1_3gpuE3ELNS1_3repE0EEENS1_30default_config_static_selectorELNS0_4arch9wavefront6targetE0EEEvT1_.numbered_sgpr, 0
	.set _ZN7rocprim17ROCPRIM_400000_NS6detail17trampoline_kernelINS0_14default_configENS1_20scan_config_selectorIN3c104HalfEEEZZNS1_9scan_implILNS1_25lookback_scan_determinismE0ELb0ELb0ES3_PKS6_PS6_S6_ZZZN2at6native31launch_logcumsumexp_cuda_kernelERKNSD_10TensorBaseESH_lENKUlvE_clEvENKUlvE3_clEvEUlS6_S6_E_S6_EEDaPvRmT3_T4_T5_mT6_P12ihipStream_tbENKUlT_T0_E_clISt17integral_constantIbLb0EESY_EEDaST_SU_EUlST_E0_NS1_11comp_targetILNS1_3genE9ELNS1_11target_archE1100ELNS1_3gpuE3ELNS1_3repE0EEENS1_30default_config_static_selectorELNS0_4arch9wavefront6targetE0EEEvT1_.num_named_barrier, 0
	.set _ZN7rocprim17ROCPRIM_400000_NS6detail17trampoline_kernelINS0_14default_configENS1_20scan_config_selectorIN3c104HalfEEEZZNS1_9scan_implILNS1_25lookback_scan_determinismE0ELb0ELb0ES3_PKS6_PS6_S6_ZZZN2at6native31launch_logcumsumexp_cuda_kernelERKNSD_10TensorBaseESH_lENKUlvE_clEvENKUlvE3_clEvEUlS6_S6_E_S6_EEDaPvRmT3_T4_T5_mT6_P12ihipStream_tbENKUlT_T0_E_clISt17integral_constantIbLb0EESY_EEDaST_SU_EUlST_E0_NS1_11comp_targetILNS1_3genE9ELNS1_11target_archE1100ELNS1_3gpuE3ELNS1_3repE0EEENS1_30default_config_static_selectorELNS0_4arch9wavefront6targetE0EEEvT1_.private_seg_size, 0
	.set _ZN7rocprim17ROCPRIM_400000_NS6detail17trampoline_kernelINS0_14default_configENS1_20scan_config_selectorIN3c104HalfEEEZZNS1_9scan_implILNS1_25lookback_scan_determinismE0ELb0ELb0ES3_PKS6_PS6_S6_ZZZN2at6native31launch_logcumsumexp_cuda_kernelERKNSD_10TensorBaseESH_lENKUlvE_clEvENKUlvE3_clEvEUlS6_S6_E_S6_EEDaPvRmT3_T4_T5_mT6_P12ihipStream_tbENKUlT_T0_E_clISt17integral_constantIbLb0EESY_EEDaST_SU_EUlST_E0_NS1_11comp_targetILNS1_3genE9ELNS1_11target_archE1100ELNS1_3gpuE3ELNS1_3repE0EEENS1_30default_config_static_selectorELNS0_4arch9wavefront6targetE0EEEvT1_.uses_vcc, 0
	.set _ZN7rocprim17ROCPRIM_400000_NS6detail17trampoline_kernelINS0_14default_configENS1_20scan_config_selectorIN3c104HalfEEEZZNS1_9scan_implILNS1_25lookback_scan_determinismE0ELb0ELb0ES3_PKS6_PS6_S6_ZZZN2at6native31launch_logcumsumexp_cuda_kernelERKNSD_10TensorBaseESH_lENKUlvE_clEvENKUlvE3_clEvEUlS6_S6_E_S6_EEDaPvRmT3_T4_T5_mT6_P12ihipStream_tbENKUlT_T0_E_clISt17integral_constantIbLb0EESY_EEDaST_SU_EUlST_E0_NS1_11comp_targetILNS1_3genE9ELNS1_11target_archE1100ELNS1_3gpuE3ELNS1_3repE0EEENS1_30default_config_static_selectorELNS0_4arch9wavefront6targetE0EEEvT1_.uses_flat_scratch, 0
	.set _ZN7rocprim17ROCPRIM_400000_NS6detail17trampoline_kernelINS0_14default_configENS1_20scan_config_selectorIN3c104HalfEEEZZNS1_9scan_implILNS1_25lookback_scan_determinismE0ELb0ELb0ES3_PKS6_PS6_S6_ZZZN2at6native31launch_logcumsumexp_cuda_kernelERKNSD_10TensorBaseESH_lENKUlvE_clEvENKUlvE3_clEvEUlS6_S6_E_S6_EEDaPvRmT3_T4_T5_mT6_P12ihipStream_tbENKUlT_T0_E_clISt17integral_constantIbLb0EESY_EEDaST_SU_EUlST_E0_NS1_11comp_targetILNS1_3genE9ELNS1_11target_archE1100ELNS1_3gpuE3ELNS1_3repE0EEENS1_30default_config_static_selectorELNS0_4arch9wavefront6targetE0EEEvT1_.has_dyn_sized_stack, 0
	.set _ZN7rocprim17ROCPRIM_400000_NS6detail17trampoline_kernelINS0_14default_configENS1_20scan_config_selectorIN3c104HalfEEEZZNS1_9scan_implILNS1_25lookback_scan_determinismE0ELb0ELb0ES3_PKS6_PS6_S6_ZZZN2at6native31launch_logcumsumexp_cuda_kernelERKNSD_10TensorBaseESH_lENKUlvE_clEvENKUlvE3_clEvEUlS6_S6_E_S6_EEDaPvRmT3_T4_T5_mT6_P12ihipStream_tbENKUlT_T0_E_clISt17integral_constantIbLb0EESY_EEDaST_SU_EUlST_E0_NS1_11comp_targetILNS1_3genE9ELNS1_11target_archE1100ELNS1_3gpuE3ELNS1_3repE0EEENS1_30default_config_static_selectorELNS0_4arch9wavefront6targetE0EEEvT1_.has_recursion, 0
	.set _ZN7rocprim17ROCPRIM_400000_NS6detail17trampoline_kernelINS0_14default_configENS1_20scan_config_selectorIN3c104HalfEEEZZNS1_9scan_implILNS1_25lookback_scan_determinismE0ELb0ELb0ES3_PKS6_PS6_S6_ZZZN2at6native31launch_logcumsumexp_cuda_kernelERKNSD_10TensorBaseESH_lENKUlvE_clEvENKUlvE3_clEvEUlS6_S6_E_S6_EEDaPvRmT3_T4_T5_mT6_P12ihipStream_tbENKUlT_T0_E_clISt17integral_constantIbLb0EESY_EEDaST_SU_EUlST_E0_NS1_11comp_targetILNS1_3genE9ELNS1_11target_archE1100ELNS1_3gpuE3ELNS1_3repE0EEENS1_30default_config_static_selectorELNS0_4arch9wavefront6targetE0EEEvT1_.has_indirect_call, 0
	.section	.AMDGPU.csdata,"",@progbits
; Kernel info:
; codeLenInByte = 0
; TotalNumSgprs: 0
; NumVgprs: 0
; ScratchSize: 0
; MemoryBound: 0
; FloatMode: 240
; IeeeMode: 1
; LDSByteSize: 0 bytes/workgroup (compile time only)
; SGPRBlocks: 0
; VGPRBlocks: 0
; NumSGPRsForWavesPerEU: 1
; NumVGPRsForWavesPerEU: 1
; Occupancy: 16
; WaveLimiterHint : 0
; COMPUTE_PGM_RSRC2:SCRATCH_EN: 0
; COMPUTE_PGM_RSRC2:USER_SGPR: 6
; COMPUTE_PGM_RSRC2:TRAP_HANDLER: 0
; COMPUTE_PGM_RSRC2:TGID_X_EN: 1
; COMPUTE_PGM_RSRC2:TGID_Y_EN: 0
; COMPUTE_PGM_RSRC2:TGID_Z_EN: 0
; COMPUTE_PGM_RSRC2:TIDIG_COMP_CNT: 0
	.section	.text._ZN7rocprim17ROCPRIM_400000_NS6detail17trampoline_kernelINS0_14default_configENS1_20scan_config_selectorIN3c104HalfEEEZZNS1_9scan_implILNS1_25lookback_scan_determinismE0ELb0ELb0ES3_PKS6_PS6_S6_ZZZN2at6native31launch_logcumsumexp_cuda_kernelERKNSD_10TensorBaseESH_lENKUlvE_clEvENKUlvE3_clEvEUlS6_S6_E_S6_EEDaPvRmT3_T4_T5_mT6_P12ihipStream_tbENKUlT_T0_E_clISt17integral_constantIbLb0EESY_EEDaST_SU_EUlST_E0_NS1_11comp_targetILNS1_3genE8ELNS1_11target_archE1030ELNS1_3gpuE2ELNS1_3repE0EEENS1_30default_config_static_selectorELNS0_4arch9wavefront6targetE0EEEvT1_,"axG",@progbits,_ZN7rocprim17ROCPRIM_400000_NS6detail17trampoline_kernelINS0_14default_configENS1_20scan_config_selectorIN3c104HalfEEEZZNS1_9scan_implILNS1_25lookback_scan_determinismE0ELb0ELb0ES3_PKS6_PS6_S6_ZZZN2at6native31launch_logcumsumexp_cuda_kernelERKNSD_10TensorBaseESH_lENKUlvE_clEvENKUlvE3_clEvEUlS6_S6_E_S6_EEDaPvRmT3_T4_T5_mT6_P12ihipStream_tbENKUlT_T0_E_clISt17integral_constantIbLb0EESY_EEDaST_SU_EUlST_E0_NS1_11comp_targetILNS1_3genE8ELNS1_11target_archE1030ELNS1_3gpuE2ELNS1_3repE0EEENS1_30default_config_static_selectorELNS0_4arch9wavefront6targetE0EEEvT1_,comdat
	.globl	_ZN7rocprim17ROCPRIM_400000_NS6detail17trampoline_kernelINS0_14default_configENS1_20scan_config_selectorIN3c104HalfEEEZZNS1_9scan_implILNS1_25lookback_scan_determinismE0ELb0ELb0ES3_PKS6_PS6_S6_ZZZN2at6native31launch_logcumsumexp_cuda_kernelERKNSD_10TensorBaseESH_lENKUlvE_clEvENKUlvE3_clEvEUlS6_S6_E_S6_EEDaPvRmT3_T4_T5_mT6_P12ihipStream_tbENKUlT_T0_E_clISt17integral_constantIbLb0EESY_EEDaST_SU_EUlST_E0_NS1_11comp_targetILNS1_3genE8ELNS1_11target_archE1030ELNS1_3gpuE2ELNS1_3repE0EEENS1_30default_config_static_selectorELNS0_4arch9wavefront6targetE0EEEvT1_ ; -- Begin function _ZN7rocprim17ROCPRIM_400000_NS6detail17trampoline_kernelINS0_14default_configENS1_20scan_config_selectorIN3c104HalfEEEZZNS1_9scan_implILNS1_25lookback_scan_determinismE0ELb0ELb0ES3_PKS6_PS6_S6_ZZZN2at6native31launch_logcumsumexp_cuda_kernelERKNSD_10TensorBaseESH_lENKUlvE_clEvENKUlvE3_clEvEUlS6_S6_E_S6_EEDaPvRmT3_T4_T5_mT6_P12ihipStream_tbENKUlT_T0_E_clISt17integral_constantIbLb0EESY_EEDaST_SU_EUlST_E0_NS1_11comp_targetILNS1_3genE8ELNS1_11target_archE1030ELNS1_3gpuE2ELNS1_3repE0EEENS1_30default_config_static_selectorELNS0_4arch9wavefront6targetE0EEEvT1_
	.p2align	8
	.type	_ZN7rocprim17ROCPRIM_400000_NS6detail17trampoline_kernelINS0_14default_configENS1_20scan_config_selectorIN3c104HalfEEEZZNS1_9scan_implILNS1_25lookback_scan_determinismE0ELb0ELb0ES3_PKS6_PS6_S6_ZZZN2at6native31launch_logcumsumexp_cuda_kernelERKNSD_10TensorBaseESH_lENKUlvE_clEvENKUlvE3_clEvEUlS6_S6_E_S6_EEDaPvRmT3_T4_T5_mT6_P12ihipStream_tbENKUlT_T0_E_clISt17integral_constantIbLb0EESY_EEDaST_SU_EUlST_E0_NS1_11comp_targetILNS1_3genE8ELNS1_11target_archE1030ELNS1_3gpuE2ELNS1_3repE0EEENS1_30default_config_static_selectorELNS0_4arch9wavefront6targetE0EEEvT1_,@function
_ZN7rocprim17ROCPRIM_400000_NS6detail17trampoline_kernelINS0_14default_configENS1_20scan_config_selectorIN3c104HalfEEEZZNS1_9scan_implILNS1_25lookback_scan_determinismE0ELb0ELb0ES3_PKS6_PS6_S6_ZZZN2at6native31launch_logcumsumexp_cuda_kernelERKNSD_10TensorBaseESH_lENKUlvE_clEvENKUlvE3_clEvEUlS6_S6_E_S6_EEDaPvRmT3_T4_T5_mT6_P12ihipStream_tbENKUlT_T0_E_clISt17integral_constantIbLb0EESY_EEDaST_SU_EUlST_E0_NS1_11comp_targetILNS1_3genE8ELNS1_11target_archE1030ELNS1_3gpuE2ELNS1_3repE0EEENS1_30default_config_static_selectorELNS0_4arch9wavefront6targetE0EEEvT1_: ; @_ZN7rocprim17ROCPRIM_400000_NS6detail17trampoline_kernelINS0_14default_configENS1_20scan_config_selectorIN3c104HalfEEEZZNS1_9scan_implILNS1_25lookback_scan_determinismE0ELb0ELb0ES3_PKS6_PS6_S6_ZZZN2at6native31launch_logcumsumexp_cuda_kernelERKNSD_10TensorBaseESH_lENKUlvE_clEvENKUlvE3_clEvEUlS6_S6_E_S6_EEDaPvRmT3_T4_T5_mT6_P12ihipStream_tbENKUlT_T0_E_clISt17integral_constantIbLb0EESY_EEDaST_SU_EUlST_E0_NS1_11comp_targetILNS1_3genE8ELNS1_11target_archE1030ELNS1_3gpuE2ELNS1_3repE0EEENS1_30default_config_static_selectorELNS0_4arch9wavefront6targetE0EEEvT1_
; %bb.0:
	s_load_dwordx4 s[16:19], s[4:5], 0x0
	v_mov_b32_e32 v1, 0
	v_lshlrev_b32_e32 v7, 1, v0
	s_waitcnt lgkmcnt(0)
	global_load_ushort v1, v1, s[16:17]
	v_cmp_gt_u32_e32 vcc_lo, s18, v0
	s_waitcnt vmcnt(0)
	v_mov_b32_e32 v2, v1
	s_and_saveexec_b32 s0, vcc_lo
	s_cbranch_execz .LBB376_2
; %bb.1:
	global_load_ushort v2, v7, s[16:17]
.LBB376_2:
	s_or_b32 exec_lo, exec_lo, s0
	v_or_b32_e32 v3, 64, v0
	v_cmp_gt_u32_e64 s0, s18, v3
	v_mov_b32_e32 v3, v1
	s_and_saveexec_b32 s1, s0
	s_cbranch_execz .LBB376_4
; %bb.3:
	global_load_ushort v3, v7, s[16:17] offset:128
.LBB376_4:
	s_or_b32 exec_lo, exec_lo, s1
	v_or_b32_e32 v4, 0x80, v0
	v_cmp_gt_u32_e64 s1, s18, v4
	v_mov_b32_e32 v4, v1
	s_and_saveexec_b32 s2, s1
	s_cbranch_execz .LBB376_6
; %bb.5:
	global_load_ushort v4, v7, s[16:17] offset:256
.LBB376_6:
	;; [unrolled: 9-line block ×10, first 2 shown]
	s_or_b32 exec_lo, exec_lo, s12
	v_or_b32_e32 v14, 0x2c0, v0
	v_cmp_gt_u32_e64 s12, s18, v14
	v_cmp_le_u32_e64 s13, s18, v14
	s_and_saveexec_b32 s14, s13
	s_xor_b32 s13, exec_lo, s14
	s_andn2_saveexec_b32 s13, s13
	s_cbranch_execz .LBB376_24
; %bb.23:
	v_lshlrev_b32_e32 v1, 1, v0
	global_load_ushort v1, v1, s[16:17] offset:1408
.LBB376_24:
	s_or_b32 exec_lo, exec_lo, s13
	s_waitcnt vmcnt(0)
	ds_write_b16 v7, v2
	ds_write_b16 v7, v3 offset:128
	ds_write_b16 v7, v4 offset:256
	;; [unrolled: 1-line block ×10, first 2 shown]
	v_mad_u32_u24 v5, v0, 22, v7
	ds_write_b16 v7, v1 offset:1408
	s_waitcnt lgkmcnt(0)
	s_barrier
	buffer_gl0_inv
	ds_read2_b64 v[1:4], v5 offset1:1
	ds_read_b64 v[5:6], v5 offset:16
	s_waitcnt lgkmcnt(0)
	s_barrier
	buffer_gl0_inv
	v_cvt_f32_f16_e32 v8, v1
	v_cvt_f32_f16_sdwa v9, v1 dst_sel:DWORD dst_unused:UNUSED_PAD src0_sel:WORD_1
	v_cmp_u_f16_e64 s24, v1, v1
	v_cmp_u_f16_sdwa s13, v1, v1 src0_sel:WORD_1 src1_sel:WORD_1
	v_mov_b32_e32 v19, v1
	v_mov_b32_e32 v20, v8
	v_min_f32_e32 v16, v8, v9
	v_max_f32_e32 v17, v8, v9
	v_mov_b32_e32 v18, v1
	v_cndmask_b32_e64 v10, v16, v8, s24
	v_cndmask_b32_e64 v12, v17, v8, s24
	;; [unrolled: 1-line block ×4, first 2 shown]
	v_cmp_class_f32_e64 s15, v11, 0x1f8
	v_cmp_neq_f32_e64 s14, v11, v10
	s_or_b32 s14, s14, s15
	s_and_saveexec_b32 s15, s14
	s_cbranch_execz .LBB376_26
; %bb.25:
	v_sub_f32_e32 v11, v11, v10
	v_mul_f32_e32 v12, 0x3fb8aa3b, v11
	v_cmp_ngt_f32_e64 s14, 0xc2ce8ed0, v11
	v_fma_f32 v13, 0x3fb8aa3b, v11, -v12
	v_rndne_f32_e32 v14, v12
	v_fmamk_f32 v13, v11, 0x32a5705f, v13
	v_sub_f32_e32 v12, v12, v14
	v_add_f32_e32 v12, v12, v13
	v_cvt_i32_f32_e32 v13, v14
	v_exp_f32_e32 v12, v12
	v_ldexp_f32 v12, v12, v13
	v_cndmask_b32_e64 v12, 0, v12, s14
	v_cmp_nlt_f32_e64 s14, 0x42b17218, v11
	v_cndmask_b32_e64 v13, 0x7f800000, v12, s14
	v_add_f32_e32 v14, 1.0, v13
	v_cvt_f64_f32_e32 v[11:12], v14
	v_frexp_exp_i32_f64_e32 v11, v[11:12]
	v_frexp_mant_f32_e32 v12, v14
	v_cmp_gt_f32_e64 s14, 0x3f2aaaab, v12
	v_add_f32_e32 v12, -1.0, v14
	v_sub_f32_e32 v18, v12, v14
	v_sub_f32_e32 v12, v13, v12
	v_add_f32_e32 v18, 1.0, v18
	v_add_f32_e32 v12, v12, v18
	v_subrev_co_ci_u32_e64 v11, null, 0, v11, s14
	s_mov_b32 s14, 0x3e9b6dac
	v_sub_nc_u32_e32 v15, 0, v11
	v_cvt_f32_i32_e32 v11, v11
	v_ldexp_f32 v14, v14, v15
	v_ldexp_f32 v12, v12, v15
	v_add_f32_e32 v19, 1.0, v14
	v_add_f32_e32 v15, -1.0, v14
	v_add_f32_e32 v18, -1.0, v19
	v_add_f32_e32 v20, 1.0, v15
	v_sub_f32_e32 v18, v14, v18
	v_sub_f32_e32 v14, v14, v20
	v_add_f32_e32 v18, v12, v18
	v_add_f32_e32 v12, v12, v14
	;; [unrolled: 1-line block ×4, first 2 shown]
	v_rcp_f32_e32 v14, v20
	v_sub_f32_e32 v19, v19, v20
	v_sub_f32_e32 v15, v15, v21
	v_add_f32_e32 v18, v18, v19
	v_add_f32_e32 v12, v12, v15
	v_mul_f32_e32 v22, v21, v14
	v_mul_f32_e32 v23, v20, v22
	v_fma_f32 v19, v22, v20, -v23
	v_fmac_f32_e32 v19, v22, v18
	v_add_f32_e32 v24, v23, v19
	v_sub_f32_e32 v25, v21, v24
	v_sub_f32_e32 v15, v24, v23
	;; [unrolled: 1-line block ×5, first 2 shown]
	v_add_f32_e32 v12, v12, v21
	v_add_f32_e32 v12, v15, v12
	;; [unrolled: 1-line block ×3, first 2 shown]
	v_mul_f32_e32 v19, v14, v15
	v_sub_f32_e32 v24, v25, v15
	v_mul_f32_e32 v21, v20, v19
	v_add_f32_e32 v12, v12, v24
	v_fma_f32 v20, v19, v20, -v21
	v_fmac_f32_e32 v20, v19, v18
	v_add_f32_e32 v18, v21, v20
	v_sub_f32_e32 v23, v15, v18
	v_sub_f32_e32 v21, v18, v21
	v_sub_f32_e32 v15, v15, v23
	v_sub_f32_e32 v15, v15, v18
	v_sub_f32_e32 v18, v21, v20
	v_add_f32_e32 v12, v12, v15
	v_add_f32_e32 v15, v22, v19
	;; [unrolled: 1-line block ×3, first 2 shown]
	v_sub_f32_e32 v18, v15, v22
	v_add_f32_e32 v12, v23, v12
	v_sub_f32_e32 v18, v19, v18
	v_mul_f32_e32 v12, v14, v12
	v_add_f32_e32 v12, v18, v12
	v_add_f32_e32 v14, v15, v12
	v_mul_f32_e32 v18, v14, v14
	v_fmaak_f32 v19, s14, v18, 0x3ecc95a3
	v_mul_f32_e32 v20, v14, v18
	v_cmp_neq_f32_e64 s14, 0x7f800000, v13
	v_fmaak_f32 v18, v18, v19, 0x3f2aaada
	v_ldexp_f32 v19, v14, 1
	v_sub_f32_e32 v14, v14, v15
	v_mul_f32_e32 v18, v20, v18
	v_mul_f32_e32 v20, 0x3f317218, v11
	v_sub_f32_e32 v12, v12, v14
	v_add_f32_e32 v15, v19, v18
	v_ldexp_f32 v12, v12, 1
	v_sub_f32_e32 v14, v15, v19
	v_fma_f32 v19, 0x3f317218, v11, -v20
	v_sub_f32_e32 v14, v18, v14
	v_fmamk_f32 v11, v11, 0xb102e308, v19
	v_add_f32_e32 v12, v12, v14
	v_add_f32_e32 v14, v20, v11
	;; [unrolled: 1-line block ×3, first 2 shown]
	v_sub_f32_e32 v20, v14, v20
	v_add_f32_e32 v19, v14, v18
	v_sub_f32_e32 v15, v18, v15
	v_sub_f32_e32 v11, v11, v20
	;; [unrolled: 1-line block ×6, first 2 shown]
	v_add_f32_e32 v18, v11, v12
	v_sub_f32_e32 v14, v14, v22
	v_add_f32_e32 v14, v15, v14
	v_sub_f32_e32 v15, v18, v11
	v_add_f32_e32 v14, v18, v14
	v_sub_f32_e32 v18, v18, v15
	v_sub_f32_e32 v12, v12, v15
	v_add_f32_e32 v20, v19, v14
	v_sub_f32_e32 v11, v11, v18
	v_sub_f32_e32 v15, v20, v19
	v_add_f32_e32 v11, v12, v11
	v_sub_f32_e32 v12, v14, v15
	v_add_f32_e32 v11, v11, v12
	v_add_f32_e32 v11, v20, v11
	v_cndmask_b32_e64 v11, 0x7f800000, v11, s14
	v_cmp_gt_f32_e64 s14, 0x33800000, |v13|
	v_cndmask_b32_e64 v11, v11, v13, s14
	v_add_f32_e32 v10, v10, v11
	v_cvt_f16_f32_e32 v19, v10
	v_cvt_f32_f16_e32 v20, v19
	v_mov_b32_e32 v18, v19
.LBB376_26:
	s_or_b32 exec_lo, exec_lo, s15
	v_cvt_f32_f16_e32 v10, v2
	v_max_f32_e32 v11, v20, v20
	v_cmp_u_f16_e64 s14, v19, v19
	v_min_f32_e32 v12, v11, v10
	v_max_f32_e32 v11, v11, v10
	v_cndmask_b32_e64 v12, v12, v20, s14
	v_cndmask_b32_e64 v11, v11, v20, s14
	v_cmp_u_f16_e64 s14, v2, v2
	v_cndmask_b32_e64 v12, v12, v10, s14
	v_cndmask_b32_e64 v11, v11, v10, s14
	v_cmp_class_f32_e64 s16, v12, 0x1f8
	v_cmp_neq_f32_e64 s15, v12, v11
	s_or_b32 s15, s15, s16
	s_and_saveexec_b32 s16, s15
	s_cbranch_execz .LBB376_28
; %bb.27:
	v_sub_f32_e32 v12, v12, v11
	v_mul_f32_e32 v13, 0x3fb8aa3b, v12
	v_cmp_ngt_f32_e64 s15, 0xc2ce8ed0, v12
	v_fma_f32 v14, 0x3fb8aa3b, v12, -v13
	v_rndne_f32_e32 v15, v13
	v_fmamk_f32 v14, v12, 0x32a5705f, v14
	v_sub_f32_e32 v13, v13, v15
	v_add_f32_e32 v13, v13, v14
	v_cvt_i32_f32_e32 v14, v15
	v_exp_f32_e32 v13, v13
	v_ldexp_f32 v13, v13, v14
	v_cndmask_b32_e64 v13, 0, v13, s15
	v_cmp_nlt_f32_e64 s15, 0x42b17218, v12
	v_cndmask_b32_e64 v14, 0x7f800000, v13, s15
	v_add_f32_e32 v15, 1.0, v14
	v_cvt_f64_f32_e32 v[12:13], v15
	v_frexp_exp_i32_f64_e32 v12, v[12:13]
	v_frexp_mant_f32_e32 v13, v15
	v_cmp_gt_f32_e64 s15, 0x3f2aaaab, v13
	v_add_f32_e32 v13, -1.0, v15
	v_sub_f32_e32 v19, v13, v15
	v_sub_f32_e32 v13, v14, v13
	v_add_f32_e32 v19, 1.0, v19
	v_add_f32_e32 v13, v13, v19
	v_subrev_co_ci_u32_e64 v12, null, 0, v12, s15
	s_mov_b32 s15, 0x3e9b6dac
	v_sub_nc_u32_e32 v18, 0, v12
	v_cvt_f32_i32_e32 v12, v12
	v_ldexp_f32 v15, v15, v18
	v_ldexp_f32 v13, v13, v18
	v_add_f32_e32 v20, 1.0, v15
	v_add_f32_e32 v18, -1.0, v15
	v_add_f32_e32 v19, -1.0, v20
	v_add_f32_e32 v21, 1.0, v18
	v_sub_f32_e32 v19, v15, v19
	v_sub_f32_e32 v15, v15, v21
	v_add_f32_e32 v19, v13, v19
	v_add_f32_e32 v13, v13, v15
	;; [unrolled: 1-line block ×4, first 2 shown]
	v_rcp_f32_e32 v15, v21
	v_sub_f32_e32 v20, v20, v21
	v_sub_f32_e32 v18, v18, v22
	v_add_f32_e32 v19, v19, v20
	v_add_f32_e32 v13, v13, v18
	v_mul_f32_e32 v23, v22, v15
	v_mul_f32_e32 v24, v21, v23
	v_fma_f32 v20, v23, v21, -v24
	v_fmac_f32_e32 v20, v23, v19
	v_add_f32_e32 v25, v24, v20
	v_sub_f32_e32 v26, v22, v25
	v_sub_f32_e32 v18, v25, v24
	;; [unrolled: 1-line block ×5, first 2 shown]
	v_add_f32_e32 v13, v13, v22
	v_add_f32_e32 v13, v18, v13
	;; [unrolled: 1-line block ×3, first 2 shown]
	v_mul_f32_e32 v20, v15, v18
	v_sub_f32_e32 v25, v26, v18
	v_mul_f32_e32 v22, v21, v20
	v_add_f32_e32 v13, v13, v25
	v_fma_f32 v21, v20, v21, -v22
	v_fmac_f32_e32 v21, v20, v19
	v_add_f32_e32 v19, v22, v21
	v_sub_f32_e32 v24, v18, v19
	v_sub_f32_e32 v22, v19, v22
	;; [unrolled: 1-line block ×5, first 2 shown]
	v_add_f32_e32 v13, v13, v18
	v_add_f32_e32 v18, v23, v20
	;; [unrolled: 1-line block ×3, first 2 shown]
	v_sub_f32_e32 v19, v18, v23
	v_add_f32_e32 v13, v24, v13
	v_sub_f32_e32 v19, v20, v19
	v_mul_f32_e32 v13, v15, v13
	v_add_f32_e32 v13, v19, v13
	v_add_f32_e32 v15, v18, v13
	v_mul_f32_e32 v19, v15, v15
	v_fmaak_f32 v20, s15, v19, 0x3ecc95a3
	v_mul_f32_e32 v21, v15, v19
	v_cmp_neq_f32_e64 s15, 0x7f800000, v14
	v_fmaak_f32 v19, v19, v20, 0x3f2aaada
	v_ldexp_f32 v20, v15, 1
	v_sub_f32_e32 v15, v15, v18
	v_mul_f32_e32 v19, v21, v19
	v_mul_f32_e32 v21, 0x3f317218, v12
	v_sub_f32_e32 v13, v13, v15
	v_add_f32_e32 v18, v20, v19
	v_ldexp_f32 v13, v13, 1
	v_sub_f32_e32 v15, v18, v20
	v_fma_f32 v20, 0x3f317218, v12, -v21
	v_sub_f32_e32 v15, v19, v15
	v_fmamk_f32 v12, v12, 0xb102e308, v20
	v_add_f32_e32 v13, v13, v15
	v_add_f32_e32 v15, v21, v12
	;; [unrolled: 1-line block ×3, first 2 shown]
	v_sub_f32_e32 v21, v15, v21
	v_add_f32_e32 v20, v15, v19
	v_sub_f32_e32 v18, v19, v18
	v_sub_f32_e32 v12, v12, v21
	;; [unrolled: 1-line block ×6, first 2 shown]
	v_add_f32_e32 v19, v12, v13
	v_sub_f32_e32 v15, v15, v23
	v_add_f32_e32 v15, v18, v15
	v_sub_f32_e32 v18, v19, v12
	;; [unrolled: 2-line block ×3, first 2 shown]
	v_sub_f32_e32 v13, v13, v18
	v_add_f32_e32 v21, v20, v15
	v_sub_f32_e32 v12, v12, v19
	v_sub_f32_e32 v18, v21, v20
	v_add_f32_e32 v12, v13, v12
	v_sub_f32_e32 v13, v15, v18
	v_add_f32_e32 v12, v12, v13
	v_add_f32_e32 v12, v21, v12
	v_cndmask_b32_e64 v12, 0x7f800000, v12, s15
	v_cmp_gt_f32_e64 s15, 0x33800000, |v14|
	v_cndmask_b32_e64 v12, v12, v14, s15
	v_add_f32_e32 v11, v11, v12
	v_cvt_f16_f32_e32 v19, v11
	v_cvt_f32_f16_e32 v20, v19
	v_mov_b32_e32 v18, v19
.LBB376_28:
	s_or_b32 exec_lo, exec_lo, s16
	v_cvt_f32_f16_sdwa v11, v2 dst_sel:DWORD dst_unused:UNUSED_PAD src0_sel:WORD_1
	v_max_f32_e32 v12, v20, v20
	v_cmp_u_f16_e64 s15, v19, v19
	v_min_f32_e32 v13, v12, v11
	v_max_f32_e32 v12, v12, v11
	v_cndmask_b32_e64 v13, v13, v20, s15
	v_cndmask_b32_e64 v14, v12, v20, s15
	v_cmp_u_f16_sdwa s15, v2, v2 src0_sel:WORD_1 src1_sel:WORD_1
	v_cndmask_b32_e64 v12, v13, v11, s15
	v_cndmask_b32_e64 v2, v14, v11, s15
	v_cmp_class_f32_e64 s17, v12, 0x1f8
	v_cmp_neq_f32_e64 s16, v12, v2
	s_or_b32 s16, s16, s17
	s_and_saveexec_b32 s17, s16
	s_cbranch_execz .LBB376_30
; %bb.29:
	v_sub_f32_e32 v12, v12, v2
	v_mul_f32_e32 v13, 0x3fb8aa3b, v12
	v_cmp_ngt_f32_e64 s16, 0xc2ce8ed0, v12
	v_fma_f32 v14, 0x3fb8aa3b, v12, -v13
	v_rndne_f32_e32 v15, v13
	v_fmamk_f32 v14, v12, 0x32a5705f, v14
	v_sub_f32_e32 v13, v13, v15
	v_add_f32_e32 v13, v13, v14
	v_cvt_i32_f32_e32 v14, v15
	v_exp_f32_e32 v13, v13
	v_ldexp_f32 v13, v13, v14
	v_cndmask_b32_e64 v13, 0, v13, s16
	v_cmp_nlt_f32_e64 s16, 0x42b17218, v12
	v_cndmask_b32_e64 v14, 0x7f800000, v13, s16
	v_add_f32_e32 v15, 1.0, v14
	v_cvt_f64_f32_e32 v[12:13], v15
	v_frexp_exp_i32_f64_e32 v12, v[12:13]
	v_frexp_mant_f32_e32 v13, v15
	v_cmp_gt_f32_e64 s16, 0x3f2aaaab, v13
	v_add_f32_e32 v13, -1.0, v15
	v_sub_f32_e32 v19, v13, v15
	v_sub_f32_e32 v13, v14, v13
	v_add_f32_e32 v19, 1.0, v19
	v_add_f32_e32 v13, v13, v19
	v_subrev_co_ci_u32_e64 v12, null, 0, v12, s16
	s_mov_b32 s16, 0x3e9b6dac
	v_sub_nc_u32_e32 v18, 0, v12
	v_cvt_f32_i32_e32 v12, v12
	v_ldexp_f32 v15, v15, v18
	v_ldexp_f32 v13, v13, v18
	v_add_f32_e32 v20, 1.0, v15
	v_add_f32_e32 v18, -1.0, v15
	v_add_f32_e32 v19, -1.0, v20
	v_add_f32_e32 v21, 1.0, v18
	v_sub_f32_e32 v19, v15, v19
	v_sub_f32_e32 v15, v15, v21
	v_add_f32_e32 v19, v13, v19
	v_add_f32_e32 v13, v13, v15
	;; [unrolled: 1-line block ×4, first 2 shown]
	v_rcp_f32_e32 v15, v21
	v_sub_f32_e32 v20, v20, v21
	v_sub_f32_e32 v18, v18, v22
	v_add_f32_e32 v19, v19, v20
	v_add_f32_e32 v13, v13, v18
	v_mul_f32_e32 v23, v22, v15
	v_mul_f32_e32 v24, v21, v23
	v_fma_f32 v20, v23, v21, -v24
	v_fmac_f32_e32 v20, v23, v19
	v_add_f32_e32 v25, v24, v20
	v_sub_f32_e32 v26, v22, v25
	v_sub_f32_e32 v18, v25, v24
	;; [unrolled: 1-line block ×5, first 2 shown]
	v_add_f32_e32 v13, v13, v22
	v_add_f32_e32 v13, v18, v13
	;; [unrolled: 1-line block ×3, first 2 shown]
	v_mul_f32_e32 v20, v15, v18
	v_sub_f32_e32 v25, v26, v18
	v_mul_f32_e32 v22, v21, v20
	v_add_f32_e32 v13, v13, v25
	v_fma_f32 v21, v20, v21, -v22
	v_fmac_f32_e32 v21, v20, v19
	v_add_f32_e32 v19, v22, v21
	v_sub_f32_e32 v24, v18, v19
	v_sub_f32_e32 v22, v19, v22
	;; [unrolled: 1-line block ×5, first 2 shown]
	v_add_f32_e32 v13, v13, v18
	v_add_f32_e32 v18, v23, v20
	;; [unrolled: 1-line block ×3, first 2 shown]
	v_sub_f32_e32 v19, v18, v23
	v_add_f32_e32 v13, v24, v13
	v_sub_f32_e32 v19, v20, v19
	v_mul_f32_e32 v13, v15, v13
	v_add_f32_e32 v13, v19, v13
	v_add_f32_e32 v15, v18, v13
	v_mul_f32_e32 v19, v15, v15
	v_fmaak_f32 v20, s16, v19, 0x3ecc95a3
	v_mul_f32_e32 v21, v15, v19
	v_cmp_neq_f32_e64 s16, 0x7f800000, v14
	v_fmaak_f32 v19, v19, v20, 0x3f2aaada
	v_ldexp_f32 v20, v15, 1
	v_sub_f32_e32 v15, v15, v18
	v_mul_f32_e32 v19, v21, v19
	v_mul_f32_e32 v21, 0x3f317218, v12
	v_sub_f32_e32 v13, v13, v15
	v_add_f32_e32 v18, v20, v19
	v_ldexp_f32 v13, v13, 1
	v_sub_f32_e32 v15, v18, v20
	v_fma_f32 v20, 0x3f317218, v12, -v21
	v_sub_f32_e32 v15, v19, v15
	v_fmamk_f32 v12, v12, 0xb102e308, v20
	v_add_f32_e32 v13, v13, v15
	v_add_f32_e32 v15, v21, v12
	;; [unrolled: 1-line block ×3, first 2 shown]
	v_sub_f32_e32 v21, v15, v21
	v_add_f32_e32 v20, v15, v19
	v_sub_f32_e32 v18, v19, v18
	v_sub_f32_e32 v12, v12, v21
	;; [unrolled: 1-line block ×6, first 2 shown]
	v_add_f32_e32 v19, v12, v13
	v_sub_f32_e32 v15, v15, v23
	v_add_f32_e32 v15, v18, v15
	v_sub_f32_e32 v18, v19, v12
	;; [unrolled: 2-line block ×3, first 2 shown]
	v_sub_f32_e32 v13, v13, v18
	v_add_f32_e32 v21, v20, v15
	v_sub_f32_e32 v12, v12, v19
	v_sub_f32_e32 v18, v21, v20
	v_add_f32_e32 v12, v13, v12
	v_sub_f32_e32 v13, v15, v18
	v_add_f32_e32 v12, v12, v13
	v_add_f32_e32 v12, v21, v12
	v_cndmask_b32_e64 v12, 0x7f800000, v12, s16
	v_cmp_gt_f32_e64 s16, 0x33800000, |v14|
	v_cndmask_b32_e64 v12, v12, v14, s16
	v_add_f32_e32 v2, v2, v12
	v_cvt_f16_f32_e32 v19, v2
	v_cvt_f32_f16_e32 v20, v19
	v_mov_b32_e32 v18, v19
.LBB376_30:
	s_or_b32 exec_lo, exec_lo, s17
	v_cvt_f32_f16_e32 v2, v3
	v_max_f32_e32 v12, v20, v20
	v_cmp_u_f16_e64 s16, v19, v19
	v_min_f32_e32 v13, v12, v2
	v_max_f32_e32 v12, v12, v2
	v_cndmask_b32_e64 v13, v13, v20, s16
	v_cndmask_b32_e64 v12, v12, v20, s16
	v_cmp_u_f16_e64 s16, v3, v3
	v_cndmask_b32_e64 v13, v13, v2, s16
	v_cndmask_b32_e64 v12, v12, v2, s16
	v_cmp_class_f32_e64 s18, v13, 0x1f8
	v_cmp_neq_f32_e64 s17, v13, v12
	s_or_b32 s17, s17, s18
	s_and_saveexec_b32 s18, s17
	s_cbranch_execz .LBB376_32
; %bb.31:
	v_sub_f32_e32 v13, v13, v12
	v_mul_f32_e32 v14, 0x3fb8aa3b, v13
	v_cmp_ngt_f32_e64 s17, 0xc2ce8ed0, v13
	v_fma_f32 v15, 0x3fb8aa3b, v13, -v14
	v_rndne_f32_e32 v18, v14
	v_fmamk_f32 v15, v13, 0x32a5705f, v15
	v_sub_f32_e32 v14, v14, v18
	v_add_f32_e32 v14, v14, v15
	v_cvt_i32_f32_e32 v15, v18
	v_exp_f32_e32 v14, v14
	v_ldexp_f32 v14, v14, v15
	v_cndmask_b32_e64 v14, 0, v14, s17
	v_cmp_nlt_f32_e64 s17, 0x42b17218, v13
	v_cndmask_b32_e64 v15, 0x7f800000, v14, s17
	v_add_f32_e32 v18, 1.0, v15
	v_cvt_f64_f32_e32 v[13:14], v18
	v_frexp_exp_i32_f64_e32 v13, v[13:14]
	v_frexp_mant_f32_e32 v14, v18
	v_cmp_gt_f32_e64 s17, 0x3f2aaaab, v14
	v_add_f32_e32 v14, -1.0, v18
	v_sub_f32_e32 v20, v14, v18
	v_sub_f32_e32 v14, v15, v14
	v_add_f32_e32 v20, 1.0, v20
	v_add_f32_e32 v14, v14, v20
	v_subrev_co_ci_u32_e64 v13, null, 0, v13, s17
	s_mov_b32 s17, 0x3e9b6dac
	v_sub_nc_u32_e32 v19, 0, v13
	v_cvt_f32_i32_e32 v13, v13
	v_ldexp_f32 v18, v18, v19
	v_ldexp_f32 v14, v14, v19
	v_add_f32_e32 v21, 1.0, v18
	v_add_f32_e32 v19, -1.0, v18
	v_add_f32_e32 v20, -1.0, v21
	v_add_f32_e32 v22, 1.0, v19
	v_sub_f32_e32 v20, v18, v20
	v_sub_f32_e32 v18, v18, v22
	v_add_f32_e32 v20, v14, v20
	v_add_f32_e32 v14, v14, v18
	;; [unrolled: 1-line block ×4, first 2 shown]
	v_rcp_f32_e32 v18, v22
	v_sub_f32_e32 v21, v21, v22
	v_sub_f32_e32 v19, v19, v23
	v_add_f32_e32 v20, v20, v21
	v_add_f32_e32 v14, v14, v19
	v_mul_f32_e32 v24, v23, v18
	v_mul_f32_e32 v25, v22, v24
	v_fma_f32 v21, v24, v22, -v25
	v_fmac_f32_e32 v21, v24, v20
	v_add_f32_e32 v26, v25, v21
	v_sub_f32_e32 v27, v23, v26
	v_sub_f32_e32 v19, v26, v25
	;; [unrolled: 1-line block ×5, first 2 shown]
	v_add_f32_e32 v14, v14, v23
	v_add_f32_e32 v14, v19, v14
	;; [unrolled: 1-line block ×3, first 2 shown]
	v_mul_f32_e32 v21, v18, v19
	v_sub_f32_e32 v26, v27, v19
	v_mul_f32_e32 v23, v22, v21
	v_add_f32_e32 v14, v14, v26
	v_fma_f32 v22, v21, v22, -v23
	v_fmac_f32_e32 v22, v21, v20
	v_add_f32_e32 v20, v23, v22
	v_sub_f32_e32 v25, v19, v20
	v_sub_f32_e32 v23, v20, v23
	;; [unrolled: 1-line block ×5, first 2 shown]
	v_add_f32_e32 v14, v14, v19
	v_add_f32_e32 v19, v24, v21
	v_add_f32_e32 v14, v20, v14
	v_sub_f32_e32 v20, v19, v24
	v_add_f32_e32 v14, v25, v14
	v_sub_f32_e32 v20, v21, v20
	v_mul_f32_e32 v14, v18, v14
	v_add_f32_e32 v14, v20, v14
	v_add_f32_e32 v18, v19, v14
	v_mul_f32_e32 v20, v18, v18
	v_fmaak_f32 v21, s17, v20, 0x3ecc95a3
	v_mul_f32_e32 v22, v18, v20
	v_cmp_neq_f32_e64 s17, 0x7f800000, v15
	v_fmaak_f32 v20, v20, v21, 0x3f2aaada
	v_ldexp_f32 v21, v18, 1
	v_sub_f32_e32 v18, v18, v19
	v_mul_f32_e32 v20, v22, v20
	v_mul_f32_e32 v22, 0x3f317218, v13
	v_sub_f32_e32 v14, v14, v18
	v_add_f32_e32 v19, v21, v20
	v_ldexp_f32 v14, v14, 1
	v_sub_f32_e32 v18, v19, v21
	v_fma_f32 v21, 0x3f317218, v13, -v22
	v_sub_f32_e32 v18, v20, v18
	v_fmamk_f32 v13, v13, 0xb102e308, v21
	v_add_f32_e32 v14, v14, v18
	v_add_f32_e32 v18, v22, v13
	;; [unrolled: 1-line block ×3, first 2 shown]
	v_sub_f32_e32 v22, v18, v22
	v_add_f32_e32 v21, v18, v20
	v_sub_f32_e32 v19, v20, v19
	v_sub_f32_e32 v13, v13, v22
	;; [unrolled: 1-line block ×6, first 2 shown]
	v_add_f32_e32 v20, v13, v14
	v_sub_f32_e32 v18, v18, v24
	v_add_f32_e32 v18, v19, v18
	v_sub_f32_e32 v19, v20, v13
	;; [unrolled: 2-line block ×3, first 2 shown]
	v_sub_f32_e32 v14, v14, v19
	v_add_f32_e32 v22, v21, v18
	v_sub_f32_e32 v13, v13, v20
	v_sub_f32_e32 v19, v22, v21
	v_add_f32_e32 v13, v14, v13
	v_sub_f32_e32 v14, v18, v19
	v_add_f32_e32 v13, v13, v14
	v_add_f32_e32 v13, v22, v13
	v_cndmask_b32_e64 v13, 0x7f800000, v13, s17
	v_cmp_gt_f32_e64 s17, 0x33800000, |v15|
	v_cndmask_b32_e64 v13, v13, v15, s17
	v_add_f32_e32 v12, v12, v13
	v_cvt_f16_f32_e32 v19, v12
	v_cvt_f32_f16_e32 v20, v19
	v_mov_b32_e32 v18, v19
.LBB376_32:
	s_or_b32 exec_lo, exec_lo, s18
	v_cvt_f32_f16_sdwa v12, v3 dst_sel:DWORD dst_unused:UNUSED_PAD src0_sel:WORD_1
	v_max_f32_e32 v13, v20, v20
	v_cmp_u_f16_e64 s17, v19, v19
	v_min_f32_e32 v14, v13, v12
	v_max_f32_e32 v13, v13, v12
	v_cndmask_b32_e64 v14, v14, v20, s17
	v_cndmask_b32_e64 v15, v13, v20, s17
	v_cmp_u_f16_sdwa s17, v3, v3 src0_sel:WORD_1 src1_sel:WORD_1
	v_cndmask_b32_e64 v13, v14, v12, s17
	v_cndmask_b32_e64 v3, v15, v12, s17
	v_cmp_class_f32_e64 s19, v13, 0x1f8
	v_cmp_neq_f32_e64 s18, v13, v3
	s_or_b32 s18, s18, s19
	s_and_saveexec_b32 s19, s18
	s_cbranch_execz .LBB376_34
; %bb.33:
	v_sub_f32_e32 v13, v13, v3
	v_mul_f32_e32 v14, 0x3fb8aa3b, v13
	v_cmp_ngt_f32_e64 s18, 0xc2ce8ed0, v13
	v_fma_f32 v15, 0x3fb8aa3b, v13, -v14
	v_rndne_f32_e32 v18, v14
	v_fmamk_f32 v15, v13, 0x32a5705f, v15
	v_sub_f32_e32 v14, v14, v18
	v_add_f32_e32 v14, v14, v15
	v_cvt_i32_f32_e32 v15, v18
	v_exp_f32_e32 v14, v14
	v_ldexp_f32 v14, v14, v15
	v_cndmask_b32_e64 v14, 0, v14, s18
	v_cmp_nlt_f32_e64 s18, 0x42b17218, v13
	v_cndmask_b32_e64 v15, 0x7f800000, v14, s18
	v_add_f32_e32 v18, 1.0, v15
	v_cvt_f64_f32_e32 v[13:14], v18
	v_frexp_exp_i32_f64_e32 v13, v[13:14]
	v_frexp_mant_f32_e32 v14, v18
	v_cmp_gt_f32_e64 s18, 0x3f2aaaab, v14
	v_add_f32_e32 v14, -1.0, v18
	v_sub_f32_e32 v20, v14, v18
	v_sub_f32_e32 v14, v15, v14
	v_add_f32_e32 v20, 1.0, v20
	v_add_f32_e32 v14, v14, v20
	v_subrev_co_ci_u32_e64 v13, null, 0, v13, s18
	s_mov_b32 s18, 0x3e9b6dac
	v_sub_nc_u32_e32 v19, 0, v13
	v_cvt_f32_i32_e32 v13, v13
	v_ldexp_f32 v18, v18, v19
	v_ldexp_f32 v14, v14, v19
	v_add_f32_e32 v21, 1.0, v18
	v_add_f32_e32 v19, -1.0, v18
	v_add_f32_e32 v20, -1.0, v21
	v_add_f32_e32 v22, 1.0, v19
	v_sub_f32_e32 v20, v18, v20
	v_sub_f32_e32 v18, v18, v22
	v_add_f32_e32 v20, v14, v20
	v_add_f32_e32 v14, v14, v18
	;; [unrolled: 1-line block ×4, first 2 shown]
	v_rcp_f32_e32 v18, v22
	v_sub_f32_e32 v21, v21, v22
	v_sub_f32_e32 v19, v19, v23
	v_add_f32_e32 v20, v20, v21
	v_add_f32_e32 v14, v14, v19
	v_mul_f32_e32 v24, v23, v18
	v_mul_f32_e32 v25, v22, v24
	v_fma_f32 v21, v24, v22, -v25
	v_fmac_f32_e32 v21, v24, v20
	v_add_f32_e32 v26, v25, v21
	v_sub_f32_e32 v27, v23, v26
	v_sub_f32_e32 v19, v26, v25
	;; [unrolled: 1-line block ×5, first 2 shown]
	v_add_f32_e32 v14, v14, v23
	v_add_f32_e32 v14, v19, v14
	v_add_f32_e32 v19, v27, v14
	v_mul_f32_e32 v21, v18, v19
	v_sub_f32_e32 v26, v27, v19
	v_mul_f32_e32 v23, v22, v21
	v_add_f32_e32 v14, v14, v26
	v_fma_f32 v22, v21, v22, -v23
	v_fmac_f32_e32 v22, v21, v20
	v_add_f32_e32 v20, v23, v22
	v_sub_f32_e32 v25, v19, v20
	v_sub_f32_e32 v23, v20, v23
	v_sub_f32_e32 v19, v19, v25
	v_sub_f32_e32 v19, v19, v20
	v_sub_f32_e32 v20, v23, v22
	v_add_f32_e32 v14, v14, v19
	v_add_f32_e32 v19, v24, v21
	;; [unrolled: 1-line block ×3, first 2 shown]
	v_sub_f32_e32 v20, v19, v24
	v_add_f32_e32 v14, v25, v14
	v_sub_f32_e32 v20, v21, v20
	v_mul_f32_e32 v14, v18, v14
	v_add_f32_e32 v14, v20, v14
	v_add_f32_e32 v18, v19, v14
	v_mul_f32_e32 v20, v18, v18
	v_fmaak_f32 v21, s18, v20, 0x3ecc95a3
	v_mul_f32_e32 v22, v18, v20
	v_cmp_neq_f32_e64 s18, 0x7f800000, v15
	v_fmaak_f32 v20, v20, v21, 0x3f2aaada
	v_ldexp_f32 v21, v18, 1
	v_sub_f32_e32 v18, v18, v19
	v_mul_f32_e32 v20, v22, v20
	v_mul_f32_e32 v22, 0x3f317218, v13
	v_sub_f32_e32 v14, v14, v18
	v_add_f32_e32 v19, v21, v20
	v_ldexp_f32 v14, v14, 1
	v_sub_f32_e32 v18, v19, v21
	v_fma_f32 v21, 0x3f317218, v13, -v22
	v_sub_f32_e32 v18, v20, v18
	v_fmamk_f32 v13, v13, 0xb102e308, v21
	v_add_f32_e32 v14, v14, v18
	v_add_f32_e32 v18, v22, v13
	;; [unrolled: 1-line block ×3, first 2 shown]
	v_sub_f32_e32 v22, v18, v22
	v_add_f32_e32 v21, v18, v20
	v_sub_f32_e32 v19, v20, v19
	v_sub_f32_e32 v13, v13, v22
	;; [unrolled: 1-line block ×6, first 2 shown]
	v_add_f32_e32 v20, v13, v14
	v_sub_f32_e32 v18, v18, v24
	v_add_f32_e32 v18, v19, v18
	v_sub_f32_e32 v19, v20, v13
	;; [unrolled: 2-line block ×3, first 2 shown]
	v_sub_f32_e32 v14, v14, v19
	v_add_f32_e32 v22, v21, v18
	v_sub_f32_e32 v13, v13, v20
	v_sub_f32_e32 v19, v22, v21
	v_add_f32_e32 v13, v14, v13
	v_sub_f32_e32 v14, v18, v19
	v_add_f32_e32 v13, v13, v14
	v_add_f32_e32 v13, v22, v13
	v_cndmask_b32_e64 v13, 0x7f800000, v13, s18
	v_cmp_gt_f32_e64 s18, 0x33800000, |v15|
	v_cndmask_b32_e64 v13, v13, v15, s18
	v_add_f32_e32 v3, v3, v13
	v_cvt_f16_f32_e32 v19, v3
	v_cvt_f32_f16_e32 v20, v19
	v_mov_b32_e32 v18, v19
.LBB376_34:
	s_or_b32 exec_lo, exec_lo, s19
	v_cvt_f32_f16_e32 v3, v4
	v_max_f32_e32 v13, v20, v20
	v_cmp_u_f16_e64 s18, v19, v19
	v_min_f32_e32 v14, v13, v3
	v_max_f32_e32 v13, v13, v3
	v_cndmask_b32_e64 v14, v14, v20, s18
	v_cndmask_b32_e64 v13, v13, v20, s18
	v_cmp_u_f16_e64 s18, v4, v4
	v_cndmask_b32_e64 v14, v14, v3, s18
	v_cndmask_b32_e64 v13, v13, v3, s18
	v_cmp_class_f32_e64 s20, v14, 0x1f8
	v_cmp_neq_f32_e64 s19, v14, v13
	s_or_b32 s19, s19, s20
	s_and_saveexec_b32 s20, s19
	s_cbranch_execz .LBB376_36
; %bb.35:
	v_sub_f32_e32 v14, v14, v13
	v_mul_f32_e32 v15, 0x3fb8aa3b, v14
	v_cmp_ngt_f32_e64 s19, 0xc2ce8ed0, v14
	v_fma_f32 v18, 0x3fb8aa3b, v14, -v15
	v_rndne_f32_e32 v19, v15
	v_fmamk_f32 v18, v14, 0x32a5705f, v18
	v_sub_f32_e32 v15, v15, v19
	v_add_f32_e32 v15, v15, v18
	v_cvt_i32_f32_e32 v18, v19
	v_exp_f32_e32 v15, v15
	v_ldexp_f32 v15, v15, v18
	v_cndmask_b32_e64 v15, 0, v15, s19
	v_cmp_nlt_f32_e64 s19, 0x42b17218, v14
	v_cndmask_b32_e64 v18, 0x7f800000, v15, s19
	v_add_f32_e32 v19, 1.0, v18
	v_cvt_f64_f32_e32 v[14:15], v19
	v_frexp_exp_i32_f64_e32 v14, v[14:15]
	v_frexp_mant_f32_e32 v15, v19
	v_cmp_gt_f32_e64 s19, 0x3f2aaaab, v15
	v_add_f32_e32 v15, -1.0, v19
	v_sub_f32_e32 v21, v15, v19
	v_sub_f32_e32 v15, v18, v15
	v_add_f32_e32 v21, 1.0, v21
	v_add_f32_e32 v15, v15, v21
	v_subrev_co_ci_u32_e64 v14, null, 0, v14, s19
	s_mov_b32 s19, 0x3e9b6dac
	v_sub_nc_u32_e32 v20, 0, v14
	v_cvt_f32_i32_e32 v14, v14
	v_ldexp_f32 v19, v19, v20
	v_ldexp_f32 v15, v15, v20
	v_add_f32_e32 v22, 1.0, v19
	v_add_f32_e32 v20, -1.0, v19
	v_add_f32_e32 v21, -1.0, v22
	v_add_f32_e32 v23, 1.0, v20
	v_sub_f32_e32 v21, v19, v21
	v_sub_f32_e32 v19, v19, v23
	v_add_f32_e32 v21, v15, v21
	v_add_f32_e32 v15, v15, v19
	;; [unrolled: 1-line block ×4, first 2 shown]
	v_rcp_f32_e32 v19, v23
	v_sub_f32_e32 v22, v22, v23
	v_sub_f32_e32 v20, v20, v24
	v_add_f32_e32 v21, v21, v22
	v_add_f32_e32 v15, v15, v20
	v_mul_f32_e32 v25, v24, v19
	v_mul_f32_e32 v26, v23, v25
	v_fma_f32 v22, v25, v23, -v26
	v_fmac_f32_e32 v22, v25, v21
	v_add_f32_e32 v27, v26, v22
	v_sub_f32_e32 v28, v24, v27
	v_sub_f32_e32 v20, v27, v26
	;; [unrolled: 1-line block ×5, first 2 shown]
	v_add_f32_e32 v15, v15, v24
	v_add_f32_e32 v15, v20, v15
	;; [unrolled: 1-line block ×3, first 2 shown]
	v_mul_f32_e32 v22, v19, v20
	v_sub_f32_e32 v27, v28, v20
	v_mul_f32_e32 v24, v23, v22
	v_add_f32_e32 v15, v15, v27
	v_fma_f32 v23, v22, v23, -v24
	v_fmac_f32_e32 v23, v22, v21
	v_add_f32_e32 v21, v24, v23
	v_sub_f32_e32 v26, v20, v21
	v_sub_f32_e32 v24, v21, v24
	;; [unrolled: 1-line block ×5, first 2 shown]
	v_add_f32_e32 v15, v15, v20
	v_add_f32_e32 v20, v25, v22
	;; [unrolled: 1-line block ×3, first 2 shown]
	v_sub_f32_e32 v21, v20, v25
	v_add_f32_e32 v15, v26, v15
	v_sub_f32_e32 v21, v22, v21
	v_mul_f32_e32 v15, v19, v15
	v_add_f32_e32 v15, v21, v15
	v_add_f32_e32 v19, v20, v15
	v_mul_f32_e32 v21, v19, v19
	v_fmaak_f32 v22, s19, v21, 0x3ecc95a3
	v_mul_f32_e32 v23, v19, v21
	v_cmp_neq_f32_e64 s19, 0x7f800000, v18
	v_fmaak_f32 v21, v21, v22, 0x3f2aaada
	v_ldexp_f32 v22, v19, 1
	v_sub_f32_e32 v19, v19, v20
	v_mul_f32_e32 v21, v23, v21
	v_mul_f32_e32 v23, 0x3f317218, v14
	v_sub_f32_e32 v15, v15, v19
	v_add_f32_e32 v20, v22, v21
	v_ldexp_f32 v15, v15, 1
	v_sub_f32_e32 v19, v20, v22
	v_fma_f32 v22, 0x3f317218, v14, -v23
	v_sub_f32_e32 v19, v21, v19
	v_fmamk_f32 v14, v14, 0xb102e308, v22
	v_add_f32_e32 v15, v15, v19
	v_add_f32_e32 v19, v23, v14
	;; [unrolled: 1-line block ×3, first 2 shown]
	v_sub_f32_e32 v23, v19, v23
	v_add_f32_e32 v22, v19, v21
	v_sub_f32_e32 v20, v21, v20
	v_sub_f32_e32 v14, v14, v23
	v_sub_f32_e32 v24, v22, v19
	v_sub_f32_e32 v15, v15, v20
	v_sub_f32_e32 v25, v22, v24
	v_sub_f32_e32 v20, v21, v24
	v_add_f32_e32 v21, v14, v15
	v_sub_f32_e32 v19, v19, v25
	v_add_f32_e32 v19, v20, v19
	v_sub_f32_e32 v20, v21, v14
	v_add_f32_e32 v19, v21, v19
	v_sub_f32_e32 v21, v21, v20
	v_sub_f32_e32 v15, v15, v20
	v_add_f32_e32 v23, v22, v19
	v_sub_f32_e32 v14, v14, v21
	v_sub_f32_e32 v20, v23, v22
	v_add_f32_e32 v14, v15, v14
	v_sub_f32_e32 v15, v19, v20
	v_add_f32_e32 v14, v14, v15
	v_add_f32_e32 v14, v23, v14
	v_cndmask_b32_e64 v14, 0x7f800000, v14, s19
	v_cmp_gt_f32_e64 s19, 0x33800000, |v18|
	v_cndmask_b32_e64 v14, v14, v18, s19
	v_add_f32_e32 v13, v13, v14
	v_cvt_f16_f32_e32 v19, v13
	v_cvt_f32_f16_e32 v20, v19
	v_mov_b32_e32 v18, v19
.LBB376_36:
	s_or_b32 exec_lo, exec_lo, s20
	v_cvt_f32_f16_sdwa v13, v4 dst_sel:DWORD dst_unused:UNUSED_PAD src0_sel:WORD_1
	v_max_f32_e32 v14, v20, v20
	v_cmp_u_f16_e64 s19, v19, v19
	v_min_f32_e32 v15, v14, v13
	v_max_f32_e32 v14, v14, v13
	v_cndmask_b32_e64 v15, v15, v20, s19
	v_cndmask_b32_e64 v21, v14, v20, s19
	v_cmp_u_f16_sdwa s19, v4, v4 src0_sel:WORD_1 src1_sel:WORD_1
	v_cndmask_b32_e64 v14, v15, v13, s19
	v_cndmask_b32_e64 v4, v21, v13, s19
	v_cmp_class_f32_e64 s21, v14, 0x1f8
	v_cmp_neq_f32_e64 s20, v14, v4
	s_or_b32 s20, s20, s21
	s_and_saveexec_b32 s21, s20
	s_cbranch_execz .LBB376_38
; %bb.37:
	v_sub_f32_e32 v14, v14, v4
	v_mul_f32_e32 v15, 0x3fb8aa3b, v14
	v_cmp_ngt_f32_e64 s20, 0xc2ce8ed0, v14
	v_fma_f32 v18, 0x3fb8aa3b, v14, -v15
	v_rndne_f32_e32 v19, v15
	v_fmamk_f32 v18, v14, 0x32a5705f, v18
	v_sub_f32_e32 v15, v15, v19
	v_add_f32_e32 v15, v15, v18
	v_cvt_i32_f32_e32 v18, v19
	v_exp_f32_e32 v15, v15
	v_ldexp_f32 v15, v15, v18
	v_cndmask_b32_e64 v15, 0, v15, s20
	v_cmp_nlt_f32_e64 s20, 0x42b17218, v14
	v_cndmask_b32_e64 v18, 0x7f800000, v15, s20
	v_add_f32_e32 v19, 1.0, v18
	v_cvt_f64_f32_e32 v[14:15], v19
	v_frexp_exp_i32_f64_e32 v14, v[14:15]
	v_frexp_mant_f32_e32 v15, v19
	v_cmp_gt_f32_e64 s20, 0x3f2aaaab, v15
	v_add_f32_e32 v15, -1.0, v19
	v_sub_f32_e32 v21, v15, v19
	v_sub_f32_e32 v15, v18, v15
	v_add_f32_e32 v21, 1.0, v21
	v_add_f32_e32 v15, v15, v21
	v_subrev_co_ci_u32_e64 v14, null, 0, v14, s20
	s_mov_b32 s20, 0x3e9b6dac
	v_sub_nc_u32_e32 v20, 0, v14
	v_cvt_f32_i32_e32 v14, v14
	v_ldexp_f32 v19, v19, v20
	v_ldexp_f32 v15, v15, v20
	v_add_f32_e32 v22, 1.0, v19
	v_add_f32_e32 v20, -1.0, v19
	v_add_f32_e32 v21, -1.0, v22
	v_add_f32_e32 v23, 1.0, v20
	v_sub_f32_e32 v21, v19, v21
	v_sub_f32_e32 v19, v19, v23
	v_add_f32_e32 v21, v15, v21
	v_add_f32_e32 v15, v15, v19
	;; [unrolled: 1-line block ×4, first 2 shown]
	v_rcp_f32_e32 v19, v23
	v_sub_f32_e32 v22, v22, v23
	v_sub_f32_e32 v20, v20, v24
	v_add_f32_e32 v21, v21, v22
	v_add_f32_e32 v15, v15, v20
	v_mul_f32_e32 v25, v24, v19
	v_mul_f32_e32 v26, v23, v25
	v_fma_f32 v22, v25, v23, -v26
	v_fmac_f32_e32 v22, v25, v21
	v_add_f32_e32 v27, v26, v22
	v_sub_f32_e32 v28, v24, v27
	v_sub_f32_e32 v20, v27, v26
	v_sub_f32_e32 v24, v24, v28
	v_sub_f32_e32 v20, v20, v22
	v_sub_f32_e32 v24, v24, v27
	v_add_f32_e32 v15, v15, v24
	v_add_f32_e32 v15, v20, v15
	;; [unrolled: 1-line block ×3, first 2 shown]
	v_mul_f32_e32 v22, v19, v20
	v_sub_f32_e32 v27, v28, v20
	v_mul_f32_e32 v24, v23, v22
	v_add_f32_e32 v15, v15, v27
	v_fma_f32 v23, v22, v23, -v24
	v_fmac_f32_e32 v23, v22, v21
	v_add_f32_e32 v21, v24, v23
	v_sub_f32_e32 v26, v20, v21
	v_sub_f32_e32 v24, v21, v24
	;; [unrolled: 1-line block ×5, first 2 shown]
	v_add_f32_e32 v15, v15, v20
	v_add_f32_e32 v20, v25, v22
	;; [unrolled: 1-line block ×3, first 2 shown]
	v_sub_f32_e32 v21, v20, v25
	v_add_f32_e32 v15, v26, v15
	v_sub_f32_e32 v21, v22, v21
	v_mul_f32_e32 v15, v19, v15
	v_add_f32_e32 v15, v21, v15
	v_add_f32_e32 v19, v20, v15
	v_mul_f32_e32 v21, v19, v19
	v_fmaak_f32 v22, s20, v21, 0x3ecc95a3
	v_mul_f32_e32 v23, v19, v21
	v_cmp_neq_f32_e64 s20, 0x7f800000, v18
	v_fmaak_f32 v21, v21, v22, 0x3f2aaada
	v_ldexp_f32 v22, v19, 1
	v_sub_f32_e32 v19, v19, v20
	v_mul_f32_e32 v21, v23, v21
	v_mul_f32_e32 v23, 0x3f317218, v14
	v_sub_f32_e32 v15, v15, v19
	v_add_f32_e32 v20, v22, v21
	v_ldexp_f32 v15, v15, 1
	v_sub_f32_e32 v19, v20, v22
	v_fma_f32 v22, 0x3f317218, v14, -v23
	v_sub_f32_e32 v19, v21, v19
	v_fmamk_f32 v14, v14, 0xb102e308, v22
	v_add_f32_e32 v15, v15, v19
	v_add_f32_e32 v19, v23, v14
	;; [unrolled: 1-line block ×3, first 2 shown]
	v_sub_f32_e32 v23, v19, v23
	v_add_f32_e32 v22, v19, v21
	v_sub_f32_e32 v20, v21, v20
	v_sub_f32_e32 v14, v14, v23
	;; [unrolled: 1-line block ×6, first 2 shown]
	v_add_f32_e32 v21, v14, v15
	v_sub_f32_e32 v19, v19, v25
	v_add_f32_e32 v19, v20, v19
	v_sub_f32_e32 v20, v21, v14
	;; [unrolled: 2-line block ×3, first 2 shown]
	v_sub_f32_e32 v15, v15, v20
	v_add_f32_e32 v23, v22, v19
	v_sub_f32_e32 v14, v14, v21
	v_sub_f32_e32 v20, v23, v22
	v_add_f32_e32 v14, v15, v14
	v_sub_f32_e32 v15, v19, v20
	v_add_f32_e32 v14, v14, v15
	v_add_f32_e32 v14, v23, v14
	v_cndmask_b32_e64 v14, 0x7f800000, v14, s20
	v_cmp_gt_f32_e64 s20, 0x33800000, |v18|
	v_cndmask_b32_e64 v14, v14, v18, s20
	v_add_f32_e32 v4, v4, v14
	v_cvt_f16_f32_e32 v19, v4
	v_cvt_f32_f16_e32 v20, v19
	v_mov_b32_e32 v18, v19
.LBB376_38:
	s_or_b32 exec_lo, exec_lo, s21
	v_cvt_f32_f16_e32 v4, v5
	v_max_f32_e32 v14, v20, v20
	v_cmp_u_f16_e64 s20, v19, v19
	v_min_f32_e32 v15, v14, v4
	v_max_f32_e32 v14, v14, v4
	v_cndmask_b32_e64 v15, v15, v20, s20
	v_cndmask_b32_e64 v14, v14, v20, s20
	v_cmp_u_f16_e64 s20, v5, v5
	v_cndmask_b32_e64 v15, v15, v4, s20
	v_cndmask_b32_e64 v14, v14, v4, s20
	v_cmp_class_f32_e64 s22, v15, 0x1f8
	v_cmp_neq_f32_e64 s21, v15, v14
	s_or_b32 s21, s21, s22
	s_and_saveexec_b32 s22, s21
	s_cbranch_execz .LBB376_40
; %bb.39:
	v_sub_f32_e32 v15, v15, v14
	v_mul_f32_e32 v18, 0x3fb8aa3b, v15
	v_cmp_ngt_f32_e64 s21, 0xc2ce8ed0, v15
	v_fma_f32 v19, 0x3fb8aa3b, v15, -v18
	v_rndne_f32_e32 v20, v18
	v_fmamk_f32 v19, v15, 0x32a5705f, v19
	v_sub_f32_e32 v18, v18, v20
	v_add_f32_e32 v18, v18, v19
	v_cvt_i32_f32_e32 v19, v20
	v_exp_f32_e32 v18, v18
	v_ldexp_f32 v18, v18, v19
	v_cndmask_b32_e64 v18, 0, v18, s21
	v_cmp_nlt_f32_e64 s21, 0x42b17218, v15
	v_cndmask_b32_e64 v15, 0x7f800000, v18, s21
	v_add_f32_e32 v20, 1.0, v15
	v_cvt_f64_f32_e32 v[18:19], v20
	v_frexp_exp_i32_f64_e32 v18, v[18:19]
	v_frexp_mant_f32_e32 v19, v20
	v_cmp_gt_f32_e64 s21, 0x3f2aaaab, v19
	v_add_f32_e32 v19, -1.0, v20
	v_sub_f32_e32 v22, v19, v20
	v_sub_f32_e32 v19, v15, v19
	v_add_f32_e32 v22, 1.0, v22
	v_add_f32_e32 v19, v19, v22
	v_subrev_co_ci_u32_e64 v18, null, 0, v18, s21
	s_mov_b32 s21, 0x3e9b6dac
	v_sub_nc_u32_e32 v21, 0, v18
	v_cvt_f32_i32_e32 v18, v18
	v_ldexp_f32 v20, v20, v21
	v_ldexp_f32 v19, v19, v21
	v_add_f32_e32 v23, 1.0, v20
	v_add_f32_e32 v21, -1.0, v20
	v_add_f32_e32 v22, -1.0, v23
	v_add_f32_e32 v24, 1.0, v21
	v_sub_f32_e32 v22, v20, v22
	v_sub_f32_e32 v20, v20, v24
	v_add_f32_e32 v22, v19, v22
	v_add_f32_e32 v19, v19, v20
	;; [unrolled: 1-line block ×4, first 2 shown]
	v_rcp_f32_e32 v20, v24
	v_sub_f32_e32 v23, v23, v24
	v_sub_f32_e32 v21, v21, v25
	v_add_f32_e32 v22, v22, v23
	v_add_f32_e32 v19, v19, v21
	v_mul_f32_e32 v26, v25, v20
	v_mul_f32_e32 v27, v24, v26
	v_fma_f32 v23, v26, v24, -v27
	v_fmac_f32_e32 v23, v26, v22
	v_add_f32_e32 v28, v27, v23
	v_sub_f32_e32 v29, v25, v28
	v_sub_f32_e32 v21, v28, v27
	;; [unrolled: 1-line block ×5, first 2 shown]
	v_add_f32_e32 v19, v19, v25
	v_add_f32_e32 v19, v21, v19
	;; [unrolled: 1-line block ×3, first 2 shown]
	v_mul_f32_e32 v23, v20, v21
	v_sub_f32_e32 v28, v29, v21
	v_mul_f32_e32 v25, v24, v23
	v_add_f32_e32 v19, v19, v28
	v_fma_f32 v24, v23, v24, -v25
	v_fmac_f32_e32 v24, v23, v22
	v_add_f32_e32 v22, v25, v24
	v_sub_f32_e32 v27, v21, v22
	v_sub_f32_e32 v25, v22, v25
	;; [unrolled: 1-line block ×5, first 2 shown]
	v_add_f32_e32 v19, v19, v21
	v_add_f32_e32 v21, v26, v23
	;; [unrolled: 1-line block ×3, first 2 shown]
	v_sub_f32_e32 v22, v21, v26
	v_add_f32_e32 v19, v27, v19
	v_sub_f32_e32 v22, v23, v22
	v_mul_f32_e32 v19, v20, v19
	v_add_f32_e32 v19, v22, v19
	v_add_f32_e32 v20, v21, v19
	v_mul_f32_e32 v22, v20, v20
	v_fmaak_f32 v23, s21, v22, 0x3ecc95a3
	v_mul_f32_e32 v24, v20, v22
	v_cmp_neq_f32_e64 s21, 0x7f800000, v15
	v_fmaak_f32 v22, v22, v23, 0x3f2aaada
	v_ldexp_f32 v23, v20, 1
	v_sub_f32_e32 v20, v20, v21
	v_mul_f32_e32 v22, v24, v22
	v_mul_f32_e32 v24, 0x3f317218, v18
	v_sub_f32_e32 v19, v19, v20
	v_add_f32_e32 v21, v23, v22
	v_ldexp_f32 v19, v19, 1
	v_sub_f32_e32 v20, v21, v23
	v_fma_f32 v23, 0x3f317218, v18, -v24
	v_sub_f32_e32 v20, v22, v20
	v_fmamk_f32 v18, v18, 0xb102e308, v23
	v_add_f32_e32 v19, v19, v20
	v_add_f32_e32 v20, v24, v18
	;; [unrolled: 1-line block ×3, first 2 shown]
	v_sub_f32_e32 v24, v20, v24
	v_add_f32_e32 v23, v20, v22
	v_sub_f32_e32 v21, v22, v21
	v_sub_f32_e32 v18, v18, v24
	;; [unrolled: 1-line block ×6, first 2 shown]
	v_add_f32_e32 v22, v18, v19
	v_sub_f32_e32 v20, v20, v26
	v_add_f32_e32 v20, v21, v20
	v_sub_f32_e32 v21, v22, v18
	;; [unrolled: 2-line block ×3, first 2 shown]
	v_sub_f32_e32 v19, v19, v21
	v_add_f32_e32 v24, v23, v20
	v_sub_f32_e32 v18, v18, v22
	v_sub_f32_e32 v21, v24, v23
	v_add_f32_e32 v18, v19, v18
	v_sub_f32_e32 v19, v20, v21
	v_add_f32_e32 v18, v18, v19
	v_add_f32_e32 v18, v24, v18
	v_cndmask_b32_e64 v18, 0x7f800000, v18, s21
	v_cmp_gt_f32_e64 s21, 0x33800000, |v15|
	v_cndmask_b32_e64 v15, v18, v15, s21
	v_add_f32_e32 v14, v14, v15
	v_cvt_f16_f32_e32 v19, v14
	v_cvt_f32_f16_e32 v20, v19
	v_mov_b32_e32 v18, v19
.LBB376_40:
	s_or_b32 exec_lo, exec_lo, s22
	v_cvt_f32_f16_sdwa v14, v5 dst_sel:DWORD dst_unused:UNUSED_PAD src0_sel:WORD_1
	v_max_f32_e32 v15, v20, v20
	v_cmp_u_f16_e64 s21, v19, v19
	v_min_f32_e32 v21, v15, v14
	v_max_f32_e32 v15, v15, v14
	v_cndmask_b32_e64 v21, v21, v20, s21
	v_cndmask_b32_e64 v22, v15, v20, s21
	v_cmp_u_f16_sdwa s21, v5, v5 src0_sel:WORD_1 src1_sel:WORD_1
	v_cndmask_b32_e64 v15, v21, v14, s21
	v_cndmask_b32_e64 v5, v22, v14, s21
	v_cmp_class_f32_e64 s23, v15, 0x1f8
	v_cmp_neq_f32_e64 s22, v15, v5
	s_or_b32 s22, s22, s23
	s_and_saveexec_b32 s23, s22
	s_cbranch_execz .LBB376_42
; %bb.41:
	v_sub_f32_e32 v15, v15, v5
	v_mul_f32_e32 v18, 0x3fb8aa3b, v15
	v_cmp_ngt_f32_e64 s22, 0xc2ce8ed0, v15
	v_fma_f32 v19, 0x3fb8aa3b, v15, -v18
	v_rndne_f32_e32 v20, v18
	v_fmamk_f32 v19, v15, 0x32a5705f, v19
	v_sub_f32_e32 v18, v18, v20
	v_add_f32_e32 v18, v18, v19
	v_cvt_i32_f32_e32 v19, v20
	v_exp_f32_e32 v18, v18
	v_ldexp_f32 v18, v18, v19
	v_cndmask_b32_e64 v18, 0, v18, s22
	v_cmp_nlt_f32_e64 s22, 0x42b17218, v15
	v_cndmask_b32_e64 v15, 0x7f800000, v18, s22
	v_add_f32_e32 v20, 1.0, v15
	v_cvt_f64_f32_e32 v[18:19], v20
	v_frexp_exp_i32_f64_e32 v18, v[18:19]
	v_frexp_mant_f32_e32 v19, v20
	v_cmp_gt_f32_e64 s22, 0x3f2aaaab, v19
	v_add_f32_e32 v19, -1.0, v20
	v_sub_f32_e32 v22, v19, v20
	v_sub_f32_e32 v19, v15, v19
	v_add_f32_e32 v22, 1.0, v22
	v_add_f32_e32 v19, v19, v22
	v_subrev_co_ci_u32_e64 v18, null, 0, v18, s22
	s_mov_b32 s22, 0x3e9b6dac
	v_sub_nc_u32_e32 v21, 0, v18
	v_cvt_f32_i32_e32 v18, v18
	v_ldexp_f32 v20, v20, v21
	v_ldexp_f32 v19, v19, v21
	v_add_f32_e32 v23, 1.0, v20
	v_add_f32_e32 v21, -1.0, v20
	v_add_f32_e32 v22, -1.0, v23
	v_add_f32_e32 v24, 1.0, v21
	v_sub_f32_e32 v22, v20, v22
	v_sub_f32_e32 v20, v20, v24
	v_add_f32_e32 v22, v19, v22
	v_add_f32_e32 v19, v19, v20
	v_add_f32_e32 v24, v23, v22
	v_add_f32_e32 v25, v21, v19
	v_rcp_f32_e32 v20, v24
	v_sub_f32_e32 v23, v23, v24
	v_sub_f32_e32 v21, v21, v25
	v_add_f32_e32 v22, v22, v23
	v_add_f32_e32 v19, v19, v21
	v_mul_f32_e32 v26, v25, v20
	v_mul_f32_e32 v27, v24, v26
	v_fma_f32 v23, v26, v24, -v27
	v_fmac_f32_e32 v23, v26, v22
	v_add_f32_e32 v28, v27, v23
	v_sub_f32_e32 v29, v25, v28
	v_sub_f32_e32 v21, v28, v27
	;; [unrolled: 1-line block ×5, first 2 shown]
	v_add_f32_e32 v19, v19, v25
	v_add_f32_e32 v19, v21, v19
	v_add_f32_e32 v21, v29, v19
	v_mul_f32_e32 v23, v20, v21
	v_sub_f32_e32 v28, v29, v21
	v_mul_f32_e32 v25, v24, v23
	v_add_f32_e32 v19, v19, v28
	v_fma_f32 v24, v23, v24, -v25
	v_fmac_f32_e32 v24, v23, v22
	v_add_f32_e32 v22, v25, v24
	v_sub_f32_e32 v27, v21, v22
	v_sub_f32_e32 v25, v22, v25
	;; [unrolled: 1-line block ×5, first 2 shown]
	v_add_f32_e32 v19, v19, v21
	v_add_f32_e32 v21, v26, v23
	;; [unrolled: 1-line block ×3, first 2 shown]
	v_sub_f32_e32 v22, v21, v26
	v_add_f32_e32 v19, v27, v19
	v_sub_f32_e32 v22, v23, v22
	v_mul_f32_e32 v19, v20, v19
	v_add_f32_e32 v19, v22, v19
	v_add_f32_e32 v20, v21, v19
	v_mul_f32_e32 v22, v20, v20
	v_fmaak_f32 v23, s22, v22, 0x3ecc95a3
	v_mul_f32_e32 v24, v20, v22
	v_cmp_neq_f32_e64 s22, 0x7f800000, v15
	v_fmaak_f32 v22, v22, v23, 0x3f2aaada
	v_ldexp_f32 v23, v20, 1
	v_sub_f32_e32 v20, v20, v21
	v_mul_f32_e32 v22, v24, v22
	v_mul_f32_e32 v24, 0x3f317218, v18
	v_sub_f32_e32 v19, v19, v20
	v_add_f32_e32 v21, v23, v22
	v_ldexp_f32 v19, v19, 1
	v_sub_f32_e32 v20, v21, v23
	v_fma_f32 v23, 0x3f317218, v18, -v24
	v_sub_f32_e32 v20, v22, v20
	v_fmamk_f32 v18, v18, 0xb102e308, v23
	v_add_f32_e32 v19, v19, v20
	v_add_f32_e32 v20, v24, v18
	;; [unrolled: 1-line block ×3, first 2 shown]
	v_sub_f32_e32 v24, v20, v24
	v_add_f32_e32 v23, v20, v22
	v_sub_f32_e32 v21, v22, v21
	v_sub_f32_e32 v18, v18, v24
	;; [unrolled: 1-line block ×6, first 2 shown]
	v_add_f32_e32 v22, v18, v19
	v_sub_f32_e32 v20, v20, v26
	v_add_f32_e32 v20, v21, v20
	v_sub_f32_e32 v21, v22, v18
	;; [unrolled: 2-line block ×3, first 2 shown]
	v_sub_f32_e32 v19, v19, v21
	v_add_f32_e32 v24, v23, v20
	v_sub_f32_e32 v18, v18, v22
	v_sub_f32_e32 v21, v24, v23
	v_add_f32_e32 v18, v19, v18
	v_sub_f32_e32 v19, v20, v21
	v_add_f32_e32 v18, v18, v19
	v_add_f32_e32 v18, v24, v18
	v_cndmask_b32_e64 v18, 0x7f800000, v18, s22
	v_cmp_gt_f32_e64 s22, 0x33800000, |v15|
	v_cndmask_b32_e64 v15, v18, v15, s22
	v_add_f32_e32 v5, v5, v15
	v_cvt_f16_f32_e32 v19, v5
	v_cvt_f32_f16_e32 v20, v19
	v_mov_b32_e32 v18, v19
.LBB376_42:
	s_or_b32 exec_lo, exec_lo, s23
	v_cvt_f32_f16_e32 v5, v6
	v_max_f32_e32 v15, v20, v20
	v_cmp_u_f16_e64 s22, v19, v19
	v_min_f32_e32 v21, v15, v5
	v_max_f32_e32 v15, v15, v5
	v_cndmask_b32_e64 v21, v21, v20, s22
	v_cndmask_b32_e64 v15, v15, v20, s22
	v_cmp_u_f16_e64 s22, v6, v6
	v_cndmask_b32_e64 v21, v21, v5, s22
	v_cndmask_b32_e64 v15, v15, v5, s22
	v_cmp_class_f32_e64 s25, v21, 0x1f8
	v_cmp_neq_f32_e64 s23, v21, v15
	s_or_b32 s23, s23, s25
	s_and_saveexec_b32 s25, s23
	s_cbranch_execz .LBB376_44
; %bb.43:
	v_sub_f32_e32 v18, v21, v15
	v_mul_f32_e32 v19, 0x3fb8aa3b, v18
	v_cmp_ngt_f32_e64 s23, 0xc2ce8ed0, v18
	v_fma_f32 v20, 0x3fb8aa3b, v18, -v19
	v_rndne_f32_e32 v21, v19
	v_fmamk_f32 v20, v18, 0x32a5705f, v20
	v_sub_f32_e32 v19, v19, v21
	v_add_f32_e32 v19, v19, v20
	v_cvt_i32_f32_e32 v20, v21
	v_exp_f32_e32 v19, v19
	v_ldexp_f32 v19, v19, v20
	v_cndmask_b32_e64 v19, 0, v19, s23
	v_cmp_nlt_f32_e64 s23, 0x42b17218, v18
	v_cndmask_b32_e64 v20, 0x7f800000, v19, s23
	v_add_f32_e32 v21, 1.0, v20
	v_cvt_f64_f32_e32 v[18:19], v21
	v_frexp_exp_i32_f64_e32 v18, v[18:19]
	v_frexp_mant_f32_e32 v19, v21
	v_cmp_gt_f32_e64 s23, 0x3f2aaaab, v19
	v_add_f32_e32 v19, -1.0, v21
	v_sub_f32_e32 v23, v19, v21
	v_sub_f32_e32 v19, v20, v19
	v_add_f32_e32 v23, 1.0, v23
	v_add_f32_e32 v19, v19, v23
	v_subrev_co_ci_u32_e64 v18, null, 0, v18, s23
	s_mov_b32 s23, 0x3e9b6dac
	v_sub_nc_u32_e32 v22, 0, v18
	v_cvt_f32_i32_e32 v18, v18
	v_ldexp_f32 v21, v21, v22
	v_ldexp_f32 v19, v19, v22
	v_add_f32_e32 v24, 1.0, v21
	v_add_f32_e32 v22, -1.0, v21
	v_add_f32_e32 v23, -1.0, v24
	v_add_f32_e32 v25, 1.0, v22
	v_sub_f32_e32 v23, v21, v23
	v_sub_f32_e32 v21, v21, v25
	v_add_f32_e32 v23, v19, v23
	v_add_f32_e32 v19, v19, v21
	;; [unrolled: 1-line block ×4, first 2 shown]
	v_rcp_f32_e32 v21, v25
	v_sub_f32_e32 v24, v24, v25
	v_sub_f32_e32 v22, v22, v26
	v_add_f32_e32 v23, v23, v24
	v_add_f32_e32 v19, v19, v22
	v_mul_f32_e32 v27, v26, v21
	v_mul_f32_e32 v28, v25, v27
	v_fma_f32 v24, v27, v25, -v28
	v_fmac_f32_e32 v24, v27, v23
	v_add_f32_e32 v29, v28, v24
	v_sub_f32_e32 v30, v26, v29
	v_sub_f32_e32 v22, v29, v28
	;; [unrolled: 1-line block ×5, first 2 shown]
	v_add_f32_e32 v19, v19, v26
	v_add_f32_e32 v19, v22, v19
	;; [unrolled: 1-line block ×3, first 2 shown]
	v_mul_f32_e32 v24, v21, v22
	v_sub_f32_e32 v29, v30, v22
	v_mul_f32_e32 v26, v25, v24
	v_add_f32_e32 v19, v19, v29
	v_fma_f32 v25, v24, v25, -v26
	v_fmac_f32_e32 v25, v24, v23
	v_add_f32_e32 v23, v26, v25
	v_sub_f32_e32 v28, v22, v23
	v_sub_f32_e32 v26, v23, v26
	;; [unrolled: 1-line block ×5, first 2 shown]
	v_add_f32_e32 v19, v19, v22
	v_add_f32_e32 v22, v27, v24
	;; [unrolled: 1-line block ×3, first 2 shown]
	v_sub_f32_e32 v23, v22, v27
	v_add_f32_e32 v19, v28, v19
	v_sub_f32_e32 v23, v24, v23
	v_mul_f32_e32 v19, v21, v19
	v_add_f32_e32 v19, v23, v19
	v_add_f32_e32 v21, v22, v19
	v_mul_f32_e32 v23, v21, v21
	v_fmaak_f32 v24, s23, v23, 0x3ecc95a3
	v_mul_f32_e32 v25, v21, v23
	v_cmp_neq_f32_e64 s23, 0x7f800000, v20
	v_fmaak_f32 v23, v23, v24, 0x3f2aaada
	v_ldexp_f32 v24, v21, 1
	v_sub_f32_e32 v21, v21, v22
	v_mul_f32_e32 v23, v25, v23
	v_mul_f32_e32 v25, 0x3f317218, v18
	v_sub_f32_e32 v19, v19, v21
	v_add_f32_e32 v22, v24, v23
	v_ldexp_f32 v19, v19, 1
	v_sub_f32_e32 v21, v22, v24
	v_fma_f32 v24, 0x3f317218, v18, -v25
	v_sub_f32_e32 v21, v23, v21
	v_fmamk_f32 v18, v18, 0xb102e308, v24
	v_add_f32_e32 v19, v19, v21
	v_add_f32_e32 v21, v25, v18
	;; [unrolled: 1-line block ×3, first 2 shown]
	v_sub_f32_e32 v25, v21, v25
	v_add_f32_e32 v24, v21, v23
	v_sub_f32_e32 v22, v23, v22
	v_sub_f32_e32 v18, v18, v25
	v_sub_f32_e32 v26, v24, v21
	v_sub_f32_e32 v19, v19, v22
	v_sub_f32_e32 v27, v24, v26
	v_sub_f32_e32 v22, v23, v26
	v_add_f32_e32 v23, v18, v19
	v_sub_f32_e32 v21, v21, v27
	v_add_f32_e32 v21, v22, v21
	v_sub_f32_e32 v22, v23, v18
	;; [unrolled: 2-line block ×3, first 2 shown]
	v_sub_f32_e32 v19, v19, v22
	v_add_f32_e32 v25, v24, v21
	v_sub_f32_e32 v18, v18, v23
	v_sub_f32_e32 v22, v25, v24
	v_add_f32_e32 v18, v19, v18
	v_sub_f32_e32 v19, v21, v22
	v_add_f32_e32 v18, v18, v19
	v_add_f32_e32 v18, v25, v18
	v_cndmask_b32_e64 v18, 0x7f800000, v18, s23
	v_cmp_gt_f32_e64 s23, 0x33800000, |v20|
	v_cndmask_b32_e64 v18, v18, v20, s23
	v_add_f32_e32 v15, v15, v18
	v_cvt_f16_f32_e32 v19, v15
	v_cvt_f32_f16_e32 v20, v19
	v_mov_b32_e32 v18, v19
.LBB376_44:
	s_or_b32 exec_lo, exec_lo, s25
	v_cvt_f32_f16_sdwa v15, v6 dst_sel:DWORD dst_unused:UNUSED_PAD src0_sel:WORD_1
	v_max_f32_e32 v21, v20, v20
	v_cmp_u_f16_e64 s23, v19, v19
	v_min_f32_e32 v22, v21, v15
	v_max_f32_e32 v21, v21, v15
	v_cndmask_b32_e64 v19, v22, v20, s23
	v_cndmask_b32_e64 v20, v21, v20, s23
	v_cmp_u_f16_sdwa s23, v6, v6 src0_sel:WORD_1 src1_sel:WORD_1
	v_cndmask_b32_e64 v19, v19, v15, s23
	v_cndmask_b32_e64 v6, v20, v15, s23
	v_cmp_class_f32_e64 s26, v19, 0x1f8
	v_cmp_neq_f32_e64 s25, v19, v6
	s_or_b32 s25, s25, s26
	s_and_saveexec_b32 s26, s25
	s_cbranch_execz .LBB376_46
; %bb.45:
	v_sub_f32_e32 v18, v19, v6
	v_mul_f32_e32 v19, 0x3fb8aa3b, v18
	v_cmp_ngt_f32_e64 s25, 0xc2ce8ed0, v18
	v_fma_f32 v20, 0x3fb8aa3b, v18, -v19
	v_rndne_f32_e32 v21, v19
	v_fmamk_f32 v20, v18, 0x32a5705f, v20
	v_sub_f32_e32 v19, v19, v21
	v_add_f32_e32 v19, v19, v20
	v_cvt_i32_f32_e32 v20, v21
	v_exp_f32_e32 v19, v19
	v_ldexp_f32 v19, v19, v20
	v_cndmask_b32_e64 v19, 0, v19, s25
	v_cmp_nlt_f32_e64 s25, 0x42b17218, v18
	v_cndmask_b32_e64 v20, 0x7f800000, v19, s25
	v_add_f32_e32 v21, 1.0, v20
	v_cvt_f64_f32_e32 v[18:19], v21
	v_frexp_exp_i32_f64_e32 v18, v[18:19]
	v_frexp_mant_f32_e32 v19, v21
	v_cmp_gt_f32_e64 s25, 0x3f2aaaab, v19
	v_add_f32_e32 v19, -1.0, v21
	v_sub_f32_e32 v23, v19, v21
	v_sub_f32_e32 v19, v20, v19
	v_add_f32_e32 v23, 1.0, v23
	v_add_f32_e32 v19, v19, v23
	v_subrev_co_ci_u32_e64 v18, null, 0, v18, s25
	s_mov_b32 s25, 0x3e9b6dac
	v_sub_nc_u32_e32 v22, 0, v18
	v_cvt_f32_i32_e32 v18, v18
	v_ldexp_f32 v21, v21, v22
	v_ldexp_f32 v19, v19, v22
	v_add_f32_e32 v24, 1.0, v21
	v_add_f32_e32 v22, -1.0, v21
	v_add_f32_e32 v23, -1.0, v24
	v_add_f32_e32 v25, 1.0, v22
	v_sub_f32_e32 v23, v21, v23
	v_sub_f32_e32 v21, v21, v25
	v_add_f32_e32 v23, v19, v23
	v_add_f32_e32 v19, v19, v21
	;; [unrolled: 1-line block ×4, first 2 shown]
	v_rcp_f32_e32 v21, v25
	v_sub_f32_e32 v24, v24, v25
	v_sub_f32_e32 v22, v22, v26
	v_add_f32_e32 v23, v23, v24
	v_add_f32_e32 v19, v19, v22
	v_mul_f32_e32 v27, v26, v21
	v_mul_f32_e32 v28, v25, v27
	v_fma_f32 v24, v27, v25, -v28
	v_fmac_f32_e32 v24, v27, v23
	v_add_f32_e32 v29, v28, v24
	v_sub_f32_e32 v30, v26, v29
	v_sub_f32_e32 v22, v29, v28
	;; [unrolled: 1-line block ×5, first 2 shown]
	v_add_f32_e32 v19, v19, v26
	v_add_f32_e32 v19, v22, v19
	;; [unrolled: 1-line block ×3, first 2 shown]
	v_mul_f32_e32 v24, v21, v22
	v_sub_f32_e32 v29, v30, v22
	v_mul_f32_e32 v26, v25, v24
	v_add_f32_e32 v19, v19, v29
	v_fma_f32 v25, v24, v25, -v26
	v_fmac_f32_e32 v25, v24, v23
	v_add_f32_e32 v23, v26, v25
	v_sub_f32_e32 v28, v22, v23
	v_sub_f32_e32 v26, v23, v26
	;; [unrolled: 1-line block ×5, first 2 shown]
	v_add_f32_e32 v19, v19, v22
	v_add_f32_e32 v22, v27, v24
	v_add_f32_e32 v19, v23, v19
	v_sub_f32_e32 v23, v22, v27
	v_add_f32_e32 v19, v28, v19
	v_sub_f32_e32 v23, v24, v23
	v_mul_f32_e32 v19, v21, v19
	v_add_f32_e32 v19, v23, v19
	v_add_f32_e32 v21, v22, v19
	v_mul_f32_e32 v23, v21, v21
	v_fmaak_f32 v24, s25, v23, 0x3ecc95a3
	v_mul_f32_e32 v25, v21, v23
	v_cmp_neq_f32_e64 s25, 0x7f800000, v20
	v_fmaak_f32 v23, v23, v24, 0x3f2aaada
	v_ldexp_f32 v24, v21, 1
	v_sub_f32_e32 v21, v21, v22
	v_mul_f32_e32 v23, v25, v23
	v_mul_f32_e32 v25, 0x3f317218, v18
	v_sub_f32_e32 v19, v19, v21
	v_add_f32_e32 v22, v24, v23
	v_ldexp_f32 v19, v19, 1
	v_sub_f32_e32 v21, v22, v24
	v_fma_f32 v24, 0x3f317218, v18, -v25
	v_sub_f32_e32 v21, v23, v21
	v_fmamk_f32 v18, v18, 0xb102e308, v24
	v_add_f32_e32 v19, v19, v21
	v_add_f32_e32 v21, v25, v18
	;; [unrolled: 1-line block ×3, first 2 shown]
	v_sub_f32_e32 v25, v21, v25
	v_add_f32_e32 v24, v21, v23
	v_sub_f32_e32 v22, v23, v22
	v_sub_f32_e32 v18, v18, v25
	;; [unrolled: 1-line block ×6, first 2 shown]
	v_add_f32_e32 v23, v18, v19
	v_sub_f32_e32 v21, v21, v27
	v_add_f32_e32 v21, v22, v21
	v_sub_f32_e32 v22, v23, v18
	v_add_f32_e32 v21, v23, v21
	v_sub_f32_e32 v23, v23, v22
	v_sub_f32_e32 v19, v19, v22
	v_add_f32_e32 v25, v24, v21
	v_sub_f32_e32 v18, v18, v23
	v_sub_f32_e32 v22, v25, v24
	v_add_f32_e32 v18, v19, v18
	v_sub_f32_e32 v19, v21, v22
	v_add_f32_e32 v18, v18, v19
	v_add_f32_e32 v18, v25, v18
	v_cndmask_b32_e64 v18, 0x7f800000, v18, s25
	v_cmp_gt_f32_e64 s25, 0x33800000, |v20|
	v_cndmask_b32_e64 v18, v18, v20, s25
	v_add_f32_e32 v6, v6, v18
	v_cvt_f16_f32_e32 v18, v6
.LBB376_46:
	s_or_b32 exec_lo, exec_lo, s26
	s_load_dwordx2 s[26:27], s[4:5], 0x18
	v_lshrrev_b32_e32 v6, 4, v0
	s_mov_b32 s25, exec_lo
	v_and_b32_e32 v6, 2, v6
	v_lshl_add_u32 v6, v0, 1, v6
	ds_write_b16 v6, v18
	s_waitcnt lgkmcnt(0)
	s_barrier
	buffer_gl0_inv
	v_cmpx_gt_u32_e32 32, v0
	s_cbranch_execz .LBB376_74
; %bb.47:
	v_lshrrev_b32_e32 v6, 3, v0
	v_lshlrev_b32_e32 v19, 2, v0
	v_and_b32_e32 v6, 6, v6
	v_add_nc_u32_e32 v6, v6, v19
	ds_read_u16 v20, v6 offset:2
	ds_read_u16 v22, v6
	s_waitcnt lgkmcnt(1)
	v_cvt_f32_f16_e32 v23, v20
	s_waitcnt lgkmcnt(0)
	v_cvt_f32_f16_e32 v19, v22
	v_cmp_u_f16_e64 s4, v22, v22
	v_cmp_u_f16_e64 s5, v20, v20
	v_min_f32_e32 v21, v19, v23
	v_max_f32_e32 v24, v19, v23
	v_cndmask_b32_e64 v21, v21, v19, s4
	v_cndmask_b32_e64 v24, v24, v19, s4
	;; [unrolled: 1-line block ×4, first 2 shown]
	v_cmp_class_f32_e64 s28, v21, 0x1f8
	v_cmp_neq_f32_e64 s5, v21, v20
	s_or_b32 s5, s5, s28
	s_and_saveexec_b32 s28, s5
	s_cbranch_execz .LBB376_49
; %bb.48:
	v_sub_f32_e32 v21, v21, v20
	v_mul_f32_e32 v22, 0x3fb8aa3b, v21
	v_cmp_ngt_f32_e64 s5, 0xc2ce8ed0, v21
	v_fma_f32 v23, 0x3fb8aa3b, v21, -v22
	v_rndne_f32_e32 v24, v22
	v_fmamk_f32 v23, v21, 0x32a5705f, v23
	v_sub_f32_e32 v22, v22, v24
	v_add_f32_e32 v22, v22, v23
	v_cvt_i32_f32_e32 v23, v24
	v_exp_f32_e32 v22, v22
	v_ldexp_f32 v22, v22, v23
	v_cndmask_b32_e64 v22, 0, v22, s5
	v_cmp_nlt_f32_e64 s5, 0x42b17218, v21
	v_cndmask_b32_e64 v23, 0x7f800000, v22, s5
	v_add_f32_e32 v24, 1.0, v23
	v_cvt_f64_f32_e32 v[21:22], v24
	v_frexp_exp_i32_f64_e32 v21, v[21:22]
	v_frexp_mant_f32_e32 v22, v24
	v_cmp_gt_f32_e64 s5, 0x3f2aaaab, v22
	v_add_f32_e32 v22, -1.0, v24
	v_sub_f32_e32 v26, v22, v24
	v_sub_f32_e32 v22, v23, v22
	v_add_f32_e32 v26, 1.0, v26
	v_add_f32_e32 v22, v22, v26
	v_subrev_co_ci_u32_e64 v21, null, 0, v21, s5
	s_mov_b32 s5, 0x3e9b6dac
	v_sub_nc_u32_e32 v25, 0, v21
	v_cvt_f32_i32_e32 v21, v21
	v_ldexp_f32 v24, v24, v25
	v_ldexp_f32 v22, v22, v25
	v_add_f32_e32 v27, 1.0, v24
	v_add_f32_e32 v25, -1.0, v24
	v_add_f32_e32 v26, -1.0, v27
	v_add_f32_e32 v28, 1.0, v25
	v_sub_f32_e32 v26, v24, v26
	v_sub_f32_e32 v24, v24, v28
	v_add_f32_e32 v26, v22, v26
	v_add_f32_e32 v22, v22, v24
	;; [unrolled: 1-line block ×4, first 2 shown]
	v_rcp_f32_e32 v24, v28
	v_sub_f32_e32 v27, v27, v28
	v_sub_f32_e32 v25, v25, v29
	v_add_f32_e32 v26, v26, v27
	v_add_f32_e32 v22, v22, v25
	v_mul_f32_e32 v30, v29, v24
	v_mul_f32_e32 v31, v28, v30
	v_fma_f32 v27, v30, v28, -v31
	v_fmac_f32_e32 v27, v30, v26
	v_add_f32_e32 v32, v31, v27
	v_sub_f32_e32 v33, v29, v32
	v_sub_f32_e32 v25, v32, v31
	;; [unrolled: 1-line block ×5, first 2 shown]
	v_add_f32_e32 v22, v22, v29
	v_add_f32_e32 v22, v25, v22
	;; [unrolled: 1-line block ×3, first 2 shown]
	v_mul_f32_e32 v27, v24, v25
	v_sub_f32_e32 v32, v33, v25
	v_mul_f32_e32 v29, v28, v27
	v_add_f32_e32 v22, v22, v32
	v_fma_f32 v28, v27, v28, -v29
	v_fmac_f32_e32 v28, v27, v26
	v_add_f32_e32 v26, v29, v28
	v_sub_f32_e32 v31, v25, v26
	v_sub_f32_e32 v29, v26, v29
	v_sub_f32_e32 v25, v25, v31
	v_sub_f32_e32 v25, v25, v26
	v_sub_f32_e32 v26, v29, v28
	v_add_f32_e32 v22, v22, v25
	v_add_f32_e32 v25, v30, v27
	;; [unrolled: 1-line block ×3, first 2 shown]
	v_sub_f32_e32 v26, v25, v30
	v_add_f32_e32 v22, v31, v22
	v_sub_f32_e32 v26, v27, v26
	v_mul_f32_e32 v22, v24, v22
	v_add_f32_e32 v22, v26, v22
	v_add_f32_e32 v24, v25, v22
	v_mul_f32_e32 v26, v24, v24
	v_fmaak_f32 v27, s5, v26, 0x3ecc95a3
	v_mul_f32_e32 v28, v24, v26
	v_cmp_neq_f32_e64 s5, 0x7f800000, v23
	v_fmaak_f32 v26, v26, v27, 0x3f2aaada
	v_ldexp_f32 v27, v24, 1
	v_sub_f32_e32 v24, v24, v25
	v_mul_f32_e32 v26, v28, v26
	v_mul_f32_e32 v28, 0x3f317218, v21
	v_sub_f32_e32 v22, v22, v24
	v_add_f32_e32 v25, v27, v26
	v_ldexp_f32 v22, v22, 1
	v_sub_f32_e32 v24, v25, v27
	v_fma_f32 v27, 0x3f317218, v21, -v28
	v_sub_f32_e32 v24, v26, v24
	v_fmamk_f32 v21, v21, 0xb102e308, v27
	v_add_f32_e32 v22, v22, v24
	v_add_f32_e32 v24, v28, v21
	;; [unrolled: 1-line block ×3, first 2 shown]
	v_sub_f32_e32 v28, v24, v28
	v_add_f32_e32 v27, v24, v26
	v_sub_f32_e32 v25, v26, v25
	v_sub_f32_e32 v21, v21, v28
	;; [unrolled: 1-line block ×6, first 2 shown]
	v_add_f32_e32 v26, v21, v22
	v_sub_f32_e32 v24, v24, v30
	v_add_f32_e32 v24, v25, v24
	v_sub_f32_e32 v25, v26, v21
	;; [unrolled: 2-line block ×3, first 2 shown]
	v_sub_f32_e32 v22, v22, v25
	v_add_f32_e32 v28, v27, v24
	v_sub_f32_e32 v21, v21, v26
	v_sub_f32_e32 v25, v28, v27
	v_add_f32_e32 v21, v22, v21
	v_sub_f32_e32 v22, v24, v25
	v_add_f32_e32 v21, v21, v22
	v_add_f32_e32 v21, v28, v21
	v_cndmask_b32_e64 v21, 0x7f800000, v21, s5
	v_cmp_gt_f32_e64 s5, 0x33800000, |v23|
	v_cndmask_b32_e64 v21, v21, v23, s5
	v_add_f32_e32 v20, v20, v21
	v_cvt_f16_f32_e32 v22, v20
.LBB376_49:
	s_or_b32 exec_lo, exec_lo, s28
	v_mbcnt_lo_u32_b32 v20, -1, 0
	v_and_b32_e32 v23, 0xffff, v22
	s_mov_b32 s28, exec_lo
	v_and_b32_e32 v21, 15, v20
	v_mov_b32_dpp v24, v23 row_shr:1 row_mask:0xf bank_mask:0xf
	v_cmpx_ne_u32_e32 0, v21
	s_xor_b32 s28, exec_lo, s28
	s_cbranch_execz .LBB376_53
; %bb.50:
	v_cvt_f32_f16_e32 v23, v24
	v_cvt_f32_f16_e32 v25, v22
	v_cmp_u_f16_e64 s5, v24, v24
	v_min_f32_e32 v26, v23, v25
	v_max_f32_e32 v27, v23, v25
	v_cndmask_b32_e64 v26, v26, v23, s5
	v_cndmask_b32_e64 v27, v27, v23, s5
	v_cmp_u_f16_e64 s5, v22, v22
	v_cndmask_b32_e64 v23, v26, v25, s5
	v_cndmask_b32_e64 v22, v27, v25, s5
	v_cmp_class_f32_e64 s29, v23, 0x1f8
	v_cmp_neq_f32_e64 s5, v23, v22
	s_or_b32 s5, s5, s29
	s_and_saveexec_b32 s29, s5
	s_cbranch_execz .LBB376_52
; %bb.51:
	v_sub_f32_e32 v23, v23, v22
	v_mul_f32_e32 v24, 0x3fb8aa3b, v23
	v_cmp_ngt_f32_e64 s5, 0xc2ce8ed0, v23
	v_fma_f32 v25, 0x3fb8aa3b, v23, -v24
	v_rndne_f32_e32 v26, v24
	v_fmamk_f32 v25, v23, 0x32a5705f, v25
	v_sub_f32_e32 v24, v24, v26
	v_add_f32_e32 v24, v24, v25
	v_cvt_i32_f32_e32 v25, v26
	v_exp_f32_e32 v24, v24
	v_ldexp_f32 v24, v24, v25
	v_cndmask_b32_e64 v24, 0, v24, s5
	v_cmp_nlt_f32_e64 s5, 0x42b17218, v23
	v_cndmask_b32_e64 v25, 0x7f800000, v24, s5
	v_add_f32_e32 v26, 1.0, v25
	v_cvt_f64_f32_e32 v[23:24], v26
	v_frexp_exp_i32_f64_e32 v23, v[23:24]
	v_frexp_mant_f32_e32 v24, v26
	v_cmp_gt_f32_e64 s5, 0x3f2aaaab, v24
	v_add_f32_e32 v24, -1.0, v26
	v_sub_f32_e32 v28, v24, v26
	v_sub_f32_e32 v24, v25, v24
	v_add_f32_e32 v28, 1.0, v28
	v_add_f32_e32 v24, v24, v28
	v_subrev_co_ci_u32_e64 v23, null, 0, v23, s5
	s_mov_b32 s5, 0x3e9b6dac
	v_sub_nc_u32_e32 v27, 0, v23
	v_cvt_f32_i32_e32 v23, v23
	v_ldexp_f32 v26, v26, v27
	v_ldexp_f32 v24, v24, v27
	v_add_f32_e32 v29, 1.0, v26
	v_add_f32_e32 v27, -1.0, v26
	v_add_f32_e32 v28, -1.0, v29
	v_add_f32_e32 v30, 1.0, v27
	v_sub_f32_e32 v28, v26, v28
	v_sub_f32_e32 v26, v26, v30
	v_add_f32_e32 v28, v24, v28
	v_add_f32_e32 v24, v24, v26
	;; [unrolled: 1-line block ×4, first 2 shown]
	v_rcp_f32_e32 v26, v30
	v_sub_f32_e32 v29, v29, v30
	v_sub_f32_e32 v27, v27, v31
	v_add_f32_e32 v28, v28, v29
	v_add_f32_e32 v24, v24, v27
	v_mul_f32_e32 v32, v31, v26
	v_mul_f32_e32 v33, v30, v32
	v_fma_f32 v29, v32, v30, -v33
	v_fmac_f32_e32 v29, v32, v28
	v_add_f32_e32 v34, v33, v29
	v_sub_f32_e32 v35, v31, v34
	v_sub_f32_e32 v27, v34, v33
	;; [unrolled: 1-line block ×5, first 2 shown]
	v_add_f32_e32 v24, v24, v31
	v_add_f32_e32 v24, v27, v24
	v_add_f32_e32 v27, v35, v24
	v_mul_f32_e32 v29, v26, v27
	v_sub_f32_e32 v34, v35, v27
	v_mul_f32_e32 v31, v30, v29
	v_add_f32_e32 v24, v24, v34
	v_fma_f32 v30, v29, v30, -v31
	v_fmac_f32_e32 v30, v29, v28
	v_add_f32_e32 v28, v31, v30
	v_sub_f32_e32 v33, v27, v28
	v_sub_f32_e32 v31, v28, v31
	;; [unrolled: 1-line block ×5, first 2 shown]
	v_add_f32_e32 v24, v24, v27
	v_add_f32_e32 v27, v32, v29
	;; [unrolled: 1-line block ×3, first 2 shown]
	v_sub_f32_e32 v28, v27, v32
	v_add_f32_e32 v24, v33, v24
	v_sub_f32_e32 v28, v29, v28
	v_mul_f32_e32 v24, v26, v24
	v_add_f32_e32 v24, v28, v24
	v_add_f32_e32 v26, v27, v24
	v_mul_f32_e32 v28, v26, v26
	v_fmaak_f32 v29, s5, v28, 0x3ecc95a3
	v_mul_f32_e32 v30, v26, v28
	v_cmp_neq_f32_e64 s5, 0x7f800000, v25
	v_fmaak_f32 v28, v28, v29, 0x3f2aaada
	v_ldexp_f32 v29, v26, 1
	v_sub_f32_e32 v26, v26, v27
	v_mul_f32_e32 v28, v30, v28
	v_mul_f32_e32 v30, 0x3f317218, v23
	v_sub_f32_e32 v24, v24, v26
	v_add_f32_e32 v27, v29, v28
	v_ldexp_f32 v24, v24, 1
	v_sub_f32_e32 v26, v27, v29
	v_fma_f32 v29, 0x3f317218, v23, -v30
	v_sub_f32_e32 v26, v28, v26
	v_fmamk_f32 v23, v23, 0xb102e308, v29
	v_add_f32_e32 v24, v24, v26
	v_add_f32_e32 v26, v30, v23
	;; [unrolled: 1-line block ×3, first 2 shown]
	v_sub_f32_e32 v30, v26, v30
	v_add_f32_e32 v29, v26, v28
	v_sub_f32_e32 v27, v28, v27
	v_sub_f32_e32 v23, v23, v30
	;; [unrolled: 1-line block ×6, first 2 shown]
	v_add_f32_e32 v28, v23, v24
	v_sub_f32_e32 v26, v26, v32
	v_add_f32_e32 v26, v27, v26
	v_sub_f32_e32 v27, v28, v23
	;; [unrolled: 2-line block ×3, first 2 shown]
	v_sub_f32_e32 v24, v24, v27
	v_add_f32_e32 v30, v29, v26
	v_sub_f32_e32 v23, v23, v28
	v_sub_f32_e32 v27, v30, v29
	v_add_f32_e32 v23, v24, v23
	v_sub_f32_e32 v24, v26, v27
	v_add_f32_e32 v23, v23, v24
	v_add_f32_e32 v23, v30, v23
	v_cndmask_b32_e64 v23, 0x7f800000, v23, s5
	v_cmp_gt_f32_e64 s5, 0x33800000, |v25|
	v_cndmask_b32_e64 v23, v23, v25, s5
	v_add_f32_e32 v22, v22, v23
	v_cvt_f16_f32_e32 v24, v22
.LBB376_52:
	s_or_b32 exec_lo, exec_lo, s29
	v_and_b32_e32 v23, 0xffff, v24
	v_mov_b32_e32 v22, v24
.LBB376_53:
	s_or_b32 exec_lo, exec_lo, s28
	v_mov_b32_dpp v24, v23 row_shr:2 row_mask:0xf bank_mask:0xf
	s_mov_b32 s28, exec_lo
	v_cmpx_lt_u32_e32 1, v21
	s_cbranch_execz .LBB376_57
; %bb.54:
	v_cvt_f32_f16_e32 v23, v24
	v_cvt_f32_f16_e32 v25, v22
	v_cmp_u_f16_e64 s5, v24, v24
	v_min_f32_e32 v26, v23, v25
	v_max_f32_e32 v27, v23, v25
	v_cndmask_b32_e64 v26, v26, v23, s5
	v_cndmask_b32_e64 v27, v27, v23, s5
	v_cmp_u_f16_e64 s5, v22, v22
	v_cndmask_b32_e64 v23, v26, v25, s5
	v_cndmask_b32_e64 v22, v27, v25, s5
	v_cmp_class_f32_e64 s29, v23, 0x1f8
	v_cmp_neq_f32_e64 s5, v23, v22
	s_or_b32 s5, s5, s29
	s_and_saveexec_b32 s29, s5
	s_cbranch_execz .LBB376_56
; %bb.55:
	v_sub_f32_e32 v23, v23, v22
	v_mul_f32_e32 v24, 0x3fb8aa3b, v23
	v_cmp_ngt_f32_e64 s5, 0xc2ce8ed0, v23
	v_fma_f32 v25, 0x3fb8aa3b, v23, -v24
	v_rndne_f32_e32 v26, v24
	v_fmamk_f32 v25, v23, 0x32a5705f, v25
	v_sub_f32_e32 v24, v24, v26
	v_add_f32_e32 v24, v24, v25
	v_cvt_i32_f32_e32 v25, v26
	v_exp_f32_e32 v24, v24
	v_ldexp_f32 v24, v24, v25
	v_cndmask_b32_e64 v24, 0, v24, s5
	v_cmp_nlt_f32_e64 s5, 0x42b17218, v23
	v_cndmask_b32_e64 v25, 0x7f800000, v24, s5
	v_add_f32_e32 v26, 1.0, v25
	v_cvt_f64_f32_e32 v[23:24], v26
	v_frexp_exp_i32_f64_e32 v23, v[23:24]
	v_frexp_mant_f32_e32 v24, v26
	v_cmp_gt_f32_e64 s5, 0x3f2aaaab, v24
	v_add_f32_e32 v24, -1.0, v26
	v_sub_f32_e32 v28, v24, v26
	v_sub_f32_e32 v24, v25, v24
	v_add_f32_e32 v28, 1.0, v28
	v_add_f32_e32 v24, v24, v28
	v_subrev_co_ci_u32_e64 v23, null, 0, v23, s5
	s_mov_b32 s5, 0x3e9b6dac
	v_sub_nc_u32_e32 v27, 0, v23
	v_cvt_f32_i32_e32 v23, v23
	v_ldexp_f32 v26, v26, v27
	v_ldexp_f32 v24, v24, v27
	v_add_f32_e32 v29, 1.0, v26
	v_add_f32_e32 v27, -1.0, v26
	v_add_f32_e32 v28, -1.0, v29
	v_add_f32_e32 v30, 1.0, v27
	v_sub_f32_e32 v28, v26, v28
	v_sub_f32_e32 v26, v26, v30
	v_add_f32_e32 v28, v24, v28
	v_add_f32_e32 v24, v24, v26
	v_add_f32_e32 v30, v29, v28
	v_add_f32_e32 v31, v27, v24
	v_rcp_f32_e32 v26, v30
	v_sub_f32_e32 v29, v29, v30
	v_sub_f32_e32 v27, v27, v31
	v_add_f32_e32 v28, v28, v29
	v_add_f32_e32 v24, v24, v27
	v_mul_f32_e32 v32, v31, v26
	v_mul_f32_e32 v33, v30, v32
	v_fma_f32 v29, v32, v30, -v33
	v_fmac_f32_e32 v29, v32, v28
	v_add_f32_e32 v34, v33, v29
	v_sub_f32_e32 v35, v31, v34
	v_sub_f32_e32 v27, v34, v33
	;; [unrolled: 1-line block ×5, first 2 shown]
	v_add_f32_e32 v24, v24, v31
	v_add_f32_e32 v24, v27, v24
	;; [unrolled: 1-line block ×3, first 2 shown]
	v_mul_f32_e32 v29, v26, v27
	v_sub_f32_e32 v34, v35, v27
	v_mul_f32_e32 v31, v30, v29
	v_add_f32_e32 v24, v24, v34
	v_fma_f32 v30, v29, v30, -v31
	v_fmac_f32_e32 v30, v29, v28
	v_add_f32_e32 v28, v31, v30
	v_sub_f32_e32 v33, v27, v28
	v_sub_f32_e32 v31, v28, v31
	;; [unrolled: 1-line block ×5, first 2 shown]
	v_add_f32_e32 v24, v24, v27
	v_add_f32_e32 v27, v32, v29
	v_add_f32_e32 v24, v28, v24
	v_sub_f32_e32 v28, v27, v32
	v_add_f32_e32 v24, v33, v24
	v_sub_f32_e32 v28, v29, v28
	v_mul_f32_e32 v24, v26, v24
	v_add_f32_e32 v24, v28, v24
	v_add_f32_e32 v26, v27, v24
	v_mul_f32_e32 v28, v26, v26
	v_fmaak_f32 v29, s5, v28, 0x3ecc95a3
	v_mul_f32_e32 v30, v26, v28
	v_cmp_neq_f32_e64 s5, 0x7f800000, v25
	v_fmaak_f32 v28, v28, v29, 0x3f2aaada
	v_ldexp_f32 v29, v26, 1
	v_sub_f32_e32 v26, v26, v27
	v_mul_f32_e32 v28, v30, v28
	v_mul_f32_e32 v30, 0x3f317218, v23
	v_sub_f32_e32 v24, v24, v26
	v_add_f32_e32 v27, v29, v28
	v_ldexp_f32 v24, v24, 1
	v_sub_f32_e32 v26, v27, v29
	v_fma_f32 v29, 0x3f317218, v23, -v30
	v_sub_f32_e32 v26, v28, v26
	v_fmamk_f32 v23, v23, 0xb102e308, v29
	v_add_f32_e32 v24, v24, v26
	v_add_f32_e32 v26, v30, v23
	;; [unrolled: 1-line block ×3, first 2 shown]
	v_sub_f32_e32 v30, v26, v30
	v_add_f32_e32 v29, v26, v28
	v_sub_f32_e32 v27, v28, v27
	v_sub_f32_e32 v23, v23, v30
	;; [unrolled: 1-line block ×6, first 2 shown]
	v_add_f32_e32 v28, v23, v24
	v_sub_f32_e32 v26, v26, v32
	v_add_f32_e32 v26, v27, v26
	v_sub_f32_e32 v27, v28, v23
	;; [unrolled: 2-line block ×3, first 2 shown]
	v_sub_f32_e32 v24, v24, v27
	v_add_f32_e32 v30, v29, v26
	v_sub_f32_e32 v23, v23, v28
	v_sub_f32_e32 v27, v30, v29
	v_add_f32_e32 v23, v24, v23
	v_sub_f32_e32 v24, v26, v27
	v_add_f32_e32 v23, v23, v24
	v_add_f32_e32 v23, v30, v23
	v_cndmask_b32_e64 v23, 0x7f800000, v23, s5
	v_cmp_gt_f32_e64 s5, 0x33800000, |v25|
	v_cndmask_b32_e64 v23, v23, v25, s5
	v_add_f32_e32 v22, v22, v23
	v_cvt_f16_f32_e32 v24, v22
.LBB376_56:
	s_or_b32 exec_lo, exec_lo, s29
	v_and_b32_e32 v23, 0xffff, v24
	v_mov_b32_e32 v22, v24
.LBB376_57:
	s_or_b32 exec_lo, exec_lo, s28
	v_mov_b32_dpp v24, v23 row_shr:4 row_mask:0xf bank_mask:0xf
	s_mov_b32 s28, exec_lo
	v_cmpx_lt_u32_e32 3, v21
	s_cbranch_execz .LBB376_61
; %bb.58:
	v_cvt_f32_f16_e32 v23, v24
	v_cvt_f32_f16_e32 v25, v22
	v_cmp_u_f16_e64 s5, v24, v24
	v_min_f32_e32 v26, v23, v25
	v_max_f32_e32 v27, v23, v25
	v_cndmask_b32_e64 v26, v26, v23, s5
	v_cndmask_b32_e64 v27, v27, v23, s5
	v_cmp_u_f16_e64 s5, v22, v22
	v_cndmask_b32_e64 v23, v26, v25, s5
	v_cndmask_b32_e64 v22, v27, v25, s5
	v_cmp_class_f32_e64 s29, v23, 0x1f8
	v_cmp_neq_f32_e64 s5, v23, v22
	s_or_b32 s5, s5, s29
	s_and_saveexec_b32 s29, s5
	s_cbranch_execz .LBB376_60
; %bb.59:
	v_sub_f32_e32 v23, v23, v22
	v_mul_f32_e32 v24, 0x3fb8aa3b, v23
	v_cmp_ngt_f32_e64 s5, 0xc2ce8ed0, v23
	v_fma_f32 v25, 0x3fb8aa3b, v23, -v24
	v_rndne_f32_e32 v26, v24
	v_fmamk_f32 v25, v23, 0x32a5705f, v25
	v_sub_f32_e32 v24, v24, v26
	v_add_f32_e32 v24, v24, v25
	v_cvt_i32_f32_e32 v25, v26
	v_exp_f32_e32 v24, v24
	v_ldexp_f32 v24, v24, v25
	v_cndmask_b32_e64 v24, 0, v24, s5
	v_cmp_nlt_f32_e64 s5, 0x42b17218, v23
	v_cndmask_b32_e64 v25, 0x7f800000, v24, s5
	v_add_f32_e32 v26, 1.0, v25
	v_cvt_f64_f32_e32 v[23:24], v26
	v_frexp_exp_i32_f64_e32 v23, v[23:24]
	v_frexp_mant_f32_e32 v24, v26
	v_cmp_gt_f32_e64 s5, 0x3f2aaaab, v24
	v_add_f32_e32 v24, -1.0, v26
	v_sub_f32_e32 v28, v24, v26
	v_sub_f32_e32 v24, v25, v24
	v_add_f32_e32 v28, 1.0, v28
	v_add_f32_e32 v24, v24, v28
	v_subrev_co_ci_u32_e64 v23, null, 0, v23, s5
	s_mov_b32 s5, 0x3e9b6dac
	v_sub_nc_u32_e32 v27, 0, v23
	v_cvt_f32_i32_e32 v23, v23
	v_ldexp_f32 v26, v26, v27
	v_ldexp_f32 v24, v24, v27
	v_add_f32_e32 v29, 1.0, v26
	v_add_f32_e32 v27, -1.0, v26
	v_add_f32_e32 v28, -1.0, v29
	v_add_f32_e32 v30, 1.0, v27
	v_sub_f32_e32 v28, v26, v28
	v_sub_f32_e32 v26, v26, v30
	v_add_f32_e32 v28, v24, v28
	v_add_f32_e32 v24, v24, v26
	v_add_f32_e32 v30, v29, v28
	v_add_f32_e32 v31, v27, v24
	v_rcp_f32_e32 v26, v30
	v_sub_f32_e32 v29, v29, v30
	v_sub_f32_e32 v27, v27, v31
	v_add_f32_e32 v28, v28, v29
	v_add_f32_e32 v24, v24, v27
	v_mul_f32_e32 v32, v31, v26
	v_mul_f32_e32 v33, v30, v32
	v_fma_f32 v29, v32, v30, -v33
	v_fmac_f32_e32 v29, v32, v28
	v_add_f32_e32 v34, v33, v29
	v_sub_f32_e32 v35, v31, v34
	v_sub_f32_e32 v27, v34, v33
	;; [unrolled: 1-line block ×5, first 2 shown]
	v_add_f32_e32 v24, v24, v31
	v_add_f32_e32 v24, v27, v24
	;; [unrolled: 1-line block ×3, first 2 shown]
	v_mul_f32_e32 v29, v26, v27
	v_sub_f32_e32 v34, v35, v27
	v_mul_f32_e32 v31, v30, v29
	v_add_f32_e32 v24, v24, v34
	v_fma_f32 v30, v29, v30, -v31
	v_fmac_f32_e32 v30, v29, v28
	v_add_f32_e32 v28, v31, v30
	v_sub_f32_e32 v33, v27, v28
	v_sub_f32_e32 v31, v28, v31
	;; [unrolled: 1-line block ×5, first 2 shown]
	v_add_f32_e32 v24, v24, v27
	v_add_f32_e32 v27, v32, v29
	;; [unrolled: 1-line block ×3, first 2 shown]
	v_sub_f32_e32 v28, v27, v32
	v_add_f32_e32 v24, v33, v24
	v_sub_f32_e32 v28, v29, v28
	v_mul_f32_e32 v24, v26, v24
	v_add_f32_e32 v24, v28, v24
	v_add_f32_e32 v26, v27, v24
	v_mul_f32_e32 v28, v26, v26
	v_fmaak_f32 v29, s5, v28, 0x3ecc95a3
	v_mul_f32_e32 v30, v26, v28
	v_cmp_neq_f32_e64 s5, 0x7f800000, v25
	v_fmaak_f32 v28, v28, v29, 0x3f2aaada
	v_ldexp_f32 v29, v26, 1
	v_sub_f32_e32 v26, v26, v27
	v_mul_f32_e32 v28, v30, v28
	v_mul_f32_e32 v30, 0x3f317218, v23
	v_sub_f32_e32 v24, v24, v26
	v_add_f32_e32 v27, v29, v28
	v_ldexp_f32 v24, v24, 1
	v_sub_f32_e32 v26, v27, v29
	v_fma_f32 v29, 0x3f317218, v23, -v30
	v_sub_f32_e32 v26, v28, v26
	v_fmamk_f32 v23, v23, 0xb102e308, v29
	v_add_f32_e32 v24, v24, v26
	v_add_f32_e32 v26, v30, v23
	;; [unrolled: 1-line block ×3, first 2 shown]
	v_sub_f32_e32 v30, v26, v30
	v_add_f32_e32 v29, v26, v28
	v_sub_f32_e32 v27, v28, v27
	v_sub_f32_e32 v23, v23, v30
	;; [unrolled: 1-line block ×6, first 2 shown]
	v_add_f32_e32 v28, v23, v24
	v_sub_f32_e32 v26, v26, v32
	v_add_f32_e32 v26, v27, v26
	v_sub_f32_e32 v27, v28, v23
	;; [unrolled: 2-line block ×3, first 2 shown]
	v_sub_f32_e32 v24, v24, v27
	v_add_f32_e32 v30, v29, v26
	v_sub_f32_e32 v23, v23, v28
	v_sub_f32_e32 v27, v30, v29
	v_add_f32_e32 v23, v24, v23
	v_sub_f32_e32 v24, v26, v27
	v_add_f32_e32 v23, v23, v24
	v_add_f32_e32 v23, v30, v23
	v_cndmask_b32_e64 v23, 0x7f800000, v23, s5
	v_cmp_gt_f32_e64 s5, 0x33800000, |v25|
	v_cndmask_b32_e64 v23, v23, v25, s5
	v_add_f32_e32 v22, v22, v23
	v_cvt_f16_f32_e32 v24, v22
.LBB376_60:
	s_or_b32 exec_lo, exec_lo, s29
	v_and_b32_e32 v23, 0xffff, v24
	v_mov_b32_e32 v22, v24
.LBB376_61:
	s_or_b32 exec_lo, exec_lo, s28
	v_mov_b32_dpp v24, v23 row_shr:8 row_mask:0xf bank_mask:0xf
	s_mov_b32 s28, exec_lo
	v_cmpx_lt_u32_e32 7, v21
	s_cbranch_execz .LBB376_65
; %bb.62:
	v_cvt_f32_f16_e32 v21, v24
	v_cvt_f32_f16_e32 v23, v22
	v_cmp_u_f16_e64 s5, v24, v24
	v_min_f32_e32 v25, v21, v23
	v_max_f32_e32 v26, v21, v23
	v_cndmask_b32_e64 v25, v25, v21, s5
	v_cndmask_b32_e64 v21, v26, v21, s5
	v_cmp_u_f16_e64 s5, v22, v22
	v_cndmask_b32_e64 v22, v25, v23, s5
	v_cndmask_b32_e64 v21, v21, v23, s5
	v_cmp_class_f32_e64 s29, v22, 0x1f8
	v_cmp_neq_f32_e64 s5, v22, v21
	s_or_b32 s5, s5, s29
	s_and_saveexec_b32 s29, s5
	s_cbranch_execz .LBB376_64
; %bb.63:
	v_sub_f32_e32 v22, v22, v21
	v_mul_f32_e32 v23, 0x3fb8aa3b, v22
	v_cmp_ngt_f32_e64 s5, 0xc2ce8ed0, v22
	v_fma_f32 v24, 0x3fb8aa3b, v22, -v23
	v_rndne_f32_e32 v25, v23
	v_fmamk_f32 v24, v22, 0x32a5705f, v24
	v_sub_f32_e32 v23, v23, v25
	v_add_f32_e32 v23, v23, v24
	v_cvt_i32_f32_e32 v24, v25
	v_exp_f32_e32 v23, v23
	v_ldexp_f32 v23, v23, v24
	v_cndmask_b32_e64 v23, 0, v23, s5
	v_cmp_nlt_f32_e64 s5, 0x42b17218, v22
	v_cndmask_b32_e64 v24, 0x7f800000, v23, s5
	v_add_f32_e32 v25, 1.0, v24
	v_cvt_f64_f32_e32 v[22:23], v25
	v_frexp_exp_i32_f64_e32 v22, v[22:23]
	v_frexp_mant_f32_e32 v23, v25
	v_cmp_gt_f32_e64 s5, 0x3f2aaaab, v23
	v_add_f32_e32 v23, -1.0, v25
	v_sub_f32_e32 v27, v23, v25
	v_sub_f32_e32 v23, v24, v23
	v_add_f32_e32 v27, 1.0, v27
	v_add_f32_e32 v23, v23, v27
	v_subrev_co_ci_u32_e64 v22, null, 0, v22, s5
	s_mov_b32 s5, 0x3e9b6dac
	v_sub_nc_u32_e32 v26, 0, v22
	v_cvt_f32_i32_e32 v22, v22
	v_ldexp_f32 v25, v25, v26
	v_ldexp_f32 v23, v23, v26
	v_add_f32_e32 v28, 1.0, v25
	v_add_f32_e32 v26, -1.0, v25
	v_add_f32_e32 v27, -1.0, v28
	v_add_f32_e32 v29, 1.0, v26
	v_sub_f32_e32 v27, v25, v27
	v_sub_f32_e32 v25, v25, v29
	v_add_f32_e32 v27, v23, v27
	v_add_f32_e32 v23, v23, v25
	;; [unrolled: 1-line block ×4, first 2 shown]
	v_rcp_f32_e32 v25, v29
	v_sub_f32_e32 v28, v28, v29
	v_sub_f32_e32 v26, v26, v30
	v_add_f32_e32 v27, v27, v28
	v_add_f32_e32 v23, v23, v26
	v_mul_f32_e32 v31, v30, v25
	v_mul_f32_e32 v32, v29, v31
	v_fma_f32 v28, v31, v29, -v32
	v_fmac_f32_e32 v28, v31, v27
	v_add_f32_e32 v33, v32, v28
	v_sub_f32_e32 v34, v30, v33
	v_sub_f32_e32 v26, v33, v32
	;; [unrolled: 1-line block ×5, first 2 shown]
	v_add_f32_e32 v23, v23, v30
	v_add_f32_e32 v23, v26, v23
	;; [unrolled: 1-line block ×3, first 2 shown]
	v_mul_f32_e32 v28, v25, v26
	v_sub_f32_e32 v33, v34, v26
	v_mul_f32_e32 v30, v29, v28
	v_add_f32_e32 v23, v23, v33
	v_fma_f32 v29, v28, v29, -v30
	v_fmac_f32_e32 v29, v28, v27
	v_add_f32_e32 v27, v30, v29
	v_sub_f32_e32 v32, v26, v27
	v_sub_f32_e32 v30, v27, v30
	;; [unrolled: 1-line block ×5, first 2 shown]
	v_add_f32_e32 v23, v23, v26
	v_add_f32_e32 v26, v31, v28
	;; [unrolled: 1-line block ×3, first 2 shown]
	v_sub_f32_e32 v27, v26, v31
	v_add_f32_e32 v23, v32, v23
	v_sub_f32_e32 v27, v28, v27
	v_mul_f32_e32 v23, v25, v23
	v_add_f32_e32 v23, v27, v23
	v_add_f32_e32 v25, v26, v23
	v_mul_f32_e32 v27, v25, v25
	v_fmaak_f32 v28, s5, v27, 0x3ecc95a3
	v_mul_f32_e32 v29, v25, v27
	v_cmp_neq_f32_e64 s5, 0x7f800000, v24
	v_fmaak_f32 v27, v27, v28, 0x3f2aaada
	v_ldexp_f32 v28, v25, 1
	v_sub_f32_e32 v25, v25, v26
	v_mul_f32_e32 v27, v29, v27
	v_mul_f32_e32 v29, 0x3f317218, v22
	v_sub_f32_e32 v23, v23, v25
	v_add_f32_e32 v26, v28, v27
	v_ldexp_f32 v23, v23, 1
	v_sub_f32_e32 v25, v26, v28
	v_fma_f32 v28, 0x3f317218, v22, -v29
	v_sub_f32_e32 v25, v27, v25
	v_fmamk_f32 v22, v22, 0xb102e308, v28
	v_add_f32_e32 v23, v23, v25
	v_add_f32_e32 v25, v29, v22
	;; [unrolled: 1-line block ×3, first 2 shown]
	v_sub_f32_e32 v29, v25, v29
	v_add_f32_e32 v28, v25, v27
	v_sub_f32_e32 v26, v27, v26
	v_sub_f32_e32 v22, v22, v29
	v_sub_f32_e32 v30, v28, v25
	v_sub_f32_e32 v23, v23, v26
	v_sub_f32_e32 v31, v28, v30
	v_sub_f32_e32 v26, v27, v30
	v_add_f32_e32 v27, v22, v23
	v_sub_f32_e32 v25, v25, v31
	v_add_f32_e32 v25, v26, v25
	v_sub_f32_e32 v26, v27, v22
	;; [unrolled: 2-line block ×3, first 2 shown]
	v_sub_f32_e32 v23, v23, v26
	v_add_f32_e32 v29, v28, v25
	v_sub_f32_e32 v22, v22, v27
	v_sub_f32_e32 v26, v29, v28
	v_add_f32_e32 v22, v23, v22
	v_sub_f32_e32 v23, v25, v26
	v_add_f32_e32 v22, v22, v23
	v_add_f32_e32 v22, v29, v22
	v_cndmask_b32_e64 v22, 0x7f800000, v22, s5
	v_cmp_gt_f32_e64 s5, 0x33800000, |v24|
	v_cndmask_b32_e64 v22, v22, v24, s5
	v_add_f32_e32 v21, v21, v22
	v_cvt_f16_f32_e32 v24, v21
.LBB376_64:
	s_or_b32 exec_lo, exec_lo, s29
	v_and_b32_e32 v23, 0xffff, v24
	v_mov_b32_e32 v22, v24
.LBB376_65:
	s_or_b32 exec_lo, exec_lo, s28
	ds_swizzle_b32 v23, v23 offset:swizzle(BROADCAST,32,15)
	v_and_b32_e32 v21, 16, v20
	s_mov_b32 s28, exec_lo
	v_cmpx_ne_u32_e32 0, v21
	s_cbranch_execz .LBB376_69
; %bb.66:
	s_waitcnt lgkmcnt(0)
	v_cvt_f32_f16_e32 v21, v23
	v_cvt_f32_f16_e32 v24, v22
	v_cmp_u_f16_e64 s5, v23, v23
	v_min_f32_e32 v25, v21, v24
	v_max_f32_e32 v26, v21, v24
	v_cndmask_b32_e64 v25, v25, v21, s5
	v_cndmask_b32_e64 v21, v26, v21, s5
	v_cmp_u_f16_e64 s5, v22, v22
	v_cndmask_b32_e64 v22, v25, v24, s5
	v_cndmask_b32_e64 v21, v21, v24, s5
	v_cmp_class_f32_e64 s29, v22, 0x1f8
	v_cmp_neq_f32_e64 s5, v22, v21
	s_or_b32 s5, s5, s29
	s_and_saveexec_b32 s29, s5
	s_cbranch_execz .LBB376_68
; %bb.67:
	v_sub_f32_e32 v22, v22, v21
	v_mul_f32_e32 v23, 0x3fb8aa3b, v22
	v_cmp_ngt_f32_e64 s5, 0xc2ce8ed0, v22
	v_fma_f32 v24, 0x3fb8aa3b, v22, -v23
	v_rndne_f32_e32 v25, v23
	v_fmamk_f32 v24, v22, 0x32a5705f, v24
	v_sub_f32_e32 v23, v23, v25
	v_add_f32_e32 v23, v23, v24
	v_cvt_i32_f32_e32 v24, v25
	v_exp_f32_e32 v23, v23
	v_ldexp_f32 v23, v23, v24
	v_cndmask_b32_e64 v23, 0, v23, s5
	v_cmp_nlt_f32_e64 s5, 0x42b17218, v22
	v_cndmask_b32_e64 v24, 0x7f800000, v23, s5
	v_add_f32_e32 v25, 1.0, v24
	v_cvt_f64_f32_e32 v[22:23], v25
	v_frexp_exp_i32_f64_e32 v22, v[22:23]
	v_frexp_mant_f32_e32 v23, v25
	v_cmp_gt_f32_e64 s5, 0x3f2aaaab, v23
	v_add_f32_e32 v23, -1.0, v25
	v_sub_f32_e32 v27, v23, v25
	v_sub_f32_e32 v23, v24, v23
	v_add_f32_e32 v27, 1.0, v27
	v_add_f32_e32 v23, v23, v27
	v_subrev_co_ci_u32_e64 v22, null, 0, v22, s5
	s_mov_b32 s5, 0x3e9b6dac
	v_sub_nc_u32_e32 v26, 0, v22
	v_cvt_f32_i32_e32 v22, v22
	v_ldexp_f32 v25, v25, v26
	v_ldexp_f32 v23, v23, v26
	v_add_f32_e32 v28, 1.0, v25
	v_add_f32_e32 v26, -1.0, v25
	v_add_f32_e32 v27, -1.0, v28
	v_add_f32_e32 v29, 1.0, v26
	v_sub_f32_e32 v27, v25, v27
	v_sub_f32_e32 v25, v25, v29
	v_add_f32_e32 v27, v23, v27
	v_add_f32_e32 v23, v23, v25
	;; [unrolled: 1-line block ×4, first 2 shown]
	v_rcp_f32_e32 v25, v29
	v_sub_f32_e32 v28, v28, v29
	v_sub_f32_e32 v26, v26, v30
	v_add_f32_e32 v27, v27, v28
	v_add_f32_e32 v23, v23, v26
	v_mul_f32_e32 v31, v30, v25
	v_mul_f32_e32 v32, v29, v31
	v_fma_f32 v28, v31, v29, -v32
	v_fmac_f32_e32 v28, v31, v27
	v_add_f32_e32 v33, v32, v28
	v_sub_f32_e32 v34, v30, v33
	v_sub_f32_e32 v26, v33, v32
	;; [unrolled: 1-line block ×5, first 2 shown]
	v_add_f32_e32 v23, v23, v30
	v_add_f32_e32 v23, v26, v23
	;; [unrolled: 1-line block ×3, first 2 shown]
	v_mul_f32_e32 v28, v25, v26
	v_sub_f32_e32 v33, v34, v26
	v_mul_f32_e32 v30, v29, v28
	v_add_f32_e32 v23, v23, v33
	v_fma_f32 v29, v28, v29, -v30
	v_fmac_f32_e32 v29, v28, v27
	v_add_f32_e32 v27, v30, v29
	v_sub_f32_e32 v32, v26, v27
	v_sub_f32_e32 v30, v27, v30
	;; [unrolled: 1-line block ×5, first 2 shown]
	v_add_f32_e32 v23, v23, v26
	v_add_f32_e32 v26, v31, v28
	;; [unrolled: 1-line block ×3, first 2 shown]
	v_sub_f32_e32 v27, v26, v31
	v_add_f32_e32 v23, v32, v23
	v_sub_f32_e32 v27, v28, v27
	v_mul_f32_e32 v23, v25, v23
	v_add_f32_e32 v23, v27, v23
	v_add_f32_e32 v25, v26, v23
	v_mul_f32_e32 v27, v25, v25
	v_fmaak_f32 v28, s5, v27, 0x3ecc95a3
	v_mul_f32_e32 v29, v25, v27
	v_cmp_neq_f32_e64 s5, 0x7f800000, v24
	v_fmaak_f32 v27, v27, v28, 0x3f2aaada
	v_ldexp_f32 v28, v25, 1
	v_sub_f32_e32 v25, v25, v26
	v_mul_f32_e32 v27, v29, v27
	v_mul_f32_e32 v29, 0x3f317218, v22
	v_sub_f32_e32 v23, v23, v25
	v_add_f32_e32 v26, v28, v27
	v_ldexp_f32 v23, v23, 1
	v_sub_f32_e32 v25, v26, v28
	v_fma_f32 v28, 0x3f317218, v22, -v29
	v_sub_f32_e32 v25, v27, v25
	v_fmamk_f32 v22, v22, 0xb102e308, v28
	v_add_f32_e32 v23, v23, v25
	v_add_f32_e32 v25, v29, v22
	;; [unrolled: 1-line block ×3, first 2 shown]
	v_sub_f32_e32 v29, v25, v29
	v_add_f32_e32 v28, v25, v27
	v_sub_f32_e32 v26, v27, v26
	v_sub_f32_e32 v22, v22, v29
	;; [unrolled: 1-line block ×6, first 2 shown]
	v_add_f32_e32 v27, v22, v23
	v_sub_f32_e32 v25, v25, v31
	v_add_f32_e32 v25, v26, v25
	v_sub_f32_e32 v26, v27, v22
	;; [unrolled: 2-line block ×3, first 2 shown]
	v_sub_f32_e32 v23, v23, v26
	v_add_f32_e32 v29, v28, v25
	v_sub_f32_e32 v22, v22, v27
	v_sub_f32_e32 v26, v29, v28
	v_add_f32_e32 v22, v23, v22
	v_sub_f32_e32 v23, v25, v26
	v_add_f32_e32 v22, v22, v23
	v_add_f32_e32 v22, v29, v22
	v_cndmask_b32_e64 v22, 0x7f800000, v22, s5
	v_cmp_gt_f32_e64 s5, 0x33800000, |v24|
	v_cndmask_b32_e64 v22, v22, v24, s5
	v_add_f32_e32 v21, v21, v22
	v_cvt_f16_f32_e32 v23, v21
.LBB376_68:
	s_or_b32 exec_lo, exec_lo, s29
	v_mov_b32_e32 v22, v23
.LBB376_69:
	s_or_b32 exec_lo, exec_lo, s28
	v_add_nc_u32_e32 v21, -1, v20
	v_cmp_gt_i32_e64 s5, 0, v21
	v_cndmask_b32_e64 v20, v21, v20, s5
	v_and_b32_e32 v21, 0xffff, v22
	v_lshlrev_b32_e32 v20, 2, v20
	ds_bpermute_b32 v20, v20, v21
	v_max_f32_e32 v21, v19, v19
	s_waitcnt lgkmcnt(0)
	v_cvt_f32_f16_e32 v22, v20
	v_cmp_u_f16_e64 s5, v20, v20
	v_min_f32_e32 v23, v22, v21
	v_max_f32_e32 v21, v22, v21
	v_cndmask_b32_e64 v23, v23, v22, s5
	v_cndmask_b32_e64 v22, v21, v22, s5
	;; [unrolled: 1-line block ×4, first 2 shown]
	v_cmp_class_f32_e64 s5, v21, 0x1f8
	v_cmp_neq_f32_e64 s4, v21, v19
	s_or_b32 s4, s4, s5
	s_and_saveexec_b32 s5, s4
	s_cbranch_execz .LBB376_71
; %bb.70:
	v_sub_f32_e32 v20, v21, v19
	v_mul_f32_e32 v21, 0x3fb8aa3b, v20
	v_cmp_ngt_f32_e64 s4, 0xc2ce8ed0, v20
	v_fma_f32 v22, 0x3fb8aa3b, v20, -v21
	v_rndne_f32_e32 v23, v21
	v_fmamk_f32 v22, v20, 0x32a5705f, v22
	v_sub_f32_e32 v21, v21, v23
	v_add_f32_e32 v21, v21, v22
	v_cvt_i32_f32_e32 v22, v23
	v_exp_f32_e32 v21, v21
	v_ldexp_f32 v21, v21, v22
	v_cndmask_b32_e64 v21, 0, v21, s4
	v_cmp_nlt_f32_e64 s4, 0x42b17218, v20
	v_cndmask_b32_e64 v22, 0x7f800000, v21, s4
	v_add_f32_e32 v23, 1.0, v22
	v_cvt_f64_f32_e32 v[20:21], v23
	v_frexp_exp_i32_f64_e32 v20, v[20:21]
	v_frexp_mant_f32_e32 v21, v23
	v_cmp_gt_f32_e64 s4, 0x3f2aaaab, v21
	v_add_f32_e32 v21, -1.0, v23
	v_sub_f32_e32 v25, v21, v23
	v_sub_f32_e32 v21, v22, v21
	v_add_f32_e32 v25, 1.0, v25
	v_add_f32_e32 v21, v21, v25
	v_subrev_co_ci_u32_e64 v20, null, 0, v20, s4
	s_mov_b32 s4, 0x3e9b6dac
	v_sub_nc_u32_e32 v24, 0, v20
	v_cvt_f32_i32_e32 v20, v20
	v_ldexp_f32 v23, v23, v24
	v_ldexp_f32 v21, v21, v24
	v_add_f32_e32 v26, 1.0, v23
	v_add_f32_e32 v24, -1.0, v23
	v_add_f32_e32 v25, -1.0, v26
	v_add_f32_e32 v27, 1.0, v24
	v_sub_f32_e32 v25, v23, v25
	v_sub_f32_e32 v23, v23, v27
	v_add_f32_e32 v25, v21, v25
	v_add_f32_e32 v21, v21, v23
	;; [unrolled: 1-line block ×4, first 2 shown]
	v_rcp_f32_e32 v23, v27
	v_sub_f32_e32 v26, v26, v27
	v_sub_f32_e32 v24, v24, v28
	v_add_f32_e32 v25, v25, v26
	v_add_f32_e32 v21, v21, v24
	v_mul_f32_e32 v29, v28, v23
	v_mul_f32_e32 v30, v27, v29
	v_fma_f32 v26, v29, v27, -v30
	v_fmac_f32_e32 v26, v29, v25
	v_add_f32_e32 v31, v30, v26
	v_sub_f32_e32 v32, v28, v31
	v_sub_f32_e32 v24, v31, v30
	;; [unrolled: 1-line block ×5, first 2 shown]
	v_add_f32_e32 v21, v21, v28
	v_add_f32_e32 v21, v24, v21
	;; [unrolled: 1-line block ×3, first 2 shown]
	v_mul_f32_e32 v26, v23, v24
	v_sub_f32_e32 v31, v32, v24
	v_mul_f32_e32 v28, v27, v26
	v_add_f32_e32 v21, v21, v31
	v_fma_f32 v27, v26, v27, -v28
	v_fmac_f32_e32 v27, v26, v25
	v_add_f32_e32 v25, v28, v27
	v_sub_f32_e32 v30, v24, v25
	v_sub_f32_e32 v28, v25, v28
	;; [unrolled: 1-line block ×5, first 2 shown]
	v_add_f32_e32 v21, v21, v24
	v_add_f32_e32 v24, v29, v26
	;; [unrolled: 1-line block ×3, first 2 shown]
	v_sub_f32_e32 v25, v24, v29
	v_add_f32_e32 v21, v30, v21
	v_sub_f32_e32 v25, v26, v25
	v_mul_f32_e32 v21, v23, v21
	v_add_f32_e32 v21, v25, v21
	v_add_f32_e32 v23, v24, v21
	v_mul_f32_e32 v25, v23, v23
	v_fmaak_f32 v26, s4, v25, 0x3ecc95a3
	v_mul_f32_e32 v27, v23, v25
	v_cmp_neq_f32_e64 s4, 0x7f800000, v22
	v_fmaak_f32 v25, v25, v26, 0x3f2aaada
	v_ldexp_f32 v26, v23, 1
	v_sub_f32_e32 v23, v23, v24
	v_mul_f32_e32 v25, v27, v25
	v_mul_f32_e32 v27, 0x3f317218, v20
	v_sub_f32_e32 v21, v21, v23
	v_add_f32_e32 v24, v26, v25
	v_ldexp_f32 v21, v21, 1
	v_sub_f32_e32 v23, v24, v26
	v_fma_f32 v26, 0x3f317218, v20, -v27
	v_sub_f32_e32 v23, v25, v23
	v_fmamk_f32 v20, v20, 0xb102e308, v26
	v_add_f32_e32 v21, v21, v23
	v_add_f32_e32 v23, v27, v20
	;; [unrolled: 1-line block ×3, first 2 shown]
	v_sub_f32_e32 v27, v23, v27
	v_add_f32_e32 v26, v23, v25
	v_sub_f32_e32 v24, v25, v24
	v_sub_f32_e32 v20, v20, v27
	;; [unrolled: 1-line block ×6, first 2 shown]
	v_add_f32_e32 v25, v20, v21
	v_sub_f32_e32 v23, v23, v29
	v_add_f32_e32 v23, v24, v23
	v_sub_f32_e32 v24, v25, v20
	;; [unrolled: 2-line block ×3, first 2 shown]
	v_sub_f32_e32 v21, v21, v24
	v_add_f32_e32 v27, v26, v23
	v_sub_f32_e32 v20, v20, v25
	v_sub_f32_e32 v24, v27, v26
	v_add_f32_e32 v20, v21, v20
	v_sub_f32_e32 v21, v23, v24
	v_add_f32_e32 v20, v20, v21
	v_add_f32_e32 v20, v27, v20
	v_cndmask_b32_e64 v20, 0x7f800000, v20, s4
	v_cmp_gt_f32_e64 s4, 0x33800000, |v22|
	v_cndmask_b32_e64 v20, v20, v22, s4
	v_add_f32_e32 v19, v19, v20
	v_cvt_f16_f32_e32 v20, v19
.LBB376_71:
	s_or_b32 exec_lo, exec_lo, s5
	v_cmp_eq_u32_e64 s4, 0, v0
	; wave barrier
	v_cndmask_b32_e64 v19, v20, v18, s4
	ds_write_b16 v6, v19
	; wave barrier
	ds_read_u16 v18, v6 offset:2
	v_cvt_f32_f16_e32 v20, v19
	v_cmp_u_f16_e64 s4, v19, v19
	s_waitcnt lgkmcnt(0)
	v_cvt_f32_f16_e32 v21, v18
	v_min_f32_e32 v22, v20, v21
	v_max_f32_e32 v23, v20, v21
	v_cndmask_b32_e64 v22, v22, v20, s4
	v_cndmask_b32_e64 v23, v23, v20, s4
	v_cmp_u_f16_e64 s4, v18, v18
	v_cndmask_b32_e64 v20, v22, v21, s4
	v_cndmask_b32_e64 v18, v23, v21, s4
	v_cmp_class_f32_e64 s5, v20, 0x1f8
	v_cmp_neq_f32_e64 s4, v20, v18
	s_or_b32 s4, s4, s5
	s_and_saveexec_b32 s5, s4
	s_cbranch_execz .LBB376_73
; %bb.72:
	v_sub_f32_e32 v19, v20, v18
	v_mul_f32_e32 v20, 0x3fb8aa3b, v19
	v_cmp_ngt_f32_e64 s4, 0xc2ce8ed0, v19
	v_fma_f32 v21, 0x3fb8aa3b, v19, -v20
	v_rndne_f32_e32 v22, v20
	v_fmamk_f32 v21, v19, 0x32a5705f, v21
	v_sub_f32_e32 v20, v20, v22
	v_add_f32_e32 v20, v20, v21
	v_cvt_i32_f32_e32 v21, v22
	v_exp_f32_e32 v20, v20
	v_ldexp_f32 v20, v20, v21
	v_cndmask_b32_e64 v20, 0, v20, s4
	v_cmp_nlt_f32_e64 s4, 0x42b17218, v19
	v_cndmask_b32_e64 v21, 0x7f800000, v20, s4
	v_add_f32_e32 v22, 1.0, v21
	v_cvt_f64_f32_e32 v[19:20], v22
	v_frexp_exp_i32_f64_e32 v19, v[19:20]
	v_frexp_mant_f32_e32 v20, v22
	v_cmp_gt_f32_e64 s4, 0x3f2aaaab, v20
	v_add_f32_e32 v20, -1.0, v22
	v_sub_f32_e32 v24, v20, v22
	v_sub_f32_e32 v20, v21, v20
	v_add_f32_e32 v24, 1.0, v24
	v_add_f32_e32 v20, v20, v24
	v_subrev_co_ci_u32_e64 v19, null, 0, v19, s4
	s_mov_b32 s4, 0x3e9b6dac
	v_sub_nc_u32_e32 v23, 0, v19
	v_cvt_f32_i32_e32 v19, v19
	v_ldexp_f32 v22, v22, v23
	v_ldexp_f32 v20, v20, v23
	v_add_f32_e32 v25, 1.0, v22
	v_add_f32_e32 v23, -1.0, v22
	v_add_f32_e32 v24, -1.0, v25
	v_add_f32_e32 v26, 1.0, v23
	v_sub_f32_e32 v24, v22, v24
	v_sub_f32_e32 v22, v22, v26
	v_add_f32_e32 v24, v20, v24
	v_add_f32_e32 v20, v20, v22
	;; [unrolled: 1-line block ×4, first 2 shown]
	v_rcp_f32_e32 v22, v26
	v_sub_f32_e32 v25, v25, v26
	v_sub_f32_e32 v23, v23, v27
	v_add_f32_e32 v24, v24, v25
	v_add_f32_e32 v20, v20, v23
	v_mul_f32_e32 v28, v27, v22
	v_mul_f32_e32 v29, v26, v28
	v_fma_f32 v25, v28, v26, -v29
	v_fmac_f32_e32 v25, v28, v24
	v_add_f32_e32 v30, v29, v25
	v_sub_f32_e32 v31, v27, v30
	v_sub_f32_e32 v23, v30, v29
	;; [unrolled: 1-line block ×5, first 2 shown]
	v_add_f32_e32 v20, v20, v27
	v_add_f32_e32 v20, v23, v20
	;; [unrolled: 1-line block ×3, first 2 shown]
	v_mul_f32_e32 v25, v22, v23
	v_sub_f32_e32 v30, v31, v23
	v_mul_f32_e32 v27, v26, v25
	v_add_f32_e32 v20, v20, v30
	v_fma_f32 v26, v25, v26, -v27
	v_fmac_f32_e32 v26, v25, v24
	v_add_f32_e32 v24, v27, v26
	v_sub_f32_e32 v29, v23, v24
	v_sub_f32_e32 v27, v24, v27
	;; [unrolled: 1-line block ×5, first 2 shown]
	v_add_f32_e32 v20, v20, v23
	v_add_f32_e32 v23, v28, v25
	v_add_f32_e32 v20, v24, v20
	v_sub_f32_e32 v24, v23, v28
	v_add_f32_e32 v20, v29, v20
	v_sub_f32_e32 v24, v25, v24
	v_mul_f32_e32 v20, v22, v20
	v_add_f32_e32 v20, v24, v20
	v_add_f32_e32 v22, v23, v20
	v_mul_f32_e32 v24, v22, v22
	v_fmaak_f32 v25, s4, v24, 0x3ecc95a3
	v_mul_f32_e32 v26, v22, v24
	v_cmp_neq_f32_e64 s4, 0x7f800000, v21
	v_fmaak_f32 v24, v24, v25, 0x3f2aaada
	v_ldexp_f32 v25, v22, 1
	v_sub_f32_e32 v22, v22, v23
	v_mul_f32_e32 v24, v26, v24
	v_mul_f32_e32 v26, 0x3f317218, v19
	v_sub_f32_e32 v20, v20, v22
	v_add_f32_e32 v23, v25, v24
	v_ldexp_f32 v20, v20, 1
	v_sub_f32_e32 v22, v23, v25
	v_fma_f32 v25, 0x3f317218, v19, -v26
	v_sub_f32_e32 v22, v24, v22
	v_fmamk_f32 v19, v19, 0xb102e308, v25
	v_add_f32_e32 v20, v20, v22
	v_add_f32_e32 v22, v26, v19
	;; [unrolled: 1-line block ×3, first 2 shown]
	v_sub_f32_e32 v26, v22, v26
	v_add_f32_e32 v25, v22, v24
	v_sub_f32_e32 v23, v24, v23
	v_sub_f32_e32 v19, v19, v26
	;; [unrolled: 1-line block ×6, first 2 shown]
	v_add_f32_e32 v24, v19, v20
	v_sub_f32_e32 v22, v22, v28
	v_add_f32_e32 v22, v23, v22
	v_sub_f32_e32 v23, v24, v19
	;; [unrolled: 2-line block ×3, first 2 shown]
	v_sub_f32_e32 v20, v20, v23
	v_add_f32_e32 v26, v25, v22
	v_sub_f32_e32 v19, v19, v24
	v_sub_f32_e32 v23, v26, v25
	v_add_f32_e32 v19, v20, v19
	v_sub_f32_e32 v20, v22, v23
	v_add_f32_e32 v19, v19, v20
	v_add_f32_e32 v19, v26, v19
	v_cndmask_b32_e64 v19, 0x7f800000, v19, s4
	v_cmp_gt_f32_e64 s4, 0x33800000, |v21|
	v_cndmask_b32_e64 v19, v19, v21, s4
	v_add_f32_e32 v18, v18, v19
	v_cvt_f16_f32_e32 v19, v18
.LBB376_73:
	s_or_b32 exec_lo, exec_lo, s5
	ds_write_b16 v6, v19 offset:2
.LBB376_74:
	s_or_b32 exec_lo, exec_lo, s25
	v_mul_u32_u24_e32 v6, 22, v0
	v_mov_b32_e32 v18, v1
	s_mov_b32 s5, exec_lo
	s_waitcnt lgkmcnt(0)
	s_barrier
	buffer_gl0_inv
	v_cmpx_ne_u32_e32 0, v0
	s_cbranch_execz .LBB376_78
; %bb.75:
	v_add_nc_u32_e32 v1, -1, v0
	v_lshrrev_b32_e32 v16, 4, v1
	v_and_b32_e32 v16, 0xffffffe, v16
	v_lshl_add_u32 v1, v1, 1, v16
	v_max_f32_e32 v16, v8, v8
	ds_read_u16 v1, v1
	s_waitcnt lgkmcnt(0)
	v_cvt_f32_f16_e32 v19, v1
	v_cmp_u_f16_e64 s4, v1, v1
	v_min_f32_e32 v17, v19, v16
	v_max_f32_e32 v16, v19, v16
	v_cndmask_b32_e64 v17, v17, v19, s4
	v_cndmask_b32_e64 v18, v16, v19, s4
	;; [unrolled: 1-line block ×4, first 2 shown]
	v_cmp_class_f32_e64 s24, v16, 0x1f8
	v_cmp_neq_f32_e64 s4, v16, v8
	s_or_b32 s4, s4, s24
	s_and_saveexec_b32 s24, s4
	s_cbranch_execz .LBB376_77
; %bb.76:
	v_sub_f32_e32 v1, v16, v8
	v_mul_f32_e32 v16, 0x3fb8aa3b, v1
	v_cmp_ngt_f32_e64 s4, 0xc2ce8ed0, v1
	v_fma_f32 v17, 0x3fb8aa3b, v1, -v16
	v_rndne_f32_e32 v18, v16
	v_fmamk_f32 v17, v1, 0x32a5705f, v17
	v_sub_f32_e32 v16, v16, v18
	v_add_f32_e32 v16, v16, v17
	v_cvt_i32_f32_e32 v17, v18
	v_exp_f32_e32 v16, v16
	v_ldexp_f32 v16, v16, v17
	v_cndmask_b32_e64 v16, 0, v16, s4
	v_cmp_nlt_f32_e64 s4, 0x42b17218, v1
	v_cndmask_b32_e64 v1, 0x7f800000, v16, s4
	v_add_f32_e32 v18, 1.0, v1
	v_cvt_f64_f32_e32 v[16:17], v18
	v_frexp_exp_i32_f64_e32 v16, v[16:17]
	v_frexp_mant_f32_e32 v17, v18
	v_cmp_gt_f32_e64 s4, 0x3f2aaaab, v17
	v_add_f32_e32 v17, -1.0, v18
	v_sub_f32_e32 v20, v17, v18
	v_sub_f32_e32 v17, v1, v17
	v_add_f32_e32 v20, 1.0, v20
	v_add_f32_e32 v17, v17, v20
	v_subrev_co_ci_u32_e64 v16, null, 0, v16, s4
	s_mov_b32 s4, 0x3e9b6dac
	v_sub_nc_u32_e32 v19, 0, v16
	v_cvt_f32_i32_e32 v16, v16
	v_ldexp_f32 v18, v18, v19
	v_ldexp_f32 v17, v17, v19
	v_add_f32_e32 v21, 1.0, v18
	v_add_f32_e32 v19, -1.0, v18
	v_add_f32_e32 v20, -1.0, v21
	v_add_f32_e32 v22, 1.0, v19
	v_sub_f32_e32 v20, v18, v20
	v_sub_f32_e32 v18, v18, v22
	v_add_f32_e32 v20, v17, v20
	v_add_f32_e32 v17, v17, v18
	;; [unrolled: 1-line block ×4, first 2 shown]
	v_rcp_f32_e32 v18, v22
	v_sub_f32_e32 v21, v21, v22
	v_sub_f32_e32 v19, v19, v23
	v_add_f32_e32 v20, v20, v21
	v_add_f32_e32 v17, v17, v19
	v_mul_f32_e32 v24, v23, v18
	v_mul_f32_e32 v25, v22, v24
	v_fma_f32 v21, v24, v22, -v25
	v_fmac_f32_e32 v21, v24, v20
	v_add_f32_e32 v26, v25, v21
	v_sub_f32_e32 v27, v23, v26
	v_sub_f32_e32 v19, v26, v25
	;; [unrolled: 1-line block ×5, first 2 shown]
	v_add_f32_e32 v17, v17, v23
	v_add_f32_e32 v17, v19, v17
	;; [unrolled: 1-line block ×3, first 2 shown]
	v_mul_f32_e32 v21, v18, v19
	v_sub_f32_e32 v26, v27, v19
	v_mul_f32_e32 v23, v22, v21
	v_add_f32_e32 v17, v17, v26
	v_fma_f32 v22, v21, v22, -v23
	v_fmac_f32_e32 v22, v21, v20
	v_add_f32_e32 v20, v23, v22
	v_sub_f32_e32 v25, v19, v20
	v_sub_f32_e32 v23, v20, v23
	v_sub_f32_e32 v19, v19, v25
	v_sub_f32_e32 v19, v19, v20
	v_sub_f32_e32 v20, v23, v22
	v_add_f32_e32 v17, v17, v19
	v_add_f32_e32 v19, v24, v21
	;; [unrolled: 1-line block ×3, first 2 shown]
	v_sub_f32_e32 v20, v19, v24
	v_add_f32_e32 v17, v25, v17
	v_sub_f32_e32 v20, v21, v20
	v_mul_f32_e32 v17, v18, v17
	v_add_f32_e32 v17, v20, v17
	v_add_f32_e32 v18, v19, v17
	v_mul_f32_e32 v20, v18, v18
	v_fmaak_f32 v21, s4, v20, 0x3ecc95a3
	v_mul_f32_e32 v22, v18, v20
	v_cmp_neq_f32_e64 s4, 0x7f800000, v1
	v_fmaak_f32 v20, v20, v21, 0x3f2aaada
	v_ldexp_f32 v21, v18, 1
	v_sub_f32_e32 v18, v18, v19
	v_mul_f32_e32 v20, v22, v20
	v_mul_f32_e32 v22, 0x3f317218, v16
	v_sub_f32_e32 v17, v17, v18
	v_add_f32_e32 v19, v21, v20
	v_ldexp_f32 v17, v17, 1
	v_sub_f32_e32 v18, v19, v21
	v_fma_f32 v21, 0x3f317218, v16, -v22
	v_sub_f32_e32 v18, v20, v18
	v_fmamk_f32 v16, v16, 0xb102e308, v21
	v_add_f32_e32 v17, v17, v18
	v_add_f32_e32 v18, v22, v16
	;; [unrolled: 1-line block ×3, first 2 shown]
	v_sub_f32_e32 v22, v18, v22
	v_add_f32_e32 v21, v18, v20
	v_sub_f32_e32 v19, v20, v19
	v_sub_f32_e32 v16, v16, v22
	;; [unrolled: 1-line block ×6, first 2 shown]
	v_add_f32_e32 v20, v16, v17
	v_sub_f32_e32 v18, v18, v24
	v_add_f32_e32 v18, v19, v18
	v_sub_f32_e32 v19, v20, v16
	v_add_f32_e32 v18, v20, v18
	v_sub_f32_e32 v20, v20, v19
	v_sub_f32_e32 v17, v17, v19
	v_add_f32_e32 v22, v21, v18
	v_sub_f32_e32 v16, v16, v20
	v_sub_f32_e32 v19, v22, v21
	v_add_f32_e32 v16, v17, v16
	v_sub_f32_e32 v17, v18, v19
	v_add_f32_e32 v16, v16, v17
	v_add_f32_e32 v16, v22, v16
	v_cndmask_b32_e64 v16, 0x7f800000, v16, s4
	v_cmp_gt_f32_e64 s4, 0x33800000, |v1|
	v_cndmask_b32_e64 v1, v16, v1, s4
	v_add_f32_e32 v1, v8, v1
	v_cvt_f16_f32_e32 v1, v1
	v_cvt_f32_f16_e32 v19, v1
.LBB376_77:
	s_or_b32 exec_lo, exec_lo, s24
	v_max_f32_e32 v8, v9, v9
	v_max_f32_e32 v17, v19, v19
	v_mov_b32_e32 v18, v1
	;;#ASMSTART
	;;#ASMEND
	v_min_f32_e32 v16, v17, v8
	v_max_f32_e32 v17, v17, v8
	v_mov_b32_e32 v8, v19
.LBB376_78:
	s_or_b32 exec_lo, exec_lo, s5
	v_cmp_u_f16_e64 s4, v18, v18
	v_cndmask_b32_e64 v16, v16, v8, s4
	v_cndmask_b32_e64 v19, v17, v8, s4
	;; [unrolled: 1-line block ×4, first 2 shown]
	v_mov_b32_e32 v9, v1
	v_cmp_class_f32_e64 s5, v17, 0x1f8
	v_cmp_neq_f32_e64 s4, v17, v16
	s_or_b32 s4, s4, s5
	s_and_saveexec_b32 s5, s4
	s_cbranch_execz .LBB376_80
; %bb.79:
	v_sub_f32_e32 v8, v17, v16
	v_mul_f32_e32 v9, 0x3fb8aa3b, v8
	v_cmp_ngt_f32_e64 s4, 0xc2ce8ed0, v8
	v_fma_f32 v17, 0x3fb8aa3b, v8, -v9
	v_rndne_f32_e32 v18, v9
	v_fmamk_f32 v17, v8, 0x32a5705f, v17
	v_sub_f32_e32 v9, v9, v18
	v_add_f32_e32 v9, v9, v17
	v_cvt_i32_f32_e32 v17, v18
	v_exp_f32_e32 v9, v9
	v_ldexp_f32 v9, v9, v17
	v_cndmask_b32_e64 v9, 0, v9, s4
	v_cmp_nlt_f32_e64 s4, 0x42b17218, v8
	v_cndmask_b32_e64 v17, 0x7f800000, v9, s4
	v_add_f32_e32 v18, 1.0, v17
	v_cvt_f64_f32_e32 v[8:9], v18
	v_frexp_exp_i32_f64_e32 v8, v[8:9]
	v_frexp_mant_f32_e32 v9, v18
	v_cmp_gt_f32_e64 s4, 0x3f2aaaab, v9
	v_add_f32_e32 v9, -1.0, v18
	v_sub_f32_e32 v20, v9, v18
	v_sub_f32_e32 v9, v17, v9
	v_add_f32_e32 v20, 1.0, v20
	v_add_f32_e32 v9, v9, v20
	v_subrev_co_ci_u32_e64 v8, null, 0, v8, s4
	s_mov_b32 s4, 0x3e9b6dac
	v_sub_nc_u32_e32 v19, 0, v8
	v_cvt_f32_i32_e32 v8, v8
	v_ldexp_f32 v18, v18, v19
	v_ldexp_f32 v9, v9, v19
	v_add_f32_e32 v21, 1.0, v18
	v_add_f32_e32 v19, -1.0, v18
	v_add_f32_e32 v20, -1.0, v21
	v_add_f32_e32 v22, 1.0, v19
	v_sub_f32_e32 v20, v18, v20
	v_sub_f32_e32 v18, v18, v22
	v_add_f32_e32 v20, v9, v20
	v_add_f32_e32 v9, v9, v18
	;; [unrolled: 1-line block ×4, first 2 shown]
	v_rcp_f32_e32 v18, v22
	v_sub_f32_e32 v21, v21, v22
	v_sub_f32_e32 v19, v19, v23
	v_add_f32_e32 v20, v20, v21
	v_add_f32_e32 v9, v9, v19
	v_mul_f32_e32 v24, v23, v18
	v_mul_f32_e32 v25, v22, v24
	v_fma_f32 v21, v24, v22, -v25
	v_fmac_f32_e32 v21, v24, v20
	v_add_f32_e32 v26, v25, v21
	v_sub_f32_e32 v27, v23, v26
	v_sub_f32_e32 v19, v26, v25
	;; [unrolled: 1-line block ×5, first 2 shown]
	v_add_f32_e32 v9, v9, v23
	v_add_f32_e32 v9, v19, v9
	;; [unrolled: 1-line block ×3, first 2 shown]
	v_mul_f32_e32 v21, v18, v19
	v_sub_f32_e32 v26, v27, v19
	v_mul_f32_e32 v23, v22, v21
	v_add_f32_e32 v9, v9, v26
	v_fma_f32 v22, v21, v22, -v23
	v_fmac_f32_e32 v22, v21, v20
	v_add_f32_e32 v20, v23, v22
	v_sub_f32_e32 v25, v19, v20
	v_sub_f32_e32 v23, v20, v23
	v_sub_f32_e32 v19, v19, v25
	v_sub_f32_e32 v19, v19, v20
	v_sub_f32_e32 v20, v23, v22
	v_add_f32_e32 v9, v9, v19
	v_add_f32_e32 v19, v24, v21
	;; [unrolled: 1-line block ×3, first 2 shown]
	v_sub_f32_e32 v20, v19, v24
	v_add_f32_e32 v9, v25, v9
	v_sub_f32_e32 v20, v21, v20
	v_mul_f32_e32 v9, v18, v9
	v_add_f32_e32 v9, v20, v9
	v_add_f32_e32 v18, v19, v9
	v_mul_f32_e32 v20, v18, v18
	v_fmaak_f32 v21, s4, v20, 0x3ecc95a3
	v_mul_f32_e32 v22, v18, v20
	v_cmp_neq_f32_e64 s4, 0x7f800000, v17
	v_fmaak_f32 v20, v20, v21, 0x3f2aaada
	v_ldexp_f32 v21, v18, 1
	v_sub_f32_e32 v18, v18, v19
	v_mul_f32_e32 v20, v22, v20
	v_mul_f32_e32 v22, 0x3f317218, v8
	v_sub_f32_e32 v9, v9, v18
	v_add_f32_e32 v19, v21, v20
	v_ldexp_f32 v9, v9, 1
	v_sub_f32_e32 v18, v19, v21
	v_fma_f32 v21, 0x3f317218, v8, -v22
	v_sub_f32_e32 v18, v20, v18
	v_fmamk_f32 v8, v8, 0xb102e308, v21
	v_add_f32_e32 v9, v9, v18
	v_add_f32_e32 v18, v22, v8
	;; [unrolled: 1-line block ×3, first 2 shown]
	v_sub_f32_e32 v22, v18, v22
	v_add_f32_e32 v21, v18, v20
	v_sub_f32_e32 v19, v20, v19
	v_sub_f32_e32 v8, v8, v22
	;; [unrolled: 1-line block ×6, first 2 shown]
	v_add_f32_e32 v20, v8, v9
	v_sub_f32_e32 v18, v18, v24
	v_add_f32_e32 v18, v19, v18
	v_sub_f32_e32 v19, v20, v8
	;; [unrolled: 2-line block ×3, first 2 shown]
	v_sub_f32_e32 v9, v9, v19
	v_add_f32_e32 v22, v21, v18
	v_sub_f32_e32 v8, v8, v20
	v_sub_f32_e32 v19, v22, v21
	v_add_f32_e32 v8, v9, v8
	v_sub_f32_e32 v9, v18, v19
	v_add_f32_e32 v8, v8, v9
	v_add_f32_e32 v8, v22, v8
	v_cndmask_b32_e64 v8, 0x7f800000, v8, s4
	v_cmp_gt_f32_e64 s4, 0x33800000, |v17|
	v_cndmask_b32_e64 v8, v8, v17, s4
	v_add_f32_e32 v8, v16, v8
	v_cvt_f16_f32_e32 v18, v8
	v_cvt_f32_f16_e32 v8, v18
	v_mov_b32_e32 v9, v18
.LBB376_80:
	s_or_b32 exec_lo, exec_lo, s5
	v_max_f32_e32 v16, v10, v10
	v_max_f32_e32 v17, v8, v8
	v_cmp_u_f16_e64 s4, v18, v18
	v_min_f32_e32 v19, v17, v16
	v_max_f32_e32 v16, v17, v16
	v_cndmask_b32_e64 v17, v19, v8, s4
	v_cndmask_b32_e64 v16, v16, v8, s4
	;; [unrolled: 1-line block ×4, first 2 shown]
	v_mov_b32_e32 v10, v9
	v_cmp_class_f32_e64 s5, v17, 0x1f8
	v_cmp_neq_f32_e64 s4, v17, v16
	s_or_b32 s4, s4, s5
	s_and_saveexec_b32 s5, s4
	s_cbranch_execz .LBB376_82
; %bb.81:
	v_sub_f32_e32 v8, v17, v16
	v_mul_f32_e32 v10, 0x3fb8aa3b, v8
	v_cmp_ngt_f32_e64 s4, 0xc2ce8ed0, v8
	v_fma_f32 v17, 0x3fb8aa3b, v8, -v10
	v_rndne_f32_e32 v18, v10
	v_fmamk_f32 v17, v8, 0x32a5705f, v17
	v_sub_f32_e32 v10, v10, v18
	v_add_f32_e32 v10, v10, v17
	v_cvt_i32_f32_e32 v17, v18
	v_exp_f32_e32 v10, v10
	v_ldexp_f32 v10, v10, v17
	v_cndmask_b32_e64 v10, 0, v10, s4
	v_cmp_nlt_f32_e64 s4, 0x42b17218, v8
	v_cndmask_b32_e64 v8, 0x7f800000, v10, s4
	v_add_f32_e32 v10, 1.0, v8
	v_cvt_f64_f32_e32 v[17:18], v10
	v_frexp_exp_i32_f64_e32 v17, v[17:18]
	v_frexp_mant_f32_e32 v18, v10
	v_cmp_gt_f32_e64 s4, 0x3f2aaaab, v18
	v_add_f32_e32 v18, -1.0, v10
	v_sub_f32_e32 v20, v18, v10
	v_sub_f32_e32 v18, v8, v18
	v_add_f32_e32 v20, 1.0, v20
	v_add_f32_e32 v18, v18, v20
	v_subrev_co_ci_u32_e64 v17, null, 0, v17, s4
	s_mov_b32 s4, 0x3e9b6dac
	v_sub_nc_u32_e32 v19, 0, v17
	v_cvt_f32_i32_e32 v17, v17
	v_ldexp_f32 v10, v10, v19
	v_ldexp_f32 v18, v18, v19
	v_add_f32_e32 v21, 1.0, v10
	v_add_f32_e32 v19, -1.0, v10
	v_add_f32_e32 v20, -1.0, v21
	v_add_f32_e32 v22, 1.0, v19
	v_sub_f32_e32 v20, v10, v20
	v_sub_f32_e32 v10, v10, v22
	v_add_f32_e32 v20, v18, v20
	v_add_f32_e32 v10, v18, v10
	;; [unrolled: 1-line block ×4, first 2 shown]
	v_rcp_f32_e32 v18, v22
	v_sub_f32_e32 v21, v21, v22
	v_sub_f32_e32 v19, v19, v23
	v_add_f32_e32 v20, v20, v21
	v_add_f32_e32 v10, v10, v19
	v_mul_f32_e32 v24, v23, v18
	v_mul_f32_e32 v25, v22, v24
	v_fma_f32 v21, v24, v22, -v25
	v_fmac_f32_e32 v21, v24, v20
	v_add_f32_e32 v26, v25, v21
	v_sub_f32_e32 v27, v23, v26
	v_sub_f32_e32 v19, v26, v25
	;; [unrolled: 1-line block ×5, first 2 shown]
	v_add_f32_e32 v10, v10, v23
	v_add_f32_e32 v10, v19, v10
	;; [unrolled: 1-line block ×3, first 2 shown]
	v_mul_f32_e32 v21, v18, v19
	v_sub_f32_e32 v26, v27, v19
	v_mul_f32_e32 v23, v22, v21
	v_add_f32_e32 v10, v10, v26
	v_fma_f32 v22, v21, v22, -v23
	v_fmac_f32_e32 v22, v21, v20
	v_add_f32_e32 v20, v23, v22
	v_sub_f32_e32 v25, v19, v20
	v_sub_f32_e32 v23, v20, v23
	v_sub_f32_e32 v19, v19, v25
	v_sub_f32_e32 v19, v19, v20
	v_sub_f32_e32 v20, v23, v22
	v_add_f32_e32 v10, v10, v19
	v_add_f32_e32 v19, v24, v21
	;; [unrolled: 1-line block ×3, first 2 shown]
	v_sub_f32_e32 v20, v19, v24
	v_add_f32_e32 v10, v25, v10
	v_sub_f32_e32 v20, v21, v20
	v_mul_f32_e32 v10, v18, v10
	v_add_f32_e32 v10, v20, v10
	v_add_f32_e32 v18, v19, v10
	v_mul_f32_e32 v20, v18, v18
	v_fmaak_f32 v21, s4, v20, 0x3ecc95a3
	v_mul_f32_e32 v22, v18, v20
	v_cmp_neq_f32_e64 s4, 0x7f800000, v8
	v_fmaak_f32 v20, v20, v21, 0x3f2aaada
	v_ldexp_f32 v21, v18, 1
	v_sub_f32_e32 v18, v18, v19
	v_mul_f32_e32 v20, v22, v20
	v_mul_f32_e32 v22, 0x3f317218, v17
	v_sub_f32_e32 v10, v10, v18
	v_add_f32_e32 v19, v21, v20
	v_ldexp_f32 v10, v10, 1
	v_sub_f32_e32 v18, v19, v21
	v_fma_f32 v21, 0x3f317218, v17, -v22
	v_sub_f32_e32 v18, v20, v18
	v_fmamk_f32 v17, v17, 0xb102e308, v21
	v_add_f32_e32 v10, v10, v18
	v_add_f32_e32 v18, v22, v17
	;; [unrolled: 1-line block ×3, first 2 shown]
	v_sub_f32_e32 v22, v18, v22
	v_add_f32_e32 v21, v18, v20
	v_sub_f32_e32 v19, v20, v19
	v_sub_f32_e32 v17, v17, v22
	v_sub_f32_e32 v23, v21, v18
	v_sub_f32_e32 v10, v10, v19
	v_sub_f32_e32 v24, v21, v23
	v_sub_f32_e32 v19, v20, v23
	v_add_f32_e32 v20, v17, v10
	v_sub_f32_e32 v18, v18, v24
	v_add_f32_e32 v18, v19, v18
	v_sub_f32_e32 v19, v20, v17
	;; [unrolled: 2-line block ×3, first 2 shown]
	v_sub_f32_e32 v10, v10, v19
	v_add_f32_e32 v22, v21, v18
	v_sub_f32_e32 v17, v17, v20
	v_sub_f32_e32 v19, v22, v21
	v_add_f32_e32 v10, v10, v17
	v_sub_f32_e32 v17, v18, v19
	v_add_f32_e32 v10, v10, v17
	v_add_f32_e32 v10, v22, v10
	v_cndmask_b32_e64 v10, 0x7f800000, v10, s4
	v_cmp_gt_f32_e64 s4, 0x33800000, |v8|
	v_cndmask_b32_e64 v8, v10, v8, s4
	v_add_f32_e32 v8, v16, v8
	v_cvt_f16_f32_e32 v18, v8
	v_cvt_f32_f16_e32 v8, v18
	v_mov_b32_e32 v10, v18
.LBB376_82:
	s_or_b32 exec_lo, exec_lo, s5
	v_max_f32_e32 v16, v11, v11
	v_max_f32_e32 v17, v8, v8
	v_cmp_u_f16_e64 s4, v18, v18
	v_min_f32_e32 v19, v17, v16
	v_max_f32_e32 v16, v17, v16
	v_cndmask_b32_e64 v17, v19, v8, s4
	v_cndmask_b32_e64 v16, v16, v8, s4
	;; [unrolled: 1-line block ×4, first 2 shown]
	v_mov_b32_e32 v11, v10
	v_cmp_class_f32_e64 s5, v17, 0x1f8
	v_cmp_neq_f32_e64 s4, v17, v16
	s_or_b32 s4, s4, s5
	s_and_saveexec_b32 s5, s4
	s_cbranch_execz .LBB376_84
; %bb.83:
	v_sub_f32_e32 v8, v17, v16
	v_mul_f32_e32 v11, 0x3fb8aa3b, v8
	v_cmp_ngt_f32_e64 s4, 0xc2ce8ed0, v8
	v_fma_f32 v17, 0x3fb8aa3b, v8, -v11
	v_rndne_f32_e32 v18, v11
	v_fmamk_f32 v17, v8, 0x32a5705f, v17
	v_sub_f32_e32 v11, v11, v18
	v_add_f32_e32 v11, v11, v17
	v_cvt_i32_f32_e32 v17, v18
	v_exp_f32_e32 v11, v11
	v_ldexp_f32 v11, v11, v17
	v_cndmask_b32_e64 v11, 0, v11, s4
	v_cmp_nlt_f32_e64 s4, 0x42b17218, v8
	v_cndmask_b32_e64 v8, 0x7f800000, v11, s4
	v_add_f32_e32 v11, 1.0, v8
	v_cvt_f64_f32_e32 v[17:18], v11
	v_frexp_exp_i32_f64_e32 v17, v[17:18]
	v_frexp_mant_f32_e32 v18, v11
	v_cmp_gt_f32_e64 s4, 0x3f2aaaab, v18
	v_add_f32_e32 v18, -1.0, v11
	v_sub_f32_e32 v20, v18, v11
	v_sub_f32_e32 v18, v8, v18
	v_add_f32_e32 v20, 1.0, v20
	v_add_f32_e32 v18, v18, v20
	v_subrev_co_ci_u32_e64 v17, null, 0, v17, s4
	s_mov_b32 s4, 0x3e9b6dac
	v_sub_nc_u32_e32 v19, 0, v17
	v_cvt_f32_i32_e32 v17, v17
	v_ldexp_f32 v11, v11, v19
	v_ldexp_f32 v18, v18, v19
	v_add_f32_e32 v21, 1.0, v11
	v_add_f32_e32 v19, -1.0, v11
	v_add_f32_e32 v20, -1.0, v21
	v_add_f32_e32 v22, 1.0, v19
	v_sub_f32_e32 v20, v11, v20
	v_sub_f32_e32 v11, v11, v22
	v_add_f32_e32 v20, v18, v20
	v_add_f32_e32 v11, v18, v11
	;; [unrolled: 1-line block ×4, first 2 shown]
	v_rcp_f32_e32 v18, v22
	v_sub_f32_e32 v21, v21, v22
	v_sub_f32_e32 v19, v19, v23
	v_add_f32_e32 v20, v20, v21
	v_add_f32_e32 v11, v11, v19
	v_mul_f32_e32 v24, v23, v18
	v_mul_f32_e32 v25, v22, v24
	v_fma_f32 v21, v24, v22, -v25
	v_fmac_f32_e32 v21, v24, v20
	v_add_f32_e32 v26, v25, v21
	v_sub_f32_e32 v27, v23, v26
	v_sub_f32_e32 v19, v26, v25
	;; [unrolled: 1-line block ×5, first 2 shown]
	v_add_f32_e32 v11, v11, v23
	v_add_f32_e32 v11, v19, v11
	;; [unrolled: 1-line block ×3, first 2 shown]
	v_mul_f32_e32 v21, v18, v19
	v_sub_f32_e32 v26, v27, v19
	v_mul_f32_e32 v23, v22, v21
	v_add_f32_e32 v11, v11, v26
	v_fma_f32 v22, v21, v22, -v23
	v_fmac_f32_e32 v22, v21, v20
	v_add_f32_e32 v20, v23, v22
	v_sub_f32_e32 v25, v19, v20
	v_sub_f32_e32 v23, v20, v23
	;; [unrolled: 1-line block ×5, first 2 shown]
	v_add_f32_e32 v11, v11, v19
	v_add_f32_e32 v19, v24, v21
	;; [unrolled: 1-line block ×3, first 2 shown]
	v_sub_f32_e32 v20, v19, v24
	v_add_f32_e32 v11, v25, v11
	v_sub_f32_e32 v20, v21, v20
	v_mul_f32_e32 v11, v18, v11
	v_add_f32_e32 v11, v20, v11
	v_add_f32_e32 v18, v19, v11
	v_mul_f32_e32 v20, v18, v18
	v_fmaak_f32 v21, s4, v20, 0x3ecc95a3
	v_mul_f32_e32 v22, v18, v20
	v_cmp_neq_f32_e64 s4, 0x7f800000, v8
	v_fmaak_f32 v20, v20, v21, 0x3f2aaada
	v_ldexp_f32 v21, v18, 1
	v_sub_f32_e32 v18, v18, v19
	v_mul_f32_e32 v20, v22, v20
	v_mul_f32_e32 v22, 0x3f317218, v17
	v_sub_f32_e32 v11, v11, v18
	v_add_f32_e32 v19, v21, v20
	v_ldexp_f32 v11, v11, 1
	v_sub_f32_e32 v18, v19, v21
	v_fma_f32 v21, 0x3f317218, v17, -v22
	v_sub_f32_e32 v18, v20, v18
	v_fmamk_f32 v17, v17, 0xb102e308, v21
	v_add_f32_e32 v11, v11, v18
	v_add_f32_e32 v18, v22, v17
	v_add_f32_e32 v20, v19, v11
	v_sub_f32_e32 v22, v18, v22
	v_add_f32_e32 v21, v18, v20
	v_sub_f32_e32 v19, v20, v19
	v_sub_f32_e32 v17, v17, v22
	;; [unrolled: 1-line block ×6, first 2 shown]
	v_add_f32_e32 v20, v17, v11
	v_sub_f32_e32 v18, v18, v24
	v_add_f32_e32 v18, v19, v18
	v_sub_f32_e32 v19, v20, v17
	;; [unrolled: 2-line block ×3, first 2 shown]
	v_sub_f32_e32 v11, v11, v19
	v_add_f32_e32 v22, v21, v18
	v_sub_f32_e32 v17, v17, v20
	v_sub_f32_e32 v19, v22, v21
	v_add_f32_e32 v11, v11, v17
	v_sub_f32_e32 v17, v18, v19
	v_add_f32_e32 v11, v11, v17
	v_add_f32_e32 v11, v22, v11
	v_cndmask_b32_e64 v11, 0x7f800000, v11, s4
	v_cmp_gt_f32_e64 s4, 0x33800000, |v8|
	v_cndmask_b32_e64 v8, v11, v8, s4
	v_add_f32_e32 v8, v16, v8
	v_cvt_f16_f32_e32 v18, v8
	v_cvt_f32_f16_e32 v8, v18
	v_mov_b32_e32 v11, v18
.LBB376_84:
	s_or_b32 exec_lo, exec_lo, s5
	v_max_f32_e32 v16, v2, v2
	v_max_f32_e32 v17, v8, v8
	v_cmp_u_f16_e64 s4, v18, v18
	v_min_f32_e32 v19, v17, v16
	v_max_f32_e32 v16, v17, v16
	v_cndmask_b32_e64 v17, v19, v8, s4
	v_cndmask_b32_e64 v16, v16, v8, s4
	;; [unrolled: 1-line block ×4, first 2 shown]
	v_mov_b32_e32 v2, v11
	v_cmp_class_f32_e64 s5, v17, 0x1f8
	v_cmp_neq_f32_e64 s4, v17, v16
	s_or_b32 s4, s4, s5
	s_and_saveexec_b32 s5, s4
	s_cbranch_execz .LBB376_86
; %bb.85:
	v_sub_f32_e32 v2, v17, v16
	v_mul_f32_e32 v8, 0x3fb8aa3b, v2
	v_cmp_ngt_f32_e64 s4, 0xc2ce8ed0, v2
	v_fma_f32 v17, 0x3fb8aa3b, v2, -v8
	v_rndne_f32_e32 v18, v8
	v_fmamk_f32 v17, v2, 0x32a5705f, v17
	v_sub_f32_e32 v8, v8, v18
	v_add_f32_e32 v8, v8, v17
	v_cvt_i32_f32_e32 v17, v18
	v_exp_f32_e32 v8, v8
	v_ldexp_f32 v8, v8, v17
	v_cndmask_b32_e64 v8, 0, v8, s4
	v_cmp_nlt_f32_e64 s4, 0x42b17218, v2
	v_cndmask_b32_e64 v2, 0x7f800000, v8, s4
	v_add_f32_e32 v8, 1.0, v2
	v_cvt_f64_f32_e32 v[17:18], v8
	v_frexp_exp_i32_f64_e32 v17, v[17:18]
	v_frexp_mant_f32_e32 v18, v8
	v_cmp_gt_f32_e64 s4, 0x3f2aaaab, v18
	v_add_f32_e32 v18, -1.0, v8
	v_sub_f32_e32 v20, v18, v8
	v_sub_f32_e32 v18, v2, v18
	v_add_f32_e32 v20, 1.0, v20
	v_add_f32_e32 v18, v18, v20
	v_subrev_co_ci_u32_e64 v17, null, 0, v17, s4
	s_mov_b32 s4, 0x3e9b6dac
	v_sub_nc_u32_e32 v19, 0, v17
	v_cvt_f32_i32_e32 v17, v17
	v_ldexp_f32 v8, v8, v19
	v_ldexp_f32 v18, v18, v19
	v_add_f32_e32 v21, 1.0, v8
	v_add_f32_e32 v19, -1.0, v8
	v_add_f32_e32 v20, -1.0, v21
	v_add_f32_e32 v22, 1.0, v19
	v_sub_f32_e32 v20, v8, v20
	v_sub_f32_e32 v8, v8, v22
	v_add_f32_e32 v20, v18, v20
	v_add_f32_e32 v8, v18, v8
	;; [unrolled: 1-line block ×4, first 2 shown]
	v_rcp_f32_e32 v18, v22
	v_sub_f32_e32 v21, v21, v22
	v_sub_f32_e32 v19, v19, v23
	v_add_f32_e32 v20, v20, v21
	v_add_f32_e32 v8, v8, v19
	v_mul_f32_e32 v24, v23, v18
	v_mul_f32_e32 v25, v22, v24
	v_fma_f32 v21, v24, v22, -v25
	v_fmac_f32_e32 v21, v24, v20
	v_add_f32_e32 v26, v25, v21
	v_sub_f32_e32 v27, v23, v26
	v_sub_f32_e32 v19, v26, v25
	;; [unrolled: 1-line block ×5, first 2 shown]
	v_add_f32_e32 v8, v8, v23
	v_add_f32_e32 v8, v19, v8
	;; [unrolled: 1-line block ×3, first 2 shown]
	v_mul_f32_e32 v21, v18, v19
	v_sub_f32_e32 v26, v27, v19
	v_mul_f32_e32 v23, v22, v21
	v_add_f32_e32 v8, v8, v26
	v_fma_f32 v22, v21, v22, -v23
	v_fmac_f32_e32 v22, v21, v20
	v_add_f32_e32 v20, v23, v22
	v_sub_f32_e32 v25, v19, v20
	v_sub_f32_e32 v23, v20, v23
	;; [unrolled: 1-line block ×5, first 2 shown]
	v_add_f32_e32 v8, v8, v19
	v_add_f32_e32 v19, v24, v21
	;; [unrolled: 1-line block ×3, first 2 shown]
	v_sub_f32_e32 v20, v19, v24
	v_add_f32_e32 v8, v25, v8
	v_sub_f32_e32 v20, v21, v20
	v_mul_f32_e32 v8, v18, v8
	v_add_f32_e32 v8, v20, v8
	v_add_f32_e32 v18, v19, v8
	v_mul_f32_e32 v20, v18, v18
	v_fmaak_f32 v21, s4, v20, 0x3ecc95a3
	v_mul_f32_e32 v22, v18, v20
	v_cmp_neq_f32_e64 s4, 0x7f800000, v2
	v_fmaak_f32 v20, v20, v21, 0x3f2aaada
	v_ldexp_f32 v21, v18, 1
	v_sub_f32_e32 v18, v18, v19
	v_mul_f32_e32 v20, v22, v20
	v_mul_f32_e32 v22, 0x3f317218, v17
	v_sub_f32_e32 v8, v8, v18
	v_add_f32_e32 v19, v21, v20
	v_ldexp_f32 v8, v8, 1
	v_sub_f32_e32 v18, v19, v21
	v_fma_f32 v21, 0x3f317218, v17, -v22
	v_sub_f32_e32 v18, v20, v18
	v_fmamk_f32 v17, v17, 0xb102e308, v21
	v_add_f32_e32 v8, v8, v18
	v_add_f32_e32 v18, v22, v17
	;; [unrolled: 1-line block ×3, first 2 shown]
	v_sub_f32_e32 v22, v18, v22
	v_add_f32_e32 v21, v18, v20
	v_sub_f32_e32 v19, v20, v19
	v_sub_f32_e32 v17, v17, v22
	;; [unrolled: 1-line block ×6, first 2 shown]
	v_add_f32_e32 v20, v17, v8
	v_sub_f32_e32 v18, v18, v24
	v_add_f32_e32 v18, v19, v18
	v_sub_f32_e32 v19, v20, v17
	v_add_f32_e32 v18, v20, v18
	v_sub_f32_e32 v20, v20, v19
	v_sub_f32_e32 v8, v8, v19
	v_add_f32_e32 v22, v21, v18
	v_sub_f32_e32 v17, v17, v20
	v_sub_f32_e32 v19, v22, v21
	v_add_f32_e32 v8, v8, v17
	v_sub_f32_e32 v17, v18, v19
	v_add_f32_e32 v8, v8, v17
	v_add_f32_e32 v8, v22, v8
	v_cndmask_b32_e64 v8, 0x7f800000, v8, s4
	v_cmp_gt_f32_e64 s4, 0x33800000, |v2|
	v_cndmask_b32_e64 v2, v8, v2, s4
	v_add_f32_e32 v2, v16, v2
	v_cvt_f16_f32_e32 v18, v2
	v_cvt_f32_f16_e32 v8, v18
	v_mov_b32_e32 v2, v18
.LBB376_86:
	s_or_b32 exec_lo, exec_lo, s5
	v_max_f32_e32 v16, v12, v12
	v_max_f32_e32 v17, v8, v8
	v_cmp_u_f16_e64 s4, v18, v18
	v_min_f32_e32 v19, v17, v16
	v_max_f32_e32 v16, v17, v16
	v_cndmask_b32_e64 v17, v19, v8, s4
	v_cndmask_b32_e64 v16, v16, v8, s4
	;; [unrolled: 1-line block ×4, first 2 shown]
	v_mov_b32_e32 v12, v2
	v_cmp_class_f32_e64 s5, v17, 0x1f8
	v_cmp_neq_f32_e64 s4, v17, v16
	s_or_b32 s4, s4, s5
	s_and_saveexec_b32 s5, s4
	s_cbranch_execz .LBB376_88
; %bb.87:
	v_sub_f32_e32 v8, v17, v16
	v_mul_f32_e32 v12, 0x3fb8aa3b, v8
	v_cmp_ngt_f32_e64 s4, 0xc2ce8ed0, v8
	v_fma_f32 v17, 0x3fb8aa3b, v8, -v12
	v_rndne_f32_e32 v18, v12
	v_fmamk_f32 v17, v8, 0x32a5705f, v17
	v_sub_f32_e32 v12, v12, v18
	v_add_f32_e32 v12, v12, v17
	v_cvt_i32_f32_e32 v17, v18
	v_exp_f32_e32 v12, v12
	v_ldexp_f32 v12, v12, v17
	v_cndmask_b32_e64 v12, 0, v12, s4
	v_cmp_nlt_f32_e64 s4, 0x42b17218, v8
	v_cndmask_b32_e64 v8, 0x7f800000, v12, s4
	v_add_f32_e32 v12, 1.0, v8
	v_cvt_f64_f32_e32 v[17:18], v12
	v_frexp_exp_i32_f64_e32 v17, v[17:18]
	v_frexp_mant_f32_e32 v18, v12
	v_cmp_gt_f32_e64 s4, 0x3f2aaaab, v18
	v_add_f32_e32 v18, -1.0, v12
	v_sub_f32_e32 v20, v18, v12
	v_sub_f32_e32 v18, v8, v18
	v_add_f32_e32 v20, 1.0, v20
	v_add_f32_e32 v18, v18, v20
	v_subrev_co_ci_u32_e64 v17, null, 0, v17, s4
	s_mov_b32 s4, 0x3e9b6dac
	v_sub_nc_u32_e32 v19, 0, v17
	v_cvt_f32_i32_e32 v17, v17
	v_ldexp_f32 v12, v12, v19
	v_ldexp_f32 v18, v18, v19
	v_add_f32_e32 v21, 1.0, v12
	v_add_f32_e32 v19, -1.0, v12
	v_add_f32_e32 v20, -1.0, v21
	v_add_f32_e32 v22, 1.0, v19
	v_sub_f32_e32 v20, v12, v20
	v_sub_f32_e32 v12, v12, v22
	v_add_f32_e32 v20, v18, v20
	v_add_f32_e32 v12, v18, v12
	;; [unrolled: 1-line block ×4, first 2 shown]
	v_rcp_f32_e32 v18, v22
	v_sub_f32_e32 v21, v21, v22
	v_sub_f32_e32 v19, v19, v23
	v_add_f32_e32 v20, v20, v21
	v_add_f32_e32 v12, v12, v19
	v_mul_f32_e32 v24, v23, v18
	v_mul_f32_e32 v25, v22, v24
	v_fma_f32 v21, v24, v22, -v25
	v_fmac_f32_e32 v21, v24, v20
	v_add_f32_e32 v26, v25, v21
	v_sub_f32_e32 v27, v23, v26
	v_sub_f32_e32 v19, v26, v25
	;; [unrolled: 1-line block ×5, first 2 shown]
	v_add_f32_e32 v12, v12, v23
	v_add_f32_e32 v12, v19, v12
	v_add_f32_e32 v19, v27, v12
	v_mul_f32_e32 v21, v18, v19
	v_sub_f32_e32 v26, v27, v19
	v_mul_f32_e32 v23, v22, v21
	v_add_f32_e32 v12, v12, v26
	v_fma_f32 v22, v21, v22, -v23
	v_fmac_f32_e32 v22, v21, v20
	v_add_f32_e32 v20, v23, v22
	v_sub_f32_e32 v25, v19, v20
	v_sub_f32_e32 v23, v20, v23
	;; [unrolled: 1-line block ×5, first 2 shown]
	v_add_f32_e32 v12, v12, v19
	v_add_f32_e32 v19, v24, v21
	;; [unrolled: 1-line block ×3, first 2 shown]
	v_sub_f32_e32 v20, v19, v24
	v_add_f32_e32 v12, v25, v12
	v_sub_f32_e32 v20, v21, v20
	v_mul_f32_e32 v12, v18, v12
	v_add_f32_e32 v12, v20, v12
	v_add_f32_e32 v18, v19, v12
	v_mul_f32_e32 v20, v18, v18
	v_fmaak_f32 v21, s4, v20, 0x3ecc95a3
	v_mul_f32_e32 v22, v18, v20
	v_cmp_neq_f32_e64 s4, 0x7f800000, v8
	v_fmaak_f32 v20, v20, v21, 0x3f2aaada
	v_ldexp_f32 v21, v18, 1
	v_sub_f32_e32 v18, v18, v19
	v_mul_f32_e32 v20, v22, v20
	v_mul_f32_e32 v22, 0x3f317218, v17
	v_sub_f32_e32 v12, v12, v18
	v_add_f32_e32 v19, v21, v20
	v_ldexp_f32 v12, v12, 1
	v_sub_f32_e32 v18, v19, v21
	v_fma_f32 v21, 0x3f317218, v17, -v22
	v_sub_f32_e32 v18, v20, v18
	v_fmamk_f32 v17, v17, 0xb102e308, v21
	v_add_f32_e32 v12, v12, v18
	v_add_f32_e32 v18, v22, v17
	;; [unrolled: 1-line block ×3, first 2 shown]
	v_sub_f32_e32 v22, v18, v22
	v_add_f32_e32 v21, v18, v20
	v_sub_f32_e32 v19, v20, v19
	v_sub_f32_e32 v17, v17, v22
	;; [unrolled: 1-line block ×6, first 2 shown]
	v_add_f32_e32 v20, v17, v12
	v_sub_f32_e32 v18, v18, v24
	v_add_f32_e32 v18, v19, v18
	v_sub_f32_e32 v19, v20, v17
	v_add_f32_e32 v18, v20, v18
	v_sub_f32_e32 v20, v20, v19
	v_sub_f32_e32 v12, v12, v19
	v_add_f32_e32 v22, v21, v18
	v_sub_f32_e32 v17, v17, v20
	v_sub_f32_e32 v19, v22, v21
	v_add_f32_e32 v12, v12, v17
	v_sub_f32_e32 v17, v18, v19
	v_add_f32_e32 v12, v12, v17
	v_add_f32_e32 v12, v22, v12
	v_cndmask_b32_e64 v12, 0x7f800000, v12, s4
	v_cmp_gt_f32_e64 s4, 0x33800000, |v8|
	v_cndmask_b32_e64 v8, v12, v8, s4
	v_add_f32_e32 v8, v16, v8
	v_cvt_f16_f32_e32 v18, v8
	v_cvt_f32_f16_e32 v8, v18
	v_mov_b32_e32 v12, v18
.LBB376_88:
	s_or_b32 exec_lo, exec_lo, s5
	v_max_f32_e32 v16, v3, v3
	v_max_f32_e32 v17, v8, v8
	v_cmp_u_f16_e64 s4, v18, v18
	v_min_f32_e32 v19, v17, v16
	v_max_f32_e32 v16, v17, v16
	v_cndmask_b32_e64 v17, v19, v8, s4
	v_cndmask_b32_e64 v16, v16, v8, s4
	;; [unrolled: 1-line block ×4, first 2 shown]
	v_mov_b32_e32 v3, v12
	v_cmp_class_f32_e64 s5, v17, 0x1f8
	v_cmp_neq_f32_e64 s4, v17, v16
	s_or_b32 s4, s4, s5
	s_and_saveexec_b32 s5, s4
	s_cbranch_execz .LBB376_90
; %bb.89:
	v_sub_f32_e32 v3, v17, v16
	v_mul_f32_e32 v8, 0x3fb8aa3b, v3
	v_cmp_ngt_f32_e64 s4, 0xc2ce8ed0, v3
	v_fma_f32 v17, 0x3fb8aa3b, v3, -v8
	v_rndne_f32_e32 v18, v8
	v_fmamk_f32 v17, v3, 0x32a5705f, v17
	v_sub_f32_e32 v8, v8, v18
	v_add_f32_e32 v8, v8, v17
	v_cvt_i32_f32_e32 v17, v18
	v_exp_f32_e32 v8, v8
	v_ldexp_f32 v8, v8, v17
	v_cndmask_b32_e64 v8, 0, v8, s4
	v_cmp_nlt_f32_e64 s4, 0x42b17218, v3
	v_cndmask_b32_e64 v3, 0x7f800000, v8, s4
	v_add_f32_e32 v8, 1.0, v3
	v_cvt_f64_f32_e32 v[17:18], v8
	v_frexp_exp_i32_f64_e32 v17, v[17:18]
	v_frexp_mant_f32_e32 v18, v8
	v_cmp_gt_f32_e64 s4, 0x3f2aaaab, v18
	v_add_f32_e32 v18, -1.0, v8
	v_sub_f32_e32 v20, v18, v8
	v_sub_f32_e32 v18, v3, v18
	v_add_f32_e32 v20, 1.0, v20
	v_add_f32_e32 v18, v18, v20
	v_subrev_co_ci_u32_e64 v17, null, 0, v17, s4
	s_mov_b32 s4, 0x3e9b6dac
	v_sub_nc_u32_e32 v19, 0, v17
	v_cvt_f32_i32_e32 v17, v17
	v_ldexp_f32 v8, v8, v19
	v_ldexp_f32 v18, v18, v19
	v_add_f32_e32 v21, 1.0, v8
	v_add_f32_e32 v19, -1.0, v8
	v_add_f32_e32 v20, -1.0, v21
	v_add_f32_e32 v22, 1.0, v19
	v_sub_f32_e32 v20, v8, v20
	v_sub_f32_e32 v8, v8, v22
	v_add_f32_e32 v20, v18, v20
	v_add_f32_e32 v8, v18, v8
	;; [unrolled: 1-line block ×4, first 2 shown]
	v_rcp_f32_e32 v18, v22
	v_sub_f32_e32 v21, v21, v22
	v_sub_f32_e32 v19, v19, v23
	v_add_f32_e32 v20, v20, v21
	v_add_f32_e32 v8, v8, v19
	v_mul_f32_e32 v24, v23, v18
	v_mul_f32_e32 v25, v22, v24
	v_fma_f32 v21, v24, v22, -v25
	v_fmac_f32_e32 v21, v24, v20
	v_add_f32_e32 v26, v25, v21
	v_sub_f32_e32 v27, v23, v26
	v_sub_f32_e32 v19, v26, v25
	;; [unrolled: 1-line block ×5, first 2 shown]
	v_add_f32_e32 v8, v8, v23
	v_add_f32_e32 v8, v19, v8
	;; [unrolled: 1-line block ×3, first 2 shown]
	v_mul_f32_e32 v21, v18, v19
	v_sub_f32_e32 v26, v27, v19
	v_mul_f32_e32 v23, v22, v21
	v_add_f32_e32 v8, v8, v26
	v_fma_f32 v22, v21, v22, -v23
	v_fmac_f32_e32 v22, v21, v20
	v_add_f32_e32 v20, v23, v22
	v_sub_f32_e32 v25, v19, v20
	v_sub_f32_e32 v23, v20, v23
	;; [unrolled: 1-line block ×5, first 2 shown]
	v_add_f32_e32 v8, v8, v19
	v_add_f32_e32 v19, v24, v21
	;; [unrolled: 1-line block ×3, first 2 shown]
	v_sub_f32_e32 v20, v19, v24
	v_add_f32_e32 v8, v25, v8
	v_sub_f32_e32 v20, v21, v20
	v_mul_f32_e32 v8, v18, v8
	v_add_f32_e32 v8, v20, v8
	v_add_f32_e32 v18, v19, v8
	v_mul_f32_e32 v20, v18, v18
	v_fmaak_f32 v21, s4, v20, 0x3ecc95a3
	v_mul_f32_e32 v22, v18, v20
	v_cmp_neq_f32_e64 s4, 0x7f800000, v3
	v_fmaak_f32 v20, v20, v21, 0x3f2aaada
	v_ldexp_f32 v21, v18, 1
	v_sub_f32_e32 v18, v18, v19
	v_mul_f32_e32 v20, v22, v20
	v_mul_f32_e32 v22, 0x3f317218, v17
	v_sub_f32_e32 v8, v8, v18
	v_add_f32_e32 v19, v21, v20
	v_ldexp_f32 v8, v8, 1
	v_sub_f32_e32 v18, v19, v21
	v_fma_f32 v21, 0x3f317218, v17, -v22
	v_sub_f32_e32 v18, v20, v18
	v_fmamk_f32 v17, v17, 0xb102e308, v21
	v_add_f32_e32 v8, v8, v18
	v_add_f32_e32 v18, v22, v17
	;; [unrolled: 1-line block ×3, first 2 shown]
	v_sub_f32_e32 v22, v18, v22
	v_add_f32_e32 v21, v18, v20
	v_sub_f32_e32 v19, v20, v19
	v_sub_f32_e32 v17, v17, v22
	;; [unrolled: 1-line block ×6, first 2 shown]
	v_add_f32_e32 v20, v17, v8
	v_sub_f32_e32 v18, v18, v24
	v_add_f32_e32 v18, v19, v18
	v_sub_f32_e32 v19, v20, v17
	;; [unrolled: 2-line block ×3, first 2 shown]
	v_sub_f32_e32 v8, v8, v19
	v_add_f32_e32 v22, v21, v18
	v_sub_f32_e32 v17, v17, v20
	v_sub_f32_e32 v19, v22, v21
	v_add_f32_e32 v8, v8, v17
	v_sub_f32_e32 v17, v18, v19
	v_add_f32_e32 v8, v8, v17
	v_add_f32_e32 v8, v22, v8
	v_cndmask_b32_e64 v8, 0x7f800000, v8, s4
	v_cmp_gt_f32_e64 s4, 0x33800000, |v3|
	v_cndmask_b32_e64 v3, v8, v3, s4
	v_add_f32_e32 v3, v16, v3
	v_cvt_f16_f32_e32 v18, v3
	v_cvt_f32_f16_e32 v8, v18
	v_mov_b32_e32 v3, v18
.LBB376_90:
	s_or_b32 exec_lo, exec_lo, s5
	v_max_f32_e32 v16, v13, v13
	v_max_f32_e32 v17, v8, v8
	v_cmp_u_f16_e64 s4, v18, v18
	v_min_f32_e32 v19, v17, v16
	v_max_f32_e32 v16, v17, v16
	v_cndmask_b32_e64 v17, v19, v8, s4
	v_cndmask_b32_e64 v16, v16, v8, s4
	;; [unrolled: 1-line block ×4, first 2 shown]
	v_mov_b32_e32 v13, v3
	v_cmp_class_f32_e64 s5, v17, 0x1f8
	v_cmp_neq_f32_e64 s4, v17, v16
	s_or_b32 s4, s4, s5
	s_and_saveexec_b32 s5, s4
	s_cbranch_execz .LBB376_92
; %bb.91:
	v_sub_f32_e32 v8, v17, v16
	v_mul_f32_e32 v13, 0x3fb8aa3b, v8
	v_cmp_ngt_f32_e64 s4, 0xc2ce8ed0, v8
	v_fma_f32 v17, 0x3fb8aa3b, v8, -v13
	v_rndne_f32_e32 v18, v13
	v_fmamk_f32 v17, v8, 0x32a5705f, v17
	v_sub_f32_e32 v13, v13, v18
	v_add_f32_e32 v13, v13, v17
	v_cvt_i32_f32_e32 v17, v18
	v_exp_f32_e32 v13, v13
	v_ldexp_f32 v13, v13, v17
	v_cndmask_b32_e64 v13, 0, v13, s4
	v_cmp_nlt_f32_e64 s4, 0x42b17218, v8
	v_cndmask_b32_e64 v8, 0x7f800000, v13, s4
	v_add_f32_e32 v13, 1.0, v8
	v_cvt_f64_f32_e32 v[17:18], v13
	v_frexp_exp_i32_f64_e32 v17, v[17:18]
	v_frexp_mant_f32_e32 v18, v13
	v_cmp_gt_f32_e64 s4, 0x3f2aaaab, v18
	v_add_f32_e32 v18, -1.0, v13
	v_sub_f32_e32 v20, v18, v13
	v_sub_f32_e32 v18, v8, v18
	v_add_f32_e32 v20, 1.0, v20
	v_add_f32_e32 v18, v18, v20
	v_subrev_co_ci_u32_e64 v17, null, 0, v17, s4
	s_mov_b32 s4, 0x3e9b6dac
	v_sub_nc_u32_e32 v19, 0, v17
	v_cvt_f32_i32_e32 v17, v17
	v_ldexp_f32 v13, v13, v19
	v_ldexp_f32 v18, v18, v19
	v_add_f32_e32 v21, 1.0, v13
	v_add_f32_e32 v19, -1.0, v13
	v_add_f32_e32 v20, -1.0, v21
	v_add_f32_e32 v22, 1.0, v19
	v_sub_f32_e32 v20, v13, v20
	v_sub_f32_e32 v13, v13, v22
	v_add_f32_e32 v20, v18, v20
	v_add_f32_e32 v13, v18, v13
	;; [unrolled: 1-line block ×4, first 2 shown]
	v_rcp_f32_e32 v18, v22
	v_sub_f32_e32 v21, v21, v22
	v_sub_f32_e32 v19, v19, v23
	v_add_f32_e32 v20, v20, v21
	v_add_f32_e32 v13, v13, v19
	v_mul_f32_e32 v24, v23, v18
	v_mul_f32_e32 v25, v22, v24
	v_fma_f32 v21, v24, v22, -v25
	v_fmac_f32_e32 v21, v24, v20
	v_add_f32_e32 v26, v25, v21
	v_sub_f32_e32 v27, v23, v26
	v_sub_f32_e32 v19, v26, v25
	v_sub_f32_e32 v23, v23, v27
	v_sub_f32_e32 v19, v19, v21
	v_sub_f32_e32 v23, v23, v26
	v_add_f32_e32 v13, v13, v23
	v_add_f32_e32 v13, v19, v13
	;; [unrolled: 1-line block ×3, first 2 shown]
	v_mul_f32_e32 v21, v18, v19
	v_sub_f32_e32 v26, v27, v19
	v_mul_f32_e32 v23, v22, v21
	v_add_f32_e32 v13, v13, v26
	v_fma_f32 v22, v21, v22, -v23
	v_fmac_f32_e32 v22, v21, v20
	v_add_f32_e32 v20, v23, v22
	v_sub_f32_e32 v25, v19, v20
	v_sub_f32_e32 v23, v20, v23
	;; [unrolled: 1-line block ×5, first 2 shown]
	v_add_f32_e32 v13, v13, v19
	v_add_f32_e32 v19, v24, v21
	;; [unrolled: 1-line block ×3, first 2 shown]
	v_sub_f32_e32 v20, v19, v24
	v_add_f32_e32 v13, v25, v13
	v_sub_f32_e32 v20, v21, v20
	v_mul_f32_e32 v13, v18, v13
	v_add_f32_e32 v13, v20, v13
	v_add_f32_e32 v18, v19, v13
	v_mul_f32_e32 v20, v18, v18
	v_fmaak_f32 v21, s4, v20, 0x3ecc95a3
	v_mul_f32_e32 v22, v18, v20
	v_cmp_neq_f32_e64 s4, 0x7f800000, v8
	v_fmaak_f32 v20, v20, v21, 0x3f2aaada
	v_ldexp_f32 v21, v18, 1
	v_sub_f32_e32 v18, v18, v19
	v_mul_f32_e32 v20, v22, v20
	v_mul_f32_e32 v22, 0x3f317218, v17
	v_sub_f32_e32 v13, v13, v18
	v_add_f32_e32 v19, v21, v20
	v_ldexp_f32 v13, v13, 1
	v_sub_f32_e32 v18, v19, v21
	v_fma_f32 v21, 0x3f317218, v17, -v22
	v_sub_f32_e32 v18, v20, v18
	v_fmamk_f32 v17, v17, 0xb102e308, v21
	v_add_f32_e32 v13, v13, v18
	v_add_f32_e32 v18, v22, v17
	;; [unrolled: 1-line block ×3, first 2 shown]
	v_sub_f32_e32 v22, v18, v22
	v_add_f32_e32 v21, v18, v20
	v_sub_f32_e32 v19, v20, v19
	v_sub_f32_e32 v17, v17, v22
	;; [unrolled: 1-line block ×6, first 2 shown]
	v_add_f32_e32 v20, v17, v13
	v_sub_f32_e32 v18, v18, v24
	v_add_f32_e32 v18, v19, v18
	v_sub_f32_e32 v19, v20, v17
	;; [unrolled: 2-line block ×3, first 2 shown]
	v_sub_f32_e32 v13, v13, v19
	v_add_f32_e32 v22, v21, v18
	v_sub_f32_e32 v17, v17, v20
	v_sub_f32_e32 v19, v22, v21
	v_add_f32_e32 v13, v13, v17
	v_sub_f32_e32 v17, v18, v19
	v_add_f32_e32 v13, v13, v17
	v_add_f32_e32 v13, v22, v13
	v_cndmask_b32_e64 v13, 0x7f800000, v13, s4
	v_cmp_gt_f32_e64 s4, 0x33800000, |v8|
	v_cndmask_b32_e64 v8, v13, v8, s4
	v_add_f32_e32 v8, v16, v8
	v_cvt_f16_f32_e32 v18, v8
	v_cvt_f32_f16_e32 v8, v18
	v_mov_b32_e32 v13, v18
.LBB376_92:
	s_or_b32 exec_lo, exec_lo, s5
	v_max_f32_e32 v16, v4, v4
	v_max_f32_e32 v17, v8, v8
	v_cmp_u_f16_e64 s4, v18, v18
	v_min_f32_e32 v19, v17, v16
	v_max_f32_e32 v16, v17, v16
	v_cndmask_b32_e64 v17, v19, v8, s4
	v_cndmask_b32_e64 v16, v16, v8, s4
	;; [unrolled: 1-line block ×4, first 2 shown]
	v_mov_b32_e32 v4, v13
	v_cmp_class_f32_e64 s5, v17, 0x1f8
	v_cmp_neq_f32_e64 s4, v17, v16
	s_or_b32 s4, s4, s5
	s_and_saveexec_b32 s5, s4
	s_cbranch_execz .LBB376_94
; %bb.93:
	v_sub_f32_e32 v4, v17, v16
	v_mul_f32_e32 v8, 0x3fb8aa3b, v4
	v_cmp_ngt_f32_e64 s4, 0xc2ce8ed0, v4
	v_fma_f32 v17, 0x3fb8aa3b, v4, -v8
	v_rndne_f32_e32 v18, v8
	v_fmamk_f32 v17, v4, 0x32a5705f, v17
	v_sub_f32_e32 v8, v8, v18
	v_add_f32_e32 v8, v8, v17
	v_cvt_i32_f32_e32 v17, v18
	v_exp_f32_e32 v8, v8
	v_ldexp_f32 v8, v8, v17
	v_cndmask_b32_e64 v8, 0, v8, s4
	v_cmp_nlt_f32_e64 s4, 0x42b17218, v4
	v_cndmask_b32_e64 v4, 0x7f800000, v8, s4
	v_add_f32_e32 v8, 1.0, v4
	v_cvt_f64_f32_e32 v[17:18], v8
	v_frexp_exp_i32_f64_e32 v17, v[17:18]
	v_frexp_mant_f32_e32 v18, v8
	v_cmp_gt_f32_e64 s4, 0x3f2aaaab, v18
	v_add_f32_e32 v18, -1.0, v8
	v_sub_f32_e32 v20, v18, v8
	v_sub_f32_e32 v18, v4, v18
	v_add_f32_e32 v20, 1.0, v20
	v_add_f32_e32 v18, v18, v20
	v_subrev_co_ci_u32_e64 v17, null, 0, v17, s4
	s_mov_b32 s4, 0x3e9b6dac
	v_sub_nc_u32_e32 v19, 0, v17
	v_cvt_f32_i32_e32 v17, v17
	v_ldexp_f32 v8, v8, v19
	v_ldexp_f32 v18, v18, v19
	v_add_f32_e32 v21, 1.0, v8
	v_add_f32_e32 v19, -1.0, v8
	v_add_f32_e32 v20, -1.0, v21
	v_add_f32_e32 v22, 1.0, v19
	v_sub_f32_e32 v20, v8, v20
	v_sub_f32_e32 v8, v8, v22
	v_add_f32_e32 v20, v18, v20
	v_add_f32_e32 v8, v18, v8
	v_add_f32_e32 v22, v21, v20
	v_add_f32_e32 v23, v19, v8
	v_rcp_f32_e32 v18, v22
	v_sub_f32_e32 v21, v21, v22
	v_sub_f32_e32 v19, v19, v23
	v_add_f32_e32 v20, v20, v21
	v_add_f32_e32 v8, v8, v19
	v_mul_f32_e32 v24, v23, v18
	v_mul_f32_e32 v25, v22, v24
	v_fma_f32 v21, v24, v22, -v25
	v_fmac_f32_e32 v21, v24, v20
	v_add_f32_e32 v26, v25, v21
	v_sub_f32_e32 v27, v23, v26
	v_sub_f32_e32 v19, v26, v25
	;; [unrolled: 1-line block ×5, first 2 shown]
	v_add_f32_e32 v8, v8, v23
	v_add_f32_e32 v8, v19, v8
	;; [unrolled: 1-line block ×3, first 2 shown]
	v_mul_f32_e32 v21, v18, v19
	v_sub_f32_e32 v26, v27, v19
	v_mul_f32_e32 v23, v22, v21
	v_add_f32_e32 v8, v8, v26
	v_fma_f32 v22, v21, v22, -v23
	v_fmac_f32_e32 v22, v21, v20
	v_add_f32_e32 v20, v23, v22
	v_sub_f32_e32 v25, v19, v20
	v_sub_f32_e32 v23, v20, v23
	;; [unrolled: 1-line block ×5, first 2 shown]
	v_add_f32_e32 v8, v8, v19
	v_add_f32_e32 v19, v24, v21
	;; [unrolled: 1-line block ×3, first 2 shown]
	v_sub_f32_e32 v20, v19, v24
	v_add_f32_e32 v8, v25, v8
	v_sub_f32_e32 v20, v21, v20
	v_mul_f32_e32 v8, v18, v8
	v_add_f32_e32 v8, v20, v8
	v_add_f32_e32 v18, v19, v8
	v_mul_f32_e32 v20, v18, v18
	v_fmaak_f32 v21, s4, v20, 0x3ecc95a3
	v_mul_f32_e32 v22, v18, v20
	v_cmp_neq_f32_e64 s4, 0x7f800000, v4
	v_fmaak_f32 v20, v20, v21, 0x3f2aaada
	v_ldexp_f32 v21, v18, 1
	v_sub_f32_e32 v18, v18, v19
	v_mul_f32_e32 v20, v22, v20
	v_mul_f32_e32 v22, 0x3f317218, v17
	v_sub_f32_e32 v8, v8, v18
	v_add_f32_e32 v19, v21, v20
	v_ldexp_f32 v8, v8, 1
	v_sub_f32_e32 v18, v19, v21
	v_fma_f32 v21, 0x3f317218, v17, -v22
	v_sub_f32_e32 v18, v20, v18
	v_fmamk_f32 v17, v17, 0xb102e308, v21
	v_add_f32_e32 v8, v8, v18
	v_add_f32_e32 v18, v22, v17
	;; [unrolled: 1-line block ×3, first 2 shown]
	v_sub_f32_e32 v22, v18, v22
	v_add_f32_e32 v21, v18, v20
	v_sub_f32_e32 v19, v20, v19
	v_sub_f32_e32 v17, v17, v22
	;; [unrolled: 1-line block ×6, first 2 shown]
	v_add_f32_e32 v20, v17, v8
	v_sub_f32_e32 v18, v18, v24
	v_add_f32_e32 v18, v19, v18
	v_sub_f32_e32 v19, v20, v17
	;; [unrolled: 2-line block ×3, first 2 shown]
	v_sub_f32_e32 v8, v8, v19
	v_add_f32_e32 v22, v21, v18
	v_sub_f32_e32 v17, v17, v20
	v_sub_f32_e32 v19, v22, v21
	v_add_f32_e32 v8, v8, v17
	v_sub_f32_e32 v17, v18, v19
	v_add_f32_e32 v8, v8, v17
	v_add_f32_e32 v8, v22, v8
	v_cndmask_b32_e64 v8, 0x7f800000, v8, s4
	v_cmp_gt_f32_e64 s4, 0x33800000, |v4|
	v_cndmask_b32_e64 v4, v8, v4, s4
	v_add_f32_e32 v4, v16, v4
	v_cvt_f16_f32_e32 v18, v4
	v_cvt_f32_f16_e32 v8, v18
	v_mov_b32_e32 v4, v18
.LBB376_94:
	s_or_b32 exec_lo, exec_lo, s5
	v_max_f32_e32 v16, v14, v14
	v_max_f32_e32 v17, v8, v8
	v_cmp_u_f16_e64 s4, v18, v18
	v_min_f32_e32 v19, v17, v16
	v_max_f32_e32 v16, v17, v16
	v_cndmask_b32_e64 v17, v19, v8, s4
	v_cndmask_b32_e64 v16, v16, v8, s4
	;; [unrolled: 1-line block ×4, first 2 shown]
	v_mov_b32_e32 v14, v4
	v_cmp_class_f32_e64 s5, v17, 0x1f8
	v_cmp_neq_f32_e64 s4, v17, v16
	s_or_b32 s4, s4, s5
	s_and_saveexec_b32 s5, s4
	s_cbranch_execz .LBB376_96
; %bb.95:
	v_sub_f32_e32 v8, v17, v16
	v_mul_f32_e32 v14, 0x3fb8aa3b, v8
	v_cmp_ngt_f32_e64 s4, 0xc2ce8ed0, v8
	v_fma_f32 v17, 0x3fb8aa3b, v8, -v14
	v_rndne_f32_e32 v18, v14
	v_fmamk_f32 v17, v8, 0x32a5705f, v17
	v_sub_f32_e32 v14, v14, v18
	v_add_f32_e32 v14, v14, v17
	v_cvt_i32_f32_e32 v17, v18
	v_exp_f32_e32 v14, v14
	v_ldexp_f32 v14, v14, v17
	v_cndmask_b32_e64 v14, 0, v14, s4
	v_cmp_nlt_f32_e64 s4, 0x42b17218, v8
	v_cndmask_b32_e64 v8, 0x7f800000, v14, s4
	v_add_f32_e32 v14, 1.0, v8
	v_cvt_f64_f32_e32 v[17:18], v14
	v_frexp_exp_i32_f64_e32 v17, v[17:18]
	v_frexp_mant_f32_e32 v18, v14
	v_cmp_gt_f32_e64 s4, 0x3f2aaaab, v18
	v_add_f32_e32 v18, -1.0, v14
	v_sub_f32_e32 v20, v18, v14
	v_sub_f32_e32 v18, v8, v18
	v_add_f32_e32 v20, 1.0, v20
	v_add_f32_e32 v18, v18, v20
	v_subrev_co_ci_u32_e64 v17, null, 0, v17, s4
	s_mov_b32 s4, 0x3e9b6dac
	v_sub_nc_u32_e32 v19, 0, v17
	v_cvt_f32_i32_e32 v17, v17
	v_ldexp_f32 v14, v14, v19
	v_ldexp_f32 v18, v18, v19
	v_add_f32_e32 v21, 1.0, v14
	v_add_f32_e32 v19, -1.0, v14
	v_add_f32_e32 v20, -1.0, v21
	v_add_f32_e32 v22, 1.0, v19
	v_sub_f32_e32 v20, v14, v20
	v_sub_f32_e32 v14, v14, v22
	v_add_f32_e32 v20, v18, v20
	v_add_f32_e32 v14, v18, v14
	;; [unrolled: 1-line block ×4, first 2 shown]
	v_rcp_f32_e32 v18, v22
	v_sub_f32_e32 v21, v21, v22
	v_sub_f32_e32 v19, v19, v23
	v_add_f32_e32 v20, v20, v21
	v_add_f32_e32 v14, v14, v19
	v_mul_f32_e32 v24, v23, v18
	v_mul_f32_e32 v25, v22, v24
	v_fma_f32 v21, v24, v22, -v25
	v_fmac_f32_e32 v21, v24, v20
	v_add_f32_e32 v26, v25, v21
	v_sub_f32_e32 v27, v23, v26
	v_sub_f32_e32 v19, v26, v25
	;; [unrolled: 1-line block ×5, first 2 shown]
	v_add_f32_e32 v14, v14, v23
	v_add_f32_e32 v14, v19, v14
	;; [unrolled: 1-line block ×3, first 2 shown]
	v_mul_f32_e32 v21, v18, v19
	v_sub_f32_e32 v26, v27, v19
	v_mul_f32_e32 v23, v22, v21
	v_add_f32_e32 v14, v14, v26
	v_fma_f32 v22, v21, v22, -v23
	v_fmac_f32_e32 v22, v21, v20
	v_add_f32_e32 v20, v23, v22
	v_sub_f32_e32 v25, v19, v20
	v_sub_f32_e32 v23, v20, v23
	;; [unrolled: 1-line block ×5, first 2 shown]
	v_add_f32_e32 v14, v14, v19
	v_add_f32_e32 v19, v24, v21
	;; [unrolled: 1-line block ×3, first 2 shown]
	v_sub_f32_e32 v20, v19, v24
	v_add_f32_e32 v14, v25, v14
	v_sub_f32_e32 v20, v21, v20
	v_mul_f32_e32 v14, v18, v14
	v_add_f32_e32 v14, v20, v14
	v_add_f32_e32 v18, v19, v14
	v_mul_f32_e32 v20, v18, v18
	v_fmaak_f32 v21, s4, v20, 0x3ecc95a3
	v_mul_f32_e32 v22, v18, v20
	v_cmp_neq_f32_e64 s4, 0x7f800000, v8
	v_fmaak_f32 v20, v20, v21, 0x3f2aaada
	v_ldexp_f32 v21, v18, 1
	v_sub_f32_e32 v18, v18, v19
	v_mul_f32_e32 v20, v22, v20
	v_mul_f32_e32 v22, 0x3f317218, v17
	v_sub_f32_e32 v14, v14, v18
	v_add_f32_e32 v19, v21, v20
	v_ldexp_f32 v14, v14, 1
	v_sub_f32_e32 v18, v19, v21
	v_fma_f32 v21, 0x3f317218, v17, -v22
	v_sub_f32_e32 v18, v20, v18
	v_fmamk_f32 v17, v17, 0xb102e308, v21
	v_add_f32_e32 v14, v14, v18
	v_add_f32_e32 v18, v22, v17
	;; [unrolled: 1-line block ×3, first 2 shown]
	v_sub_f32_e32 v22, v18, v22
	v_add_f32_e32 v21, v18, v20
	v_sub_f32_e32 v19, v20, v19
	v_sub_f32_e32 v17, v17, v22
	;; [unrolled: 1-line block ×6, first 2 shown]
	v_add_f32_e32 v20, v17, v14
	v_sub_f32_e32 v18, v18, v24
	v_add_f32_e32 v18, v19, v18
	v_sub_f32_e32 v19, v20, v17
	;; [unrolled: 2-line block ×3, first 2 shown]
	v_sub_f32_e32 v14, v14, v19
	v_add_f32_e32 v22, v21, v18
	v_sub_f32_e32 v17, v17, v20
	v_sub_f32_e32 v19, v22, v21
	v_add_f32_e32 v14, v14, v17
	v_sub_f32_e32 v17, v18, v19
	v_add_f32_e32 v14, v14, v17
	v_add_f32_e32 v14, v22, v14
	v_cndmask_b32_e64 v14, 0x7f800000, v14, s4
	v_cmp_gt_f32_e64 s4, 0x33800000, |v8|
	v_cndmask_b32_e64 v8, v14, v8, s4
	v_add_f32_e32 v8, v16, v8
	v_cvt_f16_f32_e32 v18, v8
	v_cvt_f32_f16_e32 v8, v18
	v_mov_b32_e32 v14, v18
.LBB376_96:
	s_or_b32 exec_lo, exec_lo, s5
	v_max_f32_e32 v16, v5, v5
	v_max_f32_e32 v17, v8, v8
	v_cmp_u_f16_e64 s4, v18, v18
	v_min_f32_e32 v19, v17, v16
	v_max_f32_e32 v16, v17, v16
	v_cndmask_b32_e64 v17, v19, v8, s4
	v_cndmask_b32_e64 v16, v16, v8, s4
	;; [unrolled: 1-line block ×4, first 2 shown]
	v_mov_b32_e32 v5, v14
	v_cmp_class_f32_e64 s5, v17, 0x1f8
	v_cmp_neq_f32_e64 s4, v17, v16
	s_or_b32 s4, s4, s5
	s_and_saveexec_b32 s5, s4
	s_cbranch_execz .LBB376_98
; %bb.97:
	v_sub_f32_e32 v5, v17, v16
	v_mul_f32_e32 v8, 0x3fb8aa3b, v5
	v_cmp_ngt_f32_e64 s4, 0xc2ce8ed0, v5
	v_fma_f32 v17, 0x3fb8aa3b, v5, -v8
	v_rndne_f32_e32 v18, v8
	v_fmamk_f32 v17, v5, 0x32a5705f, v17
	v_sub_f32_e32 v8, v8, v18
	v_add_f32_e32 v8, v8, v17
	v_cvt_i32_f32_e32 v17, v18
	v_exp_f32_e32 v8, v8
	v_ldexp_f32 v8, v8, v17
	v_cndmask_b32_e64 v8, 0, v8, s4
	v_cmp_nlt_f32_e64 s4, 0x42b17218, v5
	v_cndmask_b32_e64 v5, 0x7f800000, v8, s4
	v_add_f32_e32 v8, 1.0, v5
	v_cvt_f64_f32_e32 v[17:18], v8
	v_frexp_exp_i32_f64_e32 v17, v[17:18]
	v_frexp_mant_f32_e32 v18, v8
	v_cmp_gt_f32_e64 s4, 0x3f2aaaab, v18
	v_add_f32_e32 v18, -1.0, v8
	v_sub_f32_e32 v20, v18, v8
	v_sub_f32_e32 v18, v5, v18
	v_add_f32_e32 v20, 1.0, v20
	v_add_f32_e32 v18, v18, v20
	v_subrev_co_ci_u32_e64 v17, null, 0, v17, s4
	s_mov_b32 s4, 0x3e9b6dac
	v_sub_nc_u32_e32 v19, 0, v17
	v_cvt_f32_i32_e32 v17, v17
	v_ldexp_f32 v8, v8, v19
	v_ldexp_f32 v18, v18, v19
	v_add_f32_e32 v21, 1.0, v8
	v_add_f32_e32 v19, -1.0, v8
	v_add_f32_e32 v20, -1.0, v21
	v_add_f32_e32 v22, 1.0, v19
	v_sub_f32_e32 v20, v8, v20
	v_sub_f32_e32 v8, v8, v22
	v_add_f32_e32 v20, v18, v20
	v_add_f32_e32 v8, v18, v8
	;; [unrolled: 1-line block ×4, first 2 shown]
	v_rcp_f32_e32 v18, v22
	v_sub_f32_e32 v21, v21, v22
	v_sub_f32_e32 v19, v19, v23
	v_add_f32_e32 v20, v20, v21
	v_add_f32_e32 v8, v8, v19
	v_mul_f32_e32 v24, v23, v18
	v_mul_f32_e32 v25, v22, v24
	v_fma_f32 v21, v24, v22, -v25
	v_fmac_f32_e32 v21, v24, v20
	v_add_f32_e32 v26, v25, v21
	v_sub_f32_e32 v27, v23, v26
	v_sub_f32_e32 v19, v26, v25
	v_sub_f32_e32 v23, v23, v27
	v_sub_f32_e32 v19, v19, v21
	v_sub_f32_e32 v23, v23, v26
	v_add_f32_e32 v8, v8, v23
	v_add_f32_e32 v8, v19, v8
	;; [unrolled: 1-line block ×3, first 2 shown]
	v_mul_f32_e32 v21, v18, v19
	v_sub_f32_e32 v26, v27, v19
	v_mul_f32_e32 v23, v22, v21
	v_add_f32_e32 v8, v8, v26
	v_fma_f32 v22, v21, v22, -v23
	v_fmac_f32_e32 v22, v21, v20
	v_add_f32_e32 v20, v23, v22
	v_sub_f32_e32 v25, v19, v20
	v_sub_f32_e32 v23, v20, v23
	;; [unrolled: 1-line block ×5, first 2 shown]
	v_add_f32_e32 v8, v8, v19
	v_add_f32_e32 v19, v24, v21
	v_add_f32_e32 v8, v20, v8
	v_sub_f32_e32 v20, v19, v24
	v_add_f32_e32 v8, v25, v8
	v_sub_f32_e32 v20, v21, v20
	v_mul_f32_e32 v8, v18, v8
	v_add_f32_e32 v8, v20, v8
	v_add_f32_e32 v18, v19, v8
	v_mul_f32_e32 v20, v18, v18
	v_fmaak_f32 v21, s4, v20, 0x3ecc95a3
	v_mul_f32_e32 v22, v18, v20
	v_cmp_neq_f32_e64 s4, 0x7f800000, v5
	v_fmaak_f32 v20, v20, v21, 0x3f2aaada
	v_ldexp_f32 v21, v18, 1
	v_sub_f32_e32 v18, v18, v19
	v_mul_f32_e32 v20, v22, v20
	v_mul_f32_e32 v22, 0x3f317218, v17
	v_sub_f32_e32 v8, v8, v18
	v_add_f32_e32 v19, v21, v20
	v_ldexp_f32 v8, v8, 1
	v_sub_f32_e32 v18, v19, v21
	v_fma_f32 v21, 0x3f317218, v17, -v22
	v_sub_f32_e32 v18, v20, v18
	v_fmamk_f32 v17, v17, 0xb102e308, v21
	v_add_f32_e32 v8, v8, v18
	v_add_f32_e32 v18, v22, v17
	;; [unrolled: 1-line block ×3, first 2 shown]
	v_sub_f32_e32 v22, v18, v22
	v_add_f32_e32 v21, v18, v20
	v_sub_f32_e32 v19, v20, v19
	v_sub_f32_e32 v17, v17, v22
	;; [unrolled: 1-line block ×6, first 2 shown]
	v_add_f32_e32 v20, v17, v8
	v_sub_f32_e32 v18, v18, v24
	v_add_f32_e32 v18, v19, v18
	v_sub_f32_e32 v19, v20, v17
	;; [unrolled: 2-line block ×3, first 2 shown]
	v_sub_f32_e32 v8, v8, v19
	v_add_f32_e32 v22, v21, v18
	v_sub_f32_e32 v17, v17, v20
	v_sub_f32_e32 v19, v22, v21
	v_add_f32_e32 v8, v8, v17
	v_sub_f32_e32 v17, v18, v19
	v_add_f32_e32 v8, v8, v17
	v_add_f32_e32 v8, v22, v8
	v_cndmask_b32_e64 v8, 0x7f800000, v8, s4
	v_cmp_gt_f32_e64 s4, 0x33800000, |v5|
	v_cndmask_b32_e64 v5, v8, v5, s4
	v_add_f32_e32 v5, v16, v5
	v_cvt_f16_f32_e32 v18, v5
	v_cvt_f32_f16_e32 v8, v18
	v_mov_b32_e32 v5, v18
.LBB376_98:
	s_or_b32 exec_lo, exec_lo, s5
	v_max_f32_e32 v16, v15, v15
	v_max_f32_e32 v17, v8, v8
	v_cmp_u_f16_e64 s4, v18, v18
	v_min_f32_e32 v19, v17, v16
	v_max_f32_e32 v16, v17, v16
	v_cndmask_b32_e64 v17, v19, v8, s4
	v_cndmask_b32_e64 v8, v16, v8, s4
	;; [unrolled: 1-line block ×4, first 2 shown]
	v_mov_b32_e32 v15, v5
	v_cmp_class_f32_e64 s5, v16, 0x1f8
	v_cmp_neq_f32_e64 s4, v16, v8
	s_or_b32 s4, s4, s5
	s_and_saveexec_b32 s5, s4
	s_cbranch_execz .LBB376_100
; %bb.99:
	v_sub_f32_e32 v15, v16, v8
	v_mul_f32_e32 v16, 0x3fb8aa3b, v15
	v_cmp_ngt_f32_e64 s4, 0xc2ce8ed0, v15
	v_fma_f32 v17, 0x3fb8aa3b, v15, -v16
	v_rndne_f32_e32 v18, v16
	v_fmamk_f32 v17, v15, 0x32a5705f, v17
	v_sub_f32_e32 v16, v16, v18
	v_add_f32_e32 v16, v16, v17
	v_cvt_i32_f32_e32 v17, v18
	v_exp_f32_e32 v16, v16
	v_ldexp_f32 v16, v16, v17
	v_cndmask_b32_e64 v16, 0, v16, s4
	v_cmp_nlt_f32_e64 s4, 0x42b17218, v15
	v_cndmask_b32_e64 v17, 0x7f800000, v16, s4
	v_add_f32_e32 v18, 1.0, v17
	v_cvt_f64_f32_e32 v[15:16], v18
	v_frexp_exp_i32_f64_e32 v15, v[15:16]
	v_frexp_mant_f32_e32 v16, v18
	v_cmp_gt_f32_e64 s4, 0x3f2aaaab, v16
	v_add_f32_e32 v16, -1.0, v18
	v_sub_f32_e32 v20, v16, v18
	v_sub_f32_e32 v16, v17, v16
	v_add_f32_e32 v20, 1.0, v20
	v_add_f32_e32 v16, v16, v20
	v_subrev_co_ci_u32_e64 v15, null, 0, v15, s4
	s_mov_b32 s4, 0x3e9b6dac
	v_sub_nc_u32_e32 v19, 0, v15
	v_cvt_f32_i32_e32 v15, v15
	v_ldexp_f32 v18, v18, v19
	v_ldexp_f32 v16, v16, v19
	v_add_f32_e32 v21, 1.0, v18
	v_add_f32_e32 v19, -1.0, v18
	v_add_f32_e32 v20, -1.0, v21
	v_add_f32_e32 v22, 1.0, v19
	v_sub_f32_e32 v20, v18, v20
	v_sub_f32_e32 v18, v18, v22
	v_add_f32_e32 v20, v16, v20
	v_add_f32_e32 v16, v16, v18
	;; [unrolled: 1-line block ×4, first 2 shown]
	v_rcp_f32_e32 v18, v22
	v_sub_f32_e32 v21, v21, v22
	v_sub_f32_e32 v19, v19, v23
	v_add_f32_e32 v20, v20, v21
	v_add_f32_e32 v16, v16, v19
	v_mul_f32_e32 v24, v23, v18
	v_mul_f32_e32 v25, v22, v24
	v_fma_f32 v21, v24, v22, -v25
	v_fmac_f32_e32 v21, v24, v20
	v_add_f32_e32 v26, v25, v21
	v_sub_f32_e32 v27, v23, v26
	v_sub_f32_e32 v19, v26, v25
	;; [unrolled: 1-line block ×5, first 2 shown]
	v_add_f32_e32 v16, v16, v23
	v_add_f32_e32 v16, v19, v16
	;; [unrolled: 1-line block ×3, first 2 shown]
	v_mul_f32_e32 v21, v18, v19
	v_sub_f32_e32 v26, v27, v19
	v_mul_f32_e32 v23, v22, v21
	v_add_f32_e32 v16, v16, v26
	v_fma_f32 v22, v21, v22, -v23
	v_fmac_f32_e32 v22, v21, v20
	v_add_f32_e32 v20, v23, v22
	v_sub_f32_e32 v25, v19, v20
	v_sub_f32_e32 v23, v20, v23
	;; [unrolled: 1-line block ×5, first 2 shown]
	v_add_f32_e32 v16, v16, v19
	v_add_f32_e32 v19, v24, v21
	;; [unrolled: 1-line block ×3, first 2 shown]
	v_sub_f32_e32 v20, v19, v24
	v_add_f32_e32 v16, v25, v16
	v_sub_f32_e32 v20, v21, v20
	v_mul_f32_e32 v16, v18, v16
	v_add_f32_e32 v16, v20, v16
	v_add_f32_e32 v18, v19, v16
	v_mul_f32_e32 v20, v18, v18
	v_fmaak_f32 v21, s4, v20, 0x3ecc95a3
	v_mul_f32_e32 v22, v18, v20
	v_cmp_neq_f32_e64 s4, 0x7f800000, v17
	v_fmaak_f32 v20, v20, v21, 0x3f2aaada
	v_ldexp_f32 v21, v18, 1
	v_sub_f32_e32 v18, v18, v19
	v_mul_f32_e32 v20, v22, v20
	v_mul_f32_e32 v22, 0x3f317218, v15
	v_sub_f32_e32 v16, v16, v18
	v_add_f32_e32 v19, v21, v20
	v_ldexp_f32 v16, v16, 1
	v_sub_f32_e32 v18, v19, v21
	v_fma_f32 v21, 0x3f317218, v15, -v22
	v_sub_f32_e32 v18, v20, v18
	v_fmamk_f32 v15, v15, 0xb102e308, v21
	v_add_f32_e32 v16, v16, v18
	v_add_f32_e32 v18, v22, v15
	;; [unrolled: 1-line block ×3, first 2 shown]
	v_sub_f32_e32 v22, v18, v22
	v_add_f32_e32 v21, v18, v20
	v_sub_f32_e32 v19, v20, v19
	v_sub_f32_e32 v15, v15, v22
	;; [unrolled: 1-line block ×6, first 2 shown]
	v_add_f32_e32 v20, v15, v16
	v_sub_f32_e32 v18, v18, v24
	v_add_f32_e32 v18, v19, v18
	v_sub_f32_e32 v19, v20, v15
	;; [unrolled: 2-line block ×3, first 2 shown]
	v_sub_f32_e32 v16, v16, v19
	v_add_f32_e32 v22, v21, v18
	v_sub_f32_e32 v15, v15, v20
	v_sub_f32_e32 v19, v22, v21
	v_add_f32_e32 v15, v16, v15
	v_sub_f32_e32 v16, v18, v19
	v_add_f32_e32 v15, v15, v16
	v_add_f32_e32 v15, v22, v15
	v_cndmask_b32_e64 v15, 0x7f800000, v15, s4
	v_cmp_gt_f32_e64 s4, 0x33800000, |v17|
	v_cndmask_b32_e64 v15, v15, v17, s4
	v_add_f32_e32 v8, v8, v15
	v_cvt_f16_f32_e32 v15, v8
.LBB376_100:
	s_or_b32 exec_lo, exec_lo, s5
	v_add_nc_u32_e32 v6, v7, v6
	v_perm_b32 v3, v13, v3, 0x5040100
	v_perm_b32 v2, v12, v2, 0x5040100
	;; [unrolled: 1-line block ×6, first 2 shown]
	s_barrier
	buffer_gl0_inv
	ds_write2_b64 v6, v[9:10], v[2:3] offset1:1
	ds_write_b64 v6, v[4:5] offset:16
	s_waitcnt lgkmcnt(0)
	s_barrier
	buffer_gl0_inv
	ds_read_u16 v13, v7 offset:128
	ds_read_u16 v12, v7 offset:256
	;; [unrolled: 1-line block ×11, first 2 shown]
	v_lshlrev_b32_e32 v0, 1, v0
	v_add_co_u32 v0, s4, s26, v0
	v_add_co_ci_u32_e64 v1, null, s27, 0, s4
	s_and_saveexec_b32 s4, vcc_lo
	s_cbranch_execnz .LBB376_113
; %bb.101:
	s_or_b32 exec_lo, exec_lo, s4
	s_and_saveexec_b32 s4, s0
	s_cbranch_execnz .LBB376_114
.LBB376_102:
	s_or_b32 exec_lo, exec_lo, s4
	s_and_saveexec_b32 s0, s1
	s_cbranch_execnz .LBB376_115
.LBB376_103:
	s_or_b32 exec_lo, exec_lo, s0
	s_and_saveexec_b32 s0, s2
	s_cbranch_execnz .LBB376_116
.LBB376_104:
	s_or_b32 exec_lo, exec_lo, s0
	s_and_saveexec_b32 s0, s3
	s_cbranch_execnz .LBB376_117
.LBB376_105:
	s_or_b32 exec_lo, exec_lo, s0
	s_and_saveexec_b32 s0, s6
	s_cbranch_execnz .LBB376_118
.LBB376_106:
	s_or_b32 exec_lo, exec_lo, s0
	s_and_saveexec_b32 s0, s7
	s_cbranch_execnz .LBB376_119
.LBB376_107:
	s_or_b32 exec_lo, exec_lo, s0
	s_and_saveexec_b32 s0, s8
	s_cbranch_execnz .LBB376_120
.LBB376_108:
	s_or_b32 exec_lo, exec_lo, s0
	s_and_saveexec_b32 s0, s9
	s_cbranch_execnz .LBB376_121
.LBB376_109:
	s_or_b32 exec_lo, exec_lo, s0
	s_and_saveexec_b32 s0, s10
	s_cbranch_execnz .LBB376_122
.LBB376_110:
	s_or_b32 exec_lo, exec_lo, s0
	s_and_saveexec_b32 s0, s11
	s_cbranch_execnz .LBB376_123
.LBB376_111:
	s_or_b32 exec_lo, exec_lo, s0
	s_and_saveexec_b32 s0, s12
	s_cbranch_execnz .LBB376_124
.LBB376_112:
	s_endpgm
.LBB376_113:
	ds_read_u16 v7, v7
	s_waitcnt lgkmcnt(0)
	global_store_short v[0:1], v7, off
	s_or_b32 exec_lo, exec_lo, s4
	s_and_saveexec_b32 s4, s0
	s_cbranch_execz .LBB376_102
.LBB376_114:
	s_waitcnt lgkmcnt(10)
	global_store_short v[0:1], v13, off offset:128
	s_or_b32 exec_lo, exec_lo, s4
	s_and_saveexec_b32 s0, s1
	s_cbranch_execz .LBB376_103
.LBB376_115:
	s_waitcnt lgkmcnt(9)
	global_store_short v[0:1], v12, off offset:256
	s_or_b32 exec_lo, exec_lo, s0
	s_and_saveexec_b32 s0, s2
	s_cbranch_execz .LBB376_104
.LBB376_116:
	s_waitcnt lgkmcnt(8)
	global_store_short v[0:1], v11, off offset:384
	s_or_b32 exec_lo, exec_lo, s0
	s_and_saveexec_b32 s0, s3
	s_cbranch_execz .LBB376_105
.LBB376_117:
	s_waitcnt lgkmcnt(7)
	global_store_short v[0:1], v10, off offset:512
	s_or_b32 exec_lo, exec_lo, s0
	s_and_saveexec_b32 s0, s6
	s_cbranch_execz .LBB376_106
.LBB376_118:
	s_waitcnt lgkmcnt(6)
	global_store_short v[0:1], v9, off offset:640
	s_or_b32 exec_lo, exec_lo, s0
	s_and_saveexec_b32 s0, s7
	s_cbranch_execz .LBB376_107
.LBB376_119:
	s_waitcnt lgkmcnt(5)
	global_store_short v[0:1], v8, off offset:768
	s_or_b32 exec_lo, exec_lo, s0
	s_and_saveexec_b32 s0, s8
	s_cbranch_execz .LBB376_108
.LBB376_120:
	s_waitcnt lgkmcnt(4)
	global_store_short v[0:1], v6, off offset:896
	s_or_b32 exec_lo, exec_lo, s0
	s_and_saveexec_b32 s0, s9
	s_cbranch_execz .LBB376_109
.LBB376_121:
	s_waitcnt lgkmcnt(3)
	global_store_short v[0:1], v5, off offset:1024
	s_or_b32 exec_lo, exec_lo, s0
	s_and_saveexec_b32 s0, s10
	s_cbranch_execz .LBB376_110
.LBB376_122:
	s_waitcnt lgkmcnt(2)
	global_store_short v[0:1], v4, off offset:1152
	s_or_b32 exec_lo, exec_lo, s0
	s_and_saveexec_b32 s0, s11
	s_cbranch_execz .LBB376_111
.LBB376_123:
	s_waitcnt lgkmcnt(1)
	global_store_short v[0:1], v3, off offset:1280
	s_or_b32 exec_lo, exec_lo, s0
	s_and_saveexec_b32 s0, s12
	s_cbranch_execz .LBB376_112
.LBB376_124:
	s_waitcnt lgkmcnt(0)
	global_store_short v[0:1], v2, off offset:1408
	s_endpgm
	.section	.rodata,"a",@progbits
	.p2align	6, 0x0
	.amdhsa_kernel _ZN7rocprim17ROCPRIM_400000_NS6detail17trampoline_kernelINS0_14default_configENS1_20scan_config_selectorIN3c104HalfEEEZZNS1_9scan_implILNS1_25lookback_scan_determinismE0ELb0ELb0ES3_PKS6_PS6_S6_ZZZN2at6native31launch_logcumsumexp_cuda_kernelERKNSD_10TensorBaseESH_lENKUlvE_clEvENKUlvE3_clEvEUlS6_S6_E_S6_EEDaPvRmT3_T4_T5_mT6_P12ihipStream_tbENKUlT_T0_E_clISt17integral_constantIbLb0EESY_EEDaST_SU_EUlST_E0_NS1_11comp_targetILNS1_3genE8ELNS1_11target_archE1030ELNS1_3gpuE2ELNS1_3repE0EEENS1_30default_config_static_selectorELNS0_4arch9wavefront6targetE0EEEvT1_
		.amdhsa_group_segment_fixed_size 1536
		.amdhsa_private_segment_fixed_size 0
		.amdhsa_kernarg_size 32
		.amdhsa_user_sgpr_count 6
		.amdhsa_user_sgpr_private_segment_buffer 1
		.amdhsa_user_sgpr_dispatch_ptr 0
		.amdhsa_user_sgpr_queue_ptr 0
		.amdhsa_user_sgpr_kernarg_segment_ptr 1
		.amdhsa_user_sgpr_dispatch_id 0
		.amdhsa_user_sgpr_flat_scratch_init 0
		.amdhsa_user_sgpr_private_segment_size 0
		.amdhsa_wavefront_size32 1
		.amdhsa_uses_dynamic_stack 0
		.amdhsa_system_sgpr_private_segment_wavefront_offset 0
		.amdhsa_system_sgpr_workgroup_id_x 1
		.amdhsa_system_sgpr_workgroup_id_y 0
		.amdhsa_system_sgpr_workgroup_id_z 0
		.amdhsa_system_sgpr_workgroup_info 0
		.amdhsa_system_vgpr_workitem_id 0
		.amdhsa_next_free_vgpr 36
		.amdhsa_next_free_sgpr 30
		.amdhsa_reserve_vcc 1
		.amdhsa_reserve_flat_scratch 0
		.amdhsa_float_round_mode_32 0
		.amdhsa_float_round_mode_16_64 0
		.amdhsa_float_denorm_mode_32 3
		.amdhsa_float_denorm_mode_16_64 3
		.amdhsa_dx10_clamp 1
		.amdhsa_ieee_mode 1
		.amdhsa_fp16_overflow 0
		.amdhsa_workgroup_processor_mode 1
		.amdhsa_memory_ordered 1
		.amdhsa_forward_progress 1
		.amdhsa_shared_vgpr_count 0
		.amdhsa_exception_fp_ieee_invalid_op 0
		.amdhsa_exception_fp_denorm_src 0
		.amdhsa_exception_fp_ieee_div_zero 0
		.amdhsa_exception_fp_ieee_overflow 0
		.amdhsa_exception_fp_ieee_underflow 0
		.amdhsa_exception_fp_ieee_inexact 0
		.amdhsa_exception_int_div_zero 0
	.end_amdhsa_kernel
	.section	.text._ZN7rocprim17ROCPRIM_400000_NS6detail17trampoline_kernelINS0_14default_configENS1_20scan_config_selectorIN3c104HalfEEEZZNS1_9scan_implILNS1_25lookback_scan_determinismE0ELb0ELb0ES3_PKS6_PS6_S6_ZZZN2at6native31launch_logcumsumexp_cuda_kernelERKNSD_10TensorBaseESH_lENKUlvE_clEvENKUlvE3_clEvEUlS6_S6_E_S6_EEDaPvRmT3_T4_T5_mT6_P12ihipStream_tbENKUlT_T0_E_clISt17integral_constantIbLb0EESY_EEDaST_SU_EUlST_E0_NS1_11comp_targetILNS1_3genE8ELNS1_11target_archE1030ELNS1_3gpuE2ELNS1_3repE0EEENS1_30default_config_static_selectorELNS0_4arch9wavefront6targetE0EEEvT1_,"axG",@progbits,_ZN7rocprim17ROCPRIM_400000_NS6detail17trampoline_kernelINS0_14default_configENS1_20scan_config_selectorIN3c104HalfEEEZZNS1_9scan_implILNS1_25lookback_scan_determinismE0ELb0ELb0ES3_PKS6_PS6_S6_ZZZN2at6native31launch_logcumsumexp_cuda_kernelERKNSD_10TensorBaseESH_lENKUlvE_clEvENKUlvE3_clEvEUlS6_S6_E_S6_EEDaPvRmT3_T4_T5_mT6_P12ihipStream_tbENKUlT_T0_E_clISt17integral_constantIbLb0EESY_EEDaST_SU_EUlST_E0_NS1_11comp_targetILNS1_3genE8ELNS1_11target_archE1030ELNS1_3gpuE2ELNS1_3repE0EEENS1_30default_config_static_selectorELNS0_4arch9wavefront6targetE0EEEvT1_,comdat
.Lfunc_end376:
	.size	_ZN7rocprim17ROCPRIM_400000_NS6detail17trampoline_kernelINS0_14default_configENS1_20scan_config_selectorIN3c104HalfEEEZZNS1_9scan_implILNS1_25lookback_scan_determinismE0ELb0ELb0ES3_PKS6_PS6_S6_ZZZN2at6native31launch_logcumsumexp_cuda_kernelERKNSD_10TensorBaseESH_lENKUlvE_clEvENKUlvE3_clEvEUlS6_S6_E_S6_EEDaPvRmT3_T4_T5_mT6_P12ihipStream_tbENKUlT_T0_E_clISt17integral_constantIbLb0EESY_EEDaST_SU_EUlST_E0_NS1_11comp_targetILNS1_3genE8ELNS1_11target_archE1030ELNS1_3gpuE2ELNS1_3repE0EEENS1_30default_config_static_selectorELNS0_4arch9wavefront6targetE0EEEvT1_, .Lfunc_end376-_ZN7rocprim17ROCPRIM_400000_NS6detail17trampoline_kernelINS0_14default_configENS1_20scan_config_selectorIN3c104HalfEEEZZNS1_9scan_implILNS1_25lookback_scan_determinismE0ELb0ELb0ES3_PKS6_PS6_S6_ZZZN2at6native31launch_logcumsumexp_cuda_kernelERKNSD_10TensorBaseESH_lENKUlvE_clEvENKUlvE3_clEvEUlS6_S6_E_S6_EEDaPvRmT3_T4_T5_mT6_P12ihipStream_tbENKUlT_T0_E_clISt17integral_constantIbLb0EESY_EEDaST_SU_EUlST_E0_NS1_11comp_targetILNS1_3genE8ELNS1_11target_archE1030ELNS1_3gpuE2ELNS1_3repE0EEENS1_30default_config_static_selectorELNS0_4arch9wavefront6targetE0EEEvT1_
                                        ; -- End function
	.set _ZN7rocprim17ROCPRIM_400000_NS6detail17trampoline_kernelINS0_14default_configENS1_20scan_config_selectorIN3c104HalfEEEZZNS1_9scan_implILNS1_25lookback_scan_determinismE0ELb0ELb0ES3_PKS6_PS6_S6_ZZZN2at6native31launch_logcumsumexp_cuda_kernelERKNSD_10TensorBaseESH_lENKUlvE_clEvENKUlvE3_clEvEUlS6_S6_E_S6_EEDaPvRmT3_T4_T5_mT6_P12ihipStream_tbENKUlT_T0_E_clISt17integral_constantIbLb0EESY_EEDaST_SU_EUlST_E0_NS1_11comp_targetILNS1_3genE8ELNS1_11target_archE1030ELNS1_3gpuE2ELNS1_3repE0EEENS1_30default_config_static_selectorELNS0_4arch9wavefront6targetE0EEEvT1_.num_vgpr, 36
	.set _ZN7rocprim17ROCPRIM_400000_NS6detail17trampoline_kernelINS0_14default_configENS1_20scan_config_selectorIN3c104HalfEEEZZNS1_9scan_implILNS1_25lookback_scan_determinismE0ELb0ELb0ES3_PKS6_PS6_S6_ZZZN2at6native31launch_logcumsumexp_cuda_kernelERKNSD_10TensorBaseESH_lENKUlvE_clEvENKUlvE3_clEvEUlS6_S6_E_S6_EEDaPvRmT3_T4_T5_mT6_P12ihipStream_tbENKUlT_T0_E_clISt17integral_constantIbLb0EESY_EEDaST_SU_EUlST_E0_NS1_11comp_targetILNS1_3genE8ELNS1_11target_archE1030ELNS1_3gpuE2ELNS1_3repE0EEENS1_30default_config_static_selectorELNS0_4arch9wavefront6targetE0EEEvT1_.num_agpr, 0
	.set _ZN7rocprim17ROCPRIM_400000_NS6detail17trampoline_kernelINS0_14default_configENS1_20scan_config_selectorIN3c104HalfEEEZZNS1_9scan_implILNS1_25lookback_scan_determinismE0ELb0ELb0ES3_PKS6_PS6_S6_ZZZN2at6native31launch_logcumsumexp_cuda_kernelERKNSD_10TensorBaseESH_lENKUlvE_clEvENKUlvE3_clEvEUlS6_S6_E_S6_EEDaPvRmT3_T4_T5_mT6_P12ihipStream_tbENKUlT_T0_E_clISt17integral_constantIbLb0EESY_EEDaST_SU_EUlST_E0_NS1_11comp_targetILNS1_3genE8ELNS1_11target_archE1030ELNS1_3gpuE2ELNS1_3repE0EEENS1_30default_config_static_selectorELNS0_4arch9wavefront6targetE0EEEvT1_.numbered_sgpr, 30
	.set _ZN7rocprim17ROCPRIM_400000_NS6detail17trampoline_kernelINS0_14default_configENS1_20scan_config_selectorIN3c104HalfEEEZZNS1_9scan_implILNS1_25lookback_scan_determinismE0ELb0ELb0ES3_PKS6_PS6_S6_ZZZN2at6native31launch_logcumsumexp_cuda_kernelERKNSD_10TensorBaseESH_lENKUlvE_clEvENKUlvE3_clEvEUlS6_S6_E_S6_EEDaPvRmT3_T4_T5_mT6_P12ihipStream_tbENKUlT_T0_E_clISt17integral_constantIbLb0EESY_EEDaST_SU_EUlST_E0_NS1_11comp_targetILNS1_3genE8ELNS1_11target_archE1030ELNS1_3gpuE2ELNS1_3repE0EEENS1_30default_config_static_selectorELNS0_4arch9wavefront6targetE0EEEvT1_.num_named_barrier, 0
	.set _ZN7rocprim17ROCPRIM_400000_NS6detail17trampoline_kernelINS0_14default_configENS1_20scan_config_selectorIN3c104HalfEEEZZNS1_9scan_implILNS1_25lookback_scan_determinismE0ELb0ELb0ES3_PKS6_PS6_S6_ZZZN2at6native31launch_logcumsumexp_cuda_kernelERKNSD_10TensorBaseESH_lENKUlvE_clEvENKUlvE3_clEvEUlS6_S6_E_S6_EEDaPvRmT3_T4_T5_mT6_P12ihipStream_tbENKUlT_T0_E_clISt17integral_constantIbLb0EESY_EEDaST_SU_EUlST_E0_NS1_11comp_targetILNS1_3genE8ELNS1_11target_archE1030ELNS1_3gpuE2ELNS1_3repE0EEENS1_30default_config_static_selectorELNS0_4arch9wavefront6targetE0EEEvT1_.private_seg_size, 0
	.set _ZN7rocprim17ROCPRIM_400000_NS6detail17trampoline_kernelINS0_14default_configENS1_20scan_config_selectorIN3c104HalfEEEZZNS1_9scan_implILNS1_25lookback_scan_determinismE0ELb0ELb0ES3_PKS6_PS6_S6_ZZZN2at6native31launch_logcumsumexp_cuda_kernelERKNSD_10TensorBaseESH_lENKUlvE_clEvENKUlvE3_clEvEUlS6_S6_E_S6_EEDaPvRmT3_T4_T5_mT6_P12ihipStream_tbENKUlT_T0_E_clISt17integral_constantIbLb0EESY_EEDaST_SU_EUlST_E0_NS1_11comp_targetILNS1_3genE8ELNS1_11target_archE1030ELNS1_3gpuE2ELNS1_3repE0EEENS1_30default_config_static_selectorELNS0_4arch9wavefront6targetE0EEEvT1_.uses_vcc, 1
	.set _ZN7rocprim17ROCPRIM_400000_NS6detail17trampoline_kernelINS0_14default_configENS1_20scan_config_selectorIN3c104HalfEEEZZNS1_9scan_implILNS1_25lookback_scan_determinismE0ELb0ELb0ES3_PKS6_PS6_S6_ZZZN2at6native31launch_logcumsumexp_cuda_kernelERKNSD_10TensorBaseESH_lENKUlvE_clEvENKUlvE3_clEvEUlS6_S6_E_S6_EEDaPvRmT3_T4_T5_mT6_P12ihipStream_tbENKUlT_T0_E_clISt17integral_constantIbLb0EESY_EEDaST_SU_EUlST_E0_NS1_11comp_targetILNS1_3genE8ELNS1_11target_archE1030ELNS1_3gpuE2ELNS1_3repE0EEENS1_30default_config_static_selectorELNS0_4arch9wavefront6targetE0EEEvT1_.uses_flat_scratch, 0
	.set _ZN7rocprim17ROCPRIM_400000_NS6detail17trampoline_kernelINS0_14default_configENS1_20scan_config_selectorIN3c104HalfEEEZZNS1_9scan_implILNS1_25lookback_scan_determinismE0ELb0ELb0ES3_PKS6_PS6_S6_ZZZN2at6native31launch_logcumsumexp_cuda_kernelERKNSD_10TensorBaseESH_lENKUlvE_clEvENKUlvE3_clEvEUlS6_S6_E_S6_EEDaPvRmT3_T4_T5_mT6_P12ihipStream_tbENKUlT_T0_E_clISt17integral_constantIbLb0EESY_EEDaST_SU_EUlST_E0_NS1_11comp_targetILNS1_3genE8ELNS1_11target_archE1030ELNS1_3gpuE2ELNS1_3repE0EEENS1_30default_config_static_selectorELNS0_4arch9wavefront6targetE0EEEvT1_.has_dyn_sized_stack, 0
	.set _ZN7rocprim17ROCPRIM_400000_NS6detail17trampoline_kernelINS0_14default_configENS1_20scan_config_selectorIN3c104HalfEEEZZNS1_9scan_implILNS1_25lookback_scan_determinismE0ELb0ELb0ES3_PKS6_PS6_S6_ZZZN2at6native31launch_logcumsumexp_cuda_kernelERKNSD_10TensorBaseESH_lENKUlvE_clEvENKUlvE3_clEvEUlS6_S6_E_S6_EEDaPvRmT3_T4_T5_mT6_P12ihipStream_tbENKUlT_T0_E_clISt17integral_constantIbLb0EESY_EEDaST_SU_EUlST_E0_NS1_11comp_targetILNS1_3genE8ELNS1_11target_archE1030ELNS1_3gpuE2ELNS1_3repE0EEENS1_30default_config_static_selectorELNS0_4arch9wavefront6targetE0EEEvT1_.has_recursion, 0
	.set _ZN7rocprim17ROCPRIM_400000_NS6detail17trampoline_kernelINS0_14default_configENS1_20scan_config_selectorIN3c104HalfEEEZZNS1_9scan_implILNS1_25lookback_scan_determinismE0ELb0ELb0ES3_PKS6_PS6_S6_ZZZN2at6native31launch_logcumsumexp_cuda_kernelERKNSD_10TensorBaseESH_lENKUlvE_clEvENKUlvE3_clEvEUlS6_S6_E_S6_EEDaPvRmT3_T4_T5_mT6_P12ihipStream_tbENKUlT_T0_E_clISt17integral_constantIbLb0EESY_EEDaST_SU_EUlST_E0_NS1_11comp_targetILNS1_3genE8ELNS1_11target_archE1030ELNS1_3gpuE2ELNS1_3repE0EEENS1_30default_config_static_selectorELNS0_4arch9wavefront6targetE0EEEvT1_.has_indirect_call, 0
	.section	.AMDGPU.csdata,"",@progbits
; Kernel info:
; codeLenInByte = 24888
; TotalNumSgprs: 32
; NumVgprs: 36
; ScratchSize: 0
; MemoryBound: 0
; FloatMode: 240
; IeeeMode: 1
; LDSByteSize: 1536 bytes/workgroup (compile time only)
; SGPRBlocks: 0
; VGPRBlocks: 4
; NumSGPRsForWavesPerEU: 32
; NumVGPRsForWavesPerEU: 36
; Occupancy: 16
; WaveLimiterHint : 0
; COMPUTE_PGM_RSRC2:SCRATCH_EN: 0
; COMPUTE_PGM_RSRC2:USER_SGPR: 6
; COMPUTE_PGM_RSRC2:TRAP_HANDLER: 0
; COMPUTE_PGM_RSRC2:TGID_X_EN: 1
; COMPUTE_PGM_RSRC2:TGID_Y_EN: 0
; COMPUTE_PGM_RSRC2:TGID_Z_EN: 0
; COMPUTE_PGM_RSRC2:TIDIG_COMP_CNT: 0
	.section	.text._ZN7rocprim17ROCPRIM_400000_NS6detail31init_lookback_scan_state_kernelINS1_19lookback_scan_stateIN3c104HalfELb1ELb1EEENS1_16block_id_wrapperIjLb1EEEEEvT_jT0_jPNS9_10value_typeE,"axG",@progbits,_ZN7rocprim17ROCPRIM_400000_NS6detail31init_lookback_scan_state_kernelINS1_19lookback_scan_stateIN3c104HalfELb1ELb1EEENS1_16block_id_wrapperIjLb1EEEEEvT_jT0_jPNS9_10value_typeE,comdat
	.protected	_ZN7rocprim17ROCPRIM_400000_NS6detail31init_lookback_scan_state_kernelINS1_19lookback_scan_stateIN3c104HalfELb1ELb1EEENS1_16block_id_wrapperIjLb1EEEEEvT_jT0_jPNS9_10value_typeE ; -- Begin function _ZN7rocprim17ROCPRIM_400000_NS6detail31init_lookback_scan_state_kernelINS1_19lookback_scan_stateIN3c104HalfELb1ELb1EEENS1_16block_id_wrapperIjLb1EEEEEvT_jT0_jPNS9_10value_typeE
	.globl	_ZN7rocprim17ROCPRIM_400000_NS6detail31init_lookback_scan_state_kernelINS1_19lookback_scan_stateIN3c104HalfELb1ELb1EEENS1_16block_id_wrapperIjLb1EEEEEvT_jT0_jPNS9_10value_typeE
	.p2align	8
	.type	_ZN7rocprim17ROCPRIM_400000_NS6detail31init_lookback_scan_state_kernelINS1_19lookback_scan_stateIN3c104HalfELb1ELb1EEENS1_16block_id_wrapperIjLb1EEEEEvT_jT0_jPNS9_10value_typeE,@function
_ZN7rocprim17ROCPRIM_400000_NS6detail31init_lookback_scan_state_kernelINS1_19lookback_scan_stateIN3c104HalfELb1ELb1EEENS1_16block_id_wrapperIjLb1EEEEEvT_jT0_jPNS9_10value_typeE: ; @_ZN7rocprim17ROCPRIM_400000_NS6detail31init_lookback_scan_state_kernelINS1_19lookback_scan_stateIN3c104HalfELb1ELb1EEENS1_16block_id_wrapperIjLb1EEEEEvT_jT0_jPNS9_10value_typeE
; %bb.0:
	s_clause 0x3
	s_load_dword s7, s[4:5], 0x34
	s_load_dwordx2 s[2:3], s[4:5], 0x20
	s_load_dwordx2 s[0:1], s[4:5], 0x0
	s_load_dword s8, s[4:5], 0x8
	s_waitcnt lgkmcnt(0)
	s_and_b32 s7, s7, 0xffff
	s_cmp_eq_u64 s[2:3], 0
	v_mad_u64_u32 v[0:1], null, s6, s7, v[0:1]
	s_cbranch_scc1 .LBB377_9
; %bb.1:
	s_load_dword s6, s[4:5], 0x18
	s_waitcnt lgkmcnt(0)
	s_cmp_lt_u32 s6, s8
	s_cselect_b32 s7, s6, 0
	v_cmp_eq_u32_e32 vcc_lo, s7, v0
	s_mov_b32 s7, 0
	s_and_saveexec_b32 s9, vcc_lo
	s_cbranch_execz .LBB377_8
; %bb.2:
	s_add_i32 s6, s6, 32
	v_mov_b32_e32 v1, 0
	s_lshl_b64 s[6:7], s[6:7], 2
	s_add_u32 s6, s0, s6
	s_addc_u32 s7, s1, s7
	global_load_dword v2, v1, s[6:7] glc dlc
	s_waitcnt vmcnt(0)
	v_and_b32_e32 v3, 0xff0000, v2
	v_cmp_ne_u32_e32 vcc_lo, 0, v3
	s_cbranch_vccnz .LBB377_7
; %bb.3:
	s_mov_b32 s10, 1
.LBB377_4:                              ; =>This Loop Header: Depth=1
                                        ;     Child Loop BB377_5 Depth 2
	s_mov_b32 s11, s10
.LBB377_5:                              ;   Parent Loop BB377_4 Depth=1
                                        ; =>  This Inner Loop Header: Depth=2
	s_add_i32 s11, s11, -1
	s_sleep 1
	s_cmp_eq_u32 s11, 0
	s_cbranch_scc0 .LBB377_5
; %bb.6:                                ;   in Loop: Header=BB377_4 Depth=1
	global_load_dword v2, v1, s[6:7] glc dlc
	s_cmp_lt_u32 s10, 32
	s_cselect_b32 s11, -1, 0
	s_cmp_lg_u32 s11, 0
	s_addc_u32 s10, s10, 0
	s_waitcnt vmcnt(0)
	v_and_b32_e32 v3, 0xff0000, v2
	v_cmp_ne_u32_e32 vcc_lo, 0, v3
	s_cbranch_vccz .LBB377_4
.LBB377_7:
	v_mov_b32_e32 v1, 0
	global_store_short v1, v2, s[2:3]
.LBB377_8:
	s_or_b32 exec_lo, exec_lo, s9
.LBB377_9:
	s_mov_b32 s2, exec_lo
	v_cmpx_eq_u32_e32 0, v0
	s_cbranch_execz .LBB377_11
; %bb.10:
	s_load_dwordx2 s[4:5], s[4:5], 0x10
	v_mov_b32_e32 v1, 0
	s_waitcnt lgkmcnt(0)
	global_store_dword v1, v1, s[4:5]
.LBB377_11:
	s_or_b32 exec_lo, exec_lo, s2
	s_mov_b32 s2, exec_lo
	v_cmpx_gt_u32_e64 s8, v0
	s_cbranch_execz .LBB377_13
; %bb.12:
	v_add_nc_u32_e32 v1, 32, v0
	v_mov_b32_e32 v2, 0
	v_lshlrev_b64 v[3:4], 2, v[1:2]
	v_add_co_u32 v3, vcc_lo, s0, v3
	v_add_co_ci_u32_e64 v4, null, s1, v4, vcc_lo
	global_store_dword v[3:4], v2, off
.LBB377_13:
	s_or_b32 exec_lo, exec_lo, s2
	s_mov_b32 s2, exec_lo
	v_cmpx_gt_u32_e32 32, v0
	s_cbranch_execz .LBB377_15
; %bb.14:
	v_mov_b32_e32 v1, 0
	v_mov_b32_e32 v2, 0xff0000
	v_lshlrev_b64 v[0:1], 2, v[0:1]
	v_add_co_u32 v0, vcc_lo, s0, v0
	v_add_co_ci_u32_e64 v1, null, s1, v1, vcc_lo
	global_store_dword v[0:1], v2, off
.LBB377_15:
	s_endpgm
	.section	.rodata,"a",@progbits
	.p2align	6, 0x0
	.amdhsa_kernel _ZN7rocprim17ROCPRIM_400000_NS6detail31init_lookback_scan_state_kernelINS1_19lookback_scan_stateIN3c104HalfELb1ELb1EEENS1_16block_id_wrapperIjLb1EEEEEvT_jT0_jPNS9_10value_typeE
		.amdhsa_group_segment_fixed_size 0
		.amdhsa_private_segment_fixed_size 0
		.amdhsa_kernarg_size 296
		.amdhsa_user_sgpr_count 6
		.amdhsa_user_sgpr_private_segment_buffer 1
		.amdhsa_user_sgpr_dispatch_ptr 0
		.amdhsa_user_sgpr_queue_ptr 0
		.amdhsa_user_sgpr_kernarg_segment_ptr 1
		.amdhsa_user_sgpr_dispatch_id 0
		.amdhsa_user_sgpr_flat_scratch_init 0
		.amdhsa_user_sgpr_private_segment_size 0
		.amdhsa_wavefront_size32 1
		.amdhsa_uses_dynamic_stack 0
		.amdhsa_system_sgpr_private_segment_wavefront_offset 0
		.amdhsa_system_sgpr_workgroup_id_x 1
		.amdhsa_system_sgpr_workgroup_id_y 0
		.amdhsa_system_sgpr_workgroup_id_z 0
		.amdhsa_system_sgpr_workgroup_info 0
		.amdhsa_system_vgpr_workitem_id 0
		.amdhsa_next_free_vgpr 5
		.amdhsa_next_free_sgpr 12
		.amdhsa_reserve_vcc 1
		.amdhsa_reserve_flat_scratch 0
		.amdhsa_float_round_mode_32 0
		.amdhsa_float_round_mode_16_64 0
		.amdhsa_float_denorm_mode_32 3
		.amdhsa_float_denorm_mode_16_64 3
		.amdhsa_dx10_clamp 1
		.amdhsa_ieee_mode 1
		.amdhsa_fp16_overflow 0
		.amdhsa_workgroup_processor_mode 1
		.amdhsa_memory_ordered 1
		.amdhsa_forward_progress 1
		.amdhsa_shared_vgpr_count 0
		.amdhsa_exception_fp_ieee_invalid_op 0
		.amdhsa_exception_fp_denorm_src 0
		.amdhsa_exception_fp_ieee_div_zero 0
		.amdhsa_exception_fp_ieee_overflow 0
		.amdhsa_exception_fp_ieee_underflow 0
		.amdhsa_exception_fp_ieee_inexact 0
		.amdhsa_exception_int_div_zero 0
	.end_amdhsa_kernel
	.section	.text._ZN7rocprim17ROCPRIM_400000_NS6detail31init_lookback_scan_state_kernelINS1_19lookback_scan_stateIN3c104HalfELb1ELb1EEENS1_16block_id_wrapperIjLb1EEEEEvT_jT0_jPNS9_10value_typeE,"axG",@progbits,_ZN7rocprim17ROCPRIM_400000_NS6detail31init_lookback_scan_state_kernelINS1_19lookback_scan_stateIN3c104HalfELb1ELb1EEENS1_16block_id_wrapperIjLb1EEEEEvT_jT0_jPNS9_10value_typeE,comdat
.Lfunc_end377:
	.size	_ZN7rocprim17ROCPRIM_400000_NS6detail31init_lookback_scan_state_kernelINS1_19lookback_scan_stateIN3c104HalfELb1ELb1EEENS1_16block_id_wrapperIjLb1EEEEEvT_jT0_jPNS9_10value_typeE, .Lfunc_end377-_ZN7rocprim17ROCPRIM_400000_NS6detail31init_lookback_scan_state_kernelINS1_19lookback_scan_stateIN3c104HalfELb1ELb1EEENS1_16block_id_wrapperIjLb1EEEEEvT_jT0_jPNS9_10value_typeE
                                        ; -- End function
	.set _ZN7rocprim17ROCPRIM_400000_NS6detail31init_lookback_scan_state_kernelINS1_19lookback_scan_stateIN3c104HalfELb1ELb1EEENS1_16block_id_wrapperIjLb1EEEEEvT_jT0_jPNS9_10value_typeE.num_vgpr, 5
	.set _ZN7rocprim17ROCPRIM_400000_NS6detail31init_lookback_scan_state_kernelINS1_19lookback_scan_stateIN3c104HalfELb1ELb1EEENS1_16block_id_wrapperIjLb1EEEEEvT_jT0_jPNS9_10value_typeE.num_agpr, 0
	.set _ZN7rocprim17ROCPRIM_400000_NS6detail31init_lookback_scan_state_kernelINS1_19lookback_scan_stateIN3c104HalfELb1ELb1EEENS1_16block_id_wrapperIjLb1EEEEEvT_jT0_jPNS9_10value_typeE.numbered_sgpr, 12
	.set _ZN7rocprim17ROCPRIM_400000_NS6detail31init_lookback_scan_state_kernelINS1_19lookback_scan_stateIN3c104HalfELb1ELb1EEENS1_16block_id_wrapperIjLb1EEEEEvT_jT0_jPNS9_10value_typeE.num_named_barrier, 0
	.set _ZN7rocprim17ROCPRIM_400000_NS6detail31init_lookback_scan_state_kernelINS1_19lookback_scan_stateIN3c104HalfELb1ELb1EEENS1_16block_id_wrapperIjLb1EEEEEvT_jT0_jPNS9_10value_typeE.private_seg_size, 0
	.set _ZN7rocprim17ROCPRIM_400000_NS6detail31init_lookback_scan_state_kernelINS1_19lookback_scan_stateIN3c104HalfELb1ELb1EEENS1_16block_id_wrapperIjLb1EEEEEvT_jT0_jPNS9_10value_typeE.uses_vcc, 1
	.set _ZN7rocprim17ROCPRIM_400000_NS6detail31init_lookback_scan_state_kernelINS1_19lookback_scan_stateIN3c104HalfELb1ELb1EEENS1_16block_id_wrapperIjLb1EEEEEvT_jT0_jPNS9_10value_typeE.uses_flat_scratch, 0
	.set _ZN7rocprim17ROCPRIM_400000_NS6detail31init_lookback_scan_state_kernelINS1_19lookback_scan_stateIN3c104HalfELb1ELb1EEENS1_16block_id_wrapperIjLb1EEEEEvT_jT0_jPNS9_10value_typeE.has_dyn_sized_stack, 0
	.set _ZN7rocprim17ROCPRIM_400000_NS6detail31init_lookback_scan_state_kernelINS1_19lookback_scan_stateIN3c104HalfELb1ELb1EEENS1_16block_id_wrapperIjLb1EEEEEvT_jT0_jPNS9_10value_typeE.has_recursion, 0
	.set _ZN7rocprim17ROCPRIM_400000_NS6detail31init_lookback_scan_state_kernelINS1_19lookback_scan_stateIN3c104HalfELb1ELb1EEENS1_16block_id_wrapperIjLb1EEEEEvT_jT0_jPNS9_10value_typeE.has_indirect_call, 0
	.section	.AMDGPU.csdata,"",@progbits
; Kernel info:
; codeLenInByte = 392
; TotalNumSgprs: 14
; NumVgprs: 5
; ScratchSize: 0
; MemoryBound: 0
; FloatMode: 240
; IeeeMode: 1
; LDSByteSize: 0 bytes/workgroup (compile time only)
; SGPRBlocks: 0
; VGPRBlocks: 0
; NumSGPRsForWavesPerEU: 14
; NumVGPRsForWavesPerEU: 5
; Occupancy: 16
; WaveLimiterHint : 0
; COMPUTE_PGM_RSRC2:SCRATCH_EN: 0
; COMPUTE_PGM_RSRC2:USER_SGPR: 6
; COMPUTE_PGM_RSRC2:TRAP_HANDLER: 0
; COMPUTE_PGM_RSRC2:TGID_X_EN: 1
; COMPUTE_PGM_RSRC2:TGID_Y_EN: 0
; COMPUTE_PGM_RSRC2:TGID_Z_EN: 0
; COMPUTE_PGM_RSRC2:TIDIG_COMP_CNT: 0
	.section	.text._ZN7rocprim17ROCPRIM_400000_NS6detail17trampoline_kernelINS0_14default_configENS1_20scan_config_selectorIN3c104HalfEEEZZNS1_9scan_implILNS1_25lookback_scan_determinismE0ELb0ELb0ES3_PKS6_PS6_S6_ZZZN2at6native31launch_logcumsumexp_cuda_kernelERKNSD_10TensorBaseESH_lENKUlvE_clEvENKUlvE3_clEvEUlS6_S6_E_S6_EEDaPvRmT3_T4_T5_mT6_P12ihipStream_tbENKUlT_T0_E_clISt17integral_constantIbLb1EESY_EEDaST_SU_EUlST_E_NS1_11comp_targetILNS1_3genE0ELNS1_11target_archE4294967295ELNS1_3gpuE0ELNS1_3repE0EEENS1_30default_config_static_selectorELNS0_4arch9wavefront6targetE0EEEvT1_,"axG",@progbits,_ZN7rocprim17ROCPRIM_400000_NS6detail17trampoline_kernelINS0_14default_configENS1_20scan_config_selectorIN3c104HalfEEEZZNS1_9scan_implILNS1_25lookback_scan_determinismE0ELb0ELb0ES3_PKS6_PS6_S6_ZZZN2at6native31launch_logcumsumexp_cuda_kernelERKNSD_10TensorBaseESH_lENKUlvE_clEvENKUlvE3_clEvEUlS6_S6_E_S6_EEDaPvRmT3_T4_T5_mT6_P12ihipStream_tbENKUlT_T0_E_clISt17integral_constantIbLb1EESY_EEDaST_SU_EUlST_E_NS1_11comp_targetILNS1_3genE0ELNS1_11target_archE4294967295ELNS1_3gpuE0ELNS1_3repE0EEENS1_30default_config_static_selectorELNS0_4arch9wavefront6targetE0EEEvT1_,comdat
	.globl	_ZN7rocprim17ROCPRIM_400000_NS6detail17trampoline_kernelINS0_14default_configENS1_20scan_config_selectorIN3c104HalfEEEZZNS1_9scan_implILNS1_25lookback_scan_determinismE0ELb0ELb0ES3_PKS6_PS6_S6_ZZZN2at6native31launch_logcumsumexp_cuda_kernelERKNSD_10TensorBaseESH_lENKUlvE_clEvENKUlvE3_clEvEUlS6_S6_E_S6_EEDaPvRmT3_T4_T5_mT6_P12ihipStream_tbENKUlT_T0_E_clISt17integral_constantIbLb1EESY_EEDaST_SU_EUlST_E_NS1_11comp_targetILNS1_3genE0ELNS1_11target_archE4294967295ELNS1_3gpuE0ELNS1_3repE0EEENS1_30default_config_static_selectorELNS0_4arch9wavefront6targetE0EEEvT1_ ; -- Begin function _ZN7rocprim17ROCPRIM_400000_NS6detail17trampoline_kernelINS0_14default_configENS1_20scan_config_selectorIN3c104HalfEEEZZNS1_9scan_implILNS1_25lookback_scan_determinismE0ELb0ELb0ES3_PKS6_PS6_S6_ZZZN2at6native31launch_logcumsumexp_cuda_kernelERKNSD_10TensorBaseESH_lENKUlvE_clEvENKUlvE3_clEvEUlS6_S6_E_S6_EEDaPvRmT3_T4_T5_mT6_P12ihipStream_tbENKUlT_T0_E_clISt17integral_constantIbLb1EESY_EEDaST_SU_EUlST_E_NS1_11comp_targetILNS1_3genE0ELNS1_11target_archE4294967295ELNS1_3gpuE0ELNS1_3repE0EEENS1_30default_config_static_selectorELNS0_4arch9wavefront6targetE0EEEvT1_
	.p2align	8
	.type	_ZN7rocprim17ROCPRIM_400000_NS6detail17trampoline_kernelINS0_14default_configENS1_20scan_config_selectorIN3c104HalfEEEZZNS1_9scan_implILNS1_25lookback_scan_determinismE0ELb0ELb0ES3_PKS6_PS6_S6_ZZZN2at6native31launch_logcumsumexp_cuda_kernelERKNSD_10TensorBaseESH_lENKUlvE_clEvENKUlvE3_clEvEUlS6_S6_E_S6_EEDaPvRmT3_T4_T5_mT6_P12ihipStream_tbENKUlT_T0_E_clISt17integral_constantIbLb1EESY_EEDaST_SU_EUlST_E_NS1_11comp_targetILNS1_3genE0ELNS1_11target_archE4294967295ELNS1_3gpuE0ELNS1_3repE0EEENS1_30default_config_static_selectorELNS0_4arch9wavefront6targetE0EEEvT1_,@function
_ZN7rocprim17ROCPRIM_400000_NS6detail17trampoline_kernelINS0_14default_configENS1_20scan_config_selectorIN3c104HalfEEEZZNS1_9scan_implILNS1_25lookback_scan_determinismE0ELb0ELb0ES3_PKS6_PS6_S6_ZZZN2at6native31launch_logcumsumexp_cuda_kernelERKNSD_10TensorBaseESH_lENKUlvE_clEvENKUlvE3_clEvEUlS6_S6_E_S6_EEDaPvRmT3_T4_T5_mT6_P12ihipStream_tbENKUlT_T0_E_clISt17integral_constantIbLb1EESY_EEDaST_SU_EUlST_E_NS1_11comp_targetILNS1_3genE0ELNS1_11target_archE4294967295ELNS1_3gpuE0ELNS1_3repE0EEENS1_30default_config_static_selectorELNS0_4arch9wavefront6targetE0EEEvT1_: ; @_ZN7rocprim17ROCPRIM_400000_NS6detail17trampoline_kernelINS0_14default_configENS1_20scan_config_selectorIN3c104HalfEEEZZNS1_9scan_implILNS1_25lookback_scan_determinismE0ELb0ELb0ES3_PKS6_PS6_S6_ZZZN2at6native31launch_logcumsumexp_cuda_kernelERKNSD_10TensorBaseESH_lENKUlvE_clEvENKUlvE3_clEvEUlS6_S6_E_S6_EEDaPvRmT3_T4_T5_mT6_P12ihipStream_tbENKUlT_T0_E_clISt17integral_constantIbLb1EESY_EEDaST_SU_EUlST_E_NS1_11comp_targetILNS1_3genE0ELNS1_11target_archE4294967295ELNS1_3gpuE0ELNS1_3repE0EEENS1_30default_config_static_selectorELNS0_4arch9wavefront6targetE0EEEvT1_
; %bb.0:
	.section	.rodata,"a",@progbits
	.p2align	6, 0x0
	.amdhsa_kernel _ZN7rocprim17ROCPRIM_400000_NS6detail17trampoline_kernelINS0_14default_configENS1_20scan_config_selectorIN3c104HalfEEEZZNS1_9scan_implILNS1_25lookback_scan_determinismE0ELb0ELb0ES3_PKS6_PS6_S6_ZZZN2at6native31launch_logcumsumexp_cuda_kernelERKNSD_10TensorBaseESH_lENKUlvE_clEvENKUlvE3_clEvEUlS6_S6_E_S6_EEDaPvRmT3_T4_T5_mT6_P12ihipStream_tbENKUlT_T0_E_clISt17integral_constantIbLb1EESY_EEDaST_SU_EUlST_E_NS1_11comp_targetILNS1_3genE0ELNS1_11target_archE4294967295ELNS1_3gpuE0ELNS1_3repE0EEENS1_30default_config_static_selectorELNS0_4arch9wavefront6targetE0EEEvT1_
		.amdhsa_group_segment_fixed_size 0
		.amdhsa_private_segment_fixed_size 0
		.amdhsa_kernarg_size 96
		.amdhsa_user_sgpr_count 6
		.amdhsa_user_sgpr_private_segment_buffer 1
		.amdhsa_user_sgpr_dispatch_ptr 0
		.amdhsa_user_sgpr_queue_ptr 0
		.amdhsa_user_sgpr_kernarg_segment_ptr 1
		.amdhsa_user_sgpr_dispatch_id 0
		.amdhsa_user_sgpr_flat_scratch_init 0
		.amdhsa_user_sgpr_private_segment_size 0
		.amdhsa_wavefront_size32 1
		.amdhsa_uses_dynamic_stack 0
		.amdhsa_system_sgpr_private_segment_wavefront_offset 0
		.amdhsa_system_sgpr_workgroup_id_x 1
		.amdhsa_system_sgpr_workgroup_id_y 0
		.amdhsa_system_sgpr_workgroup_id_z 0
		.amdhsa_system_sgpr_workgroup_info 0
		.amdhsa_system_vgpr_workitem_id 0
		.amdhsa_next_free_vgpr 1
		.amdhsa_next_free_sgpr 1
		.amdhsa_reserve_vcc 0
		.amdhsa_reserve_flat_scratch 0
		.amdhsa_float_round_mode_32 0
		.amdhsa_float_round_mode_16_64 0
		.amdhsa_float_denorm_mode_32 3
		.amdhsa_float_denorm_mode_16_64 3
		.amdhsa_dx10_clamp 1
		.amdhsa_ieee_mode 1
		.amdhsa_fp16_overflow 0
		.amdhsa_workgroup_processor_mode 1
		.amdhsa_memory_ordered 1
		.amdhsa_forward_progress 1
		.amdhsa_shared_vgpr_count 0
		.amdhsa_exception_fp_ieee_invalid_op 0
		.amdhsa_exception_fp_denorm_src 0
		.amdhsa_exception_fp_ieee_div_zero 0
		.amdhsa_exception_fp_ieee_overflow 0
		.amdhsa_exception_fp_ieee_underflow 0
		.amdhsa_exception_fp_ieee_inexact 0
		.amdhsa_exception_int_div_zero 0
	.end_amdhsa_kernel
	.section	.text._ZN7rocprim17ROCPRIM_400000_NS6detail17trampoline_kernelINS0_14default_configENS1_20scan_config_selectorIN3c104HalfEEEZZNS1_9scan_implILNS1_25lookback_scan_determinismE0ELb0ELb0ES3_PKS6_PS6_S6_ZZZN2at6native31launch_logcumsumexp_cuda_kernelERKNSD_10TensorBaseESH_lENKUlvE_clEvENKUlvE3_clEvEUlS6_S6_E_S6_EEDaPvRmT3_T4_T5_mT6_P12ihipStream_tbENKUlT_T0_E_clISt17integral_constantIbLb1EESY_EEDaST_SU_EUlST_E_NS1_11comp_targetILNS1_3genE0ELNS1_11target_archE4294967295ELNS1_3gpuE0ELNS1_3repE0EEENS1_30default_config_static_selectorELNS0_4arch9wavefront6targetE0EEEvT1_,"axG",@progbits,_ZN7rocprim17ROCPRIM_400000_NS6detail17trampoline_kernelINS0_14default_configENS1_20scan_config_selectorIN3c104HalfEEEZZNS1_9scan_implILNS1_25lookback_scan_determinismE0ELb0ELb0ES3_PKS6_PS6_S6_ZZZN2at6native31launch_logcumsumexp_cuda_kernelERKNSD_10TensorBaseESH_lENKUlvE_clEvENKUlvE3_clEvEUlS6_S6_E_S6_EEDaPvRmT3_T4_T5_mT6_P12ihipStream_tbENKUlT_T0_E_clISt17integral_constantIbLb1EESY_EEDaST_SU_EUlST_E_NS1_11comp_targetILNS1_3genE0ELNS1_11target_archE4294967295ELNS1_3gpuE0ELNS1_3repE0EEENS1_30default_config_static_selectorELNS0_4arch9wavefront6targetE0EEEvT1_,comdat
.Lfunc_end378:
	.size	_ZN7rocprim17ROCPRIM_400000_NS6detail17trampoline_kernelINS0_14default_configENS1_20scan_config_selectorIN3c104HalfEEEZZNS1_9scan_implILNS1_25lookback_scan_determinismE0ELb0ELb0ES3_PKS6_PS6_S6_ZZZN2at6native31launch_logcumsumexp_cuda_kernelERKNSD_10TensorBaseESH_lENKUlvE_clEvENKUlvE3_clEvEUlS6_S6_E_S6_EEDaPvRmT3_T4_T5_mT6_P12ihipStream_tbENKUlT_T0_E_clISt17integral_constantIbLb1EESY_EEDaST_SU_EUlST_E_NS1_11comp_targetILNS1_3genE0ELNS1_11target_archE4294967295ELNS1_3gpuE0ELNS1_3repE0EEENS1_30default_config_static_selectorELNS0_4arch9wavefront6targetE0EEEvT1_, .Lfunc_end378-_ZN7rocprim17ROCPRIM_400000_NS6detail17trampoline_kernelINS0_14default_configENS1_20scan_config_selectorIN3c104HalfEEEZZNS1_9scan_implILNS1_25lookback_scan_determinismE0ELb0ELb0ES3_PKS6_PS6_S6_ZZZN2at6native31launch_logcumsumexp_cuda_kernelERKNSD_10TensorBaseESH_lENKUlvE_clEvENKUlvE3_clEvEUlS6_S6_E_S6_EEDaPvRmT3_T4_T5_mT6_P12ihipStream_tbENKUlT_T0_E_clISt17integral_constantIbLb1EESY_EEDaST_SU_EUlST_E_NS1_11comp_targetILNS1_3genE0ELNS1_11target_archE4294967295ELNS1_3gpuE0ELNS1_3repE0EEENS1_30default_config_static_selectorELNS0_4arch9wavefront6targetE0EEEvT1_
                                        ; -- End function
	.set _ZN7rocprim17ROCPRIM_400000_NS6detail17trampoline_kernelINS0_14default_configENS1_20scan_config_selectorIN3c104HalfEEEZZNS1_9scan_implILNS1_25lookback_scan_determinismE0ELb0ELb0ES3_PKS6_PS6_S6_ZZZN2at6native31launch_logcumsumexp_cuda_kernelERKNSD_10TensorBaseESH_lENKUlvE_clEvENKUlvE3_clEvEUlS6_S6_E_S6_EEDaPvRmT3_T4_T5_mT6_P12ihipStream_tbENKUlT_T0_E_clISt17integral_constantIbLb1EESY_EEDaST_SU_EUlST_E_NS1_11comp_targetILNS1_3genE0ELNS1_11target_archE4294967295ELNS1_3gpuE0ELNS1_3repE0EEENS1_30default_config_static_selectorELNS0_4arch9wavefront6targetE0EEEvT1_.num_vgpr, 0
	.set _ZN7rocprim17ROCPRIM_400000_NS6detail17trampoline_kernelINS0_14default_configENS1_20scan_config_selectorIN3c104HalfEEEZZNS1_9scan_implILNS1_25lookback_scan_determinismE0ELb0ELb0ES3_PKS6_PS6_S6_ZZZN2at6native31launch_logcumsumexp_cuda_kernelERKNSD_10TensorBaseESH_lENKUlvE_clEvENKUlvE3_clEvEUlS6_S6_E_S6_EEDaPvRmT3_T4_T5_mT6_P12ihipStream_tbENKUlT_T0_E_clISt17integral_constantIbLb1EESY_EEDaST_SU_EUlST_E_NS1_11comp_targetILNS1_3genE0ELNS1_11target_archE4294967295ELNS1_3gpuE0ELNS1_3repE0EEENS1_30default_config_static_selectorELNS0_4arch9wavefront6targetE0EEEvT1_.num_agpr, 0
	.set _ZN7rocprim17ROCPRIM_400000_NS6detail17trampoline_kernelINS0_14default_configENS1_20scan_config_selectorIN3c104HalfEEEZZNS1_9scan_implILNS1_25lookback_scan_determinismE0ELb0ELb0ES3_PKS6_PS6_S6_ZZZN2at6native31launch_logcumsumexp_cuda_kernelERKNSD_10TensorBaseESH_lENKUlvE_clEvENKUlvE3_clEvEUlS6_S6_E_S6_EEDaPvRmT3_T4_T5_mT6_P12ihipStream_tbENKUlT_T0_E_clISt17integral_constantIbLb1EESY_EEDaST_SU_EUlST_E_NS1_11comp_targetILNS1_3genE0ELNS1_11target_archE4294967295ELNS1_3gpuE0ELNS1_3repE0EEENS1_30default_config_static_selectorELNS0_4arch9wavefront6targetE0EEEvT1_.numbered_sgpr, 0
	.set _ZN7rocprim17ROCPRIM_400000_NS6detail17trampoline_kernelINS0_14default_configENS1_20scan_config_selectorIN3c104HalfEEEZZNS1_9scan_implILNS1_25lookback_scan_determinismE0ELb0ELb0ES3_PKS6_PS6_S6_ZZZN2at6native31launch_logcumsumexp_cuda_kernelERKNSD_10TensorBaseESH_lENKUlvE_clEvENKUlvE3_clEvEUlS6_S6_E_S6_EEDaPvRmT3_T4_T5_mT6_P12ihipStream_tbENKUlT_T0_E_clISt17integral_constantIbLb1EESY_EEDaST_SU_EUlST_E_NS1_11comp_targetILNS1_3genE0ELNS1_11target_archE4294967295ELNS1_3gpuE0ELNS1_3repE0EEENS1_30default_config_static_selectorELNS0_4arch9wavefront6targetE0EEEvT1_.num_named_barrier, 0
	.set _ZN7rocprim17ROCPRIM_400000_NS6detail17trampoline_kernelINS0_14default_configENS1_20scan_config_selectorIN3c104HalfEEEZZNS1_9scan_implILNS1_25lookback_scan_determinismE0ELb0ELb0ES3_PKS6_PS6_S6_ZZZN2at6native31launch_logcumsumexp_cuda_kernelERKNSD_10TensorBaseESH_lENKUlvE_clEvENKUlvE3_clEvEUlS6_S6_E_S6_EEDaPvRmT3_T4_T5_mT6_P12ihipStream_tbENKUlT_T0_E_clISt17integral_constantIbLb1EESY_EEDaST_SU_EUlST_E_NS1_11comp_targetILNS1_3genE0ELNS1_11target_archE4294967295ELNS1_3gpuE0ELNS1_3repE0EEENS1_30default_config_static_selectorELNS0_4arch9wavefront6targetE0EEEvT1_.private_seg_size, 0
	.set _ZN7rocprim17ROCPRIM_400000_NS6detail17trampoline_kernelINS0_14default_configENS1_20scan_config_selectorIN3c104HalfEEEZZNS1_9scan_implILNS1_25lookback_scan_determinismE0ELb0ELb0ES3_PKS6_PS6_S6_ZZZN2at6native31launch_logcumsumexp_cuda_kernelERKNSD_10TensorBaseESH_lENKUlvE_clEvENKUlvE3_clEvEUlS6_S6_E_S6_EEDaPvRmT3_T4_T5_mT6_P12ihipStream_tbENKUlT_T0_E_clISt17integral_constantIbLb1EESY_EEDaST_SU_EUlST_E_NS1_11comp_targetILNS1_3genE0ELNS1_11target_archE4294967295ELNS1_3gpuE0ELNS1_3repE0EEENS1_30default_config_static_selectorELNS0_4arch9wavefront6targetE0EEEvT1_.uses_vcc, 0
	.set _ZN7rocprim17ROCPRIM_400000_NS6detail17trampoline_kernelINS0_14default_configENS1_20scan_config_selectorIN3c104HalfEEEZZNS1_9scan_implILNS1_25lookback_scan_determinismE0ELb0ELb0ES3_PKS6_PS6_S6_ZZZN2at6native31launch_logcumsumexp_cuda_kernelERKNSD_10TensorBaseESH_lENKUlvE_clEvENKUlvE3_clEvEUlS6_S6_E_S6_EEDaPvRmT3_T4_T5_mT6_P12ihipStream_tbENKUlT_T0_E_clISt17integral_constantIbLb1EESY_EEDaST_SU_EUlST_E_NS1_11comp_targetILNS1_3genE0ELNS1_11target_archE4294967295ELNS1_3gpuE0ELNS1_3repE0EEENS1_30default_config_static_selectorELNS0_4arch9wavefront6targetE0EEEvT1_.uses_flat_scratch, 0
	.set _ZN7rocprim17ROCPRIM_400000_NS6detail17trampoline_kernelINS0_14default_configENS1_20scan_config_selectorIN3c104HalfEEEZZNS1_9scan_implILNS1_25lookback_scan_determinismE0ELb0ELb0ES3_PKS6_PS6_S6_ZZZN2at6native31launch_logcumsumexp_cuda_kernelERKNSD_10TensorBaseESH_lENKUlvE_clEvENKUlvE3_clEvEUlS6_S6_E_S6_EEDaPvRmT3_T4_T5_mT6_P12ihipStream_tbENKUlT_T0_E_clISt17integral_constantIbLb1EESY_EEDaST_SU_EUlST_E_NS1_11comp_targetILNS1_3genE0ELNS1_11target_archE4294967295ELNS1_3gpuE0ELNS1_3repE0EEENS1_30default_config_static_selectorELNS0_4arch9wavefront6targetE0EEEvT1_.has_dyn_sized_stack, 0
	.set _ZN7rocprim17ROCPRIM_400000_NS6detail17trampoline_kernelINS0_14default_configENS1_20scan_config_selectorIN3c104HalfEEEZZNS1_9scan_implILNS1_25lookback_scan_determinismE0ELb0ELb0ES3_PKS6_PS6_S6_ZZZN2at6native31launch_logcumsumexp_cuda_kernelERKNSD_10TensorBaseESH_lENKUlvE_clEvENKUlvE3_clEvEUlS6_S6_E_S6_EEDaPvRmT3_T4_T5_mT6_P12ihipStream_tbENKUlT_T0_E_clISt17integral_constantIbLb1EESY_EEDaST_SU_EUlST_E_NS1_11comp_targetILNS1_3genE0ELNS1_11target_archE4294967295ELNS1_3gpuE0ELNS1_3repE0EEENS1_30default_config_static_selectorELNS0_4arch9wavefront6targetE0EEEvT1_.has_recursion, 0
	.set _ZN7rocprim17ROCPRIM_400000_NS6detail17trampoline_kernelINS0_14default_configENS1_20scan_config_selectorIN3c104HalfEEEZZNS1_9scan_implILNS1_25lookback_scan_determinismE0ELb0ELb0ES3_PKS6_PS6_S6_ZZZN2at6native31launch_logcumsumexp_cuda_kernelERKNSD_10TensorBaseESH_lENKUlvE_clEvENKUlvE3_clEvEUlS6_S6_E_S6_EEDaPvRmT3_T4_T5_mT6_P12ihipStream_tbENKUlT_T0_E_clISt17integral_constantIbLb1EESY_EEDaST_SU_EUlST_E_NS1_11comp_targetILNS1_3genE0ELNS1_11target_archE4294967295ELNS1_3gpuE0ELNS1_3repE0EEENS1_30default_config_static_selectorELNS0_4arch9wavefront6targetE0EEEvT1_.has_indirect_call, 0
	.section	.AMDGPU.csdata,"",@progbits
; Kernel info:
; codeLenInByte = 0
; TotalNumSgprs: 0
; NumVgprs: 0
; ScratchSize: 0
; MemoryBound: 0
; FloatMode: 240
; IeeeMode: 1
; LDSByteSize: 0 bytes/workgroup (compile time only)
; SGPRBlocks: 0
; VGPRBlocks: 0
; NumSGPRsForWavesPerEU: 1
; NumVGPRsForWavesPerEU: 1
; Occupancy: 16
; WaveLimiterHint : 0
; COMPUTE_PGM_RSRC2:SCRATCH_EN: 0
; COMPUTE_PGM_RSRC2:USER_SGPR: 6
; COMPUTE_PGM_RSRC2:TRAP_HANDLER: 0
; COMPUTE_PGM_RSRC2:TGID_X_EN: 1
; COMPUTE_PGM_RSRC2:TGID_Y_EN: 0
; COMPUTE_PGM_RSRC2:TGID_Z_EN: 0
; COMPUTE_PGM_RSRC2:TIDIG_COMP_CNT: 0
	.section	.text._ZN7rocprim17ROCPRIM_400000_NS6detail17trampoline_kernelINS0_14default_configENS1_20scan_config_selectorIN3c104HalfEEEZZNS1_9scan_implILNS1_25lookback_scan_determinismE0ELb0ELb0ES3_PKS6_PS6_S6_ZZZN2at6native31launch_logcumsumexp_cuda_kernelERKNSD_10TensorBaseESH_lENKUlvE_clEvENKUlvE3_clEvEUlS6_S6_E_S6_EEDaPvRmT3_T4_T5_mT6_P12ihipStream_tbENKUlT_T0_E_clISt17integral_constantIbLb1EESY_EEDaST_SU_EUlST_E_NS1_11comp_targetILNS1_3genE5ELNS1_11target_archE942ELNS1_3gpuE9ELNS1_3repE0EEENS1_30default_config_static_selectorELNS0_4arch9wavefront6targetE0EEEvT1_,"axG",@progbits,_ZN7rocprim17ROCPRIM_400000_NS6detail17trampoline_kernelINS0_14default_configENS1_20scan_config_selectorIN3c104HalfEEEZZNS1_9scan_implILNS1_25lookback_scan_determinismE0ELb0ELb0ES3_PKS6_PS6_S6_ZZZN2at6native31launch_logcumsumexp_cuda_kernelERKNSD_10TensorBaseESH_lENKUlvE_clEvENKUlvE3_clEvEUlS6_S6_E_S6_EEDaPvRmT3_T4_T5_mT6_P12ihipStream_tbENKUlT_T0_E_clISt17integral_constantIbLb1EESY_EEDaST_SU_EUlST_E_NS1_11comp_targetILNS1_3genE5ELNS1_11target_archE942ELNS1_3gpuE9ELNS1_3repE0EEENS1_30default_config_static_selectorELNS0_4arch9wavefront6targetE0EEEvT1_,comdat
	.globl	_ZN7rocprim17ROCPRIM_400000_NS6detail17trampoline_kernelINS0_14default_configENS1_20scan_config_selectorIN3c104HalfEEEZZNS1_9scan_implILNS1_25lookback_scan_determinismE0ELb0ELb0ES3_PKS6_PS6_S6_ZZZN2at6native31launch_logcumsumexp_cuda_kernelERKNSD_10TensorBaseESH_lENKUlvE_clEvENKUlvE3_clEvEUlS6_S6_E_S6_EEDaPvRmT3_T4_T5_mT6_P12ihipStream_tbENKUlT_T0_E_clISt17integral_constantIbLb1EESY_EEDaST_SU_EUlST_E_NS1_11comp_targetILNS1_3genE5ELNS1_11target_archE942ELNS1_3gpuE9ELNS1_3repE0EEENS1_30default_config_static_selectorELNS0_4arch9wavefront6targetE0EEEvT1_ ; -- Begin function _ZN7rocprim17ROCPRIM_400000_NS6detail17trampoline_kernelINS0_14default_configENS1_20scan_config_selectorIN3c104HalfEEEZZNS1_9scan_implILNS1_25lookback_scan_determinismE0ELb0ELb0ES3_PKS6_PS6_S6_ZZZN2at6native31launch_logcumsumexp_cuda_kernelERKNSD_10TensorBaseESH_lENKUlvE_clEvENKUlvE3_clEvEUlS6_S6_E_S6_EEDaPvRmT3_T4_T5_mT6_P12ihipStream_tbENKUlT_T0_E_clISt17integral_constantIbLb1EESY_EEDaST_SU_EUlST_E_NS1_11comp_targetILNS1_3genE5ELNS1_11target_archE942ELNS1_3gpuE9ELNS1_3repE0EEENS1_30default_config_static_selectorELNS0_4arch9wavefront6targetE0EEEvT1_
	.p2align	8
	.type	_ZN7rocprim17ROCPRIM_400000_NS6detail17trampoline_kernelINS0_14default_configENS1_20scan_config_selectorIN3c104HalfEEEZZNS1_9scan_implILNS1_25lookback_scan_determinismE0ELb0ELb0ES3_PKS6_PS6_S6_ZZZN2at6native31launch_logcumsumexp_cuda_kernelERKNSD_10TensorBaseESH_lENKUlvE_clEvENKUlvE3_clEvEUlS6_S6_E_S6_EEDaPvRmT3_T4_T5_mT6_P12ihipStream_tbENKUlT_T0_E_clISt17integral_constantIbLb1EESY_EEDaST_SU_EUlST_E_NS1_11comp_targetILNS1_3genE5ELNS1_11target_archE942ELNS1_3gpuE9ELNS1_3repE0EEENS1_30default_config_static_selectorELNS0_4arch9wavefront6targetE0EEEvT1_,@function
_ZN7rocprim17ROCPRIM_400000_NS6detail17trampoline_kernelINS0_14default_configENS1_20scan_config_selectorIN3c104HalfEEEZZNS1_9scan_implILNS1_25lookback_scan_determinismE0ELb0ELb0ES3_PKS6_PS6_S6_ZZZN2at6native31launch_logcumsumexp_cuda_kernelERKNSD_10TensorBaseESH_lENKUlvE_clEvENKUlvE3_clEvEUlS6_S6_E_S6_EEDaPvRmT3_T4_T5_mT6_P12ihipStream_tbENKUlT_T0_E_clISt17integral_constantIbLb1EESY_EEDaST_SU_EUlST_E_NS1_11comp_targetILNS1_3genE5ELNS1_11target_archE942ELNS1_3gpuE9ELNS1_3repE0EEENS1_30default_config_static_selectorELNS0_4arch9wavefront6targetE0EEEvT1_: ; @_ZN7rocprim17ROCPRIM_400000_NS6detail17trampoline_kernelINS0_14default_configENS1_20scan_config_selectorIN3c104HalfEEEZZNS1_9scan_implILNS1_25lookback_scan_determinismE0ELb0ELb0ES3_PKS6_PS6_S6_ZZZN2at6native31launch_logcumsumexp_cuda_kernelERKNSD_10TensorBaseESH_lENKUlvE_clEvENKUlvE3_clEvEUlS6_S6_E_S6_EEDaPvRmT3_T4_T5_mT6_P12ihipStream_tbENKUlT_T0_E_clISt17integral_constantIbLb1EESY_EEDaST_SU_EUlST_E_NS1_11comp_targetILNS1_3genE5ELNS1_11target_archE942ELNS1_3gpuE9ELNS1_3repE0EEENS1_30default_config_static_selectorELNS0_4arch9wavefront6targetE0EEEvT1_
; %bb.0:
	.section	.rodata,"a",@progbits
	.p2align	6, 0x0
	.amdhsa_kernel _ZN7rocprim17ROCPRIM_400000_NS6detail17trampoline_kernelINS0_14default_configENS1_20scan_config_selectorIN3c104HalfEEEZZNS1_9scan_implILNS1_25lookback_scan_determinismE0ELb0ELb0ES3_PKS6_PS6_S6_ZZZN2at6native31launch_logcumsumexp_cuda_kernelERKNSD_10TensorBaseESH_lENKUlvE_clEvENKUlvE3_clEvEUlS6_S6_E_S6_EEDaPvRmT3_T4_T5_mT6_P12ihipStream_tbENKUlT_T0_E_clISt17integral_constantIbLb1EESY_EEDaST_SU_EUlST_E_NS1_11comp_targetILNS1_3genE5ELNS1_11target_archE942ELNS1_3gpuE9ELNS1_3repE0EEENS1_30default_config_static_selectorELNS0_4arch9wavefront6targetE0EEEvT1_
		.amdhsa_group_segment_fixed_size 0
		.amdhsa_private_segment_fixed_size 0
		.amdhsa_kernarg_size 96
		.amdhsa_user_sgpr_count 6
		.amdhsa_user_sgpr_private_segment_buffer 1
		.amdhsa_user_sgpr_dispatch_ptr 0
		.amdhsa_user_sgpr_queue_ptr 0
		.amdhsa_user_sgpr_kernarg_segment_ptr 1
		.amdhsa_user_sgpr_dispatch_id 0
		.amdhsa_user_sgpr_flat_scratch_init 0
		.amdhsa_user_sgpr_private_segment_size 0
		.amdhsa_wavefront_size32 1
		.amdhsa_uses_dynamic_stack 0
		.amdhsa_system_sgpr_private_segment_wavefront_offset 0
		.amdhsa_system_sgpr_workgroup_id_x 1
		.amdhsa_system_sgpr_workgroup_id_y 0
		.amdhsa_system_sgpr_workgroup_id_z 0
		.amdhsa_system_sgpr_workgroup_info 0
		.amdhsa_system_vgpr_workitem_id 0
		.amdhsa_next_free_vgpr 1
		.amdhsa_next_free_sgpr 1
		.amdhsa_reserve_vcc 0
		.amdhsa_reserve_flat_scratch 0
		.amdhsa_float_round_mode_32 0
		.amdhsa_float_round_mode_16_64 0
		.amdhsa_float_denorm_mode_32 3
		.amdhsa_float_denorm_mode_16_64 3
		.amdhsa_dx10_clamp 1
		.amdhsa_ieee_mode 1
		.amdhsa_fp16_overflow 0
		.amdhsa_workgroup_processor_mode 1
		.amdhsa_memory_ordered 1
		.amdhsa_forward_progress 1
		.amdhsa_shared_vgpr_count 0
		.amdhsa_exception_fp_ieee_invalid_op 0
		.amdhsa_exception_fp_denorm_src 0
		.amdhsa_exception_fp_ieee_div_zero 0
		.amdhsa_exception_fp_ieee_overflow 0
		.amdhsa_exception_fp_ieee_underflow 0
		.amdhsa_exception_fp_ieee_inexact 0
		.amdhsa_exception_int_div_zero 0
	.end_amdhsa_kernel
	.section	.text._ZN7rocprim17ROCPRIM_400000_NS6detail17trampoline_kernelINS0_14default_configENS1_20scan_config_selectorIN3c104HalfEEEZZNS1_9scan_implILNS1_25lookback_scan_determinismE0ELb0ELb0ES3_PKS6_PS6_S6_ZZZN2at6native31launch_logcumsumexp_cuda_kernelERKNSD_10TensorBaseESH_lENKUlvE_clEvENKUlvE3_clEvEUlS6_S6_E_S6_EEDaPvRmT3_T4_T5_mT6_P12ihipStream_tbENKUlT_T0_E_clISt17integral_constantIbLb1EESY_EEDaST_SU_EUlST_E_NS1_11comp_targetILNS1_3genE5ELNS1_11target_archE942ELNS1_3gpuE9ELNS1_3repE0EEENS1_30default_config_static_selectorELNS0_4arch9wavefront6targetE0EEEvT1_,"axG",@progbits,_ZN7rocprim17ROCPRIM_400000_NS6detail17trampoline_kernelINS0_14default_configENS1_20scan_config_selectorIN3c104HalfEEEZZNS1_9scan_implILNS1_25lookback_scan_determinismE0ELb0ELb0ES3_PKS6_PS6_S6_ZZZN2at6native31launch_logcumsumexp_cuda_kernelERKNSD_10TensorBaseESH_lENKUlvE_clEvENKUlvE3_clEvEUlS6_S6_E_S6_EEDaPvRmT3_T4_T5_mT6_P12ihipStream_tbENKUlT_T0_E_clISt17integral_constantIbLb1EESY_EEDaST_SU_EUlST_E_NS1_11comp_targetILNS1_3genE5ELNS1_11target_archE942ELNS1_3gpuE9ELNS1_3repE0EEENS1_30default_config_static_selectorELNS0_4arch9wavefront6targetE0EEEvT1_,comdat
.Lfunc_end379:
	.size	_ZN7rocprim17ROCPRIM_400000_NS6detail17trampoline_kernelINS0_14default_configENS1_20scan_config_selectorIN3c104HalfEEEZZNS1_9scan_implILNS1_25lookback_scan_determinismE0ELb0ELb0ES3_PKS6_PS6_S6_ZZZN2at6native31launch_logcumsumexp_cuda_kernelERKNSD_10TensorBaseESH_lENKUlvE_clEvENKUlvE3_clEvEUlS6_S6_E_S6_EEDaPvRmT3_T4_T5_mT6_P12ihipStream_tbENKUlT_T0_E_clISt17integral_constantIbLb1EESY_EEDaST_SU_EUlST_E_NS1_11comp_targetILNS1_3genE5ELNS1_11target_archE942ELNS1_3gpuE9ELNS1_3repE0EEENS1_30default_config_static_selectorELNS0_4arch9wavefront6targetE0EEEvT1_, .Lfunc_end379-_ZN7rocprim17ROCPRIM_400000_NS6detail17trampoline_kernelINS0_14default_configENS1_20scan_config_selectorIN3c104HalfEEEZZNS1_9scan_implILNS1_25lookback_scan_determinismE0ELb0ELb0ES3_PKS6_PS6_S6_ZZZN2at6native31launch_logcumsumexp_cuda_kernelERKNSD_10TensorBaseESH_lENKUlvE_clEvENKUlvE3_clEvEUlS6_S6_E_S6_EEDaPvRmT3_T4_T5_mT6_P12ihipStream_tbENKUlT_T0_E_clISt17integral_constantIbLb1EESY_EEDaST_SU_EUlST_E_NS1_11comp_targetILNS1_3genE5ELNS1_11target_archE942ELNS1_3gpuE9ELNS1_3repE0EEENS1_30default_config_static_selectorELNS0_4arch9wavefront6targetE0EEEvT1_
                                        ; -- End function
	.set _ZN7rocprim17ROCPRIM_400000_NS6detail17trampoline_kernelINS0_14default_configENS1_20scan_config_selectorIN3c104HalfEEEZZNS1_9scan_implILNS1_25lookback_scan_determinismE0ELb0ELb0ES3_PKS6_PS6_S6_ZZZN2at6native31launch_logcumsumexp_cuda_kernelERKNSD_10TensorBaseESH_lENKUlvE_clEvENKUlvE3_clEvEUlS6_S6_E_S6_EEDaPvRmT3_T4_T5_mT6_P12ihipStream_tbENKUlT_T0_E_clISt17integral_constantIbLb1EESY_EEDaST_SU_EUlST_E_NS1_11comp_targetILNS1_3genE5ELNS1_11target_archE942ELNS1_3gpuE9ELNS1_3repE0EEENS1_30default_config_static_selectorELNS0_4arch9wavefront6targetE0EEEvT1_.num_vgpr, 0
	.set _ZN7rocprim17ROCPRIM_400000_NS6detail17trampoline_kernelINS0_14default_configENS1_20scan_config_selectorIN3c104HalfEEEZZNS1_9scan_implILNS1_25lookback_scan_determinismE0ELb0ELb0ES3_PKS6_PS6_S6_ZZZN2at6native31launch_logcumsumexp_cuda_kernelERKNSD_10TensorBaseESH_lENKUlvE_clEvENKUlvE3_clEvEUlS6_S6_E_S6_EEDaPvRmT3_T4_T5_mT6_P12ihipStream_tbENKUlT_T0_E_clISt17integral_constantIbLb1EESY_EEDaST_SU_EUlST_E_NS1_11comp_targetILNS1_3genE5ELNS1_11target_archE942ELNS1_3gpuE9ELNS1_3repE0EEENS1_30default_config_static_selectorELNS0_4arch9wavefront6targetE0EEEvT1_.num_agpr, 0
	.set _ZN7rocprim17ROCPRIM_400000_NS6detail17trampoline_kernelINS0_14default_configENS1_20scan_config_selectorIN3c104HalfEEEZZNS1_9scan_implILNS1_25lookback_scan_determinismE0ELb0ELb0ES3_PKS6_PS6_S6_ZZZN2at6native31launch_logcumsumexp_cuda_kernelERKNSD_10TensorBaseESH_lENKUlvE_clEvENKUlvE3_clEvEUlS6_S6_E_S6_EEDaPvRmT3_T4_T5_mT6_P12ihipStream_tbENKUlT_T0_E_clISt17integral_constantIbLb1EESY_EEDaST_SU_EUlST_E_NS1_11comp_targetILNS1_3genE5ELNS1_11target_archE942ELNS1_3gpuE9ELNS1_3repE0EEENS1_30default_config_static_selectorELNS0_4arch9wavefront6targetE0EEEvT1_.numbered_sgpr, 0
	.set _ZN7rocprim17ROCPRIM_400000_NS6detail17trampoline_kernelINS0_14default_configENS1_20scan_config_selectorIN3c104HalfEEEZZNS1_9scan_implILNS1_25lookback_scan_determinismE0ELb0ELb0ES3_PKS6_PS6_S6_ZZZN2at6native31launch_logcumsumexp_cuda_kernelERKNSD_10TensorBaseESH_lENKUlvE_clEvENKUlvE3_clEvEUlS6_S6_E_S6_EEDaPvRmT3_T4_T5_mT6_P12ihipStream_tbENKUlT_T0_E_clISt17integral_constantIbLb1EESY_EEDaST_SU_EUlST_E_NS1_11comp_targetILNS1_3genE5ELNS1_11target_archE942ELNS1_3gpuE9ELNS1_3repE0EEENS1_30default_config_static_selectorELNS0_4arch9wavefront6targetE0EEEvT1_.num_named_barrier, 0
	.set _ZN7rocprim17ROCPRIM_400000_NS6detail17trampoline_kernelINS0_14default_configENS1_20scan_config_selectorIN3c104HalfEEEZZNS1_9scan_implILNS1_25lookback_scan_determinismE0ELb0ELb0ES3_PKS6_PS6_S6_ZZZN2at6native31launch_logcumsumexp_cuda_kernelERKNSD_10TensorBaseESH_lENKUlvE_clEvENKUlvE3_clEvEUlS6_S6_E_S6_EEDaPvRmT3_T4_T5_mT6_P12ihipStream_tbENKUlT_T0_E_clISt17integral_constantIbLb1EESY_EEDaST_SU_EUlST_E_NS1_11comp_targetILNS1_3genE5ELNS1_11target_archE942ELNS1_3gpuE9ELNS1_3repE0EEENS1_30default_config_static_selectorELNS0_4arch9wavefront6targetE0EEEvT1_.private_seg_size, 0
	.set _ZN7rocprim17ROCPRIM_400000_NS6detail17trampoline_kernelINS0_14default_configENS1_20scan_config_selectorIN3c104HalfEEEZZNS1_9scan_implILNS1_25lookback_scan_determinismE0ELb0ELb0ES3_PKS6_PS6_S6_ZZZN2at6native31launch_logcumsumexp_cuda_kernelERKNSD_10TensorBaseESH_lENKUlvE_clEvENKUlvE3_clEvEUlS6_S6_E_S6_EEDaPvRmT3_T4_T5_mT6_P12ihipStream_tbENKUlT_T0_E_clISt17integral_constantIbLb1EESY_EEDaST_SU_EUlST_E_NS1_11comp_targetILNS1_3genE5ELNS1_11target_archE942ELNS1_3gpuE9ELNS1_3repE0EEENS1_30default_config_static_selectorELNS0_4arch9wavefront6targetE0EEEvT1_.uses_vcc, 0
	.set _ZN7rocprim17ROCPRIM_400000_NS6detail17trampoline_kernelINS0_14default_configENS1_20scan_config_selectorIN3c104HalfEEEZZNS1_9scan_implILNS1_25lookback_scan_determinismE0ELb0ELb0ES3_PKS6_PS6_S6_ZZZN2at6native31launch_logcumsumexp_cuda_kernelERKNSD_10TensorBaseESH_lENKUlvE_clEvENKUlvE3_clEvEUlS6_S6_E_S6_EEDaPvRmT3_T4_T5_mT6_P12ihipStream_tbENKUlT_T0_E_clISt17integral_constantIbLb1EESY_EEDaST_SU_EUlST_E_NS1_11comp_targetILNS1_3genE5ELNS1_11target_archE942ELNS1_3gpuE9ELNS1_3repE0EEENS1_30default_config_static_selectorELNS0_4arch9wavefront6targetE0EEEvT1_.uses_flat_scratch, 0
	.set _ZN7rocprim17ROCPRIM_400000_NS6detail17trampoline_kernelINS0_14default_configENS1_20scan_config_selectorIN3c104HalfEEEZZNS1_9scan_implILNS1_25lookback_scan_determinismE0ELb0ELb0ES3_PKS6_PS6_S6_ZZZN2at6native31launch_logcumsumexp_cuda_kernelERKNSD_10TensorBaseESH_lENKUlvE_clEvENKUlvE3_clEvEUlS6_S6_E_S6_EEDaPvRmT3_T4_T5_mT6_P12ihipStream_tbENKUlT_T0_E_clISt17integral_constantIbLb1EESY_EEDaST_SU_EUlST_E_NS1_11comp_targetILNS1_3genE5ELNS1_11target_archE942ELNS1_3gpuE9ELNS1_3repE0EEENS1_30default_config_static_selectorELNS0_4arch9wavefront6targetE0EEEvT1_.has_dyn_sized_stack, 0
	.set _ZN7rocprim17ROCPRIM_400000_NS6detail17trampoline_kernelINS0_14default_configENS1_20scan_config_selectorIN3c104HalfEEEZZNS1_9scan_implILNS1_25lookback_scan_determinismE0ELb0ELb0ES3_PKS6_PS6_S6_ZZZN2at6native31launch_logcumsumexp_cuda_kernelERKNSD_10TensorBaseESH_lENKUlvE_clEvENKUlvE3_clEvEUlS6_S6_E_S6_EEDaPvRmT3_T4_T5_mT6_P12ihipStream_tbENKUlT_T0_E_clISt17integral_constantIbLb1EESY_EEDaST_SU_EUlST_E_NS1_11comp_targetILNS1_3genE5ELNS1_11target_archE942ELNS1_3gpuE9ELNS1_3repE0EEENS1_30default_config_static_selectorELNS0_4arch9wavefront6targetE0EEEvT1_.has_recursion, 0
	.set _ZN7rocprim17ROCPRIM_400000_NS6detail17trampoline_kernelINS0_14default_configENS1_20scan_config_selectorIN3c104HalfEEEZZNS1_9scan_implILNS1_25lookback_scan_determinismE0ELb0ELb0ES3_PKS6_PS6_S6_ZZZN2at6native31launch_logcumsumexp_cuda_kernelERKNSD_10TensorBaseESH_lENKUlvE_clEvENKUlvE3_clEvEUlS6_S6_E_S6_EEDaPvRmT3_T4_T5_mT6_P12ihipStream_tbENKUlT_T0_E_clISt17integral_constantIbLb1EESY_EEDaST_SU_EUlST_E_NS1_11comp_targetILNS1_3genE5ELNS1_11target_archE942ELNS1_3gpuE9ELNS1_3repE0EEENS1_30default_config_static_selectorELNS0_4arch9wavefront6targetE0EEEvT1_.has_indirect_call, 0
	.section	.AMDGPU.csdata,"",@progbits
; Kernel info:
; codeLenInByte = 0
; TotalNumSgprs: 0
; NumVgprs: 0
; ScratchSize: 0
; MemoryBound: 0
; FloatMode: 240
; IeeeMode: 1
; LDSByteSize: 0 bytes/workgroup (compile time only)
; SGPRBlocks: 0
; VGPRBlocks: 0
; NumSGPRsForWavesPerEU: 1
; NumVGPRsForWavesPerEU: 1
; Occupancy: 16
; WaveLimiterHint : 0
; COMPUTE_PGM_RSRC2:SCRATCH_EN: 0
; COMPUTE_PGM_RSRC2:USER_SGPR: 6
; COMPUTE_PGM_RSRC2:TRAP_HANDLER: 0
; COMPUTE_PGM_RSRC2:TGID_X_EN: 1
; COMPUTE_PGM_RSRC2:TGID_Y_EN: 0
; COMPUTE_PGM_RSRC2:TGID_Z_EN: 0
; COMPUTE_PGM_RSRC2:TIDIG_COMP_CNT: 0
	.section	.text._ZN7rocprim17ROCPRIM_400000_NS6detail17trampoline_kernelINS0_14default_configENS1_20scan_config_selectorIN3c104HalfEEEZZNS1_9scan_implILNS1_25lookback_scan_determinismE0ELb0ELb0ES3_PKS6_PS6_S6_ZZZN2at6native31launch_logcumsumexp_cuda_kernelERKNSD_10TensorBaseESH_lENKUlvE_clEvENKUlvE3_clEvEUlS6_S6_E_S6_EEDaPvRmT3_T4_T5_mT6_P12ihipStream_tbENKUlT_T0_E_clISt17integral_constantIbLb1EESY_EEDaST_SU_EUlST_E_NS1_11comp_targetILNS1_3genE4ELNS1_11target_archE910ELNS1_3gpuE8ELNS1_3repE0EEENS1_30default_config_static_selectorELNS0_4arch9wavefront6targetE0EEEvT1_,"axG",@progbits,_ZN7rocprim17ROCPRIM_400000_NS6detail17trampoline_kernelINS0_14default_configENS1_20scan_config_selectorIN3c104HalfEEEZZNS1_9scan_implILNS1_25lookback_scan_determinismE0ELb0ELb0ES3_PKS6_PS6_S6_ZZZN2at6native31launch_logcumsumexp_cuda_kernelERKNSD_10TensorBaseESH_lENKUlvE_clEvENKUlvE3_clEvEUlS6_S6_E_S6_EEDaPvRmT3_T4_T5_mT6_P12ihipStream_tbENKUlT_T0_E_clISt17integral_constantIbLb1EESY_EEDaST_SU_EUlST_E_NS1_11comp_targetILNS1_3genE4ELNS1_11target_archE910ELNS1_3gpuE8ELNS1_3repE0EEENS1_30default_config_static_selectorELNS0_4arch9wavefront6targetE0EEEvT1_,comdat
	.globl	_ZN7rocprim17ROCPRIM_400000_NS6detail17trampoline_kernelINS0_14default_configENS1_20scan_config_selectorIN3c104HalfEEEZZNS1_9scan_implILNS1_25lookback_scan_determinismE0ELb0ELb0ES3_PKS6_PS6_S6_ZZZN2at6native31launch_logcumsumexp_cuda_kernelERKNSD_10TensorBaseESH_lENKUlvE_clEvENKUlvE3_clEvEUlS6_S6_E_S6_EEDaPvRmT3_T4_T5_mT6_P12ihipStream_tbENKUlT_T0_E_clISt17integral_constantIbLb1EESY_EEDaST_SU_EUlST_E_NS1_11comp_targetILNS1_3genE4ELNS1_11target_archE910ELNS1_3gpuE8ELNS1_3repE0EEENS1_30default_config_static_selectorELNS0_4arch9wavefront6targetE0EEEvT1_ ; -- Begin function _ZN7rocprim17ROCPRIM_400000_NS6detail17trampoline_kernelINS0_14default_configENS1_20scan_config_selectorIN3c104HalfEEEZZNS1_9scan_implILNS1_25lookback_scan_determinismE0ELb0ELb0ES3_PKS6_PS6_S6_ZZZN2at6native31launch_logcumsumexp_cuda_kernelERKNSD_10TensorBaseESH_lENKUlvE_clEvENKUlvE3_clEvEUlS6_S6_E_S6_EEDaPvRmT3_T4_T5_mT6_P12ihipStream_tbENKUlT_T0_E_clISt17integral_constantIbLb1EESY_EEDaST_SU_EUlST_E_NS1_11comp_targetILNS1_3genE4ELNS1_11target_archE910ELNS1_3gpuE8ELNS1_3repE0EEENS1_30default_config_static_selectorELNS0_4arch9wavefront6targetE0EEEvT1_
	.p2align	8
	.type	_ZN7rocprim17ROCPRIM_400000_NS6detail17trampoline_kernelINS0_14default_configENS1_20scan_config_selectorIN3c104HalfEEEZZNS1_9scan_implILNS1_25lookback_scan_determinismE0ELb0ELb0ES3_PKS6_PS6_S6_ZZZN2at6native31launch_logcumsumexp_cuda_kernelERKNSD_10TensorBaseESH_lENKUlvE_clEvENKUlvE3_clEvEUlS6_S6_E_S6_EEDaPvRmT3_T4_T5_mT6_P12ihipStream_tbENKUlT_T0_E_clISt17integral_constantIbLb1EESY_EEDaST_SU_EUlST_E_NS1_11comp_targetILNS1_3genE4ELNS1_11target_archE910ELNS1_3gpuE8ELNS1_3repE0EEENS1_30default_config_static_selectorELNS0_4arch9wavefront6targetE0EEEvT1_,@function
_ZN7rocprim17ROCPRIM_400000_NS6detail17trampoline_kernelINS0_14default_configENS1_20scan_config_selectorIN3c104HalfEEEZZNS1_9scan_implILNS1_25lookback_scan_determinismE0ELb0ELb0ES3_PKS6_PS6_S6_ZZZN2at6native31launch_logcumsumexp_cuda_kernelERKNSD_10TensorBaseESH_lENKUlvE_clEvENKUlvE3_clEvEUlS6_S6_E_S6_EEDaPvRmT3_T4_T5_mT6_P12ihipStream_tbENKUlT_T0_E_clISt17integral_constantIbLb1EESY_EEDaST_SU_EUlST_E_NS1_11comp_targetILNS1_3genE4ELNS1_11target_archE910ELNS1_3gpuE8ELNS1_3repE0EEENS1_30default_config_static_selectorELNS0_4arch9wavefront6targetE0EEEvT1_: ; @_ZN7rocprim17ROCPRIM_400000_NS6detail17trampoline_kernelINS0_14default_configENS1_20scan_config_selectorIN3c104HalfEEEZZNS1_9scan_implILNS1_25lookback_scan_determinismE0ELb0ELb0ES3_PKS6_PS6_S6_ZZZN2at6native31launch_logcumsumexp_cuda_kernelERKNSD_10TensorBaseESH_lENKUlvE_clEvENKUlvE3_clEvEUlS6_S6_E_S6_EEDaPvRmT3_T4_T5_mT6_P12ihipStream_tbENKUlT_T0_E_clISt17integral_constantIbLb1EESY_EEDaST_SU_EUlST_E_NS1_11comp_targetILNS1_3genE4ELNS1_11target_archE910ELNS1_3gpuE8ELNS1_3repE0EEENS1_30default_config_static_selectorELNS0_4arch9wavefront6targetE0EEEvT1_
; %bb.0:
	.section	.rodata,"a",@progbits
	.p2align	6, 0x0
	.amdhsa_kernel _ZN7rocprim17ROCPRIM_400000_NS6detail17trampoline_kernelINS0_14default_configENS1_20scan_config_selectorIN3c104HalfEEEZZNS1_9scan_implILNS1_25lookback_scan_determinismE0ELb0ELb0ES3_PKS6_PS6_S6_ZZZN2at6native31launch_logcumsumexp_cuda_kernelERKNSD_10TensorBaseESH_lENKUlvE_clEvENKUlvE3_clEvEUlS6_S6_E_S6_EEDaPvRmT3_T4_T5_mT6_P12ihipStream_tbENKUlT_T0_E_clISt17integral_constantIbLb1EESY_EEDaST_SU_EUlST_E_NS1_11comp_targetILNS1_3genE4ELNS1_11target_archE910ELNS1_3gpuE8ELNS1_3repE0EEENS1_30default_config_static_selectorELNS0_4arch9wavefront6targetE0EEEvT1_
		.amdhsa_group_segment_fixed_size 0
		.amdhsa_private_segment_fixed_size 0
		.amdhsa_kernarg_size 96
		.amdhsa_user_sgpr_count 6
		.amdhsa_user_sgpr_private_segment_buffer 1
		.amdhsa_user_sgpr_dispatch_ptr 0
		.amdhsa_user_sgpr_queue_ptr 0
		.amdhsa_user_sgpr_kernarg_segment_ptr 1
		.amdhsa_user_sgpr_dispatch_id 0
		.amdhsa_user_sgpr_flat_scratch_init 0
		.amdhsa_user_sgpr_private_segment_size 0
		.amdhsa_wavefront_size32 1
		.amdhsa_uses_dynamic_stack 0
		.amdhsa_system_sgpr_private_segment_wavefront_offset 0
		.amdhsa_system_sgpr_workgroup_id_x 1
		.amdhsa_system_sgpr_workgroup_id_y 0
		.amdhsa_system_sgpr_workgroup_id_z 0
		.amdhsa_system_sgpr_workgroup_info 0
		.amdhsa_system_vgpr_workitem_id 0
		.amdhsa_next_free_vgpr 1
		.amdhsa_next_free_sgpr 1
		.amdhsa_reserve_vcc 0
		.amdhsa_reserve_flat_scratch 0
		.amdhsa_float_round_mode_32 0
		.amdhsa_float_round_mode_16_64 0
		.amdhsa_float_denorm_mode_32 3
		.amdhsa_float_denorm_mode_16_64 3
		.amdhsa_dx10_clamp 1
		.amdhsa_ieee_mode 1
		.amdhsa_fp16_overflow 0
		.amdhsa_workgroup_processor_mode 1
		.amdhsa_memory_ordered 1
		.amdhsa_forward_progress 1
		.amdhsa_shared_vgpr_count 0
		.amdhsa_exception_fp_ieee_invalid_op 0
		.amdhsa_exception_fp_denorm_src 0
		.amdhsa_exception_fp_ieee_div_zero 0
		.amdhsa_exception_fp_ieee_overflow 0
		.amdhsa_exception_fp_ieee_underflow 0
		.amdhsa_exception_fp_ieee_inexact 0
		.amdhsa_exception_int_div_zero 0
	.end_amdhsa_kernel
	.section	.text._ZN7rocprim17ROCPRIM_400000_NS6detail17trampoline_kernelINS0_14default_configENS1_20scan_config_selectorIN3c104HalfEEEZZNS1_9scan_implILNS1_25lookback_scan_determinismE0ELb0ELb0ES3_PKS6_PS6_S6_ZZZN2at6native31launch_logcumsumexp_cuda_kernelERKNSD_10TensorBaseESH_lENKUlvE_clEvENKUlvE3_clEvEUlS6_S6_E_S6_EEDaPvRmT3_T4_T5_mT6_P12ihipStream_tbENKUlT_T0_E_clISt17integral_constantIbLb1EESY_EEDaST_SU_EUlST_E_NS1_11comp_targetILNS1_3genE4ELNS1_11target_archE910ELNS1_3gpuE8ELNS1_3repE0EEENS1_30default_config_static_selectorELNS0_4arch9wavefront6targetE0EEEvT1_,"axG",@progbits,_ZN7rocprim17ROCPRIM_400000_NS6detail17trampoline_kernelINS0_14default_configENS1_20scan_config_selectorIN3c104HalfEEEZZNS1_9scan_implILNS1_25lookback_scan_determinismE0ELb0ELb0ES3_PKS6_PS6_S6_ZZZN2at6native31launch_logcumsumexp_cuda_kernelERKNSD_10TensorBaseESH_lENKUlvE_clEvENKUlvE3_clEvEUlS6_S6_E_S6_EEDaPvRmT3_T4_T5_mT6_P12ihipStream_tbENKUlT_T0_E_clISt17integral_constantIbLb1EESY_EEDaST_SU_EUlST_E_NS1_11comp_targetILNS1_3genE4ELNS1_11target_archE910ELNS1_3gpuE8ELNS1_3repE0EEENS1_30default_config_static_selectorELNS0_4arch9wavefront6targetE0EEEvT1_,comdat
.Lfunc_end380:
	.size	_ZN7rocprim17ROCPRIM_400000_NS6detail17trampoline_kernelINS0_14default_configENS1_20scan_config_selectorIN3c104HalfEEEZZNS1_9scan_implILNS1_25lookback_scan_determinismE0ELb0ELb0ES3_PKS6_PS6_S6_ZZZN2at6native31launch_logcumsumexp_cuda_kernelERKNSD_10TensorBaseESH_lENKUlvE_clEvENKUlvE3_clEvEUlS6_S6_E_S6_EEDaPvRmT3_T4_T5_mT6_P12ihipStream_tbENKUlT_T0_E_clISt17integral_constantIbLb1EESY_EEDaST_SU_EUlST_E_NS1_11comp_targetILNS1_3genE4ELNS1_11target_archE910ELNS1_3gpuE8ELNS1_3repE0EEENS1_30default_config_static_selectorELNS0_4arch9wavefront6targetE0EEEvT1_, .Lfunc_end380-_ZN7rocprim17ROCPRIM_400000_NS6detail17trampoline_kernelINS0_14default_configENS1_20scan_config_selectorIN3c104HalfEEEZZNS1_9scan_implILNS1_25lookback_scan_determinismE0ELb0ELb0ES3_PKS6_PS6_S6_ZZZN2at6native31launch_logcumsumexp_cuda_kernelERKNSD_10TensorBaseESH_lENKUlvE_clEvENKUlvE3_clEvEUlS6_S6_E_S6_EEDaPvRmT3_T4_T5_mT6_P12ihipStream_tbENKUlT_T0_E_clISt17integral_constantIbLb1EESY_EEDaST_SU_EUlST_E_NS1_11comp_targetILNS1_3genE4ELNS1_11target_archE910ELNS1_3gpuE8ELNS1_3repE0EEENS1_30default_config_static_selectorELNS0_4arch9wavefront6targetE0EEEvT1_
                                        ; -- End function
	.set _ZN7rocprim17ROCPRIM_400000_NS6detail17trampoline_kernelINS0_14default_configENS1_20scan_config_selectorIN3c104HalfEEEZZNS1_9scan_implILNS1_25lookback_scan_determinismE0ELb0ELb0ES3_PKS6_PS6_S6_ZZZN2at6native31launch_logcumsumexp_cuda_kernelERKNSD_10TensorBaseESH_lENKUlvE_clEvENKUlvE3_clEvEUlS6_S6_E_S6_EEDaPvRmT3_T4_T5_mT6_P12ihipStream_tbENKUlT_T0_E_clISt17integral_constantIbLb1EESY_EEDaST_SU_EUlST_E_NS1_11comp_targetILNS1_3genE4ELNS1_11target_archE910ELNS1_3gpuE8ELNS1_3repE0EEENS1_30default_config_static_selectorELNS0_4arch9wavefront6targetE0EEEvT1_.num_vgpr, 0
	.set _ZN7rocprim17ROCPRIM_400000_NS6detail17trampoline_kernelINS0_14default_configENS1_20scan_config_selectorIN3c104HalfEEEZZNS1_9scan_implILNS1_25lookback_scan_determinismE0ELb0ELb0ES3_PKS6_PS6_S6_ZZZN2at6native31launch_logcumsumexp_cuda_kernelERKNSD_10TensorBaseESH_lENKUlvE_clEvENKUlvE3_clEvEUlS6_S6_E_S6_EEDaPvRmT3_T4_T5_mT6_P12ihipStream_tbENKUlT_T0_E_clISt17integral_constantIbLb1EESY_EEDaST_SU_EUlST_E_NS1_11comp_targetILNS1_3genE4ELNS1_11target_archE910ELNS1_3gpuE8ELNS1_3repE0EEENS1_30default_config_static_selectorELNS0_4arch9wavefront6targetE0EEEvT1_.num_agpr, 0
	.set _ZN7rocprim17ROCPRIM_400000_NS6detail17trampoline_kernelINS0_14default_configENS1_20scan_config_selectorIN3c104HalfEEEZZNS1_9scan_implILNS1_25lookback_scan_determinismE0ELb0ELb0ES3_PKS6_PS6_S6_ZZZN2at6native31launch_logcumsumexp_cuda_kernelERKNSD_10TensorBaseESH_lENKUlvE_clEvENKUlvE3_clEvEUlS6_S6_E_S6_EEDaPvRmT3_T4_T5_mT6_P12ihipStream_tbENKUlT_T0_E_clISt17integral_constantIbLb1EESY_EEDaST_SU_EUlST_E_NS1_11comp_targetILNS1_3genE4ELNS1_11target_archE910ELNS1_3gpuE8ELNS1_3repE0EEENS1_30default_config_static_selectorELNS0_4arch9wavefront6targetE0EEEvT1_.numbered_sgpr, 0
	.set _ZN7rocprim17ROCPRIM_400000_NS6detail17trampoline_kernelINS0_14default_configENS1_20scan_config_selectorIN3c104HalfEEEZZNS1_9scan_implILNS1_25lookback_scan_determinismE0ELb0ELb0ES3_PKS6_PS6_S6_ZZZN2at6native31launch_logcumsumexp_cuda_kernelERKNSD_10TensorBaseESH_lENKUlvE_clEvENKUlvE3_clEvEUlS6_S6_E_S6_EEDaPvRmT3_T4_T5_mT6_P12ihipStream_tbENKUlT_T0_E_clISt17integral_constantIbLb1EESY_EEDaST_SU_EUlST_E_NS1_11comp_targetILNS1_3genE4ELNS1_11target_archE910ELNS1_3gpuE8ELNS1_3repE0EEENS1_30default_config_static_selectorELNS0_4arch9wavefront6targetE0EEEvT1_.num_named_barrier, 0
	.set _ZN7rocprim17ROCPRIM_400000_NS6detail17trampoline_kernelINS0_14default_configENS1_20scan_config_selectorIN3c104HalfEEEZZNS1_9scan_implILNS1_25lookback_scan_determinismE0ELb0ELb0ES3_PKS6_PS6_S6_ZZZN2at6native31launch_logcumsumexp_cuda_kernelERKNSD_10TensorBaseESH_lENKUlvE_clEvENKUlvE3_clEvEUlS6_S6_E_S6_EEDaPvRmT3_T4_T5_mT6_P12ihipStream_tbENKUlT_T0_E_clISt17integral_constantIbLb1EESY_EEDaST_SU_EUlST_E_NS1_11comp_targetILNS1_3genE4ELNS1_11target_archE910ELNS1_3gpuE8ELNS1_3repE0EEENS1_30default_config_static_selectorELNS0_4arch9wavefront6targetE0EEEvT1_.private_seg_size, 0
	.set _ZN7rocprim17ROCPRIM_400000_NS6detail17trampoline_kernelINS0_14default_configENS1_20scan_config_selectorIN3c104HalfEEEZZNS1_9scan_implILNS1_25lookback_scan_determinismE0ELb0ELb0ES3_PKS6_PS6_S6_ZZZN2at6native31launch_logcumsumexp_cuda_kernelERKNSD_10TensorBaseESH_lENKUlvE_clEvENKUlvE3_clEvEUlS6_S6_E_S6_EEDaPvRmT3_T4_T5_mT6_P12ihipStream_tbENKUlT_T0_E_clISt17integral_constantIbLb1EESY_EEDaST_SU_EUlST_E_NS1_11comp_targetILNS1_3genE4ELNS1_11target_archE910ELNS1_3gpuE8ELNS1_3repE0EEENS1_30default_config_static_selectorELNS0_4arch9wavefront6targetE0EEEvT1_.uses_vcc, 0
	.set _ZN7rocprim17ROCPRIM_400000_NS6detail17trampoline_kernelINS0_14default_configENS1_20scan_config_selectorIN3c104HalfEEEZZNS1_9scan_implILNS1_25lookback_scan_determinismE0ELb0ELb0ES3_PKS6_PS6_S6_ZZZN2at6native31launch_logcumsumexp_cuda_kernelERKNSD_10TensorBaseESH_lENKUlvE_clEvENKUlvE3_clEvEUlS6_S6_E_S6_EEDaPvRmT3_T4_T5_mT6_P12ihipStream_tbENKUlT_T0_E_clISt17integral_constantIbLb1EESY_EEDaST_SU_EUlST_E_NS1_11comp_targetILNS1_3genE4ELNS1_11target_archE910ELNS1_3gpuE8ELNS1_3repE0EEENS1_30default_config_static_selectorELNS0_4arch9wavefront6targetE0EEEvT1_.uses_flat_scratch, 0
	.set _ZN7rocprim17ROCPRIM_400000_NS6detail17trampoline_kernelINS0_14default_configENS1_20scan_config_selectorIN3c104HalfEEEZZNS1_9scan_implILNS1_25lookback_scan_determinismE0ELb0ELb0ES3_PKS6_PS6_S6_ZZZN2at6native31launch_logcumsumexp_cuda_kernelERKNSD_10TensorBaseESH_lENKUlvE_clEvENKUlvE3_clEvEUlS6_S6_E_S6_EEDaPvRmT3_T4_T5_mT6_P12ihipStream_tbENKUlT_T0_E_clISt17integral_constantIbLb1EESY_EEDaST_SU_EUlST_E_NS1_11comp_targetILNS1_3genE4ELNS1_11target_archE910ELNS1_3gpuE8ELNS1_3repE0EEENS1_30default_config_static_selectorELNS0_4arch9wavefront6targetE0EEEvT1_.has_dyn_sized_stack, 0
	.set _ZN7rocprim17ROCPRIM_400000_NS6detail17trampoline_kernelINS0_14default_configENS1_20scan_config_selectorIN3c104HalfEEEZZNS1_9scan_implILNS1_25lookback_scan_determinismE0ELb0ELb0ES3_PKS6_PS6_S6_ZZZN2at6native31launch_logcumsumexp_cuda_kernelERKNSD_10TensorBaseESH_lENKUlvE_clEvENKUlvE3_clEvEUlS6_S6_E_S6_EEDaPvRmT3_T4_T5_mT6_P12ihipStream_tbENKUlT_T0_E_clISt17integral_constantIbLb1EESY_EEDaST_SU_EUlST_E_NS1_11comp_targetILNS1_3genE4ELNS1_11target_archE910ELNS1_3gpuE8ELNS1_3repE0EEENS1_30default_config_static_selectorELNS0_4arch9wavefront6targetE0EEEvT1_.has_recursion, 0
	.set _ZN7rocprim17ROCPRIM_400000_NS6detail17trampoline_kernelINS0_14default_configENS1_20scan_config_selectorIN3c104HalfEEEZZNS1_9scan_implILNS1_25lookback_scan_determinismE0ELb0ELb0ES3_PKS6_PS6_S6_ZZZN2at6native31launch_logcumsumexp_cuda_kernelERKNSD_10TensorBaseESH_lENKUlvE_clEvENKUlvE3_clEvEUlS6_S6_E_S6_EEDaPvRmT3_T4_T5_mT6_P12ihipStream_tbENKUlT_T0_E_clISt17integral_constantIbLb1EESY_EEDaST_SU_EUlST_E_NS1_11comp_targetILNS1_3genE4ELNS1_11target_archE910ELNS1_3gpuE8ELNS1_3repE0EEENS1_30default_config_static_selectorELNS0_4arch9wavefront6targetE0EEEvT1_.has_indirect_call, 0
	.section	.AMDGPU.csdata,"",@progbits
; Kernel info:
; codeLenInByte = 0
; TotalNumSgprs: 0
; NumVgprs: 0
; ScratchSize: 0
; MemoryBound: 0
; FloatMode: 240
; IeeeMode: 1
; LDSByteSize: 0 bytes/workgroup (compile time only)
; SGPRBlocks: 0
; VGPRBlocks: 0
; NumSGPRsForWavesPerEU: 1
; NumVGPRsForWavesPerEU: 1
; Occupancy: 16
; WaveLimiterHint : 0
; COMPUTE_PGM_RSRC2:SCRATCH_EN: 0
; COMPUTE_PGM_RSRC2:USER_SGPR: 6
; COMPUTE_PGM_RSRC2:TRAP_HANDLER: 0
; COMPUTE_PGM_RSRC2:TGID_X_EN: 1
; COMPUTE_PGM_RSRC2:TGID_Y_EN: 0
; COMPUTE_PGM_RSRC2:TGID_Z_EN: 0
; COMPUTE_PGM_RSRC2:TIDIG_COMP_CNT: 0
	.section	.text._ZN7rocprim17ROCPRIM_400000_NS6detail17trampoline_kernelINS0_14default_configENS1_20scan_config_selectorIN3c104HalfEEEZZNS1_9scan_implILNS1_25lookback_scan_determinismE0ELb0ELb0ES3_PKS6_PS6_S6_ZZZN2at6native31launch_logcumsumexp_cuda_kernelERKNSD_10TensorBaseESH_lENKUlvE_clEvENKUlvE3_clEvEUlS6_S6_E_S6_EEDaPvRmT3_T4_T5_mT6_P12ihipStream_tbENKUlT_T0_E_clISt17integral_constantIbLb1EESY_EEDaST_SU_EUlST_E_NS1_11comp_targetILNS1_3genE3ELNS1_11target_archE908ELNS1_3gpuE7ELNS1_3repE0EEENS1_30default_config_static_selectorELNS0_4arch9wavefront6targetE0EEEvT1_,"axG",@progbits,_ZN7rocprim17ROCPRIM_400000_NS6detail17trampoline_kernelINS0_14default_configENS1_20scan_config_selectorIN3c104HalfEEEZZNS1_9scan_implILNS1_25lookback_scan_determinismE0ELb0ELb0ES3_PKS6_PS6_S6_ZZZN2at6native31launch_logcumsumexp_cuda_kernelERKNSD_10TensorBaseESH_lENKUlvE_clEvENKUlvE3_clEvEUlS6_S6_E_S6_EEDaPvRmT3_T4_T5_mT6_P12ihipStream_tbENKUlT_T0_E_clISt17integral_constantIbLb1EESY_EEDaST_SU_EUlST_E_NS1_11comp_targetILNS1_3genE3ELNS1_11target_archE908ELNS1_3gpuE7ELNS1_3repE0EEENS1_30default_config_static_selectorELNS0_4arch9wavefront6targetE0EEEvT1_,comdat
	.globl	_ZN7rocprim17ROCPRIM_400000_NS6detail17trampoline_kernelINS0_14default_configENS1_20scan_config_selectorIN3c104HalfEEEZZNS1_9scan_implILNS1_25lookback_scan_determinismE0ELb0ELb0ES3_PKS6_PS6_S6_ZZZN2at6native31launch_logcumsumexp_cuda_kernelERKNSD_10TensorBaseESH_lENKUlvE_clEvENKUlvE3_clEvEUlS6_S6_E_S6_EEDaPvRmT3_T4_T5_mT6_P12ihipStream_tbENKUlT_T0_E_clISt17integral_constantIbLb1EESY_EEDaST_SU_EUlST_E_NS1_11comp_targetILNS1_3genE3ELNS1_11target_archE908ELNS1_3gpuE7ELNS1_3repE0EEENS1_30default_config_static_selectorELNS0_4arch9wavefront6targetE0EEEvT1_ ; -- Begin function _ZN7rocprim17ROCPRIM_400000_NS6detail17trampoline_kernelINS0_14default_configENS1_20scan_config_selectorIN3c104HalfEEEZZNS1_9scan_implILNS1_25lookback_scan_determinismE0ELb0ELb0ES3_PKS6_PS6_S6_ZZZN2at6native31launch_logcumsumexp_cuda_kernelERKNSD_10TensorBaseESH_lENKUlvE_clEvENKUlvE3_clEvEUlS6_S6_E_S6_EEDaPvRmT3_T4_T5_mT6_P12ihipStream_tbENKUlT_T0_E_clISt17integral_constantIbLb1EESY_EEDaST_SU_EUlST_E_NS1_11comp_targetILNS1_3genE3ELNS1_11target_archE908ELNS1_3gpuE7ELNS1_3repE0EEENS1_30default_config_static_selectorELNS0_4arch9wavefront6targetE0EEEvT1_
	.p2align	8
	.type	_ZN7rocprim17ROCPRIM_400000_NS6detail17trampoline_kernelINS0_14default_configENS1_20scan_config_selectorIN3c104HalfEEEZZNS1_9scan_implILNS1_25lookback_scan_determinismE0ELb0ELb0ES3_PKS6_PS6_S6_ZZZN2at6native31launch_logcumsumexp_cuda_kernelERKNSD_10TensorBaseESH_lENKUlvE_clEvENKUlvE3_clEvEUlS6_S6_E_S6_EEDaPvRmT3_T4_T5_mT6_P12ihipStream_tbENKUlT_T0_E_clISt17integral_constantIbLb1EESY_EEDaST_SU_EUlST_E_NS1_11comp_targetILNS1_3genE3ELNS1_11target_archE908ELNS1_3gpuE7ELNS1_3repE0EEENS1_30default_config_static_selectorELNS0_4arch9wavefront6targetE0EEEvT1_,@function
_ZN7rocprim17ROCPRIM_400000_NS6detail17trampoline_kernelINS0_14default_configENS1_20scan_config_selectorIN3c104HalfEEEZZNS1_9scan_implILNS1_25lookback_scan_determinismE0ELb0ELb0ES3_PKS6_PS6_S6_ZZZN2at6native31launch_logcumsumexp_cuda_kernelERKNSD_10TensorBaseESH_lENKUlvE_clEvENKUlvE3_clEvEUlS6_S6_E_S6_EEDaPvRmT3_T4_T5_mT6_P12ihipStream_tbENKUlT_T0_E_clISt17integral_constantIbLb1EESY_EEDaST_SU_EUlST_E_NS1_11comp_targetILNS1_3genE3ELNS1_11target_archE908ELNS1_3gpuE7ELNS1_3repE0EEENS1_30default_config_static_selectorELNS0_4arch9wavefront6targetE0EEEvT1_: ; @_ZN7rocprim17ROCPRIM_400000_NS6detail17trampoline_kernelINS0_14default_configENS1_20scan_config_selectorIN3c104HalfEEEZZNS1_9scan_implILNS1_25lookback_scan_determinismE0ELb0ELb0ES3_PKS6_PS6_S6_ZZZN2at6native31launch_logcumsumexp_cuda_kernelERKNSD_10TensorBaseESH_lENKUlvE_clEvENKUlvE3_clEvEUlS6_S6_E_S6_EEDaPvRmT3_T4_T5_mT6_P12ihipStream_tbENKUlT_T0_E_clISt17integral_constantIbLb1EESY_EEDaST_SU_EUlST_E_NS1_11comp_targetILNS1_3genE3ELNS1_11target_archE908ELNS1_3gpuE7ELNS1_3repE0EEENS1_30default_config_static_selectorELNS0_4arch9wavefront6targetE0EEEvT1_
; %bb.0:
	.section	.rodata,"a",@progbits
	.p2align	6, 0x0
	.amdhsa_kernel _ZN7rocprim17ROCPRIM_400000_NS6detail17trampoline_kernelINS0_14default_configENS1_20scan_config_selectorIN3c104HalfEEEZZNS1_9scan_implILNS1_25lookback_scan_determinismE0ELb0ELb0ES3_PKS6_PS6_S6_ZZZN2at6native31launch_logcumsumexp_cuda_kernelERKNSD_10TensorBaseESH_lENKUlvE_clEvENKUlvE3_clEvEUlS6_S6_E_S6_EEDaPvRmT3_T4_T5_mT6_P12ihipStream_tbENKUlT_T0_E_clISt17integral_constantIbLb1EESY_EEDaST_SU_EUlST_E_NS1_11comp_targetILNS1_3genE3ELNS1_11target_archE908ELNS1_3gpuE7ELNS1_3repE0EEENS1_30default_config_static_selectorELNS0_4arch9wavefront6targetE0EEEvT1_
		.amdhsa_group_segment_fixed_size 0
		.amdhsa_private_segment_fixed_size 0
		.amdhsa_kernarg_size 96
		.amdhsa_user_sgpr_count 6
		.amdhsa_user_sgpr_private_segment_buffer 1
		.amdhsa_user_sgpr_dispatch_ptr 0
		.amdhsa_user_sgpr_queue_ptr 0
		.amdhsa_user_sgpr_kernarg_segment_ptr 1
		.amdhsa_user_sgpr_dispatch_id 0
		.amdhsa_user_sgpr_flat_scratch_init 0
		.amdhsa_user_sgpr_private_segment_size 0
		.amdhsa_wavefront_size32 1
		.amdhsa_uses_dynamic_stack 0
		.amdhsa_system_sgpr_private_segment_wavefront_offset 0
		.amdhsa_system_sgpr_workgroup_id_x 1
		.amdhsa_system_sgpr_workgroup_id_y 0
		.amdhsa_system_sgpr_workgroup_id_z 0
		.amdhsa_system_sgpr_workgroup_info 0
		.amdhsa_system_vgpr_workitem_id 0
		.amdhsa_next_free_vgpr 1
		.amdhsa_next_free_sgpr 1
		.amdhsa_reserve_vcc 0
		.amdhsa_reserve_flat_scratch 0
		.amdhsa_float_round_mode_32 0
		.amdhsa_float_round_mode_16_64 0
		.amdhsa_float_denorm_mode_32 3
		.amdhsa_float_denorm_mode_16_64 3
		.amdhsa_dx10_clamp 1
		.amdhsa_ieee_mode 1
		.amdhsa_fp16_overflow 0
		.amdhsa_workgroup_processor_mode 1
		.amdhsa_memory_ordered 1
		.amdhsa_forward_progress 1
		.amdhsa_shared_vgpr_count 0
		.amdhsa_exception_fp_ieee_invalid_op 0
		.amdhsa_exception_fp_denorm_src 0
		.amdhsa_exception_fp_ieee_div_zero 0
		.amdhsa_exception_fp_ieee_overflow 0
		.amdhsa_exception_fp_ieee_underflow 0
		.amdhsa_exception_fp_ieee_inexact 0
		.amdhsa_exception_int_div_zero 0
	.end_amdhsa_kernel
	.section	.text._ZN7rocprim17ROCPRIM_400000_NS6detail17trampoline_kernelINS0_14default_configENS1_20scan_config_selectorIN3c104HalfEEEZZNS1_9scan_implILNS1_25lookback_scan_determinismE0ELb0ELb0ES3_PKS6_PS6_S6_ZZZN2at6native31launch_logcumsumexp_cuda_kernelERKNSD_10TensorBaseESH_lENKUlvE_clEvENKUlvE3_clEvEUlS6_S6_E_S6_EEDaPvRmT3_T4_T5_mT6_P12ihipStream_tbENKUlT_T0_E_clISt17integral_constantIbLb1EESY_EEDaST_SU_EUlST_E_NS1_11comp_targetILNS1_3genE3ELNS1_11target_archE908ELNS1_3gpuE7ELNS1_3repE0EEENS1_30default_config_static_selectorELNS0_4arch9wavefront6targetE0EEEvT1_,"axG",@progbits,_ZN7rocprim17ROCPRIM_400000_NS6detail17trampoline_kernelINS0_14default_configENS1_20scan_config_selectorIN3c104HalfEEEZZNS1_9scan_implILNS1_25lookback_scan_determinismE0ELb0ELb0ES3_PKS6_PS6_S6_ZZZN2at6native31launch_logcumsumexp_cuda_kernelERKNSD_10TensorBaseESH_lENKUlvE_clEvENKUlvE3_clEvEUlS6_S6_E_S6_EEDaPvRmT3_T4_T5_mT6_P12ihipStream_tbENKUlT_T0_E_clISt17integral_constantIbLb1EESY_EEDaST_SU_EUlST_E_NS1_11comp_targetILNS1_3genE3ELNS1_11target_archE908ELNS1_3gpuE7ELNS1_3repE0EEENS1_30default_config_static_selectorELNS0_4arch9wavefront6targetE0EEEvT1_,comdat
.Lfunc_end381:
	.size	_ZN7rocprim17ROCPRIM_400000_NS6detail17trampoline_kernelINS0_14default_configENS1_20scan_config_selectorIN3c104HalfEEEZZNS1_9scan_implILNS1_25lookback_scan_determinismE0ELb0ELb0ES3_PKS6_PS6_S6_ZZZN2at6native31launch_logcumsumexp_cuda_kernelERKNSD_10TensorBaseESH_lENKUlvE_clEvENKUlvE3_clEvEUlS6_S6_E_S6_EEDaPvRmT3_T4_T5_mT6_P12ihipStream_tbENKUlT_T0_E_clISt17integral_constantIbLb1EESY_EEDaST_SU_EUlST_E_NS1_11comp_targetILNS1_3genE3ELNS1_11target_archE908ELNS1_3gpuE7ELNS1_3repE0EEENS1_30default_config_static_selectorELNS0_4arch9wavefront6targetE0EEEvT1_, .Lfunc_end381-_ZN7rocprim17ROCPRIM_400000_NS6detail17trampoline_kernelINS0_14default_configENS1_20scan_config_selectorIN3c104HalfEEEZZNS1_9scan_implILNS1_25lookback_scan_determinismE0ELb0ELb0ES3_PKS6_PS6_S6_ZZZN2at6native31launch_logcumsumexp_cuda_kernelERKNSD_10TensorBaseESH_lENKUlvE_clEvENKUlvE3_clEvEUlS6_S6_E_S6_EEDaPvRmT3_T4_T5_mT6_P12ihipStream_tbENKUlT_T0_E_clISt17integral_constantIbLb1EESY_EEDaST_SU_EUlST_E_NS1_11comp_targetILNS1_3genE3ELNS1_11target_archE908ELNS1_3gpuE7ELNS1_3repE0EEENS1_30default_config_static_selectorELNS0_4arch9wavefront6targetE0EEEvT1_
                                        ; -- End function
	.set _ZN7rocprim17ROCPRIM_400000_NS6detail17trampoline_kernelINS0_14default_configENS1_20scan_config_selectorIN3c104HalfEEEZZNS1_9scan_implILNS1_25lookback_scan_determinismE0ELb0ELb0ES3_PKS6_PS6_S6_ZZZN2at6native31launch_logcumsumexp_cuda_kernelERKNSD_10TensorBaseESH_lENKUlvE_clEvENKUlvE3_clEvEUlS6_S6_E_S6_EEDaPvRmT3_T4_T5_mT6_P12ihipStream_tbENKUlT_T0_E_clISt17integral_constantIbLb1EESY_EEDaST_SU_EUlST_E_NS1_11comp_targetILNS1_3genE3ELNS1_11target_archE908ELNS1_3gpuE7ELNS1_3repE0EEENS1_30default_config_static_selectorELNS0_4arch9wavefront6targetE0EEEvT1_.num_vgpr, 0
	.set _ZN7rocprim17ROCPRIM_400000_NS6detail17trampoline_kernelINS0_14default_configENS1_20scan_config_selectorIN3c104HalfEEEZZNS1_9scan_implILNS1_25lookback_scan_determinismE0ELb0ELb0ES3_PKS6_PS6_S6_ZZZN2at6native31launch_logcumsumexp_cuda_kernelERKNSD_10TensorBaseESH_lENKUlvE_clEvENKUlvE3_clEvEUlS6_S6_E_S6_EEDaPvRmT3_T4_T5_mT6_P12ihipStream_tbENKUlT_T0_E_clISt17integral_constantIbLb1EESY_EEDaST_SU_EUlST_E_NS1_11comp_targetILNS1_3genE3ELNS1_11target_archE908ELNS1_3gpuE7ELNS1_3repE0EEENS1_30default_config_static_selectorELNS0_4arch9wavefront6targetE0EEEvT1_.num_agpr, 0
	.set _ZN7rocprim17ROCPRIM_400000_NS6detail17trampoline_kernelINS0_14default_configENS1_20scan_config_selectorIN3c104HalfEEEZZNS1_9scan_implILNS1_25lookback_scan_determinismE0ELb0ELb0ES3_PKS6_PS6_S6_ZZZN2at6native31launch_logcumsumexp_cuda_kernelERKNSD_10TensorBaseESH_lENKUlvE_clEvENKUlvE3_clEvEUlS6_S6_E_S6_EEDaPvRmT3_T4_T5_mT6_P12ihipStream_tbENKUlT_T0_E_clISt17integral_constantIbLb1EESY_EEDaST_SU_EUlST_E_NS1_11comp_targetILNS1_3genE3ELNS1_11target_archE908ELNS1_3gpuE7ELNS1_3repE0EEENS1_30default_config_static_selectorELNS0_4arch9wavefront6targetE0EEEvT1_.numbered_sgpr, 0
	.set _ZN7rocprim17ROCPRIM_400000_NS6detail17trampoline_kernelINS0_14default_configENS1_20scan_config_selectorIN3c104HalfEEEZZNS1_9scan_implILNS1_25lookback_scan_determinismE0ELb0ELb0ES3_PKS6_PS6_S6_ZZZN2at6native31launch_logcumsumexp_cuda_kernelERKNSD_10TensorBaseESH_lENKUlvE_clEvENKUlvE3_clEvEUlS6_S6_E_S6_EEDaPvRmT3_T4_T5_mT6_P12ihipStream_tbENKUlT_T0_E_clISt17integral_constantIbLb1EESY_EEDaST_SU_EUlST_E_NS1_11comp_targetILNS1_3genE3ELNS1_11target_archE908ELNS1_3gpuE7ELNS1_3repE0EEENS1_30default_config_static_selectorELNS0_4arch9wavefront6targetE0EEEvT1_.num_named_barrier, 0
	.set _ZN7rocprim17ROCPRIM_400000_NS6detail17trampoline_kernelINS0_14default_configENS1_20scan_config_selectorIN3c104HalfEEEZZNS1_9scan_implILNS1_25lookback_scan_determinismE0ELb0ELb0ES3_PKS6_PS6_S6_ZZZN2at6native31launch_logcumsumexp_cuda_kernelERKNSD_10TensorBaseESH_lENKUlvE_clEvENKUlvE3_clEvEUlS6_S6_E_S6_EEDaPvRmT3_T4_T5_mT6_P12ihipStream_tbENKUlT_T0_E_clISt17integral_constantIbLb1EESY_EEDaST_SU_EUlST_E_NS1_11comp_targetILNS1_3genE3ELNS1_11target_archE908ELNS1_3gpuE7ELNS1_3repE0EEENS1_30default_config_static_selectorELNS0_4arch9wavefront6targetE0EEEvT1_.private_seg_size, 0
	.set _ZN7rocprim17ROCPRIM_400000_NS6detail17trampoline_kernelINS0_14default_configENS1_20scan_config_selectorIN3c104HalfEEEZZNS1_9scan_implILNS1_25lookback_scan_determinismE0ELb0ELb0ES3_PKS6_PS6_S6_ZZZN2at6native31launch_logcumsumexp_cuda_kernelERKNSD_10TensorBaseESH_lENKUlvE_clEvENKUlvE3_clEvEUlS6_S6_E_S6_EEDaPvRmT3_T4_T5_mT6_P12ihipStream_tbENKUlT_T0_E_clISt17integral_constantIbLb1EESY_EEDaST_SU_EUlST_E_NS1_11comp_targetILNS1_3genE3ELNS1_11target_archE908ELNS1_3gpuE7ELNS1_3repE0EEENS1_30default_config_static_selectorELNS0_4arch9wavefront6targetE0EEEvT1_.uses_vcc, 0
	.set _ZN7rocprim17ROCPRIM_400000_NS6detail17trampoline_kernelINS0_14default_configENS1_20scan_config_selectorIN3c104HalfEEEZZNS1_9scan_implILNS1_25lookback_scan_determinismE0ELb0ELb0ES3_PKS6_PS6_S6_ZZZN2at6native31launch_logcumsumexp_cuda_kernelERKNSD_10TensorBaseESH_lENKUlvE_clEvENKUlvE3_clEvEUlS6_S6_E_S6_EEDaPvRmT3_T4_T5_mT6_P12ihipStream_tbENKUlT_T0_E_clISt17integral_constantIbLb1EESY_EEDaST_SU_EUlST_E_NS1_11comp_targetILNS1_3genE3ELNS1_11target_archE908ELNS1_3gpuE7ELNS1_3repE0EEENS1_30default_config_static_selectorELNS0_4arch9wavefront6targetE0EEEvT1_.uses_flat_scratch, 0
	.set _ZN7rocprim17ROCPRIM_400000_NS6detail17trampoline_kernelINS0_14default_configENS1_20scan_config_selectorIN3c104HalfEEEZZNS1_9scan_implILNS1_25lookback_scan_determinismE0ELb0ELb0ES3_PKS6_PS6_S6_ZZZN2at6native31launch_logcumsumexp_cuda_kernelERKNSD_10TensorBaseESH_lENKUlvE_clEvENKUlvE3_clEvEUlS6_S6_E_S6_EEDaPvRmT3_T4_T5_mT6_P12ihipStream_tbENKUlT_T0_E_clISt17integral_constantIbLb1EESY_EEDaST_SU_EUlST_E_NS1_11comp_targetILNS1_3genE3ELNS1_11target_archE908ELNS1_3gpuE7ELNS1_3repE0EEENS1_30default_config_static_selectorELNS0_4arch9wavefront6targetE0EEEvT1_.has_dyn_sized_stack, 0
	.set _ZN7rocprim17ROCPRIM_400000_NS6detail17trampoline_kernelINS0_14default_configENS1_20scan_config_selectorIN3c104HalfEEEZZNS1_9scan_implILNS1_25lookback_scan_determinismE0ELb0ELb0ES3_PKS6_PS6_S6_ZZZN2at6native31launch_logcumsumexp_cuda_kernelERKNSD_10TensorBaseESH_lENKUlvE_clEvENKUlvE3_clEvEUlS6_S6_E_S6_EEDaPvRmT3_T4_T5_mT6_P12ihipStream_tbENKUlT_T0_E_clISt17integral_constantIbLb1EESY_EEDaST_SU_EUlST_E_NS1_11comp_targetILNS1_3genE3ELNS1_11target_archE908ELNS1_3gpuE7ELNS1_3repE0EEENS1_30default_config_static_selectorELNS0_4arch9wavefront6targetE0EEEvT1_.has_recursion, 0
	.set _ZN7rocprim17ROCPRIM_400000_NS6detail17trampoline_kernelINS0_14default_configENS1_20scan_config_selectorIN3c104HalfEEEZZNS1_9scan_implILNS1_25lookback_scan_determinismE0ELb0ELb0ES3_PKS6_PS6_S6_ZZZN2at6native31launch_logcumsumexp_cuda_kernelERKNSD_10TensorBaseESH_lENKUlvE_clEvENKUlvE3_clEvEUlS6_S6_E_S6_EEDaPvRmT3_T4_T5_mT6_P12ihipStream_tbENKUlT_T0_E_clISt17integral_constantIbLb1EESY_EEDaST_SU_EUlST_E_NS1_11comp_targetILNS1_3genE3ELNS1_11target_archE908ELNS1_3gpuE7ELNS1_3repE0EEENS1_30default_config_static_selectorELNS0_4arch9wavefront6targetE0EEEvT1_.has_indirect_call, 0
	.section	.AMDGPU.csdata,"",@progbits
; Kernel info:
; codeLenInByte = 0
; TotalNumSgprs: 0
; NumVgprs: 0
; ScratchSize: 0
; MemoryBound: 0
; FloatMode: 240
; IeeeMode: 1
; LDSByteSize: 0 bytes/workgroup (compile time only)
; SGPRBlocks: 0
; VGPRBlocks: 0
; NumSGPRsForWavesPerEU: 1
; NumVGPRsForWavesPerEU: 1
; Occupancy: 16
; WaveLimiterHint : 0
; COMPUTE_PGM_RSRC2:SCRATCH_EN: 0
; COMPUTE_PGM_RSRC2:USER_SGPR: 6
; COMPUTE_PGM_RSRC2:TRAP_HANDLER: 0
; COMPUTE_PGM_RSRC2:TGID_X_EN: 1
; COMPUTE_PGM_RSRC2:TGID_Y_EN: 0
; COMPUTE_PGM_RSRC2:TGID_Z_EN: 0
; COMPUTE_PGM_RSRC2:TIDIG_COMP_CNT: 0
	.section	.text._ZN7rocprim17ROCPRIM_400000_NS6detail17trampoline_kernelINS0_14default_configENS1_20scan_config_selectorIN3c104HalfEEEZZNS1_9scan_implILNS1_25lookback_scan_determinismE0ELb0ELb0ES3_PKS6_PS6_S6_ZZZN2at6native31launch_logcumsumexp_cuda_kernelERKNSD_10TensorBaseESH_lENKUlvE_clEvENKUlvE3_clEvEUlS6_S6_E_S6_EEDaPvRmT3_T4_T5_mT6_P12ihipStream_tbENKUlT_T0_E_clISt17integral_constantIbLb1EESY_EEDaST_SU_EUlST_E_NS1_11comp_targetILNS1_3genE2ELNS1_11target_archE906ELNS1_3gpuE6ELNS1_3repE0EEENS1_30default_config_static_selectorELNS0_4arch9wavefront6targetE0EEEvT1_,"axG",@progbits,_ZN7rocprim17ROCPRIM_400000_NS6detail17trampoline_kernelINS0_14default_configENS1_20scan_config_selectorIN3c104HalfEEEZZNS1_9scan_implILNS1_25lookback_scan_determinismE0ELb0ELb0ES3_PKS6_PS6_S6_ZZZN2at6native31launch_logcumsumexp_cuda_kernelERKNSD_10TensorBaseESH_lENKUlvE_clEvENKUlvE3_clEvEUlS6_S6_E_S6_EEDaPvRmT3_T4_T5_mT6_P12ihipStream_tbENKUlT_T0_E_clISt17integral_constantIbLb1EESY_EEDaST_SU_EUlST_E_NS1_11comp_targetILNS1_3genE2ELNS1_11target_archE906ELNS1_3gpuE6ELNS1_3repE0EEENS1_30default_config_static_selectorELNS0_4arch9wavefront6targetE0EEEvT1_,comdat
	.globl	_ZN7rocprim17ROCPRIM_400000_NS6detail17trampoline_kernelINS0_14default_configENS1_20scan_config_selectorIN3c104HalfEEEZZNS1_9scan_implILNS1_25lookback_scan_determinismE0ELb0ELb0ES3_PKS6_PS6_S6_ZZZN2at6native31launch_logcumsumexp_cuda_kernelERKNSD_10TensorBaseESH_lENKUlvE_clEvENKUlvE3_clEvEUlS6_S6_E_S6_EEDaPvRmT3_T4_T5_mT6_P12ihipStream_tbENKUlT_T0_E_clISt17integral_constantIbLb1EESY_EEDaST_SU_EUlST_E_NS1_11comp_targetILNS1_3genE2ELNS1_11target_archE906ELNS1_3gpuE6ELNS1_3repE0EEENS1_30default_config_static_selectorELNS0_4arch9wavefront6targetE0EEEvT1_ ; -- Begin function _ZN7rocprim17ROCPRIM_400000_NS6detail17trampoline_kernelINS0_14default_configENS1_20scan_config_selectorIN3c104HalfEEEZZNS1_9scan_implILNS1_25lookback_scan_determinismE0ELb0ELb0ES3_PKS6_PS6_S6_ZZZN2at6native31launch_logcumsumexp_cuda_kernelERKNSD_10TensorBaseESH_lENKUlvE_clEvENKUlvE3_clEvEUlS6_S6_E_S6_EEDaPvRmT3_T4_T5_mT6_P12ihipStream_tbENKUlT_T0_E_clISt17integral_constantIbLb1EESY_EEDaST_SU_EUlST_E_NS1_11comp_targetILNS1_3genE2ELNS1_11target_archE906ELNS1_3gpuE6ELNS1_3repE0EEENS1_30default_config_static_selectorELNS0_4arch9wavefront6targetE0EEEvT1_
	.p2align	8
	.type	_ZN7rocprim17ROCPRIM_400000_NS6detail17trampoline_kernelINS0_14default_configENS1_20scan_config_selectorIN3c104HalfEEEZZNS1_9scan_implILNS1_25lookback_scan_determinismE0ELb0ELb0ES3_PKS6_PS6_S6_ZZZN2at6native31launch_logcumsumexp_cuda_kernelERKNSD_10TensorBaseESH_lENKUlvE_clEvENKUlvE3_clEvEUlS6_S6_E_S6_EEDaPvRmT3_T4_T5_mT6_P12ihipStream_tbENKUlT_T0_E_clISt17integral_constantIbLb1EESY_EEDaST_SU_EUlST_E_NS1_11comp_targetILNS1_3genE2ELNS1_11target_archE906ELNS1_3gpuE6ELNS1_3repE0EEENS1_30default_config_static_selectorELNS0_4arch9wavefront6targetE0EEEvT1_,@function
_ZN7rocprim17ROCPRIM_400000_NS6detail17trampoline_kernelINS0_14default_configENS1_20scan_config_selectorIN3c104HalfEEEZZNS1_9scan_implILNS1_25lookback_scan_determinismE0ELb0ELb0ES3_PKS6_PS6_S6_ZZZN2at6native31launch_logcumsumexp_cuda_kernelERKNSD_10TensorBaseESH_lENKUlvE_clEvENKUlvE3_clEvEUlS6_S6_E_S6_EEDaPvRmT3_T4_T5_mT6_P12ihipStream_tbENKUlT_T0_E_clISt17integral_constantIbLb1EESY_EEDaST_SU_EUlST_E_NS1_11comp_targetILNS1_3genE2ELNS1_11target_archE906ELNS1_3gpuE6ELNS1_3repE0EEENS1_30default_config_static_selectorELNS0_4arch9wavefront6targetE0EEEvT1_: ; @_ZN7rocprim17ROCPRIM_400000_NS6detail17trampoline_kernelINS0_14default_configENS1_20scan_config_selectorIN3c104HalfEEEZZNS1_9scan_implILNS1_25lookback_scan_determinismE0ELb0ELb0ES3_PKS6_PS6_S6_ZZZN2at6native31launch_logcumsumexp_cuda_kernelERKNSD_10TensorBaseESH_lENKUlvE_clEvENKUlvE3_clEvEUlS6_S6_E_S6_EEDaPvRmT3_T4_T5_mT6_P12ihipStream_tbENKUlT_T0_E_clISt17integral_constantIbLb1EESY_EEDaST_SU_EUlST_E_NS1_11comp_targetILNS1_3genE2ELNS1_11target_archE906ELNS1_3gpuE6ELNS1_3repE0EEENS1_30default_config_static_selectorELNS0_4arch9wavefront6targetE0EEEvT1_
; %bb.0:
	.section	.rodata,"a",@progbits
	.p2align	6, 0x0
	.amdhsa_kernel _ZN7rocprim17ROCPRIM_400000_NS6detail17trampoline_kernelINS0_14default_configENS1_20scan_config_selectorIN3c104HalfEEEZZNS1_9scan_implILNS1_25lookback_scan_determinismE0ELb0ELb0ES3_PKS6_PS6_S6_ZZZN2at6native31launch_logcumsumexp_cuda_kernelERKNSD_10TensorBaseESH_lENKUlvE_clEvENKUlvE3_clEvEUlS6_S6_E_S6_EEDaPvRmT3_T4_T5_mT6_P12ihipStream_tbENKUlT_T0_E_clISt17integral_constantIbLb1EESY_EEDaST_SU_EUlST_E_NS1_11comp_targetILNS1_3genE2ELNS1_11target_archE906ELNS1_3gpuE6ELNS1_3repE0EEENS1_30default_config_static_selectorELNS0_4arch9wavefront6targetE0EEEvT1_
		.amdhsa_group_segment_fixed_size 0
		.amdhsa_private_segment_fixed_size 0
		.amdhsa_kernarg_size 96
		.amdhsa_user_sgpr_count 6
		.amdhsa_user_sgpr_private_segment_buffer 1
		.amdhsa_user_sgpr_dispatch_ptr 0
		.amdhsa_user_sgpr_queue_ptr 0
		.amdhsa_user_sgpr_kernarg_segment_ptr 1
		.amdhsa_user_sgpr_dispatch_id 0
		.amdhsa_user_sgpr_flat_scratch_init 0
		.amdhsa_user_sgpr_private_segment_size 0
		.amdhsa_wavefront_size32 1
		.amdhsa_uses_dynamic_stack 0
		.amdhsa_system_sgpr_private_segment_wavefront_offset 0
		.amdhsa_system_sgpr_workgroup_id_x 1
		.amdhsa_system_sgpr_workgroup_id_y 0
		.amdhsa_system_sgpr_workgroup_id_z 0
		.amdhsa_system_sgpr_workgroup_info 0
		.amdhsa_system_vgpr_workitem_id 0
		.amdhsa_next_free_vgpr 1
		.amdhsa_next_free_sgpr 1
		.amdhsa_reserve_vcc 0
		.amdhsa_reserve_flat_scratch 0
		.amdhsa_float_round_mode_32 0
		.amdhsa_float_round_mode_16_64 0
		.amdhsa_float_denorm_mode_32 3
		.amdhsa_float_denorm_mode_16_64 3
		.amdhsa_dx10_clamp 1
		.amdhsa_ieee_mode 1
		.amdhsa_fp16_overflow 0
		.amdhsa_workgroup_processor_mode 1
		.amdhsa_memory_ordered 1
		.amdhsa_forward_progress 1
		.amdhsa_shared_vgpr_count 0
		.amdhsa_exception_fp_ieee_invalid_op 0
		.amdhsa_exception_fp_denorm_src 0
		.amdhsa_exception_fp_ieee_div_zero 0
		.amdhsa_exception_fp_ieee_overflow 0
		.amdhsa_exception_fp_ieee_underflow 0
		.amdhsa_exception_fp_ieee_inexact 0
		.amdhsa_exception_int_div_zero 0
	.end_amdhsa_kernel
	.section	.text._ZN7rocprim17ROCPRIM_400000_NS6detail17trampoline_kernelINS0_14default_configENS1_20scan_config_selectorIN3c104HalfEEEZZNS1_9scan_implILNS1_25lookback_scan_determinismE0ELb0ELb0ES3_PKS6_PS6_S6_ZZZN2at6native31launch_logcumsumexp_cuda_kernelERKNSD_10TensorBaseESH_lENKUlvE_clEvENKUlvE3_clEvEUlS6_S6_E_S6_EEDaPvRmT3_T4_T5_mT6_P12ihipStream_tbENKUlT_T0_E_clISt17integral_constantIbLb1EESY_EEDaST_SU_EUlST_E_NS1_11comp_targetILNS1_3genE2ELNS1_11target_archE906ELNS1_3gpuE6ELNS1_3repE0EEENS1_30default_config_static_selectorELNS0_4arch9wavefront6targetE0EEEvT1_,"axG",@progbits,_ZN7rocprim17ROCPRIM_400000_NS6detail17trampoline_kernelINS0_14default_configENS1_20scan_config_selectorIN3c104HalfEEEZZNS1_9scan_implILNS1_25lookback_scan_determinismE0ELb0ELb0ES3_PKS6_PS6_S6_ZZZN2at6native31launch_logcumsumexp_cuda_kernelERKNSD_10TensorBaseESH_lENKUlvE_clEvENKUlvE3_clEvEUlS6_S6_E_S6_EEDaPvRmT3_T4_T5_mT6_P12ihipStream_tbENKUlT_T0_E_clISt17integral_constantIbLb1EESY_EEDaST_SU_EUlST_E_NS1_11comp_targetILNS1_3genE2ELNS1_11target_archE906ELNS1_3gpuE6ELNS1_3repE0EEENS1_30default_config_static_selectorELNS0_4arch9wavefront6targetE0EEEvT1_,comdat
.Lfunc_end382:
	.size	_ZN7rocprim17ROCPRIM_400000_NS6detail17trampoline_kernelINS0_14default_configENS1_20scan_config_selectorIN3c104HalfEEEZZNS1_9scan_implILNS1_25lookback_scan_determinismE0ELb0ELb0ES3_PKS6_PS6_S6_ZZZN2at6native31launch_logcumsumexp_cuda_kernelERKNSD_10TensorBaseESH_lENKUlvE_clEvENKUlvE3_clEvEUlS6_S6_E_S6_EEDaPvRmT3_T4_T5_mT6_P12ihipStream_tbENKUlT_T0_E_clISt17integral_constantIbLb1EESY_EEDaST_SU_EUlST_E_NS1_11comp_targetILNS1_3genE2ELNS1_11target_archE906ELNS1_3gpuE6ELNS1_3repE0EEENS1_30default_config_static_selectorELNS0_4arch9wavefront6targetE0EEEvT1_, .Lfunc_end382-_ZN7rocprim17ROCPRIM_400000_NS6detail17trampoline_kernelINS0_14default_configENS1_20scan_config_selectorIN3c104HalfEEEZZNS1_9scan_implILNS1_25lookback_scan_determinismE0ELb0ELb0ES3_PKS6_PS6_S6_ZZZN2at6native31launch_logcumsumexp_cuda_kernelERKNSD_10TensorBaseESH_lENKUlvE_clEvENKUlvE3_clEvEUlS6_S6_E_S6_EEDaPvRmT3_T4_T5_mT6_P12ihipStream_tbENKUlT_T0_E_clISt17integral_constantIbLb1EESY_EEDaST_SU_EUlST_E_NS1_11comp_targetILNS1_3genE2ELNS1_11target_archE906ELNS1_3gpuE6ELNS1_3repE0EEENS1_30default_config_static_selectorELNS0_4arch9wavefront6targetE0EEEvT1_
                                        ; -- End function
	.set _ZN7rocprim17ROCPRIM_400000_NS6detail17trampoline_kernelINS0_14default_configENS1_20scan_config_selectorIN3c104HalfEEEZZNS1_9scan_implILNS1_25lookback_scan_determinismE0ELb0ELb0ES3_PKS6_PS6_S6_ZZZN2at6native31launch_logcumsumexp_cuda_kernelERKNSD_10TensorBaseESH_lENKUlvE_clEvENKUlvE3_clEvEUlS6_S6_E_S6_EEDaPvRmT3_T4_T5_mT6_P12ihipStream_tbENKUlT_T0_E_clISt17integral_constantIbLb1EESY_EEDaST_SU_EUlST_E_NS1_11comp_targetILNS1_3genE2ELNS1_11target_archE906ELNS1_3gpuE6ELNS1_3repE0EEENS1_30default_config_static_selectorELNS0_4arch9wavefront6targetE0EEEvT1_.num_vgpr, 0
	.set _ZN7rocprim17ROCPRIM_400000_NS6detail17trampoline_kernelINS0_14default_configENS1_20scan_config_selectorIN3c104HalfEEEZZNS1_9scan_implILNS1_25lookback_scan_determinismE0ELb0ELb0ES3_PKS6_PS6_S6_ZZZN2at6native31launch_logcumsumexp_cuda_kernelERKNSD_10TensorBaseESH_lENKUlvE_clEvENKUlvE3_clEvEUlS6_S6_E_S6_EEDaPvRmT3_T4_T5_mT6_P12ihipStream_tbENKUlT_T0_E_clISt17integral_constantIbLb1EESY_EEDaST_SU_EUlST_E_NS1_11comp_targetILNS1_3genE2ELNS1_11target_archE906ELNS1_3gpuE6ELNS1_3repE0EEENS1_30default_config_static_selectorELNS0_4arch9wavefront6targetE0EEEvT1_.num_agpr, 0
	.set _ZN7rocprim17ROCPRIM_400000_NS6detail17trampoline_kernelINS0_14default_configENS1_20scan_config_selectorIN3c104HalfEEEZZNS1_9scan_implILNS1_25lookback_scan_determinismE0ELb0ELb0ES3_PKS6_PS6_S6_ZZZN2at6native31launch_logcumsumexp_cuda_kernelERKNSD_10TensorBaseESH_lENKUlvE_clEvENKUlvE3_clEvEUlS6_S6_E_S6_EEDaPvRmT3_T4_T5_mT6_P12ihipStream_tbENKUlT_T0_E_clISt17integral_constantIbLb1EESY_EEDaST_SU_EUlST_E_NS1_11comp_targetILNS1_3genE2ELNS1_11target_archE906ELNS1_3gpuE6ELNS1_3repE0EEENS1_30default_config_static_selectorELNS0_4arch9wavefront6targetE0EEEvT1_.numbered_sgpr, 0
	.set _ZN7rocprim17ROCPRIM_400000_NS6detail17trampoline_kernelINS0_14default_configENS1_20scan_config_selectorIN3c104HalfEEEZZNS1_9scan_implILNS1_25lookback_scan_determinismE0ELb0ELb0ES3_PKS6_PS6_S6_ZZZN2at6native31launch_logcumsumexp_cuda_kernelERKNSD_10TensorBaseESH_lENKUlvE_clEvENKUlvE3_clEvEUlS6_S6_E_S6_EEDaPvRmT3_T4_T5_mT6_P12ihipStream_tbENKUlT_T0_E_clISt17integral_constantIbLb1EESY_EEDaST_SU_EUlST_E_NS1_11comp_targetILNS1_3genE2ELNS1_11target_archE906ELNS1_3gpuE6ELNS1_3repE0EEENS1_30default_config_static_selectorELNS0_4arch9wavefront6targetE0EEEvT1_.num_named_barrier, 0
	.set _ZN7rocprim17ROCPRIM_400000_NS6detail17trampoline_kernelINS0_14default_configENS1_20scan_config_selectorIN3c104HalfEEEZZNS1_9scan_implILNS1_25lookback_scan_determinismE0ELb0ELb0ES3_PKS6_PS6_S6_ZZZN2at6native31launch_logcumsumexp_cuda_kernelERKNSD_10TensorBaseESH_lENKUlvE_clEvENKUlvE3_clEvEUlS6_S6_E_S6_EEDaPvRmT3_T4_T5_mT6_P12ihipStream_tbENKUlT_T0_E_clISt17integral_constantIbLb1EESY_EEDaST_SU_EUlST_E_NS1_11comp_targetILNS1_3genE2ELNS1_11target_archE906ELNS1_3gpuE6ELNS1_3repE0EEENS1_30default_config_static_selectorELNS0_4arch9wavefront6targetE0EEEvT1_.private_seg_size, 0
	.set _ZN7rocprim17ROCPRIM_400000_NS6detail17trampoline_kernelINS0_14default_configENS1_20scan_config_selectorIN3c104HalfEEEZZNS1_9scan_implILNS1_25lookback_scan_determinismE0ELb0ELb0ES3_PKS6_PS6_S6_ZZZN2at6native31launch_logcumsumexp_cuda_kernelERKNSD_10TensorBaseESH_lENKUlvE_clEvENKUlvE3_clEvEUlS6_S6_E_S6_EEDaPvRmT3_T4_T5_mT6_P12ihipStream_tbENKUlT_T0_E_clISt17integral_constantIbLb1EESY_EEDaST_SU_EUlST_E_NS1_11comp_targetILNS1_3genE2ELNS1_11target_archE906ELNS1_3gpuE6ELNS1_3repE0EEENS1_30default_config_static_selectorELNS0_4arch9wavefront6targetE0EEEvT1_.uses_vcc, 0
	.set _ZN7rocprim17ROCPRIM_400000_NS6detail17trampoline_kernelINS0_14default_configENS1_20scan_config_selectorIN3c104HalfEEEZZNS1_9scan_implILNS1_25lookback_scan_determinismE0ELb0ELb0ES3_PKS6_PS6_S6_ZZZN2at6native31launch_logcumsumexp_cuda_kernelERKNSD_10TensorBaseESH_lENKUlvE_clEvENKUlvE3_clEvEUlS6_S6_E_S6_EEDaPvRmT3_T4_T5_mT6_P12ihipStream_tbENKUlT_T0_E_clISt17integral_constantIbLb1EESY_EEDaST_SU_EUlST_E_NS1_11comp_targetILNS1_3genE2ELNS1_11target_archE906ELNS1_3gpuE6ELNS1_3repE0EEENS1_30default_config_static_selectorELNS0_4arch9wavefront6targetE0EEEvT1_.uses_flat_scratch, 0
	.set _ZN7rocprim17ROCPRIM_400000_NS6detail17trampoline_kernelINS0_14default_configENS1_20scan_config_selectorIN3c104HalfEEEZZNS1_9scan_implILNS1_25lookback_scan_determinismE0ELb0ELb0ES3_PKS6_PS6_S6_ZZZN2at6native31launch_logcumsumexp_cuda_kernelERKNSD_10TensorBaseESH_lENKUlvE_clEvENKUlvE3_clEvEUlS6_S6_E_S6_EEDaPvRmT3_T4_T5_mT6_P12ihipStream_tbENKUlT_T0_E_clISt17integral_constantIbLb1EESY_EEDaST_SU_EUlST_E_NS1_11comp_targetILNS1_3genE2ELNS1_11target_archE906ELNS1_3gpuE6ELNS1_3repE0EEENS1_30default_config_static_selectorELNS0_4arch9wavefront6targetE0EEEvT1_.has_dyn_sized_stack, 0
	.set _ZN7rocprim17ROCPRIM_400000_NS6detail17trampoline_kernelINS0_14default_configENS1_20scan_config_selectorIN3c104HalfEEEZZNS1_9scan_implILNS1_25lookback_scan_determinismE0ELb0ELb0ES3_PKS6_PS6_S6_ZZZN2at6native31launch_logcumsumexp_cuda_kernelERKNSD_10TensorBaseESH_lENKUlvE_clEvENKUlvE3_clEvEUlS6_S6_E_S6_EEDaPvRmT3_T4_T5_mT6_P12ihipStream_tbENKUlT_T0_E_clISt17integral_constantIbLb1EESY_EEDaST_SU_EUlST_E_NS1_11comp_targetILNS1_3genE2ELNS1_11target_archE906ELNS1_3gpuE6ELNS1_3repE0EEENS1_30default_config_static_selectorELNS0_4arch9wavefront6targetE0EEEvT1_.has_recursion, 0
	.set _ZN7rocprim17ROCPRIM_400000_NS6detail17trampoline_kernelINS0_14default_configENS1_20scan_config_selectorIN3c104HalfEEEZZNS1_9scan_implILNS1_25lookback_scan_determinismE0ELb0ELb0ES3_PKS6_PS6_S6_ZZZN2at6native31launch_logcumsumexp_cuda_kernelERKNSD_10TensorBaseESH_lENKUlvE_clEvENKUlvE3_clEvEUlS6_S6_E_S6_EEDaPvRmT3_T4_T5_mT6_P12ihipStream_tbENKUlT_T0_E_clISt17integral_constantIbLb1EESY_EEDaST_SU_EUlST_E_NS1_11comp_targetILNS1_3genE2ELNS1_11target_archE906ELNS1_3gpuE6ELNS1_3repE0EEENS1_30default_config_static_selectorELNS0_4arch9wavefront6targetE0EEEvT1_.has_indirect_call, 0
	.section	.AMDGPU.csdata,"",@progbits
; Kernel info:
; codeLenInByte = 0
; TotalNumSgprs: 0
; NumVgprs: 0
; ScratchSize: 0
; MemoryBound: 0
; FloatMode: 240
; IeeeMode: 1
; LDSByteSize: 0 bytes/workgroup (compile time only)
; SGPRBlocks: 0
; VGPRBlocks: 0
; NumSGPRsForWavesPerEU: 1
; NumVGPRsForWavesPerEU: 1
; Occupancy: 16
; WaveLimiterHint : 0
; COMPUTE_PGM_RSRC2:SCRATCH_EN: 0
; COMPUTE_PGM_RSRC2:USER_SGPR: 6
; COMPUTE_PGM_RSRC2:TRAP_HANDLER: 0
; COMPUTE_PGM_RSRC2:TGID_X_EN: 1
; COMPUTE_PGM_RSRC2:TGID_Y_EN: 0
; COMPUTE_PGM_RSRC2:TGID_Z_EN: 0
; COMPUTE_PGM_RSRC2:TIDIG_COMP_CNT: 0
	.section	.text._ZN7rocprim17ROCPRIM_400000_NS6detail17trampoline_kernelINS0_14default_configENS1_20scan_config_selectorIN3c104HalfEEEZZNS1_9scan_implILNS1_25lookback_scan_determinismE0ELb0ELb0ES3_PKS6_PS6_S6_ZZZN2at6native31launch_logcumsumexp_cuda_kernelERKNSD_10TensorBaseESH_lENKUlvE_clEvENKUlvE3_clEvEUlS6_S6_E_S6_EEDaPvRmT3_T4_T5_mT6_P12ihipStream_tbENKUlT_T0_E_clISt17integral_constantIbLb1EESY_EEDaST_SU_EUlST_E_NS1_11comp_targetILNS1_3genE10ELNS1_11target_archE1201ELNS1_3gpuE5ELNS1_3repE0EEENS1_30default_config_static_selectorELNS0_4arch9wavefront6targetE0EEEvT1_,"axG",@progbits,_ZN7rocprim17ROCPRIM_400000_NS6detail17trampoline_kernelINS0_14default_configENS1_20scan_config_selectorIN3c104HalfEEEZZNS1_9scan_implILNS1_25lookback_scan_determinismE0ELb0ELb0ES3_PKS6_PS6_S6_ZZZN2at6native31launch_logcumsumexp_cuda_kernelERKNSD_10TensorBaseESH_lENKUlvE_clEvENKUlvE3_clEvEUlS6_S6_E_S6_EEDaPvRmT3_T4_T5_mT6_P12ihipStream_tbENKUlT_T0_E_clISt17integral_constantIbLb1EESY_EEDaST_SU_EUlST_E_NS1_11comp_targetILNS1_3genE10ELNS1_11target_archE1201ELNS1_3gpuE5ELNS1_3repE0EEENS1_30default_config_static_selectorELNS0_4arch9wavefront6targetE0EEEvT1_,comdat
	.globl	_ZN7rocprim17ROCPRIM_400000_NS6detail17trampoline_kernelINS0_14default_configENS1_20scan_config_selectorIN3c104HalfEEEZZNS1_9scan_implILNS1_25lookback_scan_determinismE0ELb0ELb0ES3_PKS6_PS6_S6_ZZZN2at6native31launch_logcumsumexp_cuda_kernelERKNSD_10TensorBaseESH_lENKUlvE_clEvENKUlvE3_clEvEUlS6_S6_E_S6_EEDaPvRmT3_T4_T5_mT6_P12ihipStream_tbENKUlT_T0_E_clISt17integral_constantIbLb1EESY_EEDaST_SU_EUlST_E_NS1_11comp_targetILNS1_3genE10ELNS1_11target_archE1201ELNS1_3gpuE5ELNS1_3repE0EEENS1_30default_config_static_selectorELNS0_4arch9wavefront6targetE0EEEvT1_ ; -- Begin function _ZN7rocprim17ROCPRIM_400000_NS6detail17trampoline_kernelINS0_14default_configENS1_20scan_config_selectorIN3c104HalfEEEZZNS1_9scan_implILNS1_25lookback_scan_determinismE0ELb0ELb0ES3_PKS6_PS6_S6_ZZZN2at6native31launch_logcumsumexp_cuda_kernelERKNSD_10TensorBaseESH_lENKUlvE_clEvENKUlvE3_clEvEUlS6_S6_E_S6_EEDaPvRmT3_T4_T5_mT6_P12ihipStream_tbENKUlT_T0_E_clISt17integral_constantIbLb1EESY_EEDaST_SU_EUlST_E_NS1_11comp_targetILNS1_3genE10ELNS1_11target_archE1201ELNS1_3gpuE5ELNS1_3repE0EEENS1_30default_config_static_selectorELNS0_4arch9wavefront6targetE0EEEvT1_
	.p2align	8
	.type	_ZN7rocprim17ROCPRIM_400000_NS6detail17trampoline_kernelINS0_14default_configENS1_20scan_config_selectorIN3c104HalfEEEZZNS1_9scan_implILNS1_25lookback_scan_determinismE0ELb0ELb0ES3_PKS6_PS6_S6_ZZZN2at6native31launch_logcumsumexp_cuda_kernelERKNSD_10TensorBaseESH_lENKUlvE_clEvENKUlvE3_clEvEUlS6_S6_E_S6_EEDaPvRmT3_T4_T5_mT6_P12ihipStream_tbENKUlT_T0_E_clISt17integral_constantIbLb1EESY_EEDaST_SU_EUlST_E_NS1_11comp_targetILNS1_3genE10ELNS1_11target_archE1201ELNS1_3gpuE5ELNS1_3repE0EEENS1_30default_config_static_selectorELNS0_4arch9wavefront6targetE0EEEvT1_,@function
_ZN7rocprim17ROCPRIM_400000_NS6detail17trampoline_kernelINS0_14default_configENS1_20scan_config_selectorIN3c104HalfEEEZZNS1_9scan_implILNS1_25lookback_scan_determinismE0ELb0ELb0ES3_PKS6_PS6_S6_ZZZN2at6native31launch_logcumsumexp_cuda_kernelERKNSD_10TensorBaseESH_lENKUlvE_clEvENKUlvE3_clEvEUlS6_S6_E_S6_EEDaPvRmT3_T4_T5_mT6_P12ihipStream_tbENKUlT_T0_E_clISt17integral_constantIbLb1EESY_EEDaST_SU_EUlST_E_NS1_11comp_targetILNS1_3genE10ELNS1_11target_archE1201ELNS1_3gpuE5ELNS1_3repE0EEENS1_30default_config_static_selectorELNS0_4arch9wavefront6targetE0EEEvT1_: ; @_ZN7rocprim17ROCPRIM_400000_NS6detail17trampoline_kernelINS0_14default_configENS1_20scan_config_selectorIN3c104HalfEEEZZNS1_9scan_implILNS1_25lookback_scan_determinismE0ELb0ELb0ES3_PKS6_PS6_S6_ZZZN2at6native31launch_logcumsumexp_cuda_kernelERKNSD_10TensorBaseESH_lENKUlvE_clEvENKUlvE3_clEvEUlS6_S6_E_S6_EEDaPvRmT3_T4_T5_mT6_P12ihipStream_tbENKUlT_T0_E_clISt17integral_constantIbLb1EESY_EEDaST_SU_EUlST_E_NS1_11comp_targetILNS1_3genE10ELNS1_11target_archE1201ELNS1_3gpuE5ELNS1_3repE0EEENS1_30default_config_static_selectorELNS0_4arch9wavefront6targetE0EEEvT1_
; %bb.0:
	.section	.rodata,"a",@progbits
	.p2align	6, 0x0
	.amdhsa_kernel _ZN7rocprim17ROCPRIM_400000_NS6detail17trampoline_kernelINS0_14default_configENS1_20scan_config_selectorIN3c104HalfEEEZZNS1_9scan_implILNS1_25lookback_scan_determinismE0ELb0ELb0ES3_PKS6_PS6_S6_ZZZN2at6native31launch_logcumsumexp_cuda_kernelERKNSD_10TensorBaseESH_lENKUlvE_clEvENKUlvE3_clEvEUlS6_S6_E_S6_EEDaPvRmT3_T4_T5_mT6_P12ihipStream_tbENKUlT_T0_E_clISt17integral_constantIbLb1EESY_EEDaST_SU_EUlST_E_NS1_11comp_targetILNS1_3genE10ELNS1_11target_archE1201ELNS1_3gpuE5ELNS1_3repE0EEENS1_30default_config_static_selectorELNS0_4arch9wavefront6targetE0EEEvT1_
		.amdhsa_group_segment_fixed_size 0
		.amdhsa_private_segment_fixed_size 0
		.amdhsa_kernarg_size 96
		.amdhsa_user_sgpr_count 6
		.amdhsa_user_sgpr_private_segment_buffer 1
		.amdhsa_user_sgpr_dispatch_ptr 0
		.amdhsa_user_sgpr_queue_ptr 0
		.amdhsa_user_sgpr_kernarg_segment_ptr 1
		.amdhsa_user_sgpr_dispatch_id 0
		.amdhsa_user_sgpr_flat_scratch_init 0
		.amdhsa_user_sgpr_private_segment_size 0
		.amdhsa_wavefront_size32 1
		.amdhsa_uses_dynamic_stack 0
		.amdhsa_system_sgpr_private_segment_wavefront_offset 0
		.amdhsa_system_sgpr_workgroup_id_x 1
		.amdhsa_system_sgpr_workgroup_id_y 0
		.amdhsa_system_sgpr_workgroup_id_z 0
		.amdhsa_system_sgpr_workgroup_info 0
		.amdhsa_system_vgpr_workitem_id 0
		.amdhsa_next_free_vgpr 1
		.amdhsa_next_free_sgpr 1
		.amdhsa_reserve_vcc 0
		.amdhsa_reserve_flat_scratch 0
		.amdhsa_float_round_mode_32 0
		.amdhsa_float_round_mode_16_64 0
		.amdhsa_float_denorm_mode_32 3
		.amdhsa_float_denorm_mode_16_64 3
		.amdhsa_dx10_clamp 1
		.amdhsa_ieee_mode 1
		.amdhsa_fp16_overflow 0
		.amdhsa_workgroup_processor_mode 1
		.amdhsa_memory_ordered 1
		.amdhsa_forward_progress 1
		.amdhsa_shared_vgpr_count 0
		.amdhsa_exception_fp_ieee_invalid_op 0
		.amdhsa_exception_fp_denorm_src 0
		.amdhsa_exception_fp_ieee_div_zero 0
		.amdhsa_exception_fp_ieee_overflow 0
		.amdhsa_exception_fp_ieee_underflow 0
		.amdhsa_exception_fp_ieee_inexact 0
		.amdhsa_exception_int_div_zero 0
	.end_amdhsa_kernel
	.section	.text._ZN7rocprim17ROCPRIM_400000_NS6detail17trampoline_kernelINS0_14default_configENS1_20scan_config_selectorIN3c104HalfEEEZZNS1_9scan_implILNS1_25lookback_scan_determinismE0ELb0ELb0ES3_PKS6_PS6_S6_ZZZN2at6native31launch_logcumsumexp_cuda_kernelERKNSD_10TensorBaseESH_lENKUlvE_clEvENKUlvE3_clEvEUlS6_S6_E_S6_EEDaPvRmT3_T4_T5_mT6_P12ihipStream_tbENKUlT_T0_E_clISt17integral_constantIbLb1EESY_EEDaST_SU_EUlST_E_NS1_11comp_targetILNS1_3genE10ELNS1_11target_archE1201ELNS1_3gpuE5ELNS1_3repE0EEENS1_30default_config_static_selectorELNS0_4arch9wavefront6targetE0EEEvT1_,"axG",@progbits,_ZN7rocprim17ROCPRIM_400000_NS6detail17trampoline_kernelINS0_14default_configENS1_20scan_config_selectorIN3c104HalfEEEZZNS1_9scan_implILNS1_25lookback_scan_determinismE0ELb0ELb0ES3_PKS6_PS6_S6_ZZZN2at6native31launch_logcumsumexp_cuda_kernelERKNSD_10TensorBaseESH_lENKUlvE_clEvENKUlvE3_clEvEUlS6_S6_E_S6_EEDaPvRmT3_T4_T5_mT6_P12ihipStream_tbENKUlT_T0_E_clISt17integral_constantIbLb1EESY_EEDaST_SU_EUlST_E_NS1_11comp_targetILNS1_3genE10ELNS1_11target_archE1201ELNS1_3gpuE5ELNS1_3repE0EEENS1_30default_config_static_selectorELNS0_4arch9wavefront6targetE0EEEvT1_,comdat
.Lfunc_end383:
	.size	_ZN7rocprim17ROCPRIM_400000_NS6detail17trampoline_kernelINS0_14default_configENS1_20scan_config_selectorIN3c104HalfEEEZZNS1_9scan_implILNS1_25lookback_scan_determinismE0ELb0ELb0ES3_PKS6_PS6_S6_ZZZN2at6native31launch_logcumsumexp_cuda_kernelERKNSD_10TensorBaseESH_lENKUlvE_clEvENKUlvE3_clEvEUlS6_S6_E_S6_EEDaPvRmT3_T4_T5_mT6_P12ihipStream_tbENKUlT_T0_E_clISt17integral_constantIbLb1EESY_EEDaST_SU_EUlST_E_NS1_11comp_targetILNS1_3genE10ELNS1_11target_archE1201ELNS1_3gpuE5ELNS1_3repE0EEENS1_30default_config_static_selectorELNS0_4arch9wavefront6targetE0EEEvT1_, .Lfunc_end383-_ZN7rocprim17ROCPRIM_400000_NS6detail17trampoline_kernelINS0_14default_configENS1_20scan_config_selectorIN3c104HalfEEEZZNS1_9scan_implILNS1_25lookback_scan_determinismE0ELb0ELb0ES3_PKS6_PS6_S6_ZZZN2at6native31launch_logcumsumexp_cuda_kernelERKNSD_10TensorBaseESH_lENKUlvE_clEvENKUlvE3_clEvEUlS6_S6_E_S6_EEDaPvRmT3_T4_T5_mT6_P12ihipStream_tbENKUlT_T0_E_clISt17integral_constantIbLb1EESY_EEDaST_SU_EUlST_E_NS1_11comp_targetILNS1_3genE10ELNS1_11target_archE1201ELNS1_3gpuE5ELNS1_3repE0EEENS1_30default_config_static_selectorELNS0_4arch9wavefront6targetE0EEEvT1_
                                        ; -- End function
	.set _ZN7rocprim17ROCPRIM_400000_NS6detail17trampoline_kernelINS0_14default_configENS1_20scan_config_selectorIN3c104HalfEEEZZNS1_9scan_implILNS1_25lookback_scan_determinismE0ELb0ELb0ES3_PKS6_PS6_S6_ZZZN2at6native31launch_logcumsumexp_cuda_kernelERKNSD_10TensorBaseESH_lENKUlvE_clEvENKUlvE3_clEvEUlS6_S6_E_S6_EEDaPvRmT3_T4_T5_mT6_P12ihipStream_tbENKUlT_T0_E_clISt17integral_constantIbLb1EESY_EEDaST_SU_EUlST_E_NS1_11comp_targetILNS1_3genE10ELNS1_11target_archE1201ELNS1_3gpuE5ELNS1_3repE0EEENS1_30default_config_static_selectorELNS0_4arch9wavefront6targetE0EEEvT1_.num_vgpr, 0
	.set _ZN7rocprim17ROCPRIM_400000_NS6detail17trampoline_kernelINS0_14default_configENS1_20scan_config_selectorIN3c104HalfEEEZZNS1_9scan_implILNS1_25lookback_scan_determinismE0ELb0ELb0ES3_PKS6_PS6_S6_ZZZN2at6native31launch_logcumsumexp_cuda_kernelERKNSD_10TensorBaseESH_lENKUlvE_clEvENKUlvE3_clEvEUlS6_S6_E_S6_EEDaPvRmT3_T4_T5_mT6_P12ihipStream_tbENKUlT_T0_E_clISt17integral_constantIbLb1EESY_EEDaST_SU_EUlST_E_NS1_11comp_targetILNS1_3genE10ELNS1_11target_archE1201ELNS1_3gpuE5ELNS1_3repE0EEENS1_30default_config_static_selectorELNS0_4arch9wavefront6targetE0EEEvT1_.num_agpr, 0
	.set _ZN7rocprim17ROCPRIM_400000_NS6detail17trampoline_kernelINS0_14default_configENS1_20scan_config_selectorIN3c104HalfEEEZZNS1_9scan_implILNS1_25lookback_scan_determinismE0ELb0ELb0ES3_PKS6_PS6_S6_ZZZN2at6native31launch_logcumsumexp_cuda_kernelERKNSD_10TensorBaseESH_lENKUlvE_clEvENKUlvE3_clEvEUlS6_S6_E_S6_EEDaPvRmT3_T4_T5_mT6_P12ihipStream_tbENKUlT_T0_E_clISt17integral_constantIbLb1EESY_EEDaST_SU_EUlST_E_NS1_11comp_targetILNS1_3genE10ELNS1_11target_archE1201ELNS1_3gpuE5ELNS1_3repE0EEENS1_30default_config_static_selectorELNS0_4arch9wavefront6targetE0EEEvT1_.numbered_sgpr, 0
	.set _ZN7rocprim17ROCPRIM_400000_NS6detail17trampoline_kernelINS0_14default_configENS1_20scan_config_selectorIN3c104HalfEEEZZNS1_9scan_implILNS1_25lookback_scan_determinismE0ELb0ELb0ES3_PKS6_PS6_S6_ZZZN2at6native31launch_logcumsumexp_cuda_kernelERKNSD_10TensorBaseESH_lENKUlvE_clEvENKUlvE3_clEvEUlS6_S6_E_S6_EEDaPvRmT3_T4_T5_mT6_P12ihipStream_tbENKUlT_T0_E_clISt17integral_constantIbLb1EESY_EEDaST_SU_EUlST_E_NS1_11comp_targetILNS1_3genE10ELNS1_11target_archE1201ELNS1_3gpuE5ELNS1_3repE0EEENS1_30default_config_static_selectorELNS0_4arch9wavefront6targetE0EEEvT1_.num_named_barrier, 0
	.set _ZN7rocprim17ROCPRIM_400000_NS6detail17trampoline_kernelINS0_14default_configENS1_20scan_config_selectorIN3c104HalfEEEZZNS1_9scan_implILNS1_25lookback_scan_determinismE0ELb0ELb0ES3_PKS6_PS6_S6_ZZZN2at6native31launch_logcumsumexp_cuda_kernelERKNSD_10TensorBaseESH_lENKUlvE_clEvENKUlvE3_clEvEUlS6_S6_E_S6_EEDaPvRmT3_T4_T5_mT6_P12ihipStream_tbENKUlT_T0_E_clISt17integral_constantIbLb1EESY_EEDaST_SU_EUlST_E_NS1_11comp_targetILNS1_3genE10ELNS1_11target_archE1201ELNS1_3gpuE5ELNS1_3repE0EEENS1_30default_config_static_selectorELNS0_4arch9wavefront6targetE0EEEvT1_.private_seg_size, 0
	.set _ZN7rocprim17ROCPRIM_400000_NS6detail17trampoline_kernelINS0_14default_configENS1_20scan_config_selectorIN3c104HalfEEEZZNS1_9scan_implILNS1_25lookback_scan_determinismE0ELb0ELb0ES3_PKS6_PS6_S6_ZZZN2at6native31launch_logcumsumexp_cuda_kernelERKNSD_10TensorBaseESH_lENKUlvE_clEvENKUlvE3_clEvEUlS6_S6_E_S6_EEDaPvRmT3_T4_T5_mT6_P12ihipStream_tbENKUlT_T0_E_clISt17integral_constantIbLb1EESY_EEDaST_SU_EUlST_E_NS1_11comp_targetILNS1_3genE10ELNS1_11target_archE1201ELNS1_3gpuE5ELNS1_3repE0EEENS1_30default_config_static_selectorELNS0_4arch9wavefront6targetE0EEEvT1_.uses_vcc, 0
	.set _ZN7rocprim17ROCPRIM_400000_NS6detail17trampoline_kernelINS0_14default_configENS1_20scan_config_selectorIN3c104HalfEEEZZNS1_9scan_implILNS1_25lookback_scan_determinismE0ELb0ELb0ES3_PKS6_PS6_S6_ZZZN2at6native31launch_logcumsumexp_cuda_kernelERKNSD_10TensorBaseESH_lENKUlvE_clEvENKUlvE3_clEvEUlS6_S6_E_S6_EEDaPvRmT3_T4_T5_mT6_P12ihipStream_tbENKUlT_T0_E_clISt17integral_constantIbLb1EESY_EEDaST_SU_EUlST_E_NS1_11comp_targetILNS1_3genE10ELNS1_11target_archE1201ELNS1_3gpuE5ELNS1_3repE0EEENS1_30default_config_static_selectorELNS0_4arch9wavefront6targetE0EEEvT1_.uses_flat_scratch, 0
	.set _ZN7rocprim17ROCPRIM_400000_NS6detail17trampoline_kernelINS0_14default_configENS1_20scan_config_selectorIN3c104HalfEEEZZNS1_9scan_implILNS1_25lookback_scan_determinismE0ELb0ELb0ES3_PKS6_PS6_S6_ZZZN2at6native31launch_logcumsumexp_cuda_kernelERKNSD_10TensorBaseESH_lENKUlvE_clEvENKUlvE3_clEvEUlS6_S6_E_S6_EEDaPvRmT3_T4_T5_mT6_P12ihipStream_tbENKUlT_T0_E_clISt17integral_constantIbLb1EESY_EEDaST_SU_EUlST_E_NS1_11comp_targetILNS1_3genE10ELNS1_11target_archE1201ELNS1_3gpuE5ELNS1_3repE0EEENS1_30default_config_static_selectorELNS0_4arch9wavefront6targetE0EEEvT1_.has_dyn_sized_stack, 0
	.set _ZN7rocprim17ROCPRIM_400000_NS6detail17trampoline_kernelINS0_14default_configENS1_20scan_config_selectorIN3c104HalfEEEZZNS1_9scan_implILNS1_25lookback_scan_determinismE0ELb0ELb0ES3_PKS6_PS6_S6_ZZZN2at6native31launch_logcumsumexp_cuda_kernelERKNSD_10TensorBaseESH_lENKUlvE_clEvENKUlvE3_clEvEUlS6_S6_E_S6_EEDaPvRmT3_T4_T5_mT6_P12ihipStream_tbENKUlT_T0_E_clISt17integral_constantIbLb1EESY_EEDaST_SU_EUlST_E_NS1_11comp_targetILNS1_3genE10ELNS1_11target_archE1201ELNS1_3gpuE5ELNS1_3repE0EEENS1_30default_config_static_selectorELNS0_4arch9wavefront6targetE0EEEvT1_.has_recursion, 0
	.set _ZN7rocprim17ROCPRIM_400000_NS6detail17trampoline_kernelINS0_14default_configENS1_20scan_config_selectorIN3c104HalfEEEZZNS1_9scan_implILNS1_25lookback_scan_determinismE0ELb0ELb0ES3_PKS6_PS6_S6_ZZZN2at6native31launch_logcumsumexp_cuda_kernelERKNSD_10TensorBaseESH_lENKUlvE_clEvENKUlvE3_clEvEUlS6_S6_E_S6_EEDaPvRmT3_T4_T5_mT6_P12ihipStream_tbENKUlT_T0_E_clISt17integral_constantIbLb1EESY_EEDaST_SU_EUlST_E_NS1_11comp_targetILNS1_3genE10ELNS1_11target_archE1201ELNS1_3gpuE5ELNS1_3repE0EEENS1_30default_config_static_selectorELNS0_4arch9wavefront6targetE0EEEvT1_.has_indirect_call, 0
	.section	.AMDGPU.csdata,"",@progbits
; Kernel info:
; codeLenInByte = 0
; TotalNumSgprs: 0
; NumVgprs: 0
; ScratchSize: 0
; MemoryBound: 0
; FloatMode: 240
; IeeeMode: 1
; LDSByteSize: 0 bytes/workgroup (compile time only)
; SGPRBlocks: 0
; VGPRBlocks: 0
; NumSGPRsForWavesPerEU: 1
; NumVGPRsForWavesPerEU: 1
; Occupancy: 16
; WaveLimiterHint : 0
; COMPUTE_PGM_RSRC2:SCRATCH_EN: 0
; COMPUTE_PGM_RSRC2:USER_SGPR: 6
; COMPUTE_PGM_RSRC2:TRAP_HANDLER: 0
; COMPUTE_PGM_RSRC2:TGID_X_EN: 1
; COMPUTE_PGM_RSRC2:TGID_Y_EN: 0
; COMPUTE_PGM_RSRC2:TGID_Z_EN: 0
; COMPUTE_PGM_RSRC2:TIDIG_COMP_CNT: 0
	.section	.text._ZN7rocprim17ROCPRIM_400000_NS6detail17trampoline_kernelINS0_14default_configENS1_20scan_config_selectorIN3c104HalfEEEZZNS1_9scan_implILNS1_25lookback_scan_determinismE0ELb0ELb0ES3_PKS6_PS6_S6_ZZZN2at6native31launch_logcumsumexp_cuda_kernelERKNSD_10TensorBaseESH_lENKUlvE_clEvENKUlvE3_clEvEUlS6_S6_E_S6_EEDaPvRmT3_T4_T5_mT6_P12ihipStream_tbENKUlT_T0_E_clISt17integral_constantIbLb1EESY_EEDaST_SU_EUlST_E_NS1_11comp_targetILNS1_3genE10ELNS1_11target_archE1200ELNS1_3gpuE4ELNS1_3repE0EEENS1_30default_config_static_selectorELNS0_4arch9wavefront6targetE0EEEvT1_,"axG",@progbits,_ZN7rocprim17ROCPRIM_400000_NS6detail17trampoline_kernelINS0_14default_configENS1_20scan_config_selectorIN3c104HalfEEEZZNS1_9scan_implILNS1_25lookback_scan_determinismE0ELb0ELb0ES3_PKS6_PS6_S6_ZZZN2at6native31launch_logcumsumexp_cuda_kernelERKNSD_10TensorBaseESH_lENKUlvE_clEvENKUlvE3_clEvEUlS6_S6_E_S6_EEDaPvRmT3_T4_T5_mT6_P12ihipStream_tbENKUlT_T0_E_clISt17integral_constantIbLb1EESY_EEDaST_SU_EUlST_E_NS1_11comp_targetILNS1_3genE10ELNS1_11target_archE1200ELNS1_3gpuE4ELNS1_3repE0EEENS1_30default_config_static_selectorELNS0_4arch9wavefront6targetE0EEEvT1_,comdat
	.globl	_ZN7rocprim17ROCPRIM_400000_NS6detail17trampoline_kernelINS0_14default_configENS1_20scan_config_selectorIN3c104HalfEEEZZNS1_9scan_implILNS1_25lookback_scan_determinismE0ELb0ELb0ES3_PKS6_PS6_S6_ZZZN2at6native31launch_logcumsumexp_cuda_kernelERKNSD_10TensorBaseESH_lENKUlvE_clEvENKUlvE3_clEvEUlS6_S6_E_S6_EEDaPvRmT3_T4_T5_mT6_P12ihipStream_tbENKUlT_T0_E_clISt17integral_constantIbLb1EESY_EEDaST_SU_EUlST_E_NS1_11comp_targetILNS1_3genE10ELNS1_11target_archE1200ELNS1_3gpuE4ELNS1_3repE0EEENS1_30default_config_static_selectorELNS0_4arch9wavefront6targetE0EEEvT1_ ; -- Begin function _ZN7rocprim17ROCPRIM_400000_NS6detail17trampoline_kernelINS0_14default_configENS1_20scan_config_selectorIN3c104HalfEEEZZNS1_9scan_implILNS1_25lookback_scan_determinismE0ELb0ELb0ES3_PKS6_PS6_S6_ZZZN2at6native31launch_logcumsumexp_cuda_kernelERKNSD_10TensorBaseESH_lENKUlvE_clEvENKUlvE3_clEvEUlS6_S6_E_S6_EEDaPvRmT3_T4_T5_mT6_P12ihipStream_tbENKUlT_T0_E_clISt17integral_constantIbLb1EESY_EEDaST_SU_EUlST_E_NS1_11comp_targetILNS1_3genE10ELNS1_11target_archE1200ELNS1_3gpuE4ELNS1_3repE0EEENS1_30default_config_static_selectorELNS0_4arch9wavefront6targetE0EEEvT1_
	.p2align	8
	.type	_ZN7rocprim17ROCPRIM_400000_NS6detail17trampoline_kernelINS0_14default_configENS1_20scan_config_selectorIN3c104HalfEEEZZNS1_9scan_implILNS1_25lookback_scan_determinismE0ELb0ELb0ES3_PKS6_PS6_S6_ZZZN2at6native31launch_logcumsumexp_cuda_kernelERKNSD_10TensorBaseESH_lENKUlvE_clEvENKUlvE3_clEvEUlS6_S6_E_S6_EEDaPvRmT3_T4_T5_mT6_P12ihipStream_tbENKUlT_T0_E_clISt17integral_constantIbLb1EESY_EEDaST_SU_EUlST_E_NS1_11comp_targetILNS1_3genE10ELNS1_11target_archE1200ELNS1_3gpuE4ELNS1_3repE0EEENS1_30default_config_static_selectorELNS0_4arch9wavefront6targetE0EEEvT1_,@function
_ZN7rocprim17ROCPRIM_400000_NS6detail17trampoline_kernelINS0_14default_configENS1_20scan_config_selectorIN3c104HalfEEEZZNS1_9scan_implILNS1_25lookback_scan_determinismE0ELb0ELb0ES3_PKS6_PS6_S6_ZZZN2at6native31launch_logcumsumexp_cuda_kernelERKNSD_10TensorBaseESH_lENKUlvE_clEvENKUlvE3_clEvEUlS6_S6_E_S6_EEDaPvRmT3_T4_T5_mT6_P12ihipStream_tbENKUlT_T0_E_clISt17integral_constantIbLb1EESY_EEDaST_SU_EUlST_E_NS1_11comp_targetILNS1_3genE10ELNS1_11target_archE1200ELNS1_3gpuE4ELNS1_3repE0EEENS1_30default_config_static_selectorELNS0_4arch9wavefront6targetE0EEEvT1_: ; @_ZN7rocprim17ROCPRIM_400000_NS6detail17trampoline_kernelINS0_14default_configENS1_20scan_config_selectorIN3c104HalfEEEZZNS1_9scan_implILNS1_25lookback_scan_determinismE0ELb0ELb0ES3_PKS6_PS6_S6_ZZZN2at6native31launch_logcumsumexp_cuda_kernelERKNSD_10TensorBaseESH_lENKUlvE_clEvENKUlvE3_clEvEUlS6_S6_E_S6_EEDaPvRmT3_T4_T5_mT6_P12ihipStream_tbENKUlT_T0_E_clISt17integral_constantIbLb1EESY_EEDaST_SU_EUlST_E_NS1_11comp_targetILNS1_3genE10ELNS1_11target_archE1200ELNS1_3gpuE4ELNS1_3repE0EEENS1_30default_config_static_selectorELNS0_4arch9wavefront6targetE0EEEvT1_
; %bb.0:
	.section	.rodata,"a",@progbits
	.p2align	6, 0x0
	.amdhsa_kernel _ZN7rocprim17ROCPRIM_400000_NS6detail17trampoline_kernelINS0_14default_configENS1_20scan_config_selectorIN3c104HalfEEEZZNS1_9scan_implILNS1_25lookback_scan_determinismE0ELb0ELb0ES3_PKS6_PS6_S6_ZZZN2at6native31launch_logcumsumexp_cuda_kernelERKNSD_10TensorBaseESH_lENKUlvE_clEvENKUlvE3_clEvEUlS6_S6_E_S6_EEDaPvRmT3_T4_T5_mT6_P12ihipStream_tbENKUlT_T0_E_clISt17integral_constantIbLb1EESY_EEDaST_SU_EUlST_E_NS1_11comp_targetILNS1_3genE10ELNS1_11target_archE1200ELNS1_3gpuE4ELNS1_3repE0EEENS1_30default_config_static_selectorELNS0_4arch9wavefront6targetE0EEEvT1_
		.amdhsa_group_segment_fixed_size 0
		.amdhsa_private_segment_fixed_size 0
		.amdhsa_kernarg_size 96
		.amdhsa_user_sgpr_count 6
		.amdhsa_user_sgpr_private_segment_buffer 1
		.amdhsa_user_sgpr_dispatch_ptr 0
		.amdhsa_user_sgpr_queue_ptr 0
		.amdhsa_user_sgpr_kernarg_segment_ptr 1
		.amdhsa_user_sgpr_dispatch_id 0
		.amdhsa_user_sgpr_flat_scratch_init 0
		.amdhsa_user_sgpr_private_segment_size 0
		.amdhsa_wavefront_size32 1
		.amdhsa_uses_dynamic_stack 0
		.amdhsa_system_sgpr_private_segment_wavefront_offset 0
		.amdhsa_system_sgpr_workgroup_id_x 1
		.amdhsa_system_sgpr_workgroup_id_y 0
		.amdhsa_system_sgpr_workgroup_id_z 0
		.amdhsa_system_sgpr_workgroup_info 0
		.amdhsa_system_vgpr_workitem_id 0
		.amdhsa_next_free_vgpr 1
		.amdhsa_next_free_sgpr 1
		.amdhsa_reserve_vcc 0
		.amdhsa_reserve_flat_scratch 0
		.amdhsa_float_round_mode_32 0
		.amdhsa_float_round_mode_16_64 0
		.amdhsa_float_denorm_mode_32 3
		.amdhsa_float_denorm_mode_16_64 3
		.amdhsa_dx10_clamp 1
		.amdhsa_ieee_mode 1
		.amdhsa_fp16_overflow 0
		.amdhsa_workgroup_processor_mode 1
		.amdhsa_memory_ordered 1
		.amdhsa_forward_progress 1
		.amdhsa_shared_vgpr_count 0
		.amdhsa_exception_fp_ieee_invalid_op 0
		.amdhsa_exception_fp_denorm_src 0
		.amdhsa_exception_fp_ieee_div_zero 0
		.amdhsa_exception_fp_ieee_overflow 0
		.amdhsa_exception_fp_ieee_underflow 0
		.amdhsa_exception_fp_ieee_inexact 0
		.amdhsa_exception_int_div_zero 0
	.end_amdhsa_kernel
	.section	.text._ZN7rocprim17ROCPRIM_400000_NS6detail17trampoline_kernelINS0_14default_configENS1_20scan_config_selectorIN3c104HalfEEEZZNS1_9scan_implILNS1_25lookback_scan_determinismE0ELb0ELb0ES3_PKS6_PS6_S6_ZZZN2at6native31launch_logcumsumexp_cuda_kernelERKNSD_10TensorBaseESH_lENKUlvE_clEvENKUlvE3_clEvEUlS6_S6_E_S6_EEDaPvRmT3_T4_T5_mT6_P12ihipStream_tbENKUlT_T0_E_clISt17integral_constantIbLb1EESY_EEDaST_SU_EUlST_E_NS1_11comp_targetILNS1_3genE10ELNS1_11target_archE1200ELNS1_3gpuE4ELNS1_3repE0EEENS1_30default_config_static_selectorELNS0_4arch9wavefront6targetE0EEEvT1_,"axG",@progbits,_ZN7rocprim17ROCPRIM_400000_NS6detail17trampoline_kernelINS0_14default_configENS1_20scan_config_selectorIN3c104HalfEEEZZNS1_9scan_implILNS1_25lookback_scan_determinismE0ELb0ELb0ES3_PKS6_PS6_S6_ZZZN2at6native31launch_logcumsumexp_cuda_kernelERKNSD_10TensorBaseESH_lENKUlvE_clEvENKUlvE3_clEvEUlS6_S6_E_S6_EEDaPvRmT3_T4_T5_mT6_P12ihipStream_tbENKUlT_T0_E_clISt17integral_constantIbLb1EESY_EEDaST_SU_EUlST_E_NS1_11comp_targetILNS1_3genE10ELNS1_11target_archE1200ELNS1_3gpuE4ELNS1_3repE0EEENS1_30default_config_static_selectorELNS0_4arch9wavefront6targetE0EEEvT1_,comdat
.Lfunc_end384:
	.size	_ZN7rocprim17ROCPRIM_400000_NS6detail17trampoline_kernelINS0_14default_configENS1_20scan_config_selectorIN3c104HalfEEEZZNS1_9scan_implILNS1_25lookback_scan_determinismE0ELb0ELb0ES3_PKS6_PS6_S6_ZZZN2at6native31launch_logcumsumexp_cuda_kernelERKNSD_10TensorBaseESH_lENKUlvE_clEvENKUlvE3_clEvEUlS6_S6_E_S6_EEDaPvRmT3_T4_T5_mT6_P12ihipStream_tbENKUlT_T0_E_clISt17integral_constantIbLb1EESY_EEDaST_SU_EUlST_E_NS1_11comp_targetILNS1_3genE10ELNS1_11target_archE1200ELNS1_3gpuE4ELNS1_3repE0EEENS1_30default_config_static_selectorELNS0_4arch9wavefront6targetE0EEEvT1_, .Lfunc_end384-_ZN7rocprim17ROCPRIM_400000_NS6detail17trampoline_kernelINS0_14default_configENS1_20scan_config_selectorIN3c104HalfEEEZZNS1_9scan_implILNS1_25lookback_scan_determinismE0ELb0ELb0ES3_PKS6_PS6_S6_ZZZN2at6native31launch_logcumsumexp_cuda_kernelERKNSD_10TensorBaseESH_lENKUlvE_clEvENKUlvE3_clEvEUlS6_S6_E_S6_EEDaPvRmT3_T4_T5_mT6_P12ihipStream_tbENKUlT_T0_E_clISt17integral_constantIbLb1EESY_EEDaST_SU_EUlST_E_NS1_11comp_targetILNS1_3genE10ELNS1_11target_archE1200ELNS1_3gpuE4ELNS1_3repE0EEENS1_30default_config_static_selectorELNS0_4arch9wavefront6targetE0EEEvT1_
                                        ; -- End function
	.set _ZN7rocprim17ROCPRIM_400000_NS6detail17trampoline_kernelINS0_14default_configENS1_20scan_config_selectorIN3c104HalfEEEZZNS1_9scan_implILNS1_25lookback_scan_determinismE0ELb0ELb0ES3_PKS6_PS6_S6_ZZZN2at6native31launch_logcumsumexp_cuda_kernelERKNSD_10TensorBaseESH_lENKUlvE_clEvENKUlvE3_clEvEUlS6_S6_E_S6_EEDaPvRmT3_T4_T5_mT6_P12ihipStream_tbENKUlT_T0_E_clISt17integral_constantIbLb1EESY_EEDaST_SU_EUlST_E_NS1_11comp_targetILNS1_3genE10ELNS1_11target_archE1200ELNS1_3gpuE4ELNS1_3repE0EEENS1_30default_config_static_selectorELNS0_4arch9wavefront6targetE0EEEvT1_.num_vgpr, 0
	.set _ZN7rocprim17ROCPRIM_400000_NS6detail17trampoline_kernelINS0_14default_configENS1_20scan_config_selectorIN3c104HalfEEEZZNS1_9scan_implILNS1_25lookback_scan_determinismE0ELb0ELb0ES3_PKS6_PS6_S6_ZZZN2at6native31launch_logcumsumexp_cuda_kernelERKNSD_10TensorBaseESH_lENKUlvE_clEvENKUlvE3_clEvEUlS6_S6_E_S6_EEDaPvRmT3_T4_T5_mT6_P12ihipStream_tbENKUlT_T0_E_clISt17integral_constantIbLb1EESY_EEDaST_SU_EUlST_E_NS1_11comp_targetILNS1_3genE10ELNS1_11target_archE1200ELNS1_3gpuE4ELNS1_3repE0EEENS1_30default_config_static_selectorELNS0_4arch9wavefront6targetE0EEEvT1_.num_agpr, 0
	.set _ZN7rocprim17ROCPRIM_400000_NS6detail17trampoline_kernelINS0_14default_configENS1_20scan_config_selectorIN3c104HalfEEEZZNS1_9scan_implILNS1_25lookback_scan_determinismE0ELb0ELb0ES3_PKS6_PS6_S6_ZZZN2at6native31launch_logcumsumexp_cuda_kernelERKNSD_10TensorBaseESH_lENKUlvE_clEvENKUlvE3_clEvEUlS6_S6_E_S6_EEDaPvRmT3_T4_T5_mT6_P12ihipStream_tbENKUlT_T0_E_clISt17integral_constantIbLb1EESY_EEDaST_SU_EUlST_E_NS1_11comp_targetILNS1_3genE10ELNS1_11target_archE1200ELNS1_3gpuE4ELNS1_3repE0EEENS1_30default_config_static_selectorELNS0_4arch9wavefront6targetE0EEEvT1_.numbered_sgpr, 0
	.set _ZN7rocprim17ROCPRIM_400000_NS6detail17trampoline_kernelINS0_14default_configENS1_20scan_config_selectorIN3c104HalfEEEZZNS1_9scan_implILNS1_25lookback_scan_determinismE0ELb0ELb0ES3_PKS6_PS6_S6_ZZZN2at6native31launch_logcumsumexp_cuda_kernelERKNSD_10TensorBaseESH_lENKUlvE_clEvENKUlvE3_clEvEUlS6_S6_E_S6_EEDaPvRmT3_T4_T5_mT6_P12ihipStream_tbENKUlT_T0_E_clISt17integral_constantIbLb1EESY_EEDaST_SU_EUlST_E_NS1_11comp_targetILNS1_3genE10ELNS1_11target_archE1200ELNS1_3gpuE4ELNS1_3repE0EEENS1_30default_config_static_selectorELNS0_4arch9wavefront6targetE0EEEvT1_.num_named_barrier, 0
	.set _ZN7rocprim17ROCPRIM_400000_NS6detail17trampoline_kernelINS0_14default_configENS1_20scan_config_selectorIN3c104HalfEEEZZNS1_9scan_implILNS1_25lookback_scan_determinismE0ELb0ELb0ES3_PKS6_PS6_S6_ZZZN2at6native31launch_logcumsumexp_cuda_kernelERKNSD_10TensorBaseESH_lENKUlvE_clEvENKUlvE3_clEvEUlS6_S6_E_S6_EEDaPvRmT3_T4_T5_mT6_P12ihipStream_tbENKUlT_T0_E_clISt17integral_constantIbLb1EESY_EEDaST_SU_EUlST_E_NS1_11comp_targetILNS1_3genE10ELNS1_11target_archE1200ELNS1_3gpuE4ELNS1_3repE0EEENS1_30default_config_static_selectorELNS0_4arch9wavefront6targetE0EEEvT1_.private_seg_size, 0
	.set _ZN7rocprim17ROCPRIM_400000_NS6detail17trampoline_kernelINS0_14default_configENS1_20scan_config_selectorIN3c104HalfEEEZZNS1_9scan_implILNS1_25lookback_scan_determinismE0ELb0ELb0ES3_PKS6_PS6_S6_ZZZN2at6native31launch_logcumsumexp_cuda_kernelERKNSD_10TensorBaseESH_lENKUlvE_clEvENKUlvE3_clEvEUlS6_S6_E_S6_EEDaPvRmT3_T4_T5_mT6_P12ihipStream_tbENKUlT_T0_E_clISt17integral_constantIbLb1EESY_EEDaST_SU_EUlST_E_NS1_11comp_targetILNS1_3genE10ELNS1_11target_archE1200ELNS1_3gpuE4ELNS1_3repE0EEENS1_30default_config_static_selectorELNS0_4arch9wavefront6targetE0EEEvT1_.uses_vcc, 0
	.set _ZN7rocprim17ROCPRIM_400000_NS6detail17trampoline_kernelINS0_14default_configENS1_20scan_config_selectorIN3c104HalfEEEZZNS1_9scan_implILNS1_25lookback_scan_determinismE0ELb0ELb0ES3_PKS6_PS6_S6_ZZZN2at6native31launch_logcumsumexp_cuda_kernelERKNSD_10TensorBaseESH_lENKUlvE_clEvENKUlvE3_clEvEUlS6_S6_E_S6_EEDaPvRmT3_T4_T5_mT6_P12ihipStream_tbENKUlT_T0_E_clISt17integral_constantIbLb1EESY_EEDaST_SU_EUlST_E_NS1_11comp_targetILNS1_3genE10ELNS1_11target_archE1200ELNS1_3gpuE4ELNS1_3repE0EEENS1_30default_config_static_selectorELNS0_4arch9wavefront6targetE0EEEvT1_.uses_flat_scratch, 0
	.set _ZN7rocprim17ROCPRIM_400000_NS6detail17trampoline_kernelINS0_14default_configENS1_20scan_config_selectorIN3c104HalfEEEZZNS1_9scan_implILNS1_25lookback_scan_determinismE0ELb0ELb0ES3_PKS6_PS6_S6_ZZZN2at6native31launch_logcumsumexp_cuda_kernelERKNSD_10TensorBaseESH_lENKUlvE_clEvENKUlvE3_clEvEUlS6_S6_E_S6_EEDaPvRmT3_T4_T5_mT6_P12ihipStream_tbENKUlT_T0_E_clISt17integral_constantIbLb1EESY_EEDaST_SU_EUlST_E_NS1_11comp_targetILNS1_3genE10ELNS1_11target_archE1200ELNS1_3gpuE4ELNS1_3repE0EEENS1_30default_config_static_selectorELNS0_4arch9wavefront6targetE0EEEvT1_.has_dyn_sized_stack, 0
	.set _ZN7rocprim17ROCPRIM_400000_NS6detail17trampoline_kernelINS0_14default_configENS1_20scan_config_selectorIN3c104HalfEEEZZNS1_9scan_implILNS1_25lookback_scan_determinismE0ELb0ELb0ES3_PKS6_PS6_S6_ZZZN2at6native31launch_logcumsumexp_cuda_kernelERKNSD_10TensorBaseESH_lENKUlvE_clEvENKUlvE3_clEvEUlS6_S6_E_S6_EEDaPvRmT3_T4_T5_mT6_P12ihipStream_tbENKUlT_T0_E_clISt17integral_constantIbLb1EESY_EEDaST_SU_EUlST_E_NS1_11comp_targetILNS1_3genE10ELNS1_11target_archE1200ELNS1_3gpuE4ELNS1_3repE0EEENS1_30default_config_static_selectorELNS0_4arch9wavefront6targetE0EEEvT1_.has_recursion, 0
	.set _ZN7rocprim17ROCPRIM_400000_NS6detail17trampoline_kernelINS0_14default_configENS1_20scan_config_selectorIN3c104HalfEEEZZNS1_9scan_implILNS1_25lookback_scan_determinismE0ELb0ELb0ES3_PKS6_PS6_S6_ZZZN2at6native31launch_logcumsumexp_cuda_kernelERKNSD_10TensorBaseESH_lENKUlvE_clEvENKUlvE3_clEvEUlS6_S6_E_S6_EEDaPvRmT3_T4_T5_mT6_P12ihipStream_tbENKUlT_T0_E_clISt17integral_constantIbLb1EESY_EEDaST_SU_EUlST_E_NS1_11comp_targetILNS1_3genE10ELNS1_11target_archE1200ELNS1_3gpuE4ELNS1_3repE0EEENS1_30default_config_static_selectorELNS0_4arch9wavefront6targetE0EEEvT1_.has_indirect_call, 0
	.section	.AMDGPU.csdata,"",@progbits
; Kernel info:
; codeLenInByte = 0
; TotalNumSgprs: 0
; NumVgprs: 0
; ScratchSize: 0
; MemoryBound: 0
; FloatMode: 240
; IeeeMode: 1
; LDSByteSize: 0 bytes/workgroup (compile time only)
; SGPRBlocks: 0
; VGPRBlocks: 0
; NumSGPRsForWavesPerEU: 1
; NumVGPRsForWavesPerEU: 1
; Occupancy: 16
; WaveLimiterHint : 0
; COMPUTE_PGM_RSRC2:SCRATCH_EN: 0
; COMPUTE_PGM_RSRC2:USER_SGPR: 6
; COMPUTE_PGM_RSRC2:TRAP_HANDLER: 0
; COMPUTE_PGM_RSRC2:TGID_X_EN: 1
; COMPUTE_PGM_RSRC2:TGID_Y_EN: 0
; COMPUTE_PGM_RSRC2:TGID_Z_EN: 0
; COMPUTE_PGM_RSRC2:TIDIG_COMP_CNT: 0
	.section	.text._ZN7rocprim17ROCPRIM_400000_NS6detail17trampoline_kernelINS0_14default_configENS1_20scan_config_selectorIN3c104HalfEEEZZNS1_9scan_implILNS1_25lookback_scan_determinismE0ELb0ELb0ES3_PKS6_PS6_S6_ZZZN2at6native31launch_logcumsumexp_cuda_kernelERKNSD_10TensorBaseESH_lENKUlvE_clEvENKUlvE3_clEvEUlS6_S6_E_S6_EEDaPvRmT3_T4_T5_mT6_P12ihipStream_tbENKUlT_T0_E_clISt17integral_constantIbLb1EESY_EEDaST_SU_EUlST_E_NS1_11comp_targetILNS1_3genE9ELNS1_11target_archE1100ELNS1_3gpuE3ELNS1_3repE0EEENS1_30default_config_static_selectorELNS0_4arch9wavefront6targetE0EEEvT1_,"axG",@progbits,_ZN7rocprim17ROCPRIM_400000_NS6detail17trampoline_kernelINS0_14default_configENS1_20scan_config_selectorIN3c104HalfEEEZZNS1_9scan_implILNS1_25lookback_scan_determinismE0ELb0ELb0ES3_PKS6_PS6_S6_ZZZN2at6native31launch_logcumsumexp_cuda_kernelERKNSD_10TensorBaseESH_lENKUlvE_clEvENKUlvE3_clEvEUlS6_S6_E_S6_EEDaPvRmT3_T4_T5_mT6_P12ihipStream_tbENKUlT_T0_E_clISt17integral_constantIbLb1EESY_EEDaST_SU_EUlST_E_NS1_11comp_targetILNS1_3genE9ELNS1_11target_archE1100ELNS1_3gpuE3ELNS1_3repE0EEENS1_30default_config_static_selectorELNS0_4arch9wavefront6targetE0EEEvT1_,comdat
	.globl	_ZN7rocprim17ROCPRIM_400000_NS6detail17trampoline_kernelINS0_14default_configENS1_20scan_config_selectorIN3c104HalfEEEZZNS1_9scan_implILNS1_25lookback_scan_determinismE0ELb0ELb0ES3_PKS6_PS6_S6_ZZZN2at6native31launch_logcumsumexp_cuda_kernelERKNSD_10TensorBaseESH_lENKUlvE_clEvENKUlvE3_clEvEUlS6_S6_E_S6_EEDaPvRmT3_T4_T5_mT6_P12ihipStream_tbENKUlT_T0_E_clISt17integral_constantIbLb1EESY_EEDaST_SU_EUlST_E_NS1_11comp_targetILNS1_3genE9ELNS1_11target_archE1100ELNS1_3gpuE3ELNS1_3repE0EEENS1_30default_config_static_selectorELNS0_4arch9wavefront6targetE0EEEvT1_ ; -- Begin function _ZN7rocprim17ROCPRIM_400000_NS6detail17trampoline_kernelINS0_14default_configENS1_20scan_config_selectorIN3c104HalfEEEZZNS1_9scan_implILNS1_25lookback_scan_determinismE0ELb0ELb0ES3_PKS6_PS6_S6_ZZZN2at6native31launch_logcumsumexp_cuda_kernelERKNSD_10TensorBaseESH_lENKUlvE_clEvENKUlvE3_clEvEUlS6_S6_E_S6_EEDaPvRmT3_T4_T5_mT6_P12ihipStream_tbENKUlT_T0_E_clISt17integral_constantIbLb1EESY_EEDaST_SU_EUlST_E_NS1_11comp_targetILNS1_3genE9ELNS1_11target_archE1100ELNS1_3gpuE3ELNS1_3repE0EEENS1_30default_config_static_selectorELNS0_4arch9wavefront6targetE0EEEvT1_
	.p2align	8
	.type	_ZN7rocprim17ROCPRIM_400000_NS6detail17trampoline_kernelINS0_14default_configENS1_20scan_config_selectorIN3c104HalfEEEZZNS1_9scan_implILNS1_25lookback_scan_determinismE0ELb0ELb0ES3_PKS6_PS6_S6_ZZZN2at6native31launch_logcumsumexp_cuda_kernelERKNSD_10TensorBaseESH_lENKUlvE_clEvENKUlvE3_clEvEUlS6_S6_E_S6_EEDaPvRmT3_T4_T5_mT6_P12ihipStream_tbENKUlT_T0_E_clISt17integral_constantIbLb1EESY_EEDaST_SU_EUlST_E_NS1_11comp_targetILNS1_3genE9ELNS1_11target_archE1100ELNS1_3gpuE3ELNS1_3repE0EEENS1_30default_config_static_selectorELNS0_4arch9wavefront6targetE0EEEvT1_,@function
_ZN7rocprim17ROCPRIM_400000_NS6detail17trampoline_kernelINS0_14default_configENS1_20scan_config_selectorIN3c104HalfEEEZZNS1_9scan_implILNS1_25lookback_scan_determinismE0ELb0ELb0ES3_PKS6_PS6_S6_ZZZN2at6native31launch_logcumsumexp_cuda_kernelERKNSD_10TensorBaseESH_lENKUlvE_clEvENKUlvE3_clEvEUlS6_S6_E_S6_EEDaPvRmT3_T4_T5_mT6_P12ihipStream_tbENKUlT_T0_E_clISt17integral_constantIbLb1EESY_EEDaST_SU_EUlST_E_NS1_11comp_targetILNS1_3genE9ELNS1_11target_archE1100ELNS1_3gpuE3ELNS1_3repE0EEENS1_30default_config_static_selectorELNS0_4arch9wavefront6targetE0EEEvT1_: ; @_ZN7rocprim17ROCPRIM_400000_NS6detail17trampoline_kernelINS0_14default_configENS1_20scan_config_selectorIN3c104HalfEEEZZNS1_9scan_implILNS1_25lookback_scan_determinismE0ELb0ELb0ES3_PKS6_PS6_S6_ZZZN2at6native31launch_logcumsumexp_cuda_kernelERKNSD_10TensorBaseESH_lENKUlvE_clEvENKUlvE3_clEvEUlS6_S6_E_S6_EEDaPvRmT3_T4_T5_mT6_P12ihipStream_tbENKUlT_T0_E_clISt17integral_constantIbLb1EESY_EEDaST_SU_EUlST_E_NS1_11comp_targetILNS1_3genE9ELNS1_11target_archE1100ELNS1_3gpuE3ELNS1_3repE0EEENS1_30default_config_static_selectorELNS0_4arch9wavefront6targetE0EEEvT1_
; %bb.0:
	.section	.rodata,"a",@progbits
	.p2align	6, 0x0
	.amdhsa_kernel _ZN7rocprim17ROCPRIM_400000_NS6detail17trampoline_kernelINS0_14default_configENS1_20scan_config_selectorIN3c104HalfEEEZZNS1_9scan_implILNS1_25lookback_scan_determinismE0ELb0ELb0ES3_PKS6_PS6_S6_ZZZN2at6native31launch_logcumsumexp_cuda_kernelERKNSD_10TensorBaseESH_lENKUlvE_clEvENKUlvE3_clEvEUlS6_S6_E_S6_EEDaPvRmT3_T4_T5_mT6_P12ihipStream_tbENKUlT_T0_E_clISt17integral_constantIbLb1EESY_EEDaST_SU_EUlST_E_NS1_11comp_targetILNS1_3genE9ELNS1_11target_archE1100ELNS1_3gpuE3ELNS1_3repE0EEENS1_30default_config_static_selectorELNS0_4arch9wavefront6targetE0EEEvT1_
		.amdhsa_group_segment_fixed_size 0
		.amdhsa_private_segment_fixed_size 0
		.amdhsa_kernarg_size 96
		.amdhsa_user_sgpr_count 6
		.amdhsa_user_sgpr_private_segment_buffer 1
		.amdhsa_user_sgpr_dispatch_ptr 0
		.amdhsa_user_sgpr_queue_ptr 0
		.amdhsa_user_sgpr_kernarg_segment_ptr 1
		.amdhsa_user_sgpr_dispatch_id 0
		.amdhsa_user_sgpr_flat_scratch_init 0
		.amdhsa_user_sgpr_private_segment_size 0
		.amdhsa_wavefront_size32 1
		.amdhsa_uses_dynamic_stack 0
		.amdhsa_system_sgpr_private_segment_wavefront_offset 0
		.amdhsa_system_sgpr_workgroup_id_x 1
		.amdhsa_system_sgpr_workgroup_id_y 0
		.amdhsa_system_sgpr_workgroup_id_z 0
		.amdhsa_system_sgpr_workgroup_info 0
		.amdhsa_system_vgpr_workitem_id 0
		.amdhsa_next_free_vgpr 1
		.amdhsa_next_free_sgpr 1
		.amdhsa_reserve_vcc 0
		.amdhsa_reserve_flat_scratch 0
		.amdhsa_float_round_mode_32 0
		.amdhsa_float_round_mode_16_64 0
		.amdhsa_float_denorm_mode_32 3
		.amdhsa_float_denorm_mode_16_64 3
		.amdhsa_dx10_clamp 1
		.amdhsa_ieee_mode 1
		.amdhsa_fp16_overflow 0
		.amdhsa_workgroup_processor_mode 1
		.amdhsa_memory_ordered 1
		.amdhsa_forward_progress 1
		.amdhsa_shared_vgpr_count 0
		.amdhsa_exception_fp_ieee_invalid_op 0
		.amdhsa_exception_fp_denorm_src 0
		.amdhsa_exception_fp_ieee_div_zero 0
		.amdhsa_exception_fp_ieee_overflow 0
		.amdhsa_exception_fp_ieee_underflow 0
		.amdhsa_exception_fp_ieee_inexact 0
		.amdhsa_exception_int_div_zero 0
	.end_amdhsa_kernel
	.section	.text._ZN7rocprim17ROCPRIM_400000_NS6detail17trampoline_kernelINS0_14default_configENS1_20scan_config_selectorIN3c104HalfEEEZZNS1_9scan_implILNS1_25lookback_scan_determinismE0ELb0ELb0ES3_PKS6_PS6_S6_ZZZN2at6native31launch_logcumsumexp_cuda_kernelERKNSD_10TensorBaseESH_lENKUlvE_clEvENKUlvE3_clEvEUlS6_S6_E_S6_EEDaPvRmT3_T4_T5_mT6_P12ihipStream_tbENKUlT_T0_E_clISt17integral_constantIbLb1EESY_EEDaST_SU_EUlST_E_NS1_11comp_targetILNS1_3genE9ELNS1_11target_archE1100ELNS1_3gpuE3ELNS1_3repE0EEENS1_30default_config_static_selectorELNS0_4arch9wavefront6targetE0EEEvT1_,"axG",@progbits,_ZN7rocprim17ROCPRIM_400000_NS6detail17trampoline_kernelINS0_14default_configENS1_20scan_config_selectorIN3c104HalfEEEZZNS1_9scan_implILNS1_25lookback_scan_determinismE0ELb0ELb0ES3_PKS6_PS6_S6_ZZZN2at6native31launch_logcumsumexp_cuda_kernelERKNSD_10TensorBaseESH_lENKUlvE_clEvENKUlvE3_clEvEUlS6_S6_E_S6_EEDaPvRmT3_T4_T5_mT6_P12ihipStream_tbENKUlT_T0_E_clISt17integral_constantIbLb1EESY_EEDaST_SU_EUlST_E_NS1_11comp_targetILNS1_3genE9ELNS1_11target_archE1100ELNS1_3gpuE3ELNS1_3repE0EEENS1_30default_config_static_selectorELNS0_4arch9wavefront6targetE0EEEvT1_,comdat
.Lfunc_end385:
	.size	_ZN7rocprim17ROCPRIM_400000_NS6detail17trampoline_kernelINS0_14default_configENS1_20scan_config_selectorIN3c104HalfEEEZZNS1_9scan_implILNS1_25lookback_scan_determinismE0ELb0ELb0ES3_PKS6_PS6_S6_ZZZN2at6native31launch_logcumsumexp_cuda_kernelERKNSD_10TensorBaseESH_lENKUlvE_clEvENKUlvE3_clEvEUlS6_S6_E_S6_EEDaPvRmT3_T4_T5_mT6_P12ihipStream_tbENKUlT_T0_E_clISt17integral_constantIbLb1EESY_EEDaST_SU_EUlST_E_NS1_11comp_targetILNS1_3genE9ELNS1_11target_archE1100ELNS1_3gpuE3ELNS1_3repE0EEENS1_30default_config_static_selectorELNS0_4arch9wavefront6targetE0EEEvT1_, .Lfunc_end385-_ZN7rocprim17ROCPRIM_400000_NS6detail17trampoline_kernelINS0_14default_configENS1_20scan_config_selectorIN3c104HalfEEEZZNS1_9scan_implILNS1_25lookback_scan_determinismE0ELb0ELb0ES3_PKS6_PS6_S6_ZZZN2at6native31launch_logcumsumexp_cuda_kernelERKNSD_10TensorBaseESH_lENKUlvE_clEvENKUlvE3_clEvEUlS6_S6_E_S6_EEDaPvRmT3_T4_T5_mT6_P12ihipStream_tbENKUlT_T0_E_clISt17integral_constantIbLb1EESY_EEDaST_SU_EUlST_E_NS1_11comp_targetILNS1_3genE9ELNS1_11target_archE1100ELNS1_3gpuE3ELNS1_3repE0EEENS1_30default_config_static_selectorELNS0_4arch9wavefront6targetE0EEEvT1_
                                        ; -- End function
	.set _ZN7rocprim17ROCPRIM_400000_NS6detail17trampoline_kernelINS0_14default_configENS1_20scan_config_selectorIN3c104HalfEEEZZNS1_9scan_implILNS1_25lookback_scan_determinismE0ELb0ELb0ES3_PKS6_PS6_S6_ZZZN2at6native31launch_logcumsumexp_cuda_kernelERKNSD_10TensorBaseESH_lENKUlvE_clEvENKUlvE3_clEvEUlS6_S6_E_S6_EEDaPvRmT3_T4_T5_mT6_P12ihipStream_tbENKUlT_T0_E_clISt17integral_constantIbLb1EESY_EEDaST_SU_EUlST_E_NS1_11comp_targetILNS1_3genE9ELNS1_11target_archE1100ELNS1_3gpuE3ELNS1_3repE0EEENS1_30default_config_static_selectorELNS0_4arch9wavefront6targetE0EEEvT1_.num_vgpr, 0
	.set _ZN7rocprim17ROCPRIM_400000_NS6detail17trampoline_kernelINS0_14default_configENS1_20scan_config_selectorIN3c104HalfEEEZZNS1_9scan_implILNS1_25lookback_scan_determinismE0ELb0ELb0ES3_PKS6_PS6_S6_ZZZN2at6native31launch_logcumsumexp_cuda_kernelERKNSD_10TensorBaseESH_lENKUlvE_clEvENKUlvE3_clEvEUlS6_S6_E_S6_EEDaPvRmT3_T4_T5_mT6_P12ihipStream_tbENKUlT_T0_E_clISt17integral_constantIbLb1EESY_EEDaST_SU_EUlST_E_NS1_11comp_targetILNS1_3genE9ELNS1_11target_archE1100ELNS1_3gpuE3ELNS1_3repE0EEENS1_30default_config_static_selectorELNS0_4arch9wavefront6targetE0EEEvT1_.num_agpr, 0
	.set _ZN7rocprim17ROCPRIM_400000_NS6detail17trampoline_kernelINS0_14default_configENS1_20scan_config_selectorIN3c104HalfEEEZZNS1_9scan_implILNS1_25lookback_scan_determinismE0ELb0ELb0ES3_PKS6_PS6_S6_ZZZN2at6native31launch_logcumsumexp_cuda_kernelERKNSD_10TensorBaseESH_lENKUlvE_clEvENKUlvE3_clEvEUlS6_S6_E_S6_EEDaPvRmT3_T4_T5_mT6_P12ihipStream_tbENKUlT_T0_E_clISt17integral_constantIbLb1EESY_EEDaST_SU_EUlST_E_NS1_11comp_targetILNS1_3genE9ELNS1_11target_archE1100ELNS1_3gpuE3ELNS1_3repE0EEENS1_30default_config_static_selectorELNS0_4arch9wavefront6targetE0EEEvT1_.numbered_sgpr, 0
	.set _ZN7rocprim17ROCPRIM_400000_NS6detail17trampoline_kernelINS0_14default_configENS1_20scan_config_selectorIN3c104HalfEEEZZNS1_9scan_implILNS1_25lookback_scan_determinismE0ELb0ELb0ES3_PKS6_PS6_S6_ZZZN2at6native31launch_logcumsumexp_cuda_kernelERKNSD_10TensorBaseESH_lENKUlvE_clEvENKUlvE3_clEvEUlS6_S6_E_S6_EEDaPvRmT3_T4_T5_mT6_P12ihipStream_tbENKUlT_T0_E_clISt17integral_constantIbLb1EESY_EEDaST_SU_EUlST_E_NS1_11comp_targetILNS1_3genE9ELNS1_11target_archE1100ELNS1_3gpuE3ELNS1_3repE0EEENS1_30default_config_static_selectorELNS0_4arch9wavefront6targetE0EEEvT1_.num_named_barrier, 0
	.set _ZN7rocprim17ROCPRIM_400000_NS6detail17trampoline_kernelINS0_14default_configENS1_20scan_config_selectorIN3c104HalfEEEZZNS1_9scan_implILNS1_25lookback_scan_determinismE0ELb0ELb0ES3_PKS6_PS6_S6_ZZZN2at6native31launch_logcumsumexp_cuda_kernelERKNSD_10TensorBaseESH_lENKUlvE_clEvENKUlvE3_clEvEUlS6_S6_E_S6_EEDaPvRmT3_T4_T5_mT6_P12ihipStream_tbENKUlT_T0_E_clISt17integral_constantIbLb1EESY_EEDaST_SU_EUlST_E_NS1_11comp_targetILNS1_3genE9ELNS1_11target_archE1100ELNS1_3gpuE3ELNS1_3repE0EEENS1_30default_config_static_selectorELNS0_4arch9wavefront6targetE0EEEvT1_.private_seg_size, 0
	.set _ZN7rocprim17ROCPRIM_400000_NS6detail17trampoline_kernelINS0_14default_configENS1_20scan_config_selectorIN3c104HalfEEEZZNS1_9scan_implILNS1_25lookback_scan_determinismE0ELb0ELb0ES3_PKS6_PS6_S6_ZZZN2at6native31launch_logcumsumexp_cuda_kernelERKNSD_10TensorBaseESH_lENKUlvE_clEvENKUlvE3_clEvEUlS6_S6_E_S6_EEDaPvRmT3_T4_T5_mT6_P12ihipStream_tbENKUlT_T0_E_clISt17integral_constantIbLb1EESY_EEDaST_SU_EUlST_E_NS1_11comp_targetILNS1_3genE9ELNS1_11target_archE1100ELNS1_3gpuE3ELNS1_3repE0EEENS1_30default_config_static_selectorELNS0_4arch9wavefront6targetE0EEEvT1_.uses_vcc, 0
	.set _ZN7rocprim17ROCPRIM_400000_NS6detail17trampoline_kernelINS0_14default_configENS1_20scan_config_selectorIN3c104HalfEEEZZNS1_9scan_implILNS1_25lookback_scan_determinismE0ELb0ELb0ES3_PKS6_PS6_S6_ZZZN2at6native31launch_logcumsumexp_cuda_kernelERKNSD_10TensorBaseESH_lENKUlvE_clEvENKUlvE3_clEvEUlS6_S6_E_S6_EEDaPvRmT3_T4_T5_mT6_P12ihipStream_tbENKUlT_T0_E_clISt17integral_constantIbLb1EESY_EEDaST_SU_EUlST_E_NS1_11comp_targetILNS1_3genE9ELNS1_11target_archE1100ELNS1_3gpuE3ELNS1_3repE0EEENS1_30default_config_static_selectorELNS0_4arch9wavefront6targetE0EEEvT1_.uses_flat_scratch, 0
	.set _ZN7rocprim17ROCPRIM_400000_NS6detail17trampoline_kernelINS0_14default_configENS1_20scan_config_selectorIN3c104HalfEEEZZNS1_9scan_implILNS1_25lookback_scan_determinismE0ELb0ELb0ES3_PKS6_PS6_S6_ZZZN2at6native31launch_logcumsumexp_cuda_kernelERKNSD_10TensorBaseESH_lENKUlvE_clEvENKUlvE3_clEvEUlS6_S6_E_S6_EEDaPvRmT3_T4_T5_mT6_P12ihipStream_tbENKUlT_T0_E_clISt17integral_constantIbLb1EESY_EEDaST_SU_EUlST_E_NS1_11comp_targetILNS1_3genE9ELNS1_11target_archE1100ELNS1_3gpuE3ELNS1_3repE0EEENS1_30default_config_static_selectorELNS0_4arch9wavefront6targetE0EEEvT1_.has_dyn_sized_stack, 0
	.set _ZN7rocprim17ROCPRIM_400000_NS6detail17trampoline_kernelINS0_14default_configENS1_20scan_config_selectorIN3c104HalfEEEZZNS1_9scan_implILNS1_25lookback_scan_determinismE0ELb0ELb0ES3_PKS6_PS6_S6_ZZZN2at6native31launch_logcumsumexp_cuda_kernelERKNSD_10TensorBaseESH_lENKUlvE_clEvENKUlvE3_clEvEUlS6_S6_E_S6_EEDaPvRmT3_T4_T5_mT6_P12ihipStream_tbENKUlT_T0_E_clISt17integral_constantIbLb1EESY_EEDaST_SU_EUlST_E_NS1_11comp_targetILNS1_3genE9ELNS1_11target_archE1100ELNS1_3gpuE3ELNS1_3repE0EEENS1_30default_config_static_selectorELNS0_4arch9wavefront6targetE0EEEvT1_.has_recursion, 0
	.set _ZN7rocprim17ROCPRIM_400000_NS6detail17trampoline_kernelINS0_14default_configENS1_20scan_config_selectorIN3c104HalfEEEZZNS1_9scan_implILNS1_25lookback_scan_determinismE0ELb0ELb0ES3_PKS6_PS6_S6_ZZZN2at6native31launch_logcumsumexp_cuda_kernelERKNSD_10TensorBaseESH_lENKUlvE_clEvENKUlvE3_clEvEUlS6_S6_E_S6_EEDaPvRmT3_T4_T5_mT6_P12ihipStream_tbENKUlT_T0_E_clISt17integral_constantIbLb1EESY_EEDaST_SU_EUlST_E_NS1_11comp_targetILNS1_3genE9ELNS1_11target_archE1100ELNS1_3gpuE3ELNS1_3repE0EEENS1_30default_config_static_selectorELNS0_4arch9wavefront6targetE0EEEvT1_.has_indirect_call, 0
	.section	.AMDGPU.csdata,"",@progbits
; Kernel info:
; codeLenInByte = 0
; TotalNumSgprs: 0
; NumVgprs: 0
; ScratchSize: 0
; MemoryBound: 0
; FloatMode: 240
; IeeeMode: 1
; LDSByteSize: 0 bytes/workgroup (compile time only)
; SGPRBlocks: 0
; VGPRBlocks: 0
; NumSGPRsForWavesPerEU: 1
; NumVGPRsForWavesPerEU: 1
; Occupancy: 16
; WaveLimiterHint : 0
; COMPUTE_PGM_RSRC2:SCRATCH_EN: 0
; COMPUTE_PGM_RSRC2:USER_SGPR: 6
; COMPUTE_PGM_RSRC2:TRAP_HANDLER: 0
; COMPUTE_PGM_RSRC2:TGID_X_EN: 1
; COMPUTE_PGM_RSRC2:TGID_Y_EN: 0
; COMPUTE_PGM_RSRC2:TGID_Z_EN: 0
; COMPUTE_PGM_RSRC2:TIDIG_COMP_CNT: 0
	.section	.text._ZN7rocprim17ROCPRIM_400000_NS6detail17trampoline_kernelINS0_14default_configENS1_20scan_config_selectorIN3c104HalfEEEZZNS1_9scan_implILNS1_25lookback_scan_determinismE0ELb0ELb0ES3_PKS6_PS6_S6_ZZZN2at6native31launch_logcumsumexp_cuda_kernelERKNSD_10TensorBaseESH_lENKUlvE_clEvENKUlvE3_clEvEUlS6_S6_E_S6_EEDaPvRmT3_T4_T5_mT6_P12ihipStream_tbENKUlT_T0_E_clISt17integral_constantIbLb1EESY_EEDaST_SU_EUlST_E_NS1_11comp_targetILNS1_3genE8ELNS1_11target_archE1030ELNS1_3gpuE2ELNS1_3repE0EEENS1_30default_config_static_selectorELNS0_4arch9wavefront6targetE0EEEvT1_,"axG",@progbits,_ZN7rocprim17ROCPRIM_400000_NS6detail17trampoline_kernelINS0_14default_configENS1_20scan_config_selectorIN3c104HalfEEEZZNS1_9scan_implILNS1_25lookback_scan_determinismE0ELb0ELb0ES3_PKS6_PS6_S6_ZZZN2at6native31launch_logcumsumexp_cuda_kernelERKNSD_10TensorBaseESH_lENKUlvE_clEvENKUlvE3_clEvEUlS6_S6_E_S6_EEDaPvRmT3_T4_T5_mT6_P12ihipStream_tbENKUlT_T0_E_clISt17integral_constantIbLb1EESY_EEDaST_SU_EUlST_E_NS1_11comp_targetILNS1_3genE8ELNS1_11target_archE1030ELNS1_3gpuE2ELNS1_3repE0EEENS1_30default_config_static_selectorELNS0_4arch9wavefront6targetE0EEEvT1_,comdat
	.globl	_ZN7rocprim17ROCPRIM_400000_NS6detail17trampoline_kernelINS0_14default_configENS1_20scan_config_selectorIN3c104HalfEEEZZNS1_9scan_implILNS1_25lookback_scan_determinismE0ELb0ELb0ES3_PKS6_PS6_S6_ZZZN2at6native31launch_logcumsumexp_cuda_kernelERKNSD_10TensorBaseESH_lENKUlvE_clEvENKUlvE3_clEvEUlS6_S6_E_S6_EEDaPvRmT3_T4_T5_mT6_P12ihipStream_tbENKUlT_T0_E_clISt17integral_constantIbLb1EESY_EEDaST_SU_EUlST_E_NS1_11comp_targetILNS1_3genE8ELNS1_11target_archE1030ELNS1_3gpuE2ELNS1_3repE0EEENS1_30default_config_static_selectorELNS0_4arch9wavefront6targetE0EEEvT1_ ; -- Begin function _ZN7rocprim17ROCPRIM_400000_NS6detail17trampoline_kernelINS0_14default_configENS1_20scan_config_selectorIN3c104HalfEEEZZNS1_9scan_implILNS1_25lookback_scan_determinismE0ELb0ELb0ES3_PKS6_PS6_S6_ZZZN2at6native31launch_logcumsumexp_cuda_kernelERKNSD_10TensorBaseESH_lENKUlvE_clEvENKUlvE3_clEvEUlS6_S6_E_S6_EEDaPvRmT3_T4_T5_mT6_P12ihipStream_tbENKUlT_T0_E_clISt17integral_constantIbLb1EESY_EEDaST_SU_EUlST_E_NS1_11comp_targetILNS1_3genE8ELNS1_11target_archE1030ELNS1_3gpuE2ELNS1_3repE0EEENS1_30default_config_static_selectorELNS0_4arch9wavefront6targetE0EEEvT1_
	.p2align	8
	.type	_ZN7rocprim17ROCPRIM_400000_NS6detail17trampoline_kernelINS0_14default_configENS1_20scan_config_selectorIN3c104HalfEEEZZNS1_9scan_implILNS1_25lookback_scan_determinismE0ELb0ELb0ES3_PKS6_PS6_S6_ZZZN2at6native31launch_logcumsumexp_cuda_kernelERKNSD_10TensorBaseESH_lENKUlvE_clEvENKUlvE3_clEvEUlS6_S6_E_S6_EEDaPvRmT3_T4_T5_mT6_P12ihipStream_tbENKUlT_T0_E_clISt17integral_constantIbLb1EESY_EEDaST_SU_EUlST_E_NS1_11comp_targetILNS1_3genE8ELNS1_11target_archE1030ELNS1_3gpuE2ELNS1_3repE0EEENS1_30default_config_static_selectorELNS0_4arch9wavefront6targetE0EEEvT1_,@function
_ZN7rocprim17ROCPRIM_400000_NS6detail17trampoline_kernelINS0_14default_configENS1_20scan_config_selectorIN3c104HalfEEEZZNS1_9scan_implILNS1_25lookback_scan_determinismE0ELb0ELb0ES3_PKS6_PS6_S6_ZZZN2at6native31launch_logcumsumexp_cuda_kernelERKNSD_10TensorBaseESH_lENKUlvE_clEvENKUlvE3_clEvEUlS6_S6_E_S6_EEDaPvRmT3_T4_T5_mT6_P12ihipStream_tbENKUlT_T0_E_clISt17integral_constantIbLb1EESY_EEDaST_SU_EUlST_E_NS1_11comp_targetILNS1_3genE8ELNS1_11target_archE1030ELNS1_3gpuE2ELNS1_3repE0EEENS1_30default_config_static_selectorELNS0_4arch9wavefront6targetE0EEEvT1_: ; @_ZN7rocprim17ROCPRIM_400000_NS6detail17trampoline_kernelINS0_14default_configENS1_20scan_config_selectorIN3c104HalfEEEZZNS1_9scan_implILNS1_25lookback_scan_determinismE0ELb0ELb0ES3_PKS6_PS6_S6_ZZZN2at6native31launch_logcumsumexp_cuda_kernelERKNSD_10TensorBaseESH_lENKUlvE_clEvENKUlvE3_clEvEUlS6_S6_E_S6_EEDaPvRmT3_T4_T5_mT6_P12ihipStream_tbENKUlT_T0_E_clISt17integral_constantIbLb1EESY_EEDaST_SU_EUlST_E_NS1_11comp_targetILNS1_3genE8ELNS1_11target_archE1030ELNS1_3gpuE2ELNS1_3repE0EEENS1_30default_config_static_selectorELNS0_4arch9wavefront6targetE0EEEvT1_
; %bb.0:
	s_endpgm
	.section	.rodata,"a",@progbits
	.p2align	6, 0x0
	.amdhsa_kernel _ZN7rocprim17ROCPRIM_400000_NS6detail17trampoline_kernelINS0_14default_configENS1_20scan_config_selectorIN3c104HalfEEEZZNS1_9scan_implILNS1_25lookback_scan_determinismE0ELb0ELb0ES3_PKS6_PS6_S6_ZZZN2at6native31launch_logcumsumexp_cuda_kernelERKNSD_10TensorBaseESH_lENKUlvE_clEvENKUlvE3_clEvEUlS6_S6_E_S6_EEDaPvRmT3_T4_T5_mT6_P12ihipStream_tbENKUlT_T0_E_clISt17integral_constantIbLb1EESY_EEDaST_SU_EUlST_E_NS1_11comp_targetILNS1_3genE8ELNS1_11target_archE1030ELNS1_3gpuE2ELNS1_3repE0EEENS1_30default_config_static_selectorELNS0_4arch9wavefront6targetE0EEEvT1_
		.amdhsa_group_segment_fixed_size 0
		.amdhsa_private_segment_fixed_size 0
		.amdhsa_kernarg_size 96
		.amdhsa_user_sgpr_count 6
		.amdhsa_user_sgpr_private_segment_buffer 1
		.amdhsa_user_sgpr_dispatch_ptr 0
		.amdhsa_user_sgpr_queue_ptr 0
		.amdhsa_user_sgpr_kernarg_segment_ptr 1
		.amdhsa_user_sgpr_dispatch_id 0
		.amdhsa_user_sgpr_flat_scratch_init 0
		.amdhsa_user_sgpr_private_segment_size 0
		.amdhsa_wavefront_size32 1
		.amdhsa_uses_dynamic_stack 0
		.amdhsa_system_sgpr_private_segment_wavefront_offset 0
		.amdhsa_system_sgpr_workgroup_id_x 1
		.amdhsa_system_sgpr_workgroup_id_y 0
		.amdhsa_system_sgpr_workgroup_id_z 0
		.amdhsa_system_sgpr_workgroup_info 0
		.amdhsa_system_vgpr_workitem_id 0
		.amdhsa_next_free_vgpr 1
		.amdhsa_next_free_sgpr 1
		.amdhsa_reserve_vcc 0
		.amdhsa_reserve_flat_scratch 0
		.amdhsa_float_round_mode_32 0
		.amdhsa_float_round_mode_16_64 0
		.amdhsa_float_denorm_mode_32 3
		.amdhsa_float_denorm_mode_16_64 3
		.amdhsa_dx10_clamp 1
		.amdhsa_ieee_mode 1
		.amdhsa_fp16_overflow 0
		.amdhsa_workgroup_processor_mode 1
		.amdhsa_memory_ordered 1
		.amdhsa_forward_progress 1
		.amdhsa_shared_vgpr_count 0
		.amdhsa_exception_fp_ieee_invalid_op 0
		.amdhsa_exception_fp_denorm_src 0
		.amdhsa_exception_fp_ieee_div_zero 0
		.amdhsa_exception_fp_ieee_overflow 0
		.amdhsa_exception_fp_ieee_underflow 0
		.amdhsa_exception_fp_ieee_inexact 0
		.amdhsa_exception_int_div_zero 0
	.end_amdhsa_kernel
	.section	.text._ZN7rocprim17ROCPRIM_400000_NS6detail17trampoline_kernelINS0_14default_configENS1_20scan_config_selectorIN3c104HalfEEEZZNS1_9scan_implILNS1_25lookback_scan_determinismE0ELb0ELb0ES3_PKS6_PS6_S6_ZZZN2at6native31launch_logcumsumexp_cuda_kernelERKNSD_10TensorBaseESH_lENKUlvE_clEvENKUlvE3_clEvEUlS6_S6_E_S6_EEDaPvRmT3_T4_T5_mT6_P12ihipStream_tbENKUlT_T0_E_clISt17integral_constantIbLb1EESY_EEDaST_SU_EUlST_E_NS1_11comp_targetILNS1_3genE8ELNS1_11target_archE1030ELNS1_3gpuE2ELNS1_3repE0EEENS1_30default_config_static_selectorELNS0_4arch9wavefront6targetE0EEEvT1_,"axG",@progbits,_ZN7rocprim17ROCPRIM_400000_NS6detail17trampoline_kernelINS0_14default_configENS1_20scan_config_selectorIN3c104HalfEEEZZNS1_9scan_implILNS1_25lookback_scan_determinismE0ELb0ELb0ES3_PKS6_PS6_S6_ZZZN2at6native31launch_logcumsumexp_cuda_kernelERKNSD_10TensorBaseESH_lENKUlvE_clEvENKUlvE3_clEvEUlS6_S6_E_S6_EEDaPvRmT3_T4_T5_mT6_P12ihipStream_tbENKUlT_T0_E_clISt17integral_constantIbLb1EESY_EEDaST_SU_EUlST_E_NS1_11comp_targetILNS1_3genE8ELNS1_11target_archE1030ELNS1_3gpuE2ELNS1_3repE0EEENS1_30default_config_static_selectorELNS0_4arch9wavefront6targetE0EEEvT1_,comdat
.Lfunc_end386:
	.size	_ZN7rocprim17ROCPRIM_400000_NS6detail17trampoline_kernelINS0_14default_configENS1_20scan_config_selectorIN3c104HalfEEEZZNS1_9scan_implILNS1_25lookback_scan_determinismE0ELb0ELb0ES3_PKS6_PS6_S6_ZZZN2at6native31launch_logcumsumexp_cuda_kernelERKNSD_10TensorBaseESH_lENKUlvE_clEvENKUlvE3_clEvEUlS6_S6_E_S6_EEDaPvRmT3_T4_T5_mT6_P12ihipStream_tbENKUlT_T0_E_clISt17integral_constantIbLb1EESY_EEDaST_SU_EUlST_E_NS1_11comp_targetILNS1_3genE8ELNS1_11target_archE1030ELNS1_3gpuE2ELNS1_3repE0EEENS1_30default_config_static_selectorELNS0_4arch9wavefront6targetE0EEEvT1_, .Lfunc_end386-_ZN7rocprim17ROCPRIM_400000_NS6detail17trampoline_kernelINS0_14default_configENS1_20scan_config_selectorIN3c104HalfEEEZZNS1_9scan_implILNS1_25lookback_scan_determinismE0ELb0ELb0ES3_PKS6_PS6_S6_ZZZN2at6native31launch_logcumsumexp_cuda_kernelERKNSD_10TensorBaseESH_lENKUlvE_clEvENKUlvE3_clEvEUlS6_S6_E_S6_EEDaPvRmT3_T4_T5_mT6_P12ihipStream_tbENKUlT_T0_E_clISt17integral_constantIbLb1EESY_EEDaST_SU_EUlST_E_NS1_11comp_targetILNS1_3genE8ELNS1_11target_archE1030ELNS1_3gpuE2ELNS1_3repE0EEENS1_30default_config_static_selectorELNS0_4arch9wavefront6targetE0EEEvT1_
                                        ; -- End function
	.set _ZN7rocprim17ROCPRIM_400000_NS6detail17trampoline_kernelINS0_14default_configENS1_20scan_config_selectorIN3c104HalfEEEZZNS1_9scan_implILNS1_25lookback_scan_determinismE0ELb0ELb0ES3_PKS6_PS6_S6_ZZZN2at6native31launch_logcumsumexp_cuda_kernelERKNSD_10TensorBaseESH_lENKUlvE_clEvENKUlvE3_clEvEUlS6_S6_E_S6_EEDaPvRmT3_T4_T5_mT6_P12ihipStream_tbENKUlT_T0_E_clISt17integral_constantIbLb1EESY_EEDaST_SU_EUlST_E_NS1_11comp_targetILNS1_3genE8ELNS1_11target_archE1030ELNS1_3gpuE2ELNS1_3repE0EEENS1_30default_config_static_selectorELNS0_4arch9wavefront6targetE0EEEvT1_.num_vgpr, 0
	.set _ZN7rocprim17ROCPRIM_400000_NS6detail17trampoline_kernelINS0_14default_configENS1_20scan_config_selectorIN3c104HalfEEEZZNS1_9scan_implILNS1_25lookback_scan_determinismE0ELb0ELb0ES3_PKS6_PS6_S6_ZZZN2at6native31launch_logcumsumexp_cuda_kernelERKNSD_10TensorBaseESH_lENKUlvE_clEvENKUlvE3_clEvEUlS6_S6_E_S6_EEDaPvRmT3_T4_T5_mT6_P12ihipStream_tbENKUlT_T0_E_clISt17integral_constantIbLb1EESY_EEDaST_SU_EUlST_E_NS1_11comp_targetILNS1_3genE8ELNS1_11target_archE1030ELNS1_3gpuE2ELNS1_3repE0EEENS1_30default_config_static_selectorELNS0_4arch9wavefront6targetE0EEEvT1_.num_agpr, 0
	.set _ZN7rocprim17ROCPRIM_400000_NS6detail17trampoline_kernelINS0_14default_configENS1_20scan_config_selectorIN3c104HalfEEEZZNS1_9scan_implILNS1_25lookback_scan_determinismE0ELb0ELb0ES3_PKS6_PS6_S6_ZZZN2at6native31launch_logcumsumexp_cuda_kernelERKNSD_10TensorBaseESH_lENKUlvE_clEvENKUlvE3_clEvEUlS6_S6_E_S6_EEDaPvRmT3_T4_T5_mT6_P12ihipStream_tbENKUlT_T0_E_clISt17integral_constantIbLb1EESY_EEDaST_SU_EUlST_E_NS1_11comp_targetILNS1_3genE8ELNS1_11target_archE1030ELNS1_3gpuE2ELNS1_3repE0EEENS1_30default_config_static_selectorELNS0_4arch9wavefront6targetE0EEEvT1_.numbered_sgpr, 0
	.set _ZN7rocprim17ROCPRIM_400000_NS6detail17trampoline_kernelINS0_14default_configENS1_20scan_config_selectorIN3c104HalfEEEZZNS1_9scan_implILNS1_25lookback_scan_determinismE0ELb0ELb0ES3_PKS6_PS6_S6_ZZZN2at6native31launch_logcumsumexp_cuda_kernelERKNSD_10TensorBaseESH_lENKUlvE_clEvENKUlvE3_clEvEUlS6_S6_E_S6_EEDaPvRmT3_T4_T5_mT6_P12ihipStream_tbENKUlT_T0_E_clISt17integral_constantIbLb1EESY_EEDaST_SU_EUlST_E_NS1_11comp_targetILNS1_3genE8ELNS1_11target_archE1030ELNS1_3gpuE2ELNS1_3repE0EEENS1_30default_config_static_selectorELNS0_4arch9wavefront6targetE0EEEvT1_.num_named_barrier, 0
	.set _ZN7rocprim17ROCPRIM_400000_NS6detail17trampoline_kernelINS0_14default_configENS1_20scan_config_selectorIN3c104HalfEEEZZNS1_9scan_implILNS1_25lookback_scan_determinismE0ELb0ELb0ES3_PKS6_PS6_S6_ZZZN2at6native31launch_logcumsumexp_cuda_kernelERKNSD_10TensorBaseESH_lENKUlvE_clEvENKUlvE3_clEvEUlS6_S6_E_S6_EEDaPvRmT3_T4_T5_mT6_P12ihipStream_tbENKUlT_T0_E_clISt17integral_constantIbLb1EESY_EEDaST_SU_EUlST_E_NS1_11comp_targetILNS1_3genE8ELNS1_11target_archE1030ELNS1_3gpuE2ELNS1_3repE0EEENS1_30default_config_static_selectorELNS0_4arch9wavefront6targetE0EEEvT1_.private_seg_size, 0
	.set _ZN7rocprim17ROCPRIM_400000_NS6detail17trampoline_kernelINS0_14default_configENS1_20scan_config_selectorIN3c104HalfEEEZZNS1_9scan_implILNS1_25lookback_scan_determinismE0ELb0ELb0ES3_PKS6_PS6_S6_ZZZN2at6native31launch_logcumsumexp_cuda_kernelERKNSD_10TensorBaseESH_lENKUlvE_clEvENKUlvE3_clEvEUlS6_S6_E_S6_EEDaPvRmT3_T4_T5_mT6_P12ihipStream_tbENKUlT_T0_E_clISt17integral_constantIbLb1EESY_EEDaST_SU_EUlST_E_NS1_11comp_targetILNS1_3genE8ELNS1_11target_archE1030ELNS1_3gpuE2ELNS1_3repE0EEENS1_30default_config_static_selectorELNS0_4arch9wavefront6targetE0EEEvT1_.uses_vcc, 0
	.set _ZN7rocprim17ROCPRIM_400000_NS6detail17trampoline_kernelINS0_14default_configENS1_20scan_config_selectorIN3c104HalfEEEZZNS1_9scan_implILNS1_25lookback_scan_determinismE0ELb0ELb0ES3_PKS6_PS6_S6_ZZZN2at6native31launch_logcumsumexp_cuda_kernelERKNSD_10TensorBaseESH_lENKUlvE_clEvENKUlvE3_clEvEUlS6_S6_E_S6_EEDaPvRmT3_T4_T5_mT6_P12ihipStream_tbENKUlT_T0_E_clISt17integral_constantIbLb1EESY_EEDaST_SU_EUlST_E_NS1_11comp_targetILNS1_3genE8ELNS1_11target_archE1030ELNS1_3gpuE2ELNS1_3repE0EEENS1_30default_config_static_selectorELNS0_4arch9wavefront6targetE0EEEvT1_.uses_flat_scratch, 0
	.set _ZN7rocprim17ROCPRIM_400000_NS6detail17trampoline_kernelINS0_14default_configENS1_20scan_config_selectorIN3c104HalfEEEZZNS1_9scan_implILNS1_25lookback_scan_determinismE0ELb0ELb0ES3_PKS6_PS6_S6_ZZZN2at6native31launch_logcumsumexp_cuda_kernelERKNSD_10TensorBaseESH_lENKUlvE_clEvENKUlvE3_clEvEUlS6_S6_E_S6_EEDaPvRmT3_T4_T5_mT6_P12ihipStream_tbENKUlT_T0_E_clISt17integral_constantIbLb1EESY_EEDaST_SU_EUlST_E_NS1_11comp_targetILNS1_3genE8ELNS1_11target_archE1030ELNS1_3gpuE2ELNS1_3repE0EEENS1_30default_config_static_selectorELNS0_4arch9wavefront6targetE0EEEvT1_.has_dyn_sized_stack, 0
	.set _ZN7rocprim17ROCPRIM_400000_NS6detail17trampoline_kernelINS0_14default_configENS1_20scan_config_selectorIN3c104HalfEEEZZNS1_9scan_implILNS1_25lookback_scan_determinismE0ELb0ELb0ES3_PKS6_PS6_S6_ZZZN2at6native31launch_logcumsumexp_cuda_kernelERKNSD_10TensorBaseESH_lENKUlvE_clEvENKUlvE3_clEvEUlS6_S6_E_S6_EEDaPvRmT3_T4_T5_mT6_P12ihipStream_tbENKUlT_T0_E_clISt17integral_constantIbLb1EESY_EEDaST_SU_EUlST_E_NS1_11comp_targetILNS1_3genE8ELNS1_11target_archE1030ELNS1_3gpuE2ELNS1_3repE0EEENS1_30default_config_static_selectorELNS0_4arch9wavefront6targetE0EEEvT1_.has_recursion, 0
	.set _ZN7rocprim17ROCPRIM_400000_NS6detail17trampoline_kernelINS0_14default_configENS1_20scan_config_selectorIN3c104HalfEEEZZNS1_9scan_implILNS1_25lookback_scan_determinismE0ELb0ELb0ES3_PKS6_PS6_S6_ZZZN2at6native31launch_logcumsumexp_cuda_kernelERKNSD_10TensorBaseESH_lENKUlvE_clEvENKUlvE3_clEvEUlS6_S6_E_S6_EEDaPvRmT3_T4_T5_mT6_P12ihipStream_tbENKUlT_T0_E_clISt17integral_constantIbLb1EESY_EEDaST_SU_EUlST_E_NS1_11comp_targetILNS1_3genE8ELNS1_11target_archE1030ELNS1_3gpuE2ELNS1_3repE0EEENS1_30default_config_static_selectorELNS0_4arch9wavefront6targetE0EEEvT1_.has_indirect_call, 0
	.section	.AMDGPU.csdata,"",@progbits
; Kernel info:
; codeLenInByte = 4
; TotalNumSgprs: 0
; NumVgprs: 0
; ScratchSize: 0
; MemoryBound: 0
; FloatMode: 240
; IeeeMode: 1
; LDSByteSize: 0 bytes/workgroup (compile time only)
; SGPRBlocks: 0
; VGPRBlocks: 0
; NumSGPRsForWavesPerEU: 1
; NumVGPRsForWavesPerEU: 1
; Occupancy: 16
; WaveLimiterHint : 0
; COMPUTE_PGM_RSRC2:SCRATCH_EN: 0
; COMPUTE_PGM_RSRC2:USER_SGPR: 6
; COMPUTE_PGM_RSRC2:TRAP_HANDLER: 0
; COMPUTE_PGM_RSRC2:TGID_X_EN: 1
; COMPUTE_PGM_RSRC2:TGID_Y_EN: 0
; COMPUTE_PGM_RSRC2:TGID_Z_EN: 0
; COMPUTE_PGM_RSRC2:TIDIG_COMP_CNT: 0
	.section	.text._ZN7rocprim17ROCPRIM_400000_NS6detail17trampoline_kernelINS0_14default_configENS1_20scan_config_selectorIN3c104HalfEEEZZNS1_9scan_implILNS1_25lookback_scan_determinismE0ELb0ELb0ES3_PKS6_PS6_S6_ZZZN2at6native31launch_logcumsumexp_cuda_kernelERKNSD_10TensorBaseESH_lENKUlvE_clEvENKUlvE3_clEvEUlS6_S6_E_S6_EEDaPvRmT3_T4_T5_mT6_P12ihipStream_tbENKUlT_T0_E_clISt17integral_constantIbLb1EESY_EEDaST_SU_EUlST_E0_NS1_11comp_targetILNS1_3genE0ELNS1_11target_archE4294967295ELNS1_3gpuE0ELNS1_3repE0EEENS1_30default_config_static_selectorELNS0_4arch9wavefront6targetE0EEEvT1_,"axG",@progbits,_ZN7rocprim17ROCPRIM_400000_NS6detail17trampoline_kernelINS0_14default_configENS1_20scan_config_selectorIN3c104HalfEEEZZNS1_9scan_implILNS1_25lookback_scan_determinismE0ELb0ELb0ES3_PKS6_PS6_S6_ZZZN2at6native31launch_logcumsumexp_cuda_kernelERKNSD_10TensorBaseESH_lENKUlvE_clEvENKUlvE3_clEvEUlS6_S6_E_S6_EEDaPvRmT3_T4_T5_mT6_P12ihipStream_tbENKUlT_T0_E_clISt17integral_constantIbLb1EESY_EEDaST_SU_EUlST_E0_NS1_11comp_targetILNS1_3genE0ELNS1_11target_archE4294967295ELNS1_3gpuE0ELNS1_3repE0EEENS1_30default_config_static_selectorELNS0_4arch9wavefront6targetE0EEEvT1_,comdat
	.globl	_ZN7rocprim17ROCPRIM_400000_NS6detail17trampoline_kernelINS0_14default_configENS1_20scan_config_selectorIN3c104HalfEEEZZNS1_9scan_implILNS1_25lookback_scan_determinismE0ELb0ELb0ES3_PKS6_PS6_S6_ZZZN2at6native31launch_logcumsumexp_cuda_kernelERKNSD_10TensorBaseESH_lENKUlvE_clEvENKUlvE3_clEvEUlS6_S6_E_S6_EEDaPvRmT3_T4_T5_mT6_P12ihipStream_tbENKUlT_T0_E_clISt17integral_constantIbLb1EESY_EEDaST_SU_EUlST_E0_NS1_11comp_targetILNS1_3genE0ELNS1_11target_archE4294967295ELNS1_3gpuE0ELNS1_3repE0EEENS1_30default_config_static_selectorELNS0_4arch9wavefront6targetE0EEEvT1_ ; -- Begin function _ZN7rocprim17ROCPRIM_400000_NS6detail17trampoline_kernelINS0_14default_configENS1_20scan_config_selectorIN3c104HalfEEEZZNS1_9scan_implILNS1_25lookback_scan_determinismE0ELb0ELb0ES3_PKS6_PS6_S6_ZZZN2at6native31launch_logcumsumexp_cuda_kernelERKNSD_10TensorBaseESH_lENKUlvE_clEvENKUlvE3_clEvEUlS6_S6_E_S6_EEDaPvRmT3_T4_T5_mT6_P12ihipStream_tbENKUlT_T0_E_clISt17integral_constantIbLb1EESY_EEDaST_SU_EUlST_E0_NS1_11comp_targetILNS1_3genE0ELNS1_11target_archE4294967295ELNS1_3gpuE0ELNS1_3repE0EEENS1_30default_config_static_selectorELNS0_4arch9wavefront6targetE0EEEvT1_
	.p2align	8
	.type	_ZN7rocprim17ROCPRIM_400000_NS6detail17trampoline_kernelINS0_14default_configENS1_20scan_config_selectorIN3c104HalfEEEZZNS1_9scan_implILNS1_25lookback_scan_determinismE0ELb0ELb0ES3_PKS6_PS6_S6_ZZZN2at6native31launch_logcumsumexp_cuda_kernelERKNSD_10TensorBaseESH_lENKUlvE_clEvENKUlvE3_clEvEUlS6_S6_E_S6_EEDaPvRmT3_T4_T5_mT6_P12ihipStream_tbENKUlT_T0_E_clISt17integral_constantIbLb1EESY_EEDaST_SU_EUlST_E0_NS1_11comp_targetILNS1_3genE0ELNS1_11target_archE4294967295ELNS1_3gpuE0ELNS1_3repE0EEENS1_30default_config_static_selectorELNS0_4arch9wavefront6targetE0EEEvT1_,@function
_ZN7rocprim17ROCPRIM_400000_NS6detail17trampoline_kernelINS0_14default_configENS1_20scan_config_selectorIN3c104HalfEEEZZNS1_9scan_implILNS1_25lookback_scan_determinismE0ELb0ELb0ES3_PKS6_PS6_S6_ZZZN2at6native31launch_logcumsumexp_cuda_kernelERKNSD_10TensorBaseESH_lENKUlvE_clEvENKUlvE3_clEvEUlS6_S6_E_S6_EEDaPvRmT3_T4_T5_mT6_P12ihipStream_tbENKUlT_T0_E_clISt17integral_constantIbLb1EESY_EEDaST_SU_EUlST_E0_NS1_11comp_targetILNS1_3genE0ELNS1_11target_archE4294967295ELNS1_3gpuE0ELNS1_3repE0EEENS1_30default_config_static_selectorELNS0_4arch9wavefront6targetE0EEEvT1_: ; @_ZN7rocprim17ROCPRIM_400000_NS6detail17trampoline_kernelINS0_14default_configENS1_20scan_config_selectorIN3c104HalfEEEZZNS1_9scan_implILNS1_25lookback_scan_determinismE0ELb0ELb0ES3_PKS6_PS6_S6_ZZZN2at6native31launch_logcumsumexp_cuda_kernelERKNSD_10TensorBaseESH_lENKUlvE_clEvENKUlvE3_clEvEUlS6_S6_E_S6_EEDaPvRmT3_T4_T5_mT6_P12ihipStream_tbENKUlT_T0_E_clISt17integral_constantIbLb1EESY_EEDaST_SU_EUlST_E0_NS1_11comp_targetILNS1_3genE0ELNS1_11target_archE4294967295ELNS1_3gpuE0ELNS1_3repE0EEENS1_30default_config_static_selectorELNS0_4arch9wavefront6targetE0EEEvT1_
; %bb.0:
	.section	.rodata,"a",@progbits
	.p2align	6, 0x0
	.amdhsa_kernel _ZN7rocprim17ROCPRIM_400000_NS6detail17trampoline_kernelINS0_14default_configENS1_20scan_config_selectorIN3c104HalfEEEZZNS1_9scan_implILNS1_25lookback_scan_determinismE0ELb0ELb0ES3_PKS6_PS6_S6_ZZZN2at6native31launch_logcumsumexp_cuda_kernelERKNSD_10TensorBaseESH_lENKUlvE_clEvENKUlvE3_clEvEUlS6_S6_E_S6_EEDaPvRmT3_T4_T5_mT6_P12ihipStream_tbENKUlT_T0_E_clISt17integral_constantIbLb1EESY_EEDaST_SU_EUlST_E0_NS1_11comp_targetILNS1_3genE0ELNS1_11target_archE4294967295ELNS1_3gpuE0ELNS1_3repE0EEENS1_30default_config_static_selectorELNS0_4arch9wavefront6targetE0EEEvT1_
		.amdhsa_group_segment_fixed_size 0
		.amdhsa_private_segment_fixed_size 0
		.amdhsa_kernarg_size 32
		.amdhsa_user_sgpr_count 6
		.amdhsa_user_sgpr_private_segment_buffer 1
		.amdhsa_user_sgpr_dispatch_ptr 0
		.amdhsa_user_sgpr_queue_ptr 0
		.amdhsa_user_sgpr_kernarg_segment_ptr 1
		.amdhsa_user_sgpr_dispatch_id 0
		.amdhsa_user_sgpr_flat_scratch_init 0
		.amdhsa_user_sgpr_private_segment_size 0
		.amdhsa_wavefront_size32 1
		.amdhsa_uses_dynamic_stack 0
		.amdhsa_system_sgpr_private_segment_wavefront_offset 0
		.amdhsa_system_sgpr_workgroup_id_x 1
		.amdhsa_system_sgpr_workgroup_id_y 0
		.amdhsa_system_sgpr_workgroup_id_z 0
		.amdhsa_system_sgpr_workgroup_info 0
		.amdhsa_system_vgpr_workitem_id 0
		.amdhsa_next_free_vgpr 1
		.amdhsa_next_free_sgpr 1
		.amdhsa_reserve_vcc 0
		.amdhsa_reserve_flat_scratch 0
		.amdhsa_float_round_mode_32 0
		.amdhsa_float_round_mode_16_64 0
		.amdhsa_float_denorm_mode_32 3
		.amdhsa_float_denorm_mode_16_64 3
		.amdhsa_dx10_clamp 1
		.amdhsa_ieee_mode 1
		.amdhsa_fp16_overflow 0
		.amdhsa_workgroup_processor_mode 1
		.amdhsa_memory_ordered 1
		.amdhsa_forward_progress 1
		.amdhsa_shared_vgpr_count 0
		.amdhsa_exception_fp_ieee_invalid_op 0
		.amdhsa_exception_fp_denorm_src 0
		.amdhsa_exception_fp_ieee_div_zero 0
		.amdhsa_exception_fp_ieee_overflow 0
		.amdhsa_exception_fp_ieee_underflow 0
		.amdhsa_exception_fp_ieee_inexact 0
		.amdhsa_exception_int_div_zero 0
	.end_amdhsa_kernel
	.section	.text._ZN7rocprim17ROCPRIM_400000_NS6detail17trampoline_kernelINS0_14default_configENS1_20scan_config_selectorIN3c104HalfEEEZZNS1_9scan_implILNS1_25lookback_scan_determinismE0ELb0ELb0ES3_PKS6_PS6_S6_ZZZN2at6native31launch_logcumsumexp_cuda_kernelERKNSD_10TensorBaseESH_lENKUlvE_clEvENKUlvE3_clEvEUlS6_S6_E_S6_EEDaPvRmT3_T4_T5_mT6_P12ihipStream_tbENKUlT_T0_E_clISt17integral_constantIbLb1EESY_EEDaST_SU_EUlST_E0_NS1_11comp_targetILNS1_3genE0ELNS1_11target_archE4294967295ELNS1_3gpuE0ELNS1_3repE0EEENS1_30default_config_static_selectorELNS0_4arch9wavefront6targetE0EEEvT1_,"axG",@progbits,_ZN7rocprim17ROCPRIM_400000_NS6detail17trampoline_kernelINS0_14default_configENS1_20scan_config_selectorIN3c104HalfEEEZZNS1_9scan_implILNS1_25lookback_scan_determinismE0ELb0ELb0ES3_PKS6_PS6_S6_ZZZN2at6native31launch_logcumsumexp_cuda_kernelERKNSD_10TensorBaseESH_lENKUlvE_clEvENKUlvE3_clEvEUlS6_S6_E_S6_EEDaPvRmT3_T4_T5_mT6_P12ihipStream_tbENKUlT_T0_E_clISt17integral_constantIbLb1EESY_EEDaST_SU_EUlST_E0_NS1_11comp_targetILNS1_3genE0ELNS1_11target_archE4294967295ELNS1_3gpuE0ELNS1_3repE0EEENS1_30default_config_static_selectorELNS0_4arch9wavefront6targetE0EEEvT1_,comdat
.Lfunc_end387:
	.size	_ZN7rocprim17ROCPRIM_400000_NS6detail17trampoline_kernelINS0_14default_configENS1_20scan_config_selectorIN3c104HalfEEEZZNS1_9scan_implILNS1_25lookback_scan_determinismE0ELb0ELb0ES3_PKS6_PS6_S6_ZZZN2at6native31launch_logcumsumexp_cuda_kernelERKNSD_10TensorBaseESH_lENKUlvE_clEvENKUlvE3_clEvEUlS6_S6_E_S6_EEDaPvRmT3_T4_T5_mT6_P12ihipStream_tbENKUlT_T0_E_clISt17integral_constantIbLb1EESY_EEDaST_SU_EUlST_E0_NS1_11comp_targetILNS1_3genE0ELNS1_11target_archE4294967295ELNS1_3gpuE0ELNS1_3repE0EEENS1_30default_config_static_selectorELNS0_4arch9wavefront6targetE0EEEvT1_, .Lfunc_end387-_ZN7rocprim17ROCPRIM_400000_NS6detail17trampoline_kernelINS0_14default_configENS1_20scan_config_selectorIN3c104HalfEEEZZNS1_9scan_implILNS1_25lookback_scan_determinismE0ELb0ELb0ES3_PKS6_PS6_S6_ZZZN2at6native31launch_logcumsumexp_cuda_kernelERKNSD_10TensorBaseESH_lENKUlvE_clEvENKUlvE3_clEvEUlS6_S6_E_S6_EEDaPvRmT3_T4_T5_mT6_P12ihipStream_tbENKUlT_T0_E_clISt17integral_constantIbLb1EESY_EEDaST_SU_EUlST_E0_NS1_11comp_targetILNS1_3genE0ELNS1_11target_archE4294967295ELNS1_3gpuE0ELNS1_3repE0EEENS1_30default_config_static_selectorELNS0_4arch9wavefront6targetE0EEEvT1_
                                        ; -- End function
	.set _ZN7rocprim17ROCPRIM_400000_NS6detail17trampoline_kernelINS0_14default_configENS1_20scan_config_selectorIN3c104HalfEEEZZNS1_9scan_implILNS1_25lookback_scan_determinismE0ELb0ELb0ES3_PKS6_PS6_S6_ZZZN2at6native31launch_logcumsumexp_cuda_kernelERKNSD_10TensorBaseESH_lENKUlvE_clEvENKUlvE3_clEvEUlS6_S6_E_S6_EEDaPvRmT3_T4_T5_mT6_P12ihipStream_tbENKUlT_T0_E_clISt17integral_constantIbLb1EESY_EEDaST_SU_EUlST_E0_NS1_11comp_targetILNS1_3genE0ELNS1_11target_archE4294967295ELNS1_3gpuE0ELNS1_3repE0EEENS1_30default_config_static_selectorELNS0_4arch9wavefront6targetE0EEEvT1_.num_vgpr, 0
	.set _ZN7rocprim17ROCPRIM_400000_NS6detail17trampoline_kernelINS0_14default_configENS1_20scan_config_selectorIN3c104HalfEEEZZNS1_9scan_implILNS1_25lookback_scan_determinismE0ELb0ELb0ES3_PKS6_PS6_S6_ZZZN2at6native31launch_logcumsumexp_cuda_kernelERKNSD_10TensorBaseESH_lENKUlvE_clEvENKUlvE3_clEvEUlS6_S6_E_S6_EEDaPvRmT3_T4_T5_mT6_P12ihipStream_tbENKUlT_T0_E_clISt17integral_constantIbLb1EESY_EEDaST_SU_EUlST_E0_NS1_11comp_targetILNS1_3genE0ELNS1_11target_archE4294967295ELNS1_3gpuE0ELNS1_3repE0EEENS1_30default_config_static_selectorELNS0_4arch9wavefront6targetE0EEEvT1_.num_agpr, 0
	.set _ZN7rocprim17ROCPRIM_400000_NS6detail17trampoline_kernelINS0_14default_configENS1_20scan_config_selectorIN3c104HalfEEEZZNS1_9scan_implILNS1_25lookback_scan_determinismE0ELb0ELb0ES3_PKS6_PS6_S6_ZZZN2at6native31launch_logcumsumexp_cuda_kernelERKNSD_10TensorBaseESH_lENKUlvE_clEvENKUlvE3_clEvEUlS6_S6_E_S6_EEDaPvRmT3_T4_T5_mT6_P12ihipStream_tbENKUlT_T0_E_clISt17integral_constantIbLb1EESY_EEDaST_SU_EUlST_E0_NS1_11comp_targetILNS1_3genE0ELNS1_11target_archE4294967295ELNS1_3gpuE0ELNS1_3repE0EEENS1_30default_config_static_selectorELNS0_4arch9wavefront6targetE0EEEvT1_.numbered_sgpr, 0
	.set _ZN7rocprim17ROCPRIM_400000_NS6detail17trampoline_kernelINS0_14default_configENS1_20scan_config_selectorIN3c104HalfEEEZZNS1_9scan_implILNS1_25lookback_scan_determinismE0ELb0ELb0ES3_PKS6_PS6_S6_ZZZN2at6native31launch_logcumsumexp_cuda_kernelERKNSD_10TensorBaseESH_lENKUlvE_clEvENKUlvE3_clEvEUlS6_S6_E_S6_EEDaPvRmT3_T4_T5_mT6_P12ihipStream_tbENKUlT_T0_E_clISt17integral_constantIbLb1EESY_EEDaST_SU_EUlST_E0_NS1_11comp_targetILNS1_3genE0ELNS1_11target_archE4294967295ELNS1_3gpuE0ELNS1_3repE0EEENS1_30default_config_static_selectorELNS0_4arch9wavefront6targetE0EEEvT1_.num_named_barrier, 0
	.set _ZN7rocprim17ROCPRIM_400000_NS6detail17trampoline_kernelINS0_14default_configENS1_20scan_config_selectorIN3c104HalfEEEZZNS1_9scan_implILNS1_25lookback_scan_determinismE0ELb0ELb0ES3_PKS6_PS6_S6_ZZZN2at6native31launch_logcumsumexp_cuda_kernelERKNSD_10TensorBaseESH_lENKUlvE_clEvENKUlvE3_clEvEUlS6_S6_E_S6_EEDaPvRmT3_T4_T5_mT6_P12ihipStream_tbENKUlT_T0_E_clISt17integral_constantIbLb1EESY_EEDaST_SU_EUlST_E0_NS1_11comp_targetILNS1_3genE0ELNS1_11target_archE4294967295ELNS1_3gpuE0ELNS1_3repE0EEENS1_30default_config_static_selectorELNS0_4arch9wavefront6targetE0EEEvT1_.private_seg_size, 0
	.set _ZN7rocprim17ROCPRIM_400000_NS6detail17trampoline_kernelINS0_14default_configENS1_20scan_config_selectorIN3c104HalfEEEZZNS1_9scan_implILNS1_25lookback_scan_determinismE0ELb0ELb0ES3_PKS6_PS6_S6_ZZZN2at6native31launch_logcumsumexp_cuda_kernelERKNSD_10TensorBaseESH_lENKUlvE_clEvENKUlvE3_clEvEUlS6_S6_E_S6_EEDaPvRmT3_T4_T5_mT6_P12ihipStream_tbENKUlT_T0_E_clISt17integral_constantIbLb1EESY_EEDaST_SU_EUlST_E0_NS1_11comp_targetILNS1_3genE0ELNS1_11target_archE4294967295ELNS1_3gpuE0ELNS1_3repE0EEENS1_30default_config_static_selectorELNS0_4arch9wavefront6targetE0EEEvT1_.uses_vcc, 0
	.set _ZN7rocprim17ROCPRIM_400000_NS6detail17trampoline_kernelINS0_14default_configENS1_20scan_config_selectorIN3c104HalfEEEZZNS1_9scan_implILNS1_25lookback_scan_determinismE0ELb0ELb0ES3_PKS6_PS6_S6_ZZZN2at6native31launch_logcumsumexp_cuda_kernelERKNSD_10TensorBaseESH_lENKUlvE_clEvENKUlvE3_clEvEUlS6_S6_E_S6_EEDaPvRmT3_T4_T5_mT6_P12ihipStream_tbENKUlT_T0_E_clISt17integral_constantIbLb1EESY_EEDaST_SU_EUlST_E0_NS1_11comp_targetILNS1_3genE0ELNS1_11target_archE4294967295ELNS1_3gpuE0ELNS1_3repE0EEENS1_30default_config_static_selectorELNS0_4arch9wavefront6targetE0EEEvT1_.uses_flat_scratch, 0
	.set _ZN7rocprim17ROCPRIM_400000_NS6detail17trampoline_kernelINS0_14default_configENS1_20scan_config_selectorIN3c104HalfEEEZZNS1_9scan_implILNS1_25lookback_scan_determinismE0ELb0ELb0ES3_PKS6_PS6_S6_ZZZN2at6native31launch_logcumsumexp_cuda_kernelERKNSD_10TensorBaseESH_lENKUlvE_clEvENKUlvE3_clEvEUlS6_S6_E_S6_EEDaPvRmT3_T4_T5_mT6_P12ihipStream_tbENKUlT_T0_E_clISt17integral_constantIbLb1EESY_EEDaST_SU_EUlST_E0_NS1_11comp_targetILNS1_3genE0ELNS1_11target_archE4294967295ELNS1_3gpuE0ELNS1_3repE0EEENS1_30default_config_static_selectorELNS0_4arch9wavefront6targetE0EEEvT1_.has_dyn_sized_stack, 0
	.set _ZN7rocprim17ROCPRIM_400000_NS6detail17trampoline_kernelINS0_14default_configENS1_20scan_config_selectorIN3c104HalfEEEZZNS1_9scan_implILNS1_25lookback_scan_determinismE0ELb0ELb0ES3_PKS6_PS6_S6_ZZZN2at6native31launch_logcumsumexp_cuda_kernelERKNSD_10TensorBaseESH_lENKUlvE_clEvENKUlvE3_clEvEUlS6_S6_E_S6_EEDaPvRmT3_T4_T5_mT6_P12ihipStream_tbENKUlT_T0_E_clISt17integral_constantIbLb1EESY_EEDaST_SU_EUlST_E0_NS1_11comp_targetILNS1_3genE0ELNS1_11target_archE4294967295ELNS1_3gpuE0ELNS1_3repE0EEENS1_30default_config_static_selectorELNS0_4arch9wavefront6targetE0EEEvT1_.has_recursion, 0
	.set _ZN7rocprim17ROCPRIM_400000_NS6detail17trampoline_kernelINS0_14default_configENS1_20scan_config_selectorIN3c104HalfEEEZZNS1_9scan_implILNS1_25lookback_scan_determinismE0ELb0ELb0ES3_PKS6_PS6_S6_ZZZN2at6native31launch_logcumsumexp_cuda_kernelERKNSD_10TensorBaseESH_lENKUlvE_clEvENKUlvE3_clEvEUlS6_S6_E_S6_EEDaPvRmT3_T4_T5_mT6_P12ihipStream_tbENKUlT_T0_E_clISt17integral_constantIbLb1EESY_EEDaST_SU_EUlST_E0_NS1_11comp_targetILNS1_3genE0ELNS1_11target_archE4294967295ELNS1_3gpuE0ELNS1_3repE0EEENS1_30default_config_static_selectorELNS0_4arch9wavefront6targetE0EEEvT1_.has_indirect_call, 0
	.section	.AMDGPU.csdata,"",@progbits
; Kernel info:
; codeLenInByte = 0
; TotalNumSgprs: 0
; NumVgprs: 0
; ScratchSize: 0
; MemoryBound: 0
; FloatMode: 240
; IeeeMode: 1
; LDSByteSize: 0 bytes/workgroup (compile time only)
; SGPRBlocks: 0
; VGPRBlocks: 0
; NumSGPRsForWavesPerEU: 1
; NumVGPRsForWavesPerEU: 1
; Occupancy: 16
; WaveLimiterHint : 0
; COMPUTE_PGM_RSRC2:SCRATCH_EN: 0
; COMPUTE_PGM_RSRC2:USER_SGPR: 6
; COMPUTE_PGM_RSRC2:TRAP_HANDLER: 0
; COMPUTE_PGM_RSRC2:TGID_X_EN: 1
; COMPUTE_PGM_RSRC2:TGID_Y_EN: 0
; COMPUTE_PGM_RSRC2:TGID_Z_EN: 0
; COMPUTE_PGM_RSRC2:TIDIG_COMP_CNT: 0
	.section	.text._ZN7rocprim17ROCPRIM_400000_NS6detail17trampoline_kernelINS0_14default_configENS1_20scan_config_selectorIN3c104HalfEEEZZNS1_9scan_implILNS1_25lookback_scan_determinismE0ELb0ELb0ES3_PKS6_PS6_S6_ZZZN2at6native31launch_logcumsumexp_cuda_kernelERKNSD_10TensorBaseESH_lENKUlvE_clEvENKUlvE3_clEvEUlS6_S6_E_S6_EEDaPvRmT3_T4_T5_mT6_P12ihipStream_tbENKUlT_T0_E_clISt17integral_constantIbLb1EESY_EEDaST_SU_EUlST_E0_NS1_11comp_targetILNS1_3genE5ELNS1_11target_archE942ELNS1_3gpuE9ELNS1_3repE0EEENS1_30default_config_static_selectorELNS0_4arch9wavefront6targetE0EEEvT1_,"axG",@progbits,_ZN7rocprim17ROCPRIM_400000_NS6detail17trampoline_kernelINS0_14default_configENS1_20scan_config_selectorIN3c104HalfEEEZZNS1_9scan_implILNS1_25lookback_scan_determinismE0ELb0ELb0ES3_PKS6_PS6_S6_ZZZN2at6native31launch_logcumsumexp_cuda_kernelERKNSD_10TensorBaseESH_lENKUlvE_clEvENKUlvE3_clEvEUlS6_S6_E_S6_EEDaPvRmT3_T4_T5_mT6_P12ihipStream_tbENKUlT_T0_E_clISt17integral_constantIbLb1EESY_EEDaST_SU_EUlST_E0_NS1_11comp_targetILNS1_3genE5ELNS1_11target_archE942ELNS1_3gpuE9ELNS1_3repE0EEENS1_30default_config_static_selectorELNS0_4arch9wavefront6targetE0EEEvT1_,comdat
	.globl	_ZN7rocprim17ROCPRIM_400000_NS6detail17trampoline_kernelINS0_14default_configENS1_20scan_config_selectorIN3c104HalfEEEZZNS1_9scan_implILNS1_25lookback_scan_determinismE0ELb0ELb0ES3_PKS6_PS6_S6_ZZZN2at6native31launch_logcumsumexp_cuda_kernelERKNSD_10TensorBaseESH_lENKUlvE_clEvENKUlvE3_clEvEUlS6_S6_E_S6_EEDaPvRmT3_T4_T5_mT6_P12ihipStream_tbENKUlT_T0_E_clISt17integral_constantIbLb1EESY_EEDaST_SU_EUlST_E0_NS1_11comp_targetILNS1_3genE5ELNS1_11target_archE942ELNS1_3gpuE9ELNS1_3repE0EEENS1_30default_config_static_selectorELNS0_4arch9wavefront6targetE0EEEvT1_ ; -- Begin function _ZN7rocprim17ROCPRIM_400000_NS6detail17trampoline_kernelINS0_14default_configENS1_20scan_config_selectorIN3c104HalfEEEZZNS1_9scan_implILNS1_25lookback_scan_determinismE0ELb0ELb0ES3_PKS6_PS6_S6_ZZZN2at6native31launch_logcumsumexp_cuda_kernelERKNSD_10TensorBaseESH_lENKUlvE_clEvENKUlvE3_clEvEUlS6_S6_E_S6_EEDaPvRmT3_T4_T5_mT6_P12ihipStream_tbENKUlT_T0_E_clISt17integral_constantIbLb1EESY_EEDaST_SU_EUlST_E0_NS1_11comp_targetILNS1_3genE5ELNS1_11target_archE942ELNS1_3gpuE9ELNS1_3repE0EEENS1_30default_config_static_selectorELNS0_4arch9wavefront6targetE0EEEvT1_
	.p2align	8
	.type	_ZN7rocprim17ROCPRIM_400000_NS6detail17trampoline_kernelINS0_14default_configENS1_20scan_config_selectorIN3c104HalfEEEZZNS1_9scan_implILNS1_25lookback_scan_determinismE0ELb0ELb0ES3_PKS6_PS6_S6_ZZZN2at6native31launch_logcumsumexp_cuda_kernelERKNSD_10TensorBaseESH_lENKUlvE_clEvENKUlvE3_clEvEUlS6_S6_E_S6_EEDaPvRmT3_T4_T5_mT6_P12ihipStream_tbENKUlT_T0_E_clISt17integral_constantIbLb1EESY_EEDaST_SU_EUlST_E0_NS1_11comp_targetILNS1_3genE5ELNS1_11target_archE942ELNS1_3gpuE9ELNS1_3repE0EEENS1_30default_config_static_selectorELNS0_4arch9wavefront6targetE0EEEvT1_,@function
_ZN7rocprim17ROCPRIM_400000_NS6detail17trampoline_kernelINS0_14default_configENS1_20scan_config_selectorIN3c104HalfEEEZZNS1_9scan_implILNS1_25lookback_scan_determinismE0ELb0ELb0ES3_PKS6_PS6_S6_ZZZN2at6native31launch_logcumsumexp_cuda_kernelERKNSD_10TensorBaseESH_lENKUlvE_clEvENKUlvE3_clEvEUlS6_S6_E_S6_EEDaPvRmT3_T4_T5_mT6_P12ihipStream_tbENKUlT_T0_E_clISt17integral_constantIbLb1EESY_EEDaST_SU_EUlST_E0_NS1_11comp_targetILNS1_3genE5ELNS1_11target_archE942ELNS1_3gpuE9ELNS1_3repE0EEENS1_30default_config_static_selectorELNS0_4arch9wavefront6targetE0EEEvT1_: ; @_ZN7rocprim17ROCPRIM_400000_NS6detail17trampoline_kernelINS0_14default_configENS1_20scan_config_selectorIN3c104HalfEEEZZNS1_9scan_implILNS1_25lookback_scan_determinismE0ELb0ELb0ES3_PKS6_PS6_S6_ZZZN2at6native31launch_logcumsumexp_cuda_kernelERKNSD_10TensorBaseESH_lENKUlvE_clEvENKUlvE3_clEvEUlS6_S6_E_S6_EEDaPvRmT3_T4_T5_mT6_P12ihipStream_tbENKUlT_T0_E_clISt17integral_constantIbLb1EESY_EEDaST_SU_EUlST_E0_NS1_11comp_targetILNS1_3genE5ELNS1_11target_archE942ELNS1_3gpuE9ELNS1_3repE0EEENS1_30default_config_static_selectorELNS0_4arch9wavefront6targetE0EEEvT1_
; %bb.0:
	.section	.rodata,"a",@progbits
	.p2align	6, 0x0
	.amdhsa_kernel _ZN7rocprim17ROCPRIM_400000_NS6detail17trampoline_kernelINS0_14default_configENS1_20scan_config_selectorIN3c104HalfEEEZZNS1_9scan_implILNS1_25lookback_scan_determinismE0ELb0ELb0ES3_PKS6_PS6_S6_ZZZN2at6native31launch_logcumsumexp_cuda_kernelERKNSD_10TensorBaseESH_lENKUlvE_clEvENKUlvE3_clEvEUlS6_S6_E_S6_EEDaPvRmT3_T4_T5_mT6_P12ihipStream_tbENKUlT_T0_E_clISt17integral_constantIbLb1EESY_EEDaST_SU_EUlST_E0_NS1_11comp_targetILNS1_3genE5ELNS1_11target_archE942ELNS1_3gpuE9ELNS1_3repE0EEENS1_30default_config_static_selectorELNS0_4arch9wavefront6targetE0EEEvT1_
		.amdhsa_group_segment_fixed_size 0
		.amdhsa_private_segment_fixed_size 0
		.amdhsa_kernarg_size 32
		.amdhsa_user_sgpr_count 6
		.amdhsa_user_sgpr_private_segment_buffer 1
		.amdhsa_user_sgpr_dispatch_ptr 0
		.amdhsa_user_sgpr_queue_ptr 0
		.amdhsa_user_sgpr_kernarg_segment_ptr 1
		.amdhsa_user_sgpr_dispatch_id 0
		.amdhsa_user_sgpr_flat_scratch_init 0
		.amdhsa_user_sgpr_private_segment_size 0
		.amdhsa_wavefront_size32 1
		.amdhsa_uses_dynamic_stack 0
		.amdhsa_system_sgpr_private_segment_wavefront_offset 0
		.amdhsa_system_sgpr_workgroup_id_x 1
		.amdhsa_system_sgpr_workgroup_id_y 0
		.amdhsa_system_sgpr_workgroup_id_z 0
		.amdhsa_system_sgpr_workgroup_info 0
		.amdhsa_system_vgpr_workitem_id 0
		.amdhsa_next_free_vgpr 1
		.amdhsa_next_free_sgpr 1
		.amdhsa_reserve_vcc 0
		.amdhsa_reserve_flat_scratch 0
		.amdhsa_float_round_mode_32 0
		.amdhsa_float_round_mode_16_64 0
		.amdhsa_float_denorm_mode_32 3
		.amdhsa_float_denorm_mode_16_64 3
		.amdhsa_dx10_clamp 1
		.amdhsa_ieee_mode 1
		.amdhsa_fp16_overflow 0
		.amdhsa_workgroup_processor_mode 1
		.amdhsa_memory_ordered 1
		.amdhsa_forward_progress 1
		.amdhsa_shared_vgpr_count 0
		.amdhsa_exception_fp_ieee_invalid_op 0
		.amdhsa_exception_fp_denorm_src 0
		.amdhsa_exception_fp_ieee_div_zero 0
		.amdhsa_exception_fp_ieee_overflow 0
		.amdhsa_exception_fp_ieee_underflow 0
		.amdhsa_exception_fp_ieee_inexact 0
		.amdhsa_exception_int_div_zero 0
	.end_amdhsa_kernel
	.section	.text._ZN7rocprim17ROCPRIM_400000_NS6detail17trampoline_kernelINS0_14default_configENS1_20scan_config_selectorIN3c104HalfEEEZZNS1_9scan_implILNS1_25lookback_scan_determinismE0ELb0ELb0ES3_PKS6_PS6_S6_ZZZN2at6native31launch_logcumsumexp_cuda_kernelERKNSD_10TensorBaseESH_lENKUlvE_clEvENKUlvE3_clEvEUlS6_S6_E_S6_EEDaPvRmT3_T4_T5_mT6_P12ihipStream_tbENKUlT_T0_E_clISt17integral_constantIbLb1EESY_EEDaST_SU_EUlST_E0_NS1_11comp_targetILNS1_3genE5ELNS1_11target_archE942ELNS1_3gpuE9ELNS1_3repE0EEENS1_30default_config_static_selectorELNS0_4arch9wavefront6targetE0EEEvT1_,"axG",@progbits,_ZN7rocprim17ROCPRIM_400000_NS6detail17trampoline_kernelINS0_14default_configENS1_20scan_config_selectorIN3c104HalfEEEZZNS1_9scan_implILNS1_25lookback_scan_determinismE0ELb0ELb0ES3_PKS6_PS6_S6_ZZZN2at6native31launch_logcumsumexp_cuda_kernelERKNSD_10TensorBaseESH_lENKUlvE_clEvENKUlvE3_clEvEUlS6_S6_E_S6_EEDaPvRmT3_T4_T5_mT6_P12ihipStream_tbENKUlT_T0_E_clISt17integral_constantIbLb1EESY_EEDaST_SU_EUlST_E0_NS1_11comp_targetILNS1_3genE5ELNS1_11target_archE942ELNS1_3gpuE9ELNS1_3repE0EEENS1_30default_config_static_selectorELNS0_4arch9wavefront6targetE0EEEvT1_,comdat
.Lfunc_end388:
	.size	_ZN7rocprim17ROCPRIM_400000_NS6detail17trampoline_kernelINS0_14default_configENS1_20scan_config_selectorIN3c104HalfEEEZZNS1_9scan_implILNS1_25lookback_scan_determinismE0ELb0ELb0ES3_PKS6_PS6_S6_ZZZN2at6native31launch_logcumsumexp_cuda_kernelERKNSD_10TensorBaseESH_lENKUlvE_clEvENKUlvE3_clEvEUlS6_S6_E_S6_EEDaPvRmT3_T4_T5_mT6_P12ihipStream_tbENKUlT_T0_E_clISt17integral_constantIbLb1EESY_EEDaST_SU_EUlST_E0_NS1_11comp_targetILNS1_3genE5ELNS1_11target_archE942ELNS1_3gpuE9ELNS1_3repE0EEENS1_30default_config_static_selectorELNS0_4arch9wavefront6targetE0EEEvT1_, .Lfunc_end388-_ZN7rocprim17ROCPRIM_400000_NS6detail17trampoline_kernelINS0_14default_configENS1_20scan_config_selectorIN3c104HalfEEEZZNS1_9scan_implILNS1_25lookback_scan_determinismE0ELb0ELb0ES3_PKS6_PS6_S6_ZZZN2at6native31launch_logcumsumexp_cuda_kernelERKNSD_10TensorBaseESH_lENKUlvE_clEvENKUlvE3_clEvEUlS6_S6_E_S6_EEDaPvRmT3_T4_T5_mT6_P12ihipStream_tbENKUlT_T0_E_clISt17integral_constantIbLb1EESY_EEDaST_SU_EUlST_E0_NS1_11comp_targetILNS1_3genE5ELNS1_11target_archE942ELNS1_3gpuE9ELNS1_3repE0EEENS1_30default_config_static_selectorELNS0_4arch9wavefront6targetE0EEEvT1_
                                        ; -- End function
	.set _ZN7rocprim17ROCPRIM_400000_NS6detail17trampoline_kernelINS0_14default_configENS1_20scan_config_selectorIN3c104HalfEEEZZNS1_9scan_implILNS1_25lookback_scan_determinismE0ELb0ELb0ES3_PKS6_PS6_S6_ZZZN2at6native31launch_logcumsumexp_cuda_kernelERKNSD_10TensorBaseESH_lENKUlvE_clEvENKUlvE3_clEvEUlS6_S6_E_S6_EEDaPvRmT3_T4_T5_mT6_P12ihipStream_tbENKUlT_T0_E_clISt17integral_constantIbLb1EESY_EEDaST_SU_EUlST_E0_NS1_11comp_targetILNS1_3genE5ELNS1_11target_archE942ELNS1_3gpuE9ELNS1_3repE0EEENS1_30default_config_static_selectorELNS0_4arch9wavefront6targetE0EEEvT1_.num_vgpr, 0
	.set _ZN7rocprim17ROCPRIM_400000_NS6detail17trampoline_kernelINS0_14default_configENS1_20scan_config_selectorIN3c104HalfEEEZZNS1_9scan_implILNS1_25lookback_scan_determinismE0ELb0ELb0ES3_PKS6_PS6_S6_ZZZN2at6native31launch_logcumsumexp_cuda_kernelERKNSD_10TensorBaseESH_lENKUlvE_clEvENKUlvE3_clEvEUlS6_S6_E_S6_EEDaPvRmT3_T4_T5_mT6_P12ihipStream_tbENKUlT_T0_E_clISt17integral_constantIbLb1EESY_EEDaST_SU_EUlST_E0_NS1_11comp_targetILNS1_3genE5ELNS1_11target_archE942ELNS1_3gpuE9ELNS1_3repE0EEENS1_30default_config_static_selectorELNS0_4arch9wavefront6targetE0EEEvT1_.num_agpr, 0
	.set _ZN7rocprim17ROCPRIM_400000_NS6detail17trampoline_kernelINS0_14default_configENS1_20scan_config_selectorIN3c104HalfEEEZZNS1_9scan_implILNS1_25lookback_scan_determinismE0ELb0ELb0ES3_PKS6_PS6_S6_ZZZN2at6native31launch_logcumsumexp_cuda_kernelERKNSD_10TensorBaseESH_lENKUlvE_clEvENKUlvE3_clEvEUlS6_S6_E_S6_EEDaPvRmT3_T4_T5_mT6_P12ihipStream_tbENKUlT_T0_E_clISt17integral_constantIbLb1EESY_EEDaST_SU_EUlST_E0_NS1_11comp_targetILNS1_3genE5ELNS1_11target_archE942ELNS1_3gpuE9ELNS1_3repE0EEENS1_30default_config_static_selectorELNS0_4arch9wavefront6targetE0EEEvT1_.numbered_sgpr, 0
	.set _ZN7rocprim17ROCPRIM_400000_NS6detail17trampoline_kernelINS0_14default_configENS1_20scan_config_selectorIN3c104HalfEEEZZNS1_9scan_implILNS1_25lookback_scan_determinismE0ELb0ELb0ES3_PKS6_PS6_S6_ZZZN2at6native31launch_logcumsumexp_cuda_kernelERKNSD_10TensorBaseESH_lENKUlvE_clEvENKUlvE3_clEvEUlS6_S6_E_S6_EEDaPvRmT3_T4_T5_mT6_P12ihipStream_tbENKUlT_T0_E_clISt17integral_constantIbLb1EESY_EEDaST_SU_EUlST_E0_NS1_11comp_targetILNS1_3genE5ELNS1_11target_archE942ELNS1_3gpuE9ELNS1_3repE0EEENS1_30default_config_static_selectorELNS0_4arch9wavefront6targetE0EEEvT1_.num_named_barrier, 0
	.set _ZN7rocprim17ROCPRIM_400000_NS6detail17trampoline_kernelINS0_14default_configENS1_20scan_config_selectorIN3c104HalfEEEZZNS1_9scan_implILNS1_25lookback_scan_determinismE0ELb0ELb0ES3_PKS6_PS6_S6_ZZZN2at6native31launch_logcumsumexp_cuda_kernelERKNSD_10TensorBaseESH_lENKUlvE_clEvENKUlvE3_clEvEUlS6_S6_E_S6_EEDaPvRmT3_T4_T5_mT6_P12ihipStream_tbENKUlT_T0_E_clISt17integral_constantIbLb1EESY_EEDaST_SU_EUlST_E0_NS1_11comp_targetILNS1_3genE5ELNS1_11target_archE942ELNS1_3gpuE9ELNS1_3repE0EEENS1_30default_config_static_selectorELNS0_4arch9wavefront6targetE0EEEvT1_.private_seg_size, 0
	.set _ZN7rocprim17ROCPRIM_400000_NS6detail17trampoline_kernelINS0_14default_configENS1_20scan_config_selectorIN3c104HalfEEEZZNS1_9scan_implILNS1_25lookback_scan_determinismE0ELb0ELb0ES3_PKS6_PS6_S6_ZZZN2at6native31launch_logcumsumexp_cuda_kernelERKNSD_10TensorBaseESH_lENKUlvE_clEvENKUlvE3_clEvEUlS6_S6_E_S6_EEDaPvRmT3_T4_T5_mT6_P12ihipStream_tbENKUlT_T0_E_clISt17integral_constantIbLb1EESY_EEDaST_SU_EUlST_E0_NS1_11comp_targetILNS1_3genE5ELNS1_11target_archE942ELNS1_3gpuE9ELNS1_3repE0EEENS1_30default_config_static_selectorELNS0_4arch9wavefront6targetE0EEEvT1_.uses_vcc, 0
	.set _ZN7rocprim17ROCPRIM_400000_NS6detail17trampoline_kernelINS0_14default_configENS1_20scan_config_selectorIN3c104HalfEEEZZNS1_9scan_implILNS1_25lookback_scan_determinismE0ELb0ELb0ES3_PKS6_PS6_S6_ZZZN2at6native31launch_logcumsumexp_cuda_kernelERKNSD_10TensorBaseESH_lENKUlvE_clEvENKUlvE3_clEvEUlS6_S6_E_S6_EEDaPvRmT3_T4_T5_mT6_P12ihipStream_tbENKUlT_T0_E_clISt17integral_constantIbLb1EESY_EEDaST_SU_EUlST_E0_NS1_11comp_targetILNS1_3genE5ELNS1_11target_archE942ELNS1_3gpuE9ELNS1_3repE0EEENS1_30default_config_static_selectorELNS0_4arch9wavefront6targetE0EEEvT1_.uses_flat_scratch, 0
	.set _ZN7rocprim17ROCPRIM_400000_NS6detail17trampoline_kernelINS0_14default_configENS1_20scan_config_selectorIN3c104HalfEEEZZNS1_9scan_implILNS1_25lookback_scan_determinismE0ELb0ELb0ES3_PKS6_PS6_S6_ZZZN2at6native31launch_logcumsumexp_cuda_kernelERKNSD_10TensorBaseESH_lENKUlvE_clEvENKUlvE3_clEvEUlS6_S6_E_S6_EEDaPvRmT3_T4_T5_mT6_P12ihipStream_tbENKUlT_T0_E_clISt17integral_constantIbLb1EESY_EEDaST_SU_EUlST_E0_NS1_11comp_targetILNS1_3genE5ELNS1_11target_archE942ELNS1_3gpuE9ELNS1_3repE0EEENS1_30default_config_static_selectorELNS0_4arch9wavefront6targetE0EEEvT1_.has_dyn_sized_stack, 0
	.set _ZN7rocprim17ROCPRIM_400000_NS6detail17trampoline_kernelINS0_14default_configENS1_20scan_config_selectorIN3c104HalfEEEZZNS1_9scan_implILNS1_25lookback_scan_determinismE0ELb0ELb0ES3_PKS6_PS6_S6_ZZZN2at6native31launch_logcumsumexp_cuda_kernelERKNSD_10TensorBaseESH_lENKUlvE_clEvENKUlvE3_clEvEUlS6_S6_E_S6_EEDaPvRmT3_T4_T5_mT6_P12ihipStream_tbENKUlT_T0_E_clISt17integral_constantIbLb1EESY_EEDaST_SU_EUlST_E0_NS1_11comp_targetILNS1_3genE5ELNS1_11target_archE942ELNS1_3gpuE9ELNS1_3repE0EEENS1_30default_config_static_selectorELNS0_4arch9wavefront6targetE0EEEvT1_.has_recursion, 0
	.set _ZN7rocprim17ROCPRIM_400000_NS6detail17trampoline_kernelINS0_14default_configENS1_20scan_config_selectorIN3c104HalfEEEZZNS1_9scan_implILNS1_25lookback_scan_determinismE0ELb0ELb0ES3_PKS6_PS6_S6_ZZZN2at6native31launch_logcumsumexp_cuda_kernelERKNSD_10TensorBaseESH_lENKUlvE_clEvENKUlvE3_clEvEUlS6_S6_E_S6_EEDaPvRmT3_T4_T5_mT6_P12ihipStream_tbENKUlT_T0_E_clISt17integral_constantIbLb1EESY_EEDaST_SU_EUlST_E0_NS1_11comp_targetILNS1_3genE5ELNS1_11target_archE942ELNS1_3gpuE9ELNS1_3repE0EEENS1_30default_config_static_selectorELNS0_4arch9wavefront6targetE0EEEvT1_.has_indirect_call, 0
	.section	.AMDGPU.csdata,"",@progbits
; Kernel info:
; codeLenInByte = 0
; TotalNumSgprs: 0
; NumVgprs: 0
; ScratchSize: 0
; MemoryBound: 0
; FloatMode: 240
; IeeeMode: 1
; LDSByteSize: 0 bytes/workgroup (compile time only)
; SGPRBlocks: 0
; VGPRBlocks: 0
; NumSGPRsForWavesPerEU: 1
; NumVGPRsForWavesPerEU: 1
; Occupancy: 16
; WaveLimiterHint : 0
; COMPUTE_PGM_RSRC2:SCRATCH_EN: 0
; COMPUTE_PGM_RSRC2:USER_SGPR: 6
; COMPUTE_PGM_RSRC2:TRAP_HANDLER: 0
; COMPUTE_PGM_RSRC2:TGID_X_EN: 1
; COMPUTE_PGM_RSRC2:TGID_Y_EN: 0
; COMPUTE_PGM_RSRC2:TGID_Z_EN: 0
; COMPUTE_PGM_RSRC2:TIDIG_COMP_CNT: 0
	.section	.text._ZN7rocprim17ROCPRIM_400000_NS6detail17trampoline_kernelINS0_14default_configENS1_20scan_config_selectorIN3c104HalfEEEZZNS1_9scan_implILNS1_25lookback_scan_determinismE0ELb0ELb0ES3_PKS6_PS6_S6_ZZZN2at6native31launch_logcumsumexp_cuda_kernelERKNSD_10TensorBaseESH_lENKUlvE_clEvENKUlvE3_clEvEUlS6_S6_E_S6_EEDaPvRmT3_T4_T5_mT6_P12ihipStream_tbENKUlT_T0_E_clISt17integral_constantIbLb1EESY_EEDaST_SU_EUlST_E0_NS1_11comp_targetILNS1_3genE4ELNS1_11target_archE910ELNS1_3gpuE8ELNS1_3repE0EEENS1_30default_config_static_selectorELNS0_4arch9wavefront6targetE0EEEvT1_,"axG",@progbits,_ZN7rocprim17ROCPRIM_400000_NS6detail17trampoline_kernelINS0_14default_configENS1_20scan_config_selectorIN3c104HalfEEEZZNS1_9scan_implILNS1_25lookback_scan_determinismE0ELb0ELb0ES3_PKS6_PS6_S6_ZZZN2at6native31launch_logcumsumexp_cuda_kernelERKNSD_10TensorBaseESH_lENKUlvE_clEvENKUlvE3_clEvEUlS6_S6_E_S6_EEDaPvRmT3_T4_T5_mT6_P12ihipStream_tbENKUlT_T0_E_clISt17integral_constantIbLb1EESY_EEDaST_SU_EUlST_E0_NS1_11comp_targetILNS1_3genE4ELNS1_11target_archE910ELNS1_3gpuE8ELNS1_3repE0EEENS1_30default_config_static_selectorELNS0_4arch9wavefront6targetE0EEEvT1_,comdat
	.globl	_ZN7rocprim17ROCPRIM_400000_NS6detail17trampoline_kernelINS0_14default_configENS1_20scan_config_selectorIN3c104HalfEEEZZNS1_9scan_implILNS1_25lookback_scan_determinismE0ELb0ELb0ES3_PKS6_PS6_S6_ZZZN2at6native31launch_logcumsumexp_cuda_kernelERKNSD_10TensorBaseESH_lENKUlvE_clEvENKUlvE3_clEvEUlS6_S6_E_S6_EEDaPvRmT3_T4_T5_mT6_P12ihipStream_tbENKUlT_T0_E_clISt17integral_constantIbLb1EESY_EEDaST_SU_EUlST_E0_NS1_11comp_targetILNS1_3genE4ELNS1_11target_archE910ELNS1_3gpuE8ELNS1_3repE0EEENS1_30default_config_static_selectorELNS0_4arch9wavefront6targetE0EEEvT1_ ; -- Begin function _ZN7rocprim17ROCPRIM_400000_NS6detail17trampoline_kernelINS0_14default_configENS1_20scan_config_selectorIN3c104HalfEEEZZNS1_9scan_implILNS1_25lookback_scan_determinismE0ELb0ELb0ES3_PKS6_PS6_S6_ZZZN2at6native31launch_logcumsumexp_cuda_kernelERKNSD_10TensorBaseESH_lENKUlvE_clEvENKUlvE3_clEvEUlS6_S6_E_S6_EEDaPvRmT3_T4_T5_mT6_P12ihipStream_tbENKUlT_T0_E_clISt17integral_constantIbLb1EESY_EEDaST_SU_EUlST_E0_NS1_11comp_targetILNS1_3genE4ELNS1_11target_archE910ELNS1_3gpuE8ELNS1_3repE0EEENS1_30default_config_static_selectorELNS0_4arch9wavefront6targetE0EEEvT1_
	.p2align	8
	.type	_ZN7rocprim17ROCPRIM_400000_NS6detail17trampoline_kernelINS0_14default_configENS1_20scan_config_selectorIN3c104HalfEEEZZNS1_9scan_implILNS1_25lookback_scan_determinismE0ELb0ELb0ES3_PKS6_PS6_S6_ZZZN2at6native31launch_logcumsumexp_cuda_kernelERKNSD_10TensorBaseESH_lENKUlvE_clEvENKUlvE3_clEvEUlS6_S6_E_S6_EEDaPvRmT3_T4_T5_mT6_P12ihipStream_tbENKUlT_T0_E_clISt17integral_constantIbLb1EESY_EEDaST_SU_EUlST_E0_NS1_11comp_targetILNS1_3genE4ELNS1_11target_archE910ELNS1_3gpuE8ELNS1_3repE0EEENS1_30default_config_static_selectorELNS0_4arch9wavefront6targetE0EEEvT1_,@function
_ZN7rocprim17ROCPRIM_400000_NS6detail17trampoline_kernelINS0_14default_configENS1_20scan_config_selectorIN3c104HalfEEEZZNS1_9scan_implILNS1_25lookback_scan_determinismE0ELb0ELb0ES3_PKS6_PS6_S6_ZZZN2at6native31launch_logcumsumexp_cuda_kernelERKNSD_10TensorBaseESH_lENKUlvE_clEvENKUlvE3_clEvEUlS6_S6_E_S6_EEDaPvRmT3_T4_T5_mT6_P12ihipStream_tbENKUlT_T0_E_clISt17integral_constantIbLb1EESY_EEDaST_SU_EUlST_E0_NS1_11comp_targetILNS1_3genE4ELNS1_11target_archE910ELNS1_3gpuE8ELNS1_3repE0EEENS1_30default_config_static_selectorELNS0_4arch9wavefront6targetE0EEEvT1_: ; @_ZN7rocprim17ROCPRIM_400000_NS6detail17trampoline_kernelINS0_14default_configENS1_20scan_config_selectorIN3c104HalfEEEZZNS1_9scan_implILNS1_25lookback_scan_determinismE0ELb0ELb0ES3_PKS6_PS6_S6_ZZZN2at6native31launch_logcumsumexp_cuda_kernelERKNSD_10TensorBaseESH_lENKUlvE_clEvENKUlvE3_clEvEUlS6_S6_E_S6_EEDaPvRmT3_T4_T5_mT6_P12ihipStream_tbENKUlT_T0_E_clISt17integral_constantIbLb1EESY_EEDaST_SU_EUlST_E0_NS1_11comp_targetILNS1_3genE4ELNS1_11target_archE910ELNS1_3gpuE8ELNS1_3repE0EEENS1_30default_config_static_selectorELNS0_4arch9wavefront6targetE0EEEvT1_
; %bb.0:
	.section	.rodata,"a",@progbits
	.p2align	6, 0x0
	.amdhsa_kernel _ZN7rocprim17ROCPRIM_400000_NS6detail17trampoline_kernelINS0_14default_configENS1_20scan_config_selectorIN3c104HalfEEEZZNS1_9scan_implILNS1_25lookback_scan_determinismE0ELb0ELb0ES3_PKS6_PS6_S6_ZZZN2at6native31launch_logcumsumexp_cuda_kernelERKNSD_10TensorBaseESH_lENKUlvE_clEvENKUlvE3_clEvEUlS6_S6_E_S6_EEDaPvRmT3_T4_T5_mT6_P12ihipStream_tbENKUlT_T0_E_clISt17integral_constantIbLb1EESY_EEDaST_SU_EUlST_E0_NS1_11comp_targetILNS1_3genE4ELNS1_11target_archE910ELNS1_3gpuE8ELNS1_3repE0EEENS1_30default_config_static_selectorELNS0_4arch9wavefront6targetE0EEEvT1_
		.amdhsa_group_segment_fixed_size 0
		.amdhsa_private_segment_fixed_size 0
		.amdhsa_kernarg_size 32
		.amdhsa_user_sgpr_count 6
		.amdhsa_user_sgpr_private_segment_buffer 1
		.amdhsa_user_sgpr_dispatch_ptr 0
		.amdhsa_user_sgpr_queue_ptr 0
		.amdhsa_user_sgpr_kernarg_segment_ptr 1
		.amdhsa_user_sgpr_dispatch_id 0
		.amdhsa_user_sgpr_flat_scratch_init 0
		.amdhsa_user_sgpr_private_segment_size 0
		.amdhsa_wavefront_size32 1
		.amdhsa_uses_dynamic_stack 0
		.amdhsa_system_sgpr_private_segment_wavefront_offset 0
		.amdhsa_system_sgpr_workgroup_id_x 1
		.amdhsa_system_sgpr_workgroup_id_y 0
		.amdhsa_system_sgpr_workgroup_id_z 0
		.amdhsa_system_sgpr_workgroup_info 0
		.amdhsa_system_vgpr_workitem_id 0
		.amdhsa_next_free_vgpr 1
		.amdhsa_next_free_sgpr 1
		.amdhsa_reserve_vcc 0
		.amdhsa_reserve_flat_scratch 0
		.amdhsa_float_round_mode_32 0
		.amdhsa_float_round_mode_16_64 0
		.amdhsa_float_denorm_mode_32 3
		.amdhsa_float_denorm_mode_16_64 3
		.amdhsa_dx10_clamp 1
		.amdhsa_ieee_mode 1
		.amdhsa_fp16_overflow 0
		.amdhsa_workgroup_processor_mode 1
		.amdhsa_memory_ordered 1
		.amdhsa_forward_progress 1
		.amdhsa_shared_vgpr_count 0
		.amdhsa_exception_fp_ieee_invalid_op 0
		.amdhsa_exception_fp_denorm_src 0
		.amdhsa_exception_fp_ieee_div_zero 0
		.amdhsa_exception_fp_ieee_overflow 0
		.amdhsa_exception_fp_ieee_underflow 0
		.amdhsa_exception_fp_ieee_inexact 0
		.amdhsa_exception_int_div_zero 0
	.end_amdhsa_kernel
	.section	.text._ZN7rocprim17ROCPRIM_400000_NS6detail17trampoline_kernelINS0_14default_configENS1_20scan_config_selectorIN3c104HalfEEEZZNS1_9scan_implILNS1_25lookback_scan_determinismE0ELb0ELb0ES3_PKS6_PS6_S6_ZZZN2at6native31launch_logcumsumexp_cuda_kernelERKNSD_10TensorBaseESH_lENKUlvE_clEvENKUlvE3_clEvEUlS6_S6_E_S6_EEDaPvRmT3_T4_T5_mT6_P12ihipStream_tbENKUlT_T0_E_clISt17integral_constantIbLb1EESY_EEDaST_SU_EUlST_E0_NS1_11comp_targetILNS1_3genE4ELNS1_11target_archE910ELNS1_3gpuE8ELNS1_3repE0EEENS1_30default_config_static_selectorELNS0_4arch9wavefront6targetE0EEEvT1_,"axG",@progbits,_ZN7rocprim17ROCPRIM_400000_NS6detail17trampoline_kernelINS0_14default_configENS1_20scan_config_selectorIN3c104HalfEEEZZNS1_9scan_implILNS1_25lookback_scan_determinismE0ELb0ELb0ES3_PKS6_PS6_S6_ZZZN2at6native31launch_logcumsumexp_cuda_kernelERKNSD_10TensorBaseESH_lENKUlvE_clEvENKUlvE3_clEvEUlS6_S6_E_S6_EEDaPvRmT3_T4_T5_mT6_P12ihipStream_tbENKUlT_T0_E_clISt17integral_constantIbLb1EESY_EEDaST_SU_EUlST_E0_NS1_11comp_targetILNS1_3genE4ELNS1_11target_archE910ELNS1_3gpuE8ELNS1_3repE0EEENS1_30default_config_static_selectorELNS0_4arch9wavefront6targetE0EEEvT1_,comdat
.Lfunc_end389:
	.size	_ZN7rocprim17ROCPRIM_400000_NS6detail17trampoline_kernelINS0_14default_configENS1_20scan_config_selectorIN3c104HalfEEEZZNS1_9scan_implILNS1_25lookback_scan_determinismE0ELb0ELb0ES3_PKS6_PS6_S6_ZZZN2at6native31launch_logcumsumexp_cuda_kernelERKNSD_10TensorBaseESH_lENKUlvE_clEvENKUlvE3_clEvEUlS6_S6_E_S6_EEDaPvRmT3_T4_T5_mT6_P12ihipStream_tbENKUlT_T0_E_clISt17integral_constantIbLb1EESY_EEDaST_SU_EUlST_E0_NS1_11comp_targetILNS1_3genE4ELNS1_11target_archE910ELNS1_3gpuE8ELNS1_3repE0EEENS1_30default_config_static_selectorELNS0_4arch9wavefront6targetE0EEEvT1_, .Lfunc_end389-_ZN7rocprim17ROCPRIM_400000_NS6detail17trampoline_kernelINS0_14default_configENS1_20scan_config_selectorIN3c104HalfEEEZZNS1_9scan_implILNS1_25lookback_scan_determinismE0ELb0ELb0ES3_PKS6_PS6_S6_ZZZN2at6native31launch_logcumsumexp_cuda_kernelERKNSD_10TensorBaseESH_lENKUlvE_clEvENKUlvE3_clEvEUlS6_S6_E_S6_EEDaPvRmT3_T4_T5_mT6_P12ihipStream_tbENKUlT_T0_E_clISt17integral_constantIbLb1EESY_EEDaST_SU_EUlST_E0_NS1_11comp_targetILNS1_3genE4ELNS1_11target_archE910ELNS1_3gpuE8ELNS1_3repE0EEENS1_30default_config_static_selectorELNS0_4arch9wavefront6targetE0EEEvT1_
                                        ; -- End function
	.set _ZN7rocprim17ROCPRIM_400000_NS6detail17trampoline_kernelINS0_14default_configENS1_20scan_config_selectorIN3c104HalfEEEZZNS1_9scan_implILNS1_25lookback_scan_determinismE0ELb0ELb0ES3_PKS6_PS6_S6_ZZZN2at6native31launch_logcumsumexp_cuda_kernelERKNSD_10TensorBaseESH_lENKUlvE_clEvENKUlvE3_clEvEUlS6_S6_E_S6_EEDaPvRmT3_T4_T5_mT6_P12ihipStream_tbENKUlT_T0_E_clISt17integral_constantIbLb1EESY_EEDaST_SU_EUlST_E0_NS1_11comp_targetILNS1_3genE4ELNS1_11target_archE910ELNS1_3gpuE8ELNS1_3repE0EEENS1_30default_config_static_selectorELNS0_4arch9wavefront6targetE0EEEvT1_.num_vgpr, 0
	.set _ZN7rocprim17ROCPRIM_400000_NS6detail17trampoline_kernelINS0_14default_configENS1_20scan_config_selectorIN3c104HalfEEEZZNS1_9scan_implILNS1_25lookback_scan_determinismE0ELb0ELb0ES3_PKS6_PS6_S6_ZZZN2at6native31launch_logcumsumexp_cuda_kernelERKNSD_10TensorBaseESH_lENKUlvE_clEvENKUlvE3_clEvEUlS6_S6_E_S6_EEDaPvRmT3_T4_T5_mT6_P12ihipStream_tbENKUlT_T0_E_clISt17integral_constantIbLb1EESY_EEDaST_SU_EUlST_E0_NS1_11comp_targetILNS1_3genE4ELNS1_11target_archE910ELNS1_3gpuE8ELNS1_3repE0EEENS1_30default_config_static_selectorELNS0_4arch9wavefront6targetE0EEEvT1_.num_agpr, 0
	.set _ZN7rocprim17ROCPRIM_400000_NS6detail17trampoline_kernelINS0_14default_configENS1_20scan_config_selectorIN3c104HalfEEEZZNS1_9scan_implILNS1_25lookback_scan_determinismE0ELb0ELb0ES3_PKS6_PS6_S6_ZZZN2at6native31launch_logcumsumexp_cuda_kernelERKNSD_10TensorBaseESH_lENKUlvE_clEvENKUlvE3_clEvEUlS6_S6_E_S6_EEDaPvRmT3_T4_T5_mT6_P12ihipStream_tbENKUlT_T0_E_clISt17integral_constantIbLb1EESY_EEDaST_SU_EUlST_E0_NS1_11comp_targetILNS1_3genE4ELNS1_11target_archE910ELNS1_3gpuE8ELNS1_3repE0EEENS1_30default_config_static_selectorELNS0_4arch9wavefront6targetE0EEEvT1_.numbered_sgpr, 0
	.set _ZN7rocprim17ROCPRIM_400000_NS6detail17trampoline_kernelINS0_14default_configENS1_20scan_config_selectorIN3c104HalfEEEZZNS1_9scan_implILNS1_25lookback_scan_determinismE0ELb0ELb0ES3_PKS6_PS6_S6_ZZZN2at6native31launch_logcumsumexp_cuda_kernelERKNSD_10TensorBaseESH_lENKUlvE_clEvENKUlvE3_clEvEUlS6_S6_E_S6_EEDaPvRmT3_T4_T5_mT6_P12ihipStream_tbENKUlT_T0_E_clISt17integral_constantIbLb1EESY_EEDaST_SU_EUlST_E0_NS1_11comp_targetILNS1_3genE4ELNS1_11target_archE910ELNS1_3gpuE8ELNS1_3repE0EEENS1_30default_config_static_selectorELNS0_4arch9wavefront6targetE0EEEvT1_.num_named_barrier, 0
	.set _ZN7rocprim17ROCPRIM_400000_NS6detail17trampoline_kernelINS0_14default_configENS1_20scan_config_selectorIN3c104HalfEEEZZNS1_9scan_implILNS1_25lookback_scan_determinismE0ELb0ELb0ES3_PKS6_PS6_S6_ZZZN2at6native31launch_logcumsumexp_cuda_kernelERKNSD_10TensorBaseESH_lENKUlvE_clEvENKUlvE3_clEvEUlS6_S6_E_S6_EEDaPvRmT3_T4_T5_mT6_P12ihipStream_tbENKUlT_T0_E_clISt17integral_constantIbLb1EESY_EEDaST_SU_EUlST_E0_NS1_11comp_targetILNS1_3genE4ELNS1_11target_archE910ELNS1_3gpuE8ELNS1_3repE0EEENS1_30default_config_static_selectorELNS0_4arch9wavefront6targetE0EEEvT1_.private_seg_size, 0
	.set _ZN7rocprim17ROCPRIM_400000_NS6detail17trampoline_kernelINS0_14default_configENS1_20scan_config_selectorIN3c104HalfEEEZZNS1_9scan_implILNS1_25lookback_scan_determinismE0ELb0ELb0ES3_PKS6_PS6_S6_ZZZN2at6native31launch_logcumsumexp_cuda_kernelERKNSD_10TensorBaseESH_lENKUlvE_clEvENKUlvE3_clEvEUlS6_S6_E_S6_EEDaPvRmT3_T4_T5_mT6_P12ihipStream_tbENKUlT_T0_E_clISt17integral_constantIbLb1EESY_EEDaST_SU_EUlST_E0_NS1_11comp_targetILNS1_3genE4ELNS1_11target_archE910ELNS1_3gpuE8ELNS1_3repE0EEENS1_30default_config_static_selectorELNS0_4arch9wavefront6targetE0EEEvT1_.uses_vcc, 0
	.set _ZN7rocprim17ROCPRIM_400000_NS6detail17trampoline_kernelINS0_14default_configENS1_20scan_config_selectorIN3c104HalfEEEZZNS1_9scan_implILNS1_25lookback_scan_determinismE0ELb0ELb0ES3_PKS6_PS6_S6_ZZZN2at6native31launch_logcumsumexp_cuda_kernelERKNSD_10TensorBaseESH_lENKUlvE_clEvENKUlvE3_clEvEUlS6_S6_E_S6_EEDaPvRmT3_T4_T5_mT6_P12ihipStream_tbENKUlT_T0_E_clISt17integral_constantIbLb1EESY_EEDaST_SU_EUlST_E0_NS1_11comp_targetILNS1_3genE4ELNS1_11target_archE910ELNS1_3gpuE8ELNS1_3repE0EEENS1_30default_config_static_selectorELNS0_4arch9wavefront6targetE0EEEvT1_.uses_flat_scratch, 0
	.set _ZN7rocprim17ROCPRIM_400000_NS6detail17trampoline_kernelINS0_14default_configENS1_20scan_config_selectorIN3c104HalfEEEZZNS1_9scan_implILNS1_25lookback_scan_determinismE0ELb0ELb0ES3_PKS6_PS6_S6_ZZZN2at6native31launch_logcumsumexp_cuda_kernelERKNSD_10TensorBaseESH_lENKUlvE_clEvENKUlvE3_clEvEUlS6_S6_E_S6_EEDaPvRmT3_T4_T5_mT6_P12ihipStream_tbENKUlT_T0_E_clISt17integral_constantIbLb1EESY_EEDaST_SU_EUlST_E0_NS1_11comp_targetILNS1_3genE4ELNS1_11target_archE910ELNS1_3gpuE8ELNS1_3repE0EEENS1_30default_config_static_selectorELNS0_4arch9wavefront6targetE0EEEvT1_.has_dyn_sized_stack, 0
	.set _ZN7rocprim17ROCPRIM_400000_NS6detail17trampoline_kernelINS0_14default_configENS1_20scan_config_selectorIN3c104HalfEEEZZNS1_9scan_implILNS1_25lookback_scan_determinismE0ELb0ELb0ES3_PKS6_PS6_S6_ZZZN2at6native31launch_logcumsumexp_cuda_kernelERKNSD_10TensorBaseESH_lENKUlvE_clEvENKUlvE3_clEvEUlS6_S6_E_S6_EEDaPvRmT3_T4_T5_mT6_P12ihipStream_tbENKUlT_T0_E_clISt17integral_constantIbLb1EESY_EEDaST_SU_EUlST_E0_NS1_11comp_targetILNS1_3genE4ELNS1_11target_archE910ELNS1_3gpuE8ELNS1_3repE0EEENS1_30default_config_static_selectorELNS0_4arch9wavefront6targetE0EEEvT1_.has_recursion, 0
	.set _ZN7rocprim17ROCPRIM_400000_NS6detail17trampoline_kernelINS0_14default_configENS1_20scan_config_selectorIN3c104HalfEEEZZNS1_9scan_implILNS1_25lookback_scan_determinismE0ELb0ELb0ES3_PKS6_PS6_S6_ZZZN2at6native31launch_logcumsumexp_cuda_kernelERKNSD_10TensorBaseESH_lENKUlvE_clEvENKUlvE3_clEvEUlS6_S6_E_S6_EEDaPvRmT3_T4_T5_mT6_P12ihipStream_tbENKUlT_T0_E_clISt17integral_constantIbLb1EESY_EEDaST_SU_EUlST_E0_NS1_11comp_targetILNS1_3genE4ELNS1_11target_archE910ELNS1_3gpuE8ELNS1_3repE0EEENS1_30default_config_static_selectorELNS0_4arch9wavefront6targetE0EEEvT1_.has_indirect_call, 0
	.section	.AMDGPU.csdata,"",@progbits
; Kernel info:
; codeLenInByte = 0
; TotalNumSgprs: 0
; NumVgprs: 0
; ScratchSize: 0
; MemoryBound: 0
; FloatMode: 240
; IeeeMode: 1
; LDSByteSize: 0 bytes/workgroup (compile time only)
; SGPRBlocks: 0
; VGPRBlocks: 0
; NumSGPRsForWavesPerEU: 1
; NumVGPRsForWavesPerEU: 1
; Occupancy: 16
; WaveLimiterHint : 0
; COMPUTE_PGM_RSRC2:SCRATCH_EN: 0
; COMPUTE_PGM_RSRC2:USER_SGPR: 6
; COMPUTE_PGM_RSRC2:TRAP_HANDLER: 0
; COMPUTE_PGM_RSRC2:TGID_X_EN: 1
; COMPUTE_PGM_RSRC2:TGID_Y_EN: 0
; COMPUTE_PGM_RSRC2:TGID_Z_EN: 0
; COMPUTE_PGM_RSRC2:TIDIG_COMP_CNT: 0
	.section	.text._ZN7rocprim17ROCPRIM_400000_NS6detail17trampoline_kernelINS0_14default_configENS1_20scan_config_selectorIN3c104HalfEEEZZNS1_9scan_implILNS1_25lookback_scan_determinismE0ELb0ELb0ES3_PKS6_PS6_S6_ZZZN2at6native31launch_logcumsumexp_cuda_kernelERKNSD_10TensorBaseESH_lENKUlvE_clEvENKUlvE3_clEvEUlS6_S6_E_S6_EEDaPvRmT3_T4_T5_mT6_P12ihipStream_tbENKUlT_T0_E_clISt17integral_constantIbLb1EESY_EEDaST_SU_EUlST_E0_NS1_11comp_targetILNS1_3genE3ELNS1_11target_archE908ELNS1_3gpuE7ELNS1_3repE0EEENS1_30default_config_static_selectorELNS0_4arch9wavefront6targetE0EEEvT1_,"axG",@progbits,_ZN7rocprim17ROCPRIM_400000_NS6detail17trampoline_kernelINS0_14default_configENS1_20scan_config_selectorIN3c104HalfEEEZZNS1_9scan_implILNS1_25lookback_scan_determinismE0ELb0ELb0ES3_PKS6_PS6_S6_ZZZN2at6native31launch_logcumsumexp_cuda_kernelERKNSD_10TensorBaseESH_lENKUlvE_clEvENKUlvE3_clEvEUlS6_S6_E_S6_EEDaPvRmT3_T4_T5_mT6_P12ihipStream_tbENKUlT_T0_E_clISt17integral_constantIbLb1EESY_EEDaST_SU_EUlST_E0_NS1_11comp_targetILNS1_3genE3ELNS1_11target_archE908ELNS1_3gpuE7ELNS1_3repE0EEENS1_30default_config_static_selectorELNS0_4arch9wavefront6targetE0EEEvT1_,comdat
	.globl	_ZN7rocprim17ROCPRIM_400000_NS6detail17trampoline_kernelINS0_14default_configENS1_20scan_config_selectorIN3c104HalfEEEZZNS1_9scan_implILNS1_25lookback_scan_determinismE0ELb0ELb0ES3_PKS6_PS6_S6_ZZZN2at6native31launch_logcumsumexp_cuda_kernelERKNSD_10TensorBaseESH_lENKUlvE_clEvENKUlvE3_clEvEUlS6_S6_E_S6_EEDaPvRmT3_T4_T5_mT6_P12ihipStream_tbENKUlT_T0_E_clISt17integral_constantIbLb1EESY_EEDaST_SU_EUlST_E0_NS1_11comp_targetILNS1_3genE3ELNS1_11target_archE908ELNS1_3gpuE7ELNS1_3repE0EEENS1_30default_config_static_selectorELNS0_4arch9wavefront6targetE0EEEvT1_ ; -- Begin function _ZN7rocprim17ROCPRIM_400000_NS6detail17trampoline_kernelINS0_14default_configENS1_20scan_config_selectorIN3c104HalfEEEZZNS1_9scan_implILNS1_25lookback_scan_determinismE0ELb0ELb0ES3_PKS6_PS6_S6_ZZZN2at6native31launch_logcumsumexp_cuda_kernelERKNSD_10TensorBaseESH_lENKUlvE_clEvENKUlvE3_clEvEUlS6_S6_E_S6_EEDaPvRmT3_T4_T5_mT6_P12ihipStream_tbENKUlT_T0_E_clISt17integral_constantIbLb1EESY_EEDaST_SU_EUlST_E0_NS1_11comp_targetILNS1_3genE3ELNS1_11target_archE908ELNS1_3gpuE7ELNS1_3repE0EEENS1_30default_config_static_selectorELNS0_4arch9wavefront6targetE0EEEvT1_
	.p2align	8
	.type	_ZN7rocprim17ROCPRIM_400000_NS6detail17trampoline_kernelINS0_14default_configENS1_20scan_config_selectorIN3c104HalfEEEZZNS1_9scan_implILNS1_25lookback_scan_determinismE0ELb0ELb0ES3_PKS6_PS6_S6_ZZZN2at6native31launch_logcumsumexp_cuda_kernelERKNSD_10TensorBaseESH_lENKUlvE_clEvENKUlvE3_clEvEUlS6_S6_E_S6_EEDaPvRmT3_T4_T5_mT6_P12ihipStream_tbENKUlT_T0_E_clISt17integral_constantIbLb1EESY_EEDaST_SU_EUlST_E0_NS1_11comp_targetILNS1_3genE3ELNS1_11target_archE908ELNS1_3gpuE7ELNS1_3repE0EEENS1_30default_config_static_selectorELNS0_4arch9wavefront6targetE0EEEvT1_,@function
_ZN7rocprim17ROCPRIM_400000_NS6detail17trampoline_kernelINS0_14default_configENS1_20scan_config_selectorIN3c104HalfEEEZZNS1_9scan_implILNS1_25lookback_scan_determinismE0ELb0ELb0ES3_PKS6_PS6_S6_ZZZN2at6native31launch_logcumsumexp_cuda_kernelERKNSD_10TensorBaseESH_lENKUlvE_clEvENKUlvE3_clEvEUlS6_S6_E_S6_EEDaPvRmT3_T4_T5_mT6_P12ihipStream_tbENKUlT_T0_E_clISt17integral_constantIbLb1EESY_EEDaST_SU_EUlST_E0_NS1_11comp_targetILNS1_3genE3ELNS1_11target_archE908ELNS1_3gpuE7ELNS1_3repE0EEENS1_30default_config_static_selectorELNS0_4arch9wavefront6targetE0EEEvT1_: ; @_ZN7rocprim17ROCPRIM_400000_NS6detail17trampoline_kernelINS0_14default_configENS1_20scan_config_selectorIN3c104HalfEEEZZNS1_9scan_implILNS1_25lookback_scan_determinismE0ELb0ELb0ES3_PKS6_PS6_S6_ZZZN2at6native31launch_logcumsumexp_cuda_kernelERKNSD_10TensorBaseESH_lENKUlvE_clEvENKUlvE3_clEvEUlS6_S6_E_S6_EEDaPvRmT3_T4_T5_mT6_P12ihipStream_tbENKUlT_T0_E_clISt17integral_constantIbLb1EESY_EEDaST_SU_EUlST_E0_NS1_11comp_targetILNS1_3genE3ELNS1_11target_archE908ELNS1_3gpuE7ELNS1_3repE0EEENS1_30default_config_static_selectorELNS0_4arch9wavefront6targetE0EEEvT1_
; %bb.0:
	.section	.rodata,"a",@progbits
	.p2align	6, 0x0
	.amdhsa_kernel _ZN7rocprim17ROCPRIM_400000_NS6detail17trampoline_kernelINS0_14default_configENS1_20scan_config_selectorIN3c104HalfEEEZZNS1_9scan_implILNS1_25lookback_scan_determinismE0ELb0ELb0ES3_PKS6_PS6_S6_ZZZN2at6native31launch_logcumsumexp_cuda_kernelERKNSD_10TensorBaseESH_lENKUlvE_clEvENKUlvE3_clEvEUlS6_S6_E_S6_EEDaPvRmT3_T4_T5_mT6_P12ihipStream_tbENKUlT_T0_E_clISt17integral_constantIbLb1EESY_EEDaST_SU_EUlST_E0_NS1_11comp_targetILNS1_3genE3ELNS1_11target_archE908ELNS1_3gpuE7ELNS1_3repE0EEENS1_30default_config_static_selectorELNS0_4arch9wavefront6targetE0EEEvT1_
		.amdhsa_group_segment_fixed_size 0
		.amdhsa_private_segment_fixed_size 0
		.amdhsa_kernarg_size 32
		.amdhsa_user_sgpr_count 6
		.amdhsa_user_sgpr_private_segment_buffer 1
		.amdhsa_user_sgpr_dispatch_ptr 0
		.amdhsa_user_sgpr_queue_ptr 0
		.amdhsa_user_sgpr_kernarg_segment_ptr 1
		.amdhsa_user_sgpr_dispatch_id 0
		.amdhsa_user_sgpr_flat_scratch_init 0
		.amdhsa_user_sgpr_private_segment_size 0
		.amdhsa_wavefront_size32 1
		.amdhsa_uses_dynamic_stack 0
		.amdhsa_system_sgpr_private_segment_wavefront_offset 0
		.amdhsa_system_sgpr_workgroup_id_x 1
		.amdhsa_system_sgpr_workgroup_id_y 0
		.amdhsa_system_sgpr_workgroup_id_z 0
		.amdhsa_system_sgpr_workgroup_info 0
		.amdhsa_system_vgpr_workitem_id 0
		.amdhsa_next_free_vgpr 1
		.amdhsa_next_free_sgpr 1
		.amdhsa_reserve_vcc 0
		.amdhsa_reserve_flat_scratch 0
		.amdhsa_float_round_mode_32 0
		.amdhsa_float_round_mode_16_64 0
		.amdhsa_float_denorm_mode_32 3
		.amdhsa_float_denorm_mode_16_64 3
		.amdhsa_dx10_clamp 1
		.amdhsa_ieee_mode 1
		.amdhsa_fp16_overflow 0
		.amdhsa_workgroup_processor_mode 1
		.amdhsa_memory_ordered 1
		.amdhsa_forward_progress 1
		.amdhsa_shared_vgpr_count 0
		.amdhsa_exception_fp_ieee_invalid_op 0
		.amdhsa_exception_fp_denorm_src 0
		.amdhsa_exception_fp_ieee_div_zero 0
		.amdhsa_exception_fp_ieee_overflow 0
		.amdhsa_exception_fp_ieee_underflow 0
		.amdhsa_exception_fp_ieee_inexact 0
		.amdhsa_exception_int_div_zero 0
	.end_amdhsa_kernel
	.section	.text._ZN7rocprim17ROCPRIM_400000_NS6detail17trampoline_kernelINS0_14default_configENS1_20scan_config_selectorIN3c104HalfEEEZZNS1_9scan_implILNS1_25lookback_scan_determinismE0ELb0ELb0ES3_PKS6_PS6_S6_ZZZN2at6native31launch_logcumsumexp_cuda_kernelERKNSD_10TensorBaseESH_lENKUlvE_clEvENKUlvE3_clEvEUlS6_S6_E_S6_EEDaPvRmT3_T4_T5_mT6_P12ihipStream_tbENKUlT_T0_E_clISt17integral_constantIbLb1EESY_EEDaST_SU_EUlST_E0_NS1_11comp_targetILNS1_3genE3ELNS1_11target_archE908ELNS1_3gpuE7ELNS1_3repE0EEENS1_30default_config_static_selectorELNS0_4arch9wavefront6targetE0EEEvT1_,"axG",@progbits,_ZN7rocprim17ROCPRIM_400000_NS6detail17trampoline_kernelINS0_14default_configENS1_20scan_config_selectorIN3c104HalfEEEZZNS1_9scan_implILNS1_25lookback_scan_determinismE0ELb0ELb0ES3_PKS6_PS6_S6_ZZZN2at6native31launch_logcumsumexp_cuda_kernelERKNSD_10TensorBaseESH_lENKUlvE_clEvENKUlvE3_clEvEUlS6_S6_E_S6_EEDaPvRmT3_T4_T5_mT6_P12ihipStream_tbENKUlT_T0_E_clISt17integral_constantIbLb1EESY_EEDaST_SU_EUlST_E0_NS1_11comp_targetILNS1_3genE3ELNS1_11target_archE908ELNS1_3gpuE7ELNS1_3repE0EEENS1_30default_config_static_selectorELNS0_4arch9wavefront6targetE0EEEvT1_,comdat
.Lfunc_end390:
	.size	_ZN7rocprim17ROCPRIM_400000_NS6detail17trampoline_kernelINS0_14default_configENS1_20scan_config_selectorIN3c104HalfEEEZZNS1_9scan_implILNS1_25lookback_scan_determinismE0ELb0ELb0ES3_PKS6_PS6_S6_ZZZN2at6native31launch_logcumsumexp_cuda_kernelERKNSD_10TensorBaseESH_lENKUlvE_clEvENKUlvE3_clEvEUlS6_S6_E_S6_EEDaPvRmT3_T4_T5_mT6_P12ihipStream_tbENKUlT_T0_E_clISt17integral_constantIbLb1EESY_EEDaST_SU_EUlST_E0_NS1_11comp_targetILNS1_3genE3ELNS1_11target_archE908ELNS1_3gpuE7ELNS1_3repE0EEENS1_30default_config_static_selectorELNS0_4arch9wavefront6targetE0EEEvT1_, .Lfunc_end390-_ZN7rocprim17ROCPRIM_400000_NS6detail17trampoline_kernelINS0_14default_configENS1_20scan_config_selectorIN3c104HalfEEEZZNS1_9scan_implILNS1_25lookback_scan_determinismE0ELb0ELb0ES3_PKS6_PS6_S6_ZZZN2at6native31launch_logcumsumexp_cuda_kernelERKNSD_10TensorBaseESH_lENKUlvE_clEvENKUlvE3_clEvEUlS6_S6_E_S6_EEDaPvRmT3_T4_T5_mT6_P12ihipStream_tbENKUlT_T0_E_clISt17integral_constantIbLb1EESY_EEDaST_SU_EUlST_E0_NS1_11comp_targetILNS1_3genE3ELNS1_11target_archE908ELNS1_3gpuE7ELNS1_3repE0EEENS1_30default_config_static_selectorELNS0_4arch9wavefront6targetE0EEEvT1_
                                        ; -- End function
	.set _ZN7rocprim17ROCPRIM_400000_NS6detail17trampoline_kernelINS0_14default_configENS1_20scan_config_selectorIN3c104HalfEEEZZNS1_9scan_implILNS1_25lookback_scan_determinismE0ELb0ELb0ES3_PKS6_PS6_S6_ZZZN2at6native31launch_logcumsumexp_cuda_kernelERKNSD_10TensorBaseESH_lENKUlvE_clEvENKUlvE3_clEvEUlS6_S6_E_S6_EEDaPvRmT3_T4_T5_mT6_P12ihipStream_tbENKUlT_T0_E_clISt17integral_constantIbLb1EESY_EEDaST_SU_EUlST_E0_NS1_11comp_targetILNS1_3genE3ELNS1_11target_archE908ELNS1_3gpuE7ELNS1_3repE0EEENS1_30default_config_static_selectorELNS0_4arch9wavefront6targetE0EEEvT1_.num_vgpr, 0
	.set _ZN7rocprim17ROCPRIM_400000_NS6detail17trampoline_kernelINS0_14default_configENS1_20scan_config_selectorIN3c104HalfEEEZZNS1_9scan_implILNS1_25lookback_scan_determinismE0ELb0ELb0ES3_PKS6_PS6_S6_ZZZN2at6native31launch_logcumsumexp_cuda_kernelERKNSD_10TensorBaseESH_lENKUlvE_clEvENKUlvE3_clEvEUlS6_S6_E_S6_EEDaPvRmT3_T4_T5_mT6_P12ihipStream_tbENKUlT_T0_E_clISt17integral_constantIbLb1EESY_EEDaST_SU_EUlST_E0_NS1_11comp_targetILNS1_3genE3ELNS1_11target_archE908ELNS1_3gpuE7ELNS1_3repE0EEENS1_30default_config_static_selectorELNS0_4arch9wavefront6targetE0EEEvT1_.num_agpr, 0
	.set _ZN7rocprim17ROCPRIM_400000_NS6detail17trampoline_kernelINS0_14default_configENS1_20scan_config_selectorIN3c104HalfEEEZZNS1_9scan_implILNS1_25lookback_scan_determinismE0ELb0ELb0ES3_PKS6_PS6_S6_ZZZN2at6native31launch_logcumsumexp_cuda_kernelERKNSD_10TensorBaseESH_lENKUlvE_clEvENKUlvE3_clEvEUlS6_S6_E_S6_EEDaPvRmT3_T4_T5_mT6_P12ihipStream_tbENKUlT_T0_E_clISt17integral_constantIbLb1EESY_EEDaST_SU_EUlST_E0_NS1_11comp_targetILNS1_3genE3ELNS1_11target_archE908ELNS1_3gpuE7ELNS1_3repE0EEENS1_30default_config_static_selectorELNS0_4arch9wavefront6targetE0EEEvT1_.numbered_sgpr, 0
	.set _ZN7rocprim17ROCPRIM_400000_NS6detail17trampoline_kernelINS0_14default_configENS1_20scan_config_selectorIN3c104HalfEEEZZNS1_9scan_implILNS1_25lookback_scan_determinismE0ELb0ELb0ES3_PKS6_PS6_S6_ZZZN2at6native31launch_logcumsumexp_cuda_kernelERKNSD_10TensorBaseESH_lENKUlvE_clEvENKUlvE3_clEvEUlS6_S6_E_S6_EEDaPvRmT3_T4_T5_mT6_P12ihipStream_tbENKUlT_T0_E_clISt17integral_constantIbLb1EESY_EEDaST_SU_EUlST_E0_NS1_11comp_targetILNS1_3genE3ELNS1_11target_archE908ELNS1_3gpuE7ELNS1_3repE0EEENS1_30default_config_static_selectorELNS0_4arch9wavefront6targetE0EEEvT1_.num_named_barrier, 0
	.set _ZN7rocprim17ROCPRIM_400000_NS6detail17trampoline_kernelINS0_14default_configENS1_20scan_config_selectorIN3c104HalfEEEZZNS1_9scan_implILNS1_25lookback_scan_determinismE0ELb0ELb0ES3_PKS6_PS6_S6_ZZZN2at6native31launch_logcumsumexp_cuda_kernelERKNSD_10TensorBaseESH_lENKUlvE_clEvENKUlvE3_clEvEUlS6_S6_E_S6_EEDaPvRmT3_T4_T5_mT6_P12ihipStream_tbENKUlT_T0_E_clISt17integral_constantIbLb1EESY_EEDaST_SU_EUlST_E0_NS1_11comp_targetILNS1_3genE3ELNS1_11target_archE908ELNS1_3gpuE7ELNS1_3repE0EEENS1_30default_config_static_selectorELNS0_4arch9wavefront6targetE0EEEvT1_.private_seg_size, 0
	.set _ZN7rocprim17ROCPRIM_400000_NS6detail17trampoline_kernelINS0_14default_configENS1_20scan_config_selectorIN3c104HalfEEEZZNS1_9scan_implILNS1_25lookback_scan_determinismE0ELb0ELb0ES3_PKS6_PS6_S6_ZZZN2at6native31launch_logcumsumexp_cuda_kernelERKNSD_10TensorBaseESH_lENKUlvE_clEvENKUlvE3_clEvEUlS6_S6_E_S6_EEDaPvRmT3_T4_T5_mT6_P12ihipStream_tbENKUlT_T0_E_clISt17integral_constantIbLb1EESY_EEDaST_SU_EUlST_E0_NS1_11comp_targetILNS1_3genE3ELNS1_11target_archE908ELNS1_3gpuE7ELNS1_3repE0EEENS1_30default_config_static_selectorELNS0_4arch9wavefront6targetE0EEEvT1_.uses_vcc, 0
	.set _ZN7rocprim17ROCPRIM_400000_NS6detail17trampoline_kernelINS0_14default_configENS1_20scan_config_selectorIN3c104HalfEEEZZNS1_9scan_implILNS1_25lookback_scan_determinismE0ELb0ELb0ES3_PKS6_PS6_S6_ZZZN2at6native31launch_logcumsumexp_cuda_kernelERKNSD_10TensorBaseESH_lENKUlvE_clEvENKUlvE3_clEvEUlS6_S6_E_S6_EEDaPvRmT3_T4_T5_mT6_P12ihipStream_tbENKUlT_T0_E_clISt17integral_constantIbLb1EESY_EEDaST_SU_EUlST_E0_NS1_11comp_targetILNS1_3genE3ELNS1_11target_archE908ELNS1_3gpuE7ELNS1_3repE0EEENS1_30default_config_static_selectorELNS0_4arch9wavefront6targetE0EEEvT1_.uses_flat_scratch, 0
	.set _ZN7rocprim17ROCPRIM_400000_NS6detail17trampoline_kernelINS0_14default_configENS1_20scan_config_selectorIN3c104HalfEEEZZNS1_9scan_implILNS1_25lookback_scan_determinismE0ELb0ELb0ES3_PKS6_PS6_S6_ZZZN2at6native31launch_logcumsumexp_cuda_kernelERKNSD_10TensorBaseESH_lENKUlvE_clEvENKUlvE3_clEvEUlS6_S6_E_S6_EEDaPvRmT3_T4_T5_mT6_P12ihipStream_tbENKUlT_T0_E_clISt17integral_constantIbLb1EESY_EEDaST_SU_EUlST_E0_NS1_11comp_targetILNS1_3genE3ELNS1_11target_archE908ELNS1_3gpuE7ELNS1_3repE0EEENS1_30default_config_static_selectorELNS0_4arch9wavefront6targetE0EEEvT1_.has_dyn_sized_stack, 0
	.set _ZN7rocprim17ROCPRIM_400000_NS6detail17trampoline_kernelINS0_14default_configENS1_20scan_config_selectorIN3c104HalfEEEZZNS1_9scan_implILNS1_25lookback_scan_determinismE0ELb0ELb0ES3_PKS6_PS6_S6_ZZZN2at6native31launch_logcumsumexp_cuda_kernelERKNSD_10TensorBaseESH_lENKUlvE_clEvENKUlvE3_clEvEUlS6_S6_E_S6_EEDaPvRmT3_T4_T5_mT6_P12ihipStream_tbENKUlT_T0_E_clISt17integral_constantIbLb1EESY_EEDaST_SU_EUlST_E0_NS1_11comp_targetILNS1_3genE3ELNS1_11target_archE908ELNS1_3gpuE7ELNS1_3repE0EEENS1_30default_config_static_selectorELNS0_4arch9wavefront6targetE0EEEvT1_.has_recursion, 0
	.set _ZN7rocprim17ROCPRIM_400000_NS6detail17trampoline_kernelINS0_14default_configENS1_20scan_config_selectorIN3c104HalfEEEZZNS1_9scan_implILNS1_25lookback_scan_determinismE0ELb0ELb0ES3_PKS6_PS6_S6_ZZZN2at6native31launch_logcumsumexp_cuda_kernelERKNSD_10TensorBaseESH_lENKUlvE_clEvENKUlvE3_clEvEUlS6_S6_E_S6_EEDaPvRmT3_T4_T5_mT6_P12ihipStream_tbENKUlT_T0_E_clISt17integral_constantIbLb1EESY_EEDaST_SU_EUlST_E0_NS1_11comp_targetILNS1_3genE3ELNS1_11target_archE908ELNS1_3gpuE7ELNS1_3repE0EEENS1_30default_config_static_selectorELNS0_4arch9wavefront6targetE0EEEvT1_.has_indirect_call, 0
	.section	.AMDGPU.csdata,"",@progbits
; Kernel info:
; codeLenInByte = 0
; TotalNumSgprs: 0
; NumVgprs: 0
; ScratchSize: 0
; MemoryBound: 0
; FloatMode: 240
; IeeeMode: 1
; LDSByteSize: 0 bytes/workgroup (compile time only)
; SGPRBlocks: 0
; VGPRBlocks: 0
; NumSGPRsForWavesPerEU: 1
; NumVGPRsForWavesPerEU: 1
; Occupancy: 16
; WaveLimiterHint : 0
; COMPUTE_PGM_RSRC2:SCRATCH_EN: 0
; COMPUTE_PGM_RSRC2:USER_SGPR: 6
; COMPUTE_PGM_RSRC2:TRAP_HANDLER: 0
; COMPUTE_PGM_RSRC2:TGID_X_EN: 1
; COMPUTE_PGM_RSRC2:TGID_Y_EN: 0
; COMPUTE_PGM_RSRC2:TGID_Z_EN: 0
; COMPUTE_PGM_RSRC2:TIDIG_COMP_CNT: 0
	.section	.text._ZN7rocprim17ROCPRIM_400000_NS6detail17trampoline_kernelINS0_14default_configENS1_20scan_config_selectorIN3c104HalfEEEZZNS1_9scan_implILNS1_25lookback_scan_determinismE0ELb0ELb0ES3_PKS6_PS6_S6_ZZZN2at6native31launch_logcumsumexp_cuda_kernelERKNSD_10TensorBaseESH_lENKUlvE_clEvENKUlvE3_clEvEUlS6_S6_E_S6_EEDaPvRmT3_T4_T5_mT6_P12ihipStream_tbENKUlT_T0_E_clISt17integral_constantIbLb1EESY_EEDaST_SU_EUlST_E0_NS1_11comp_targetILNS1_3genE2ELNS1_11target_archE906ELNS1_3gpuE6ELNS1_3repE0EEENS1_30default_config_static_selectorELNS0_4arch9wavefront6targetE0EEEvT1_,"axG",@progbits,_ZN7rocprim17ROCPRIM_400000_NS6detail17trampoline_kernelINS0_14default_configENS1_20scan_config_selectorIN3c104HalfEEEZZNS1_9scan_implILNS1_25lookback_scan_determinismE0ELb0ELb0ES3_PKS6_PS6_S6_ZZZN2at6native31launch_logcumsumexp_cuda_kernelERKNSD_10TensorBaseESH_lENKUlvE_clEvENKUlvE3_clEvEUlS6_S6_E_S6_EEDaPvRmT3_T4_T5_mT6_P12ihipStream_tbENKUlT_T0_E_clISt17integral_constantIbLb1EESY_EEDaST_SU_EUlST_E0_NS1_11comp_targetILNS1_3genE2ELNS1_11target_archE906ELNS1_3gpuE6ELNS1_3repE0EEENS1_30default_config_static_selectorELNS0_4arch9wavefront6targetE0EEEvT1_,comdat
	.globl	_ZN7rocprim17ROCPRIM_400000_NS6detail17trampoline_kernelINS0_14default_configENS1_20scan_config_selectorIN3c104HalfEEEZZNS1_9scan_implILNS1_25lookback_scan_determinismE0ELb0ELb0ES3_PKS6_PS6_S6_ZZZN2at6native31launch_logcumsumexp_cuda_kernelERKNSD_10TensorBaseESH_lENKUlvE_clEvENKUlvE3_clEvEUlS6_S6_E_S6_EEDaPvRmT3_T4_T5_mT6_P12ihipStream_tbENKUlT_T0_E_clISt17integral_constantIbLb1EESY_EEDaST_SU_EUlST_E0_NS1_11comp_targetILNS1_3genE2ELNS1_11target_archE906ELNS1_3gpuE6ELNS1_3repE0EEENS1_30default_config_static_selectorELNS0_4arch9wavefront6targetE0EEEvT1_ ; -- Begin function _ZN7rocprim17ROCPRIM_400000_NS6detail17trampoline_kernelINS0_14default_configENS1_20scan_config_selectorIN3c104HalfEEEZZNS1_9scan_implILNS1_25lookback_scan_determinismE0ELb0ELb0ES3_PKS6_PS6_S6_ZZZN2at6native31launch_logcumsumexp_cuda_kernelERKNSD_10TensorBaseESH_lENKUlvE_clEvENKUlvE3_clEvEUlS6_S6_E_S6_EEDaPvRmT3_T4_T5_mT6_P12ihipStream_tbENKUlT_T0_E_clISt17integral_constantIbLb1EESY_EEDaST_SU_EUlST_E0_NS1_11comp_targetILNS1_3genE2ELNS1_11target_archE906ELNS1_3gpuE6ELNS1_3repE0EEENS1_30default_config_static_selectorELNS0_4arch9wavefront6targetE0EEEvT1_
	.p2align	8
	.type	_ZN7rocprim17ROCPRIM_400000_NS6detail17trampoline_kernelINS0_14default_configENS1_20scan_config_selectorIN3c104HalfEEEZZNS1_9scan_implILNS1_25lookback_scan_determinismE0ELb0ELb0ES3_PKS6_PS6_S6_ZZZN2at6native31launch_logcumsumexp_cuda_kernelERKNSD_10TensorBaseESH_lENKUlvE_clEvENKUlvE3_clEvEUlS6_S6_E_S6_EEDaPvRmT3_T4_T5_mT6_P12ihipStream_tbENKUlT_T0_E_clISt17integral_constantIbLb1EESY_EEDaST_SU_EUlST_E0_NS1_11comp_targetILNS1_3genE2ELNS1_11target_archE906ELNS1_3gpuE6ELNS1_3repE0EEENS1_30default_config_static_selectorELNS0_4arch9wavefront6targetE0EEEvT1_,@function
_ZN7rocprim17ROCPRIM_400000_NS6detail17trampoline_kernelINS0_14default_configENS1_20scan_config_selectorIN3c104HalfEEEZZNS1_9scan_implILNS1_25lookback_scan_determinismE0ELb0ELb0ES3_PKS6_PS6_S6_ZZZN2at6native31launch_logcumsumexp_cuda_kernelERKNSD_10TensorBaseESH_lENKUlvE_clEvENKUlvE3_clEvEUlS6_S6_E_S6_EEDaPvRmT3_T4_T5_mT6_P12ihipStream_tbENKUlT_T0_E_clISt17integral_constantIbLb1EESY_EEDaST_SU_EUlST_E0_NS1_11comp_targetILNS1_3genE2ELNS1_11target_archE906ELNS1_3gpuE6ELNS1_3repE0EEENS1_30default_config_static_selectorELNS0_4arch9wavefront6targetE0EEEvT1_: ; @_ZN7rocprim17ROCPRIM_400000_NS6detail17trampoline_kernelINS0_14default_configENS1_20scan_config_selectorIN3c104HalfEEEZZNS1_9scan_implILNS1_25lookback_scan_determinismE0ELb0ELb0ES3_PKS6_PS6_S6_ZZZN2at6native31launch_logcumsumexp_cuda_kernelERKNSD_10TensorBaseESH_lENKUlvE_clEvENKUlvE3_clEvEUlS6_S6_E_S6_EEDaPvRmT3_T4_T5_mT6_P12ihipStream_tbENKUlT_T0_E_clISt17integral_constantIbLb1EESY_EEDaST_SU_EUlST_E0_NS1_11comp_targetILNS1_3genE2ELNS1_11target_archE906ELNS1_3gpuE6ELNS1_3repE0EEENS1_30default_config_static_selectorELNS0_4arch9wavefront6targetE0EEEvT1_
; %bb.0:
	.section	.rodata,"a",@progbits
	.p2align	6, 0x0
	.amdhsa_kernel _ZN7rocprim17ROCPRIM_400000_NS6detail17trampoline_kernelINS0_14default_configENS1_20scan_config_selectorIN3c104HalfEEEZZNS1_9scan_implILNS1_25lookback_scan_determinismE0ELb0ELb0ES3_PKS6_PS6_S6_ZZZN2at6native31launch_logcumsumexp_cuda_kernelERKNSD_10TensorBaseESH_lENKUlvE_clEvENKUlvE3_clEvEUlS6_S6_E_S6_EEDaPvRmT3_T4_T5_mT6_P12ihipStream_tbENKUlT_T0_E_clISt17integral_constantIbLb1EESY_EEDaST_SU_EUlST_E0_NS1_11comp_targetILNS1_3genE2ELNS1_11target_archE906ELNS1_3gpuE6ELNS1_3repE0EEENS1_30default_config_static_selectorELNS0_4arch9wavefront6targetE0EEEvT1_
		.amdhsa_group_segment_fixed_size 0
		.amdhsa_private_segment_fixed_size 0
		.amdhsa_kernarg_size 32
		.amdhsa_user_sgpr_count 6
		.amdhsa_user_sgpr_private_segment_buffer 1
		.amdhsa_user_sgpr_dispatch_ptr 0
		.amdhsa_user_sgpr_queue_ptr 0
		.amdhsa_user_sgpr_kernarg_segment_ptr 1
		.amdhsa_user_sgpr_dispatch_id 0
		.amdhsa_user_sgpr_flat_scratch_init 0
		.amdhsa_user_sgpr_private_segment_size 0
		.amdhsa_wavefront_size32 1
		.amdhsa_uses_dynamic_stack 0
		.amdhsa_system_sgpr_private_segment_wavefront_offset 0
		.amdhsa_system_sgpr_workgroup_id_x 1
		.amdhsa_system_sgpr_workgroup_id_y 0
		.amdhsa_system_sgpr_workgroup_id_z 0
		.amdhsa_system_sgpr_workgroup_info 0
		.amdhsa_system_vgpr_workitem_id 0
		.amdhsa_next_free_vgpr 1
		.amdhsa_next_free_sgpr 1
		.amdhsa_reserve_vcc 0
		.amdhsa_reserve_flat_scratch 0
		.amdhsa_float_round_mode_32 0
		.amdhsa_float_round_mode_16_64 0
		.amdhsa_float_denorm_mode_32 3
		.amdhsa_float_denorm_mode_16_64 3
		.amdhsa_dx10_clamp 1
		.amdhsa_ieee_mode 1
		.amdhsa_fp16_overflow 0
		.amdhsa_workgroup_processor_mode 1
		.amdhsa_memory_ordered 1
		.amdhsa_forward_progress 1
		.amdhsa_shared_vgpr_count 0
		.amdhsa_exception_fp_ieee_invalid_op 0
		.amdhsa_exception_fp_denorm_src 0
		.amdhsa_exception_fp_ieee_div_zero 0
		.amdhsa_exception_fp_ieee_overflow 0
		.amdhsa_exception_fp_ieee_underflow 0
		.amdhsa_exception_fp_ieee_inexact 0
		.amdhsa_exception_int_div_zero 0
	.end_amdhsa_kernel
	.section	.text._ZN7rocprim17ROCPRIM_400000_NS6detail17trampoline_kernelINS0_14default_configENS1_20scan_config_selectorIN3c104HalfEEEZZNS1_9scan_implILNS1_25lookback_scan_determinismE0ELb0ELb0ES3_PKS6_PS6_S6_ZZZN2at6native31launch_logcumsumexp_cuda_kernelERKNSD_10TensorBaseESH_lENKUlvE_clEvENKUlvE3_clEvEUlS6_S6_E_S6_EEDaPvRmT3_T4_T5_mT6_P12ihipStream_tbENKUlT_T0_E_clISt17integral_constantIbLb1EESY_EEDaST_SU_EUlST_E0_NS1_11comp_targetILNS1_3genE2ELNS1_11target_archE906ELNS1_3gpuE6ELNS1_3repE0EEENS1_30default_config_static_selectorELNS0_4arch9wavefront6targetE0EEEvT1_,"axG",@progbits,_ZN7rocprim17ROCPRIM_400000_NS6detail17trampoline_kernelINS0_14default_configENS1_20scan_config_selectorIN3c104HalfEEEZZNS1_9scan_implILNS1_25lookback_scan_determinismE0ELb0ELb0ES3_PKS6_PS6_S6_ZZZN2at6native31launch_logcumsumexp_cuda_kernelERKNSD_10TensorBaseESH_lENKUlvE_clEvENKUlvE3_clEvEUlS6_S6_E_S6_EEDaPvRmT3_T4_T5_mT6_P12ihipStream_tbENKUlT_T0_E_clISt17integral_constantIbLb1EESY_EEDaST_SU_EUlST_E0_NS1_11comp_targetILNS1_3genE2ELNS1_11target_archE906ELNS1_3gpuE6ELNS1_3repE0EEENS1_30default_config_static_selectorELNS0_4arch9wavefront6targetE0EEEvT1_,comdat
.Lfunc_end391:
	.size	_ZN7rocprim17ROCPRIM_400000_NS6detail17trampoline_kernelINS0_14default_configENS1_20scan_config_selectorIN3c104HalfEEEZZNS1_9scan_implILNS1_25lookback_scan_determinismE0ELb0ELb0ES3_PKS6_PS6_S6_ZZZN2at6native31launch_logcumsumexp_cuda_kernelERKNSD_10TensorBaseESH_lENKUlvE_clEvENKUlvE3_clEvEUlS6_S6_E_S6_EEDaPvRmT3_T4_T5_mT6_P12ihipStream_tbENKUlT_T0_E_clISt17integral_constantIbLb1EESY_EEDaST_SU_EUlST_E0_NS1_11comp_targetILNS1_3genE2ELNS1_11target_archE906ELNS1_3gpuE6ELNS1_3repE0EEENS1_30default_config_static_selectorELNS0_4arch9wavefront6targetE0EEEvT1_, .Lfunc_end391-_ZN7rocprim17ROCPRIM_400000_NS6detail17trampoline_kernelINS0_14default_configENS1_20scan_config_selectorIN3c104HalfEEEZZNS1_9scan_implILNS1_25lookback_scan_determinismE0ELb0ELb0ES3_PKS6_PS6_S6_ZZZN2at6native31launch_logcumsumexp_cuda_kernelERKNSD_10TensorBaseESH_lENKUlvE_clEvENKUlvE3_clEvEUlS6_S6_E_S6_EEDaPvRmT3_T4_T5_mT6_P12ihipStream_tbENKUlT_T0_E_clISt17integral_constantIbLb1EESY_EEDaST_SU_EUlST_E0_NS1_11comp_targetILNS1_3genE2ELNS1_11target_archE906ELNS1_3gpuE6ELNS1_3repE0EEENS1_30default_config_static_selectorELNS0_4arch9wavefront6targetE0EEEvT1_
                                        ; -- End function
	.set _ZN7rocprim17ROCPRIM_400000_NS6detail17trampoline_kernelINS0_14default_configENS1_20scan_config_selectorIN3c104HalfEEEZZNS1_9scan_implILNS1_25lookback_scan_determinismE0ELb0ELb0ES3_PKS6_PS6_S6_ZZZN2at6native31launch_logcumsumexp_cuda_kernelERKNSD_10TensorBaseESH_lENKUlvE_clEvENKUlvE3_clEvEUlS6_S6_E_S6_EEDaPvRmT3_T4_T5_mT6_P12ihipStream_tbENKUlT_T0_E_clISt17integral_constantIbLb1EESY_EEDaST_SU_EUlST_E0_NS1_11comp_targetILNS1_3genE2ELNS1_11target_archE906ELNS1_3gpuE6ELNS1_3repE0EEENS1_30default_config_static_selectorELNS0_4arch9wavefront6targetE0EEEvT1_.num_vgpr, 0
	.set _ZN7rocprim17ROCPRIM_400000_NS6detail17trampoline_kernelINS0_14default_configENS1_20scan_config_selectorIN3c104HalfEEEZZNS1_9scan_implILNS1_25lookback_scan_determinismE0ELb0ELb0ES3_PKS6_PS6_S6_ZZZN2at6native31launch_logcumsumexp_cuda_kernelERKNSD_10TensorBaseESH_lENKUlvE_clEvENKUlvE3_clEvEUlS6_S6_E_S6_EEDaPvRmT3_T4_T5_mT6_P12ihipStream_tbENKUlT_T0_E_clISt17integral_constantIbLb1EESY_EEDaST_SU_EUlST_E0_NS1_11comp_targetILNS1_3genE2ELNS1_11target_archE906ELNS1_3gpuE6ELNS1_3repE0EEENS1_30default_config_static_selectorELNS0_4arch9wavefront6targetE0EEEvT1_.num_agpr, 0
	.set _ZN7rocprim17ROCPRIM_400000_NS6detail17trampoline_kernelINS0_14default_configENS1_20scan_config_selectorIN3c104HalfEEEZZNS1_9scan_implILNS1_25lookback_scan_determinismE0ELb0ELb0ES3_PKS6_PS6_S6_ZZZN2at6native31launch_logcumsumexp_cuda_kernelERKNSD_10TensorBaseESH_lENKUlvE_clEvENKUlvE3_clEvEUlS6_S6_E_S6_EEDaPvRmT3_T4_T5_mT6_P12ihipStream_tbENKUlT_T0_E_clISt17integral_constantIbLb1EESY_EEDaST_SU_EUlST_E0_NS1_11comp_targetILNS1_3genE2ELNS1_11target_archE906ELNS1_3gpuE6ELNS1_3repE0EEENS1_30default_config_static_selectorELNS0_4arch9wavefront6targetE0EEEvT1_.numbered_sgpr, 0
	.set _ZN7rocprim17ROCPRIM_400000_NS6detail17trampoline_kernelINS0_14default_configENS1_20scan_config_selectorIN3c104HalfEEEZZNS1_9scan_implILNS1_25lookback_scan_determinismE0ELb0ELb0ES3_PKS6_PS6_S6_ZZZN2at6native31launch_logcumsumexp_cuda_kernelERKNSD_10TensorBaseESH_lENKUlvE_clEvENKUlvE3_clEvEUlS6_S6_E_S6_EEDaPvRmT3_T4_T5_mT6_P12ihipStream_tbENKUlT_T0_E_clISt17integral_constantIbLb1EESY_EEDaST_SU_EUlST_E0_NS1_11comp_targetILNS1_3genE2ELNS1_11target_archE906ELNS1_3gpuE6ELNS1_3repE0EEENS1_30default_config_static_selectorELNS0_4arch9wavefront6targetE0EEEvT1_.num_named_barrier, 0
	.set _ZN7rocprim17ROCPRIM_400000_NS6detail17trampoline_kernelINS0_14default_configENS1_20scan_config_selectorIN3c104HalfEEEZZNS1_9scan_implILNS1_25lookback_scan_determinismE0ELb0ELb0ES3_PKS6_PS6_S6_ZZZN2at6native31launch_logcumsumexp_cuda_kernelERKNSD_10TensorBaseESH_lENKUlvE_clEvENKUlvE3_clEvEUlS6_S6_E_S6_EEDaPvRmT3_T4_T5_mT6_P12ihipStream_tbENKUlT_T0_E_clISt17integral_constantIbLb1EESY_EEDaST_SU_EUlST_E0_NS1_11comp_targetILNS1_3genE2ELNS1_11target_archE906ELNS1_3gpuE6ELNS1_3repE0EEENS1_30default_config_static_selectorELNS0_4arch9wavefront6targetE0EEEvT1_.private_seg_size, 0
	.set _ZN7rocprim17ROCPRIM_400000_NS6detail17trampoline_kernelINS0_14default_configENS1_20scan_config_selectorIN3c104HalfEEEZZNS1_9scan_implILNS1_25lookback_scan_determinismE0ELb0ELb0ES3_PKS6_PS6_S6_ZZZN2at6native31launch_logcumsumexp_cuda_kernelERKNSD_10TensorBaseESH_lENKUlvE_clEvENKUlvE3_clEvEUlS6_S6_E_S6_EEDaPvRmT3_T4_T5_mT6_P12ihipStream_tbENKUlT_T0_E_clISt17integral_constantIbLb1EESY_EEDaST_SU_EUlST_E0_NS1_11comp_targetILNS1_3genE2ELNS1_11target_archE906ELNS1_3gpuE6ELNS1_3repE0EEENS1_30default_config_static_selectorELNS0_4arch9wavefront6targetE0EEEvT1_.uses_vcc, 0
	.set _ZN7rocprim17ROCPRIM_400000_NS6detail17trampoline_kernelINS0_14default_configENS1_20scan_config_selectorIN3c104HalfEEEZZNS1_9scan_implILNS1_25lookback_scan_determinismE0ELb0ELb0ES3_PKS6_PS6_S6_ZZZN2at6native31launch_logcumsumexp_cuda_kernelERKNSD_10TensorBaseESH_lENKUlvE_clEvENKUlvE3_clEvEUlS6_S6_E_S6_EEDaPvRmT3_T4_T5_mT6_P12ihipStream_tbENKUlT_T0_E_clISt17integral_constantIbLb1EESY_EEDaST_SU_EUlST_E0_NS1_11comp_targetILNS1_3genE2ELNS1_11target_archE906ELNS1_3gpuE6ELNS1_3repE0EEENS1_30default_config_static_selectorELNS0_4arch9wavefront6targetE0EEEvT1_.uses_flat_scratch, 0
	.set _ZN7rocprim17ROCPRIM_400000_NS6detail17trampoline_kernelINS0_14default_configENS1_20scan_config_selectorIN3c104HalfEEEZZNS1_9scan_implILNS1_25lookback_scan_determinismE0ELb0ELb0ES3_PKS6_PS6_S6_ZZZN2at6native31launch_logcumsumexp_cuda_kernelERKNSD_10TensorBaseESH_lENKUlvE_clEvENKUlvE3_clEvEUlS6_S6_E_S6_EEDaPvRmT3_T4_T5_mT6_P12ihipStream_tbENKUlT_T0_E_clISt17integral_constantIbLb1EESY_EEDaST_SU_EUlST_E0_NS1_11comp_targetILNS1_3genE2ELNS1_11target_archE906ELNS1_3gpuE6ELNS1_3repE0EEENS1_30default_config_static_selectorELNS0_4arch9wavefront6targetE0EEEvT1_.has_dyn_sized_stack, 0
	.set _ZN7rocprim17ROCPRIM_400000_NS6detail17trampoline_kernelINS0_14default_configENS1_20scan_config_selectorIN3c104HalfEEEZZNS1_9scan_implILNS1_25lookback_scan_determinismE0ELb0ELb0ES3_PKS6_PS6_S6_ZZZN2at6native31launch_logcumsumexp_cuda_kernelERKNSD_10TensorBaseESH_lENKUlvE_clEvENKUlvE3_clEvEUlS6_S6_E_S6_EEDaPvRmT3_T4_T5_mT6_P12ihipStream_tbENKUlT_T0_E_clISt17integral_constantIbLb1EESY_EEDaST_SU_EUlST_E0_NS1_11comp_targetILNS1_3genE2ELNS1_11target_archE906ELNS1_3gpuE6ELNS1_3repE0EEENS1_30default_config_static_selectorELNS0_4arch9wavefront6targetE0EEEvT1_.has_recursion, 0
	.set _ZN7rocprim17ROCPRIM_400000_NS6detail17trampoline_kernelINS0_14default_configENS1_20scan_config_selectorIN3c104HalfEEEZZNS1_9scan_implILNS1_25lookback_scan_determinismE0ELb0ELb0ES3_PKS6_PS6_S6_ZZZN2at6native31launch_logcumsumexp_cuda_kernelERKNSD_10TensorBaseESH_lENKUlvE_clEvENKUlvE3_clEvEUlS6_S6_E_S6_EEDaPvRmT3_T4_T5_mT6_P12ihipStream_tbENKUlT_T0_E_clISt17integral_constantIbLb1EESY_EEDaST_SU_EUlST_E0_NS1_11comp_targetILNS1_3genE2ELNS1_11target_archE906ELNS1_3gpuE6ELNS1_3repE0EEENS1_30default_config_static_selectorELNS0_4arch9wavefront6targetE0EEEvT1_.has_indirect_call, 0
	.section	.AMDGPU.csdata,"",@progbits
; Kernel info:
; codeLenInByte = 0
; TotalNumSgprs: 0
; NumVgprs: 0
; ScratchSize: 0
; MemoryBound: 0
; FloatMode: 240
; IeeeMode: 1
; LDSByteSize: 0 bytes/workgroup (compile time only)
; SGPRBlocks: 0
; VGPRBlocks: 0
; NumSGPRsForWavesPerEU: 1
; NumVGPRsForWavesPerEU: 1
; Occupancy: 16
; WaveLimiterHint : 0
; COMPUTE_PGM_RSRC2:SCRATCH_EN: 0
; COMPUTE_PGM_RSRC2:USER_SGPR: 6
; COMPUTE_PGM_RSRC2:TRAP_HANDLER: 0
; COMPUTE_PGM_RSRC2:TGID_X_EN: 1
; COMPUTE_PGM_RSRC2:TGID_Y_EN: 0
; COMPUTE_PGM_RSRC2:TGID_Z_EN: 0
; COMPUTE_PGM_RSRC2:TIDIG_COMP_CNT: 0
	.section	.text._ZN7rocprim17ROCPRIM_400000_NS6detail17trampoline_kernelINS0_14default_configENS1_20scan_config_selectorIN3c104HalfEEEZZNS1_9scan_implILNS1_25lookback_scan_determinismE0ELb0ELb0ES3_PKS6_PS6_S6_ZZZN2at6native31launch_logcumsumexp_cuda_kernelERKNSD_10TensorBaseESH_lENKUlvE_clEvENKUlvE3_clEvEUlS6_S6_E_S6_EEDaPvRmT3_T4_T5_mT6_P12ihipStream_tbENKUlT_T0_E_clISt17integral_constantIbLb1EESY_EEDaST_SU_EUlST_E0_NS1_11comp_targetILNS1_3genE10ELNS1_11target_archE1201ELNS1_3gpuE5ELNS1_3repE0EEENS1_30default_config_static_selectorELNS0_4arch9wavefront6targetE0EEEvT1_,"axG",@progbits,_ZN7rocprim17ROCPRIM_400000_NS6detail17trampoline_kernelINS0_14default_configENS1_20scan_config_selectorIN3c104HalfEEEZZNS1_9scan_implILNS1_25lookback_scan_determinismE0ELb0ELb0ES3_PKS6_PS6_S6_ZZZN2at6native31launch_logcumsumexp_cuda_kernelERKNSD_10TensorBaseESH_lENKUlvE_clEvENKUlvE3_clEvEUlS6_S6_E_S6_EEDaPvRmT3_T4_T5_mT6_P12ihipStream_tbENKUlT_T0_E_clISt17integral_constantIbLb1EESY_EEDaST_SU_EUlST_E0_NS1_11comp_targetILNS1_3genE10ELNS1_11target_archE1201ELNS1_3gpuE5ELNS1_3repE0EEENS1_30default_config_static_selectorELNS0_4arch9wavefront6targetE0EEEvT1_,comdat
	.globl	_ZN7rocprim17ROCPRIM_400000_NS6detail17trampoline_kernelINS0_14default_configENS1_20scan_config_selectorIN3c104HalfEEEZZNS1_9scan_implILNS1_25lookback_scan_determinismE0ELb0ELb0ES3_PKS6_PS6_S6_ZZZN2at6native31launch_logcumsumexp_cuda_kernelERKNSD_10TensorBaseESH_lENKUlvE_clEvENKUlvE3_clEvEUlS6_S6_E_S6_EEDaPvRmT3_T4_T5_mT6_P12ihipStream_tbENKUlT_T0_E_clISt17integral_constantIbLb1EESY_EEDaST_SU_EUlST_E0_NS1_11comp_targetILNS1_3genE10ELNS1_11target_archE1201ELNS1_3gpuE5ELNS1_3repE0EEENS1_30default_config_static_selectorELNS0_4arch9wavefront6targetE0EEEvT1_ ; -- Begin function _ZN7rocprim17ROCPRIM_400000_NS6detail17trampoline_kernelINS0_14default_configENS1_20scan_config_selectorIN3c104HalfEEEZZNS1_9scan_implILNS1_25lookback_scan_determinismE0ELb0ELb0ES3_PKS6_PS6_S6_ZZZN2at6native31launch_logcumsumexp_cuda_kernelERKNSD_10TensorBaseESH_lENKUlvE_clEvENKUlvE3_clEvEUlS6_S6_E_S6_EEDaPvRmT3_T4_T5_mT6_P12ihipStream_tbENKUlT_T0_E_clISt17integral_constantIbLb1EESY_EEDaST_SU_EUlST_E0_NS1_11comp_targetILNS1_3genE10ELNS1_11target_archE1201ELNS1_3gpuE5ELNS1_3repE0EEENS1_30default_config_static_selectorELNS0_4arch9wavefront6targetE0EEEvT1_
	.p2align	8
	.type	_ZN7rocprim17ROCPRIM_400000_NS6detail17trampoline_kernelINS0_14default_configENS1_20scan_config_selectorIN3c104HalfEEEZZNS1_9scan_implILNS1_25lookback_scan_determinismE0ELb0ELb0ES3_PKS6_PS6_S6_ZZZN2at6native31launch_logcumsumexp_cuda_kernelERKNSD_10TensorBaseESH_lENKUlvE_clEvENKUlvE3_clEvEUlS6_S6_E_S6_EEDaPvRmT3_T4_T5_mT6_P12ihipStream_tbENKUlT_T0_E_clISt17integral_constantIbLb1EESY_EEDaST_SU_EUlST_E0_NS1_11comp_targetILNS1_3genE10ELNS1_11target_archE1201ELNS1_3gpuE5ELNS1_3repE0EEENS1_30default_config_static_selectorELNS0_4arch9wavefront6targetE0EEEvT1_,@function
_ZN7rocprim17ROCPRIM_400000_NS6detail17trampoline_kernelINS0_14default_configENS1_20scan_config_selectorIN3c104HalfEEEZZNS1_9scan_implILNS1_25lookback_scan_determinismE0ELb0ELb0ES3_PKS6_PS6_S6_ZZZN2at6native31launch_logcumsumexp_cuda_kernelERKNSD_10TensorBaseESH_lENKUlvE_clEvENKUlvE3_clEvEUlS6_S6_E_S6_EEDaPvRmT3_T4_T5_mT6_P12ihipStream_tbENKUlT_T0_E_clISt17integral_constantIbLb1EESY_EEDaST_SU_EUlST_E0_NS1_11comp_targetILNS1_3genE10ELNS1_11target_archE1201ELNS1_3gpuE5ELNS1_3repE0EEENS1_30default_config_static_selectorELNS0_4arch9wavefront6targetE0EEEvT1_: ; @_ZN7rocprim17ROCPRIM_400000_NS6detail17trampoline_kernelINS0_14default_configENS1_20scan_config_selectorIN3c104HalfEEEZZNS1_9scan_implILNS1_25lookback_scan_determinismE0ELb0ELb0ES3_PKS6_PS6_S6_ZZZN2at6native31launch_logcumsumexp_cuda_kernelERKNSD_10TensorBaseESH_lENKUlvE_clEvENKUlvE3_clEvEUlS6_S6_E_S6_EEDaPvRmT3_T4_T5_mT6_P12ihipStream_tbENKUlT_T0_E_clISt17integral_constantIbLb1EESY_EEDaST_SU_EUlST_E0_NS1_11comp_targetILNS1_3genE10ELNS1_11target_archE1201ELNS1_3gpuE5ELNS1_3repE0EEENS1_30default_config_static_selectorELNS0_4arch9wavefront6targetE0EEEvT1_
; %bb.0:
	.section	.rodata,"a",@progbits
	.p2align	6, 0x0
	.amdhsa_kernel _ZN7rocprim17ROCPRIM_400000_NS6detail17trampoline_kernelINS0_14default_configENS1_20scan_config_selectorIN3c104HalfEEEZZNS1_9scan_implILNS1_25lookback_scan_determinismE0ELb0ELb0ES3_PKS6_PS6_S6_ZZZN2at6native31launch_logcumsumexp_cuda_kernelERKNSD_10TensorBaseESH_lENKUlvE_clEvENKUlvE3_clEvEUlS6_S6_E_S6_EEDaPvRmT3_T4_T5_mT6_P12ihipStream_tbENKUlT_T0_E_clISt17integral_constantIbLb1EESY_EEDaST_SU_EUlST_E0_NS1_11comp_targetILNS1_3genE10ELNS1_11target_archE1201ELNS1_3gpuE5ELNS1_3repE0EEENS1_30default_config_static_selectorELNS0_4arch9wavefront6targetE0EEEvT1_
		.amdhsa_group_segment_fixed_size 0
		.amdhsa_private_segment_fixed_size 0
		.amdhsa_kernarg_size 32
		.amdhsa_user_sgpr_count 6
		.amdhsa_user_sgpr_private_segment_buffer 1
		.amdhsa_user_sgpr_dispatch_ptr 0
		.amdhsa_user_sgpr_queue_ptr 0
		.amdhsa_user_sgpr_kernarg_segment_ptr 1
		.amdhsa_user_sgpr_dispatch_id 0
		.amdhsa_user_sgpr_flat_scratch_init 0
		.amdhsa_user_sgpr_private_segment_size 0
		.amdhsa_wavefront_size32 1
		.amdhsa_uses_dynamic_stack 0
		.amdhsa_system_sgpr_private_segment_wavefront_offset 0
		.amdhsa_system_sgpr_workgroup_id_x 1
		.amdhsa_system_sgpr_workgroup_id_y 0
		.amdhsa_system_sgpr_workgroup_id_z 0
		.amdhsa_system_sgpr_workgroup_info 0
		.amdhsa_system_vgpr_workitem_id 0
		.amdhsa_next_free_vgpr 1
		.amdhsa_next_free_sgpr 1
		.amdhsa_reserve_vcc 0
		.amdhsa_reserve_flat_scratch 0
		.amdhsa_float_round_mode_32 0
		.amdhsa_float_round_mode_16_64 0
		.amdhsa_float_denorm_mode_32 3
		.amdhsa_float_denorm_mode_16_64 3
		.amdhsa_dx10_clamp 1
		.amdhsa_ieee_mode 1
		.amdhsa_fp16_overflow 0
		.amdhsa_workgroup_processor_mode 1
		.amdhsa_memory_ordered 1
		.amdhsa_forward_progress 1
		.amdhsa_shared_vgpr_count 0
		.amdhsa_exception_fp_ieee_invalid_op 0
		.amdhsa_exception_fp_denorm_src 0
		.amdhsa_exception_fp_ieee_div_zero 0
		.amdhsa_exception_fp_ieee_overflow 0
		.amdhsa_exception_fp_ieee_underflow 0
		.amdhsa_exception_fp_ieee_inexact 0
		.amdhsa_exception_int_div_zero 0
	.end_amdhsa_kernel
	.section	.text._ZN7rocprim17ROCPRIM_400000_NS6detail17trampoline_kernelINS0_14default_configENS1_20scan_config_selectorIN3c104HalfEEEZZNS1_9scan_implILNS1_25lookback_scan_determinismE0ELb0ELb0ES3_PKS6_PS6_S6_ZZZN2at6native31launch_logcumsumexp_cuda_kernelERKNSD_10TensorBaseESH_lENKUlvE_clEvENKUlvE3_clEvEUlS6_S6_E_S6_EEDaPvRmT3_T4_T5_mT6_P12ihipStream_tbENKUlT_T0_E_clISt17integral_constantIbLb1EESY_EEDaST_SU_EUlST_E0_NS1_11comp_targetILNS1_3genE10ELNS1_11target_archE1201ELNS1_3gpuE5ELNS1_3repE0EEENS1_30default_config_static_selectorELNS0_4arch9wavefront6targetE0EEEvT1_,"axG",@progbits,_ZN7rocprim17ROCPRIM_400000_NS6detail17trampoline_kernelINS0_14default_configENS1_20scan_config_selectorIN3c104HalfEEEZZNS1_9scan_implILNS1_25lookback_scan_determinismE0ELb0ELb0ES3_PKS6_PS6_S6_ZZZN2at6native31launch_logcumsumexp_cuda_kernelERKNSD_10TensorBaseESH_lENKUlvE_clEvENKUlvE3_clEvEUlS6_S6_E_S6_EEDaPvRmT3_T4_T5_mT6_P12ihipStream_tbENKUlT_T0_E_clISt17integral_constantIbLb1EESY_EEDaST_SU_EUlST_E0_NS1_11comp_targetILNS1_3genE10ELNS1_11target_archE1201ELNS1_3gpuE5ELNS1_3repE0EEENS1_30default_config_static_selectorELNS0_4arch9wavefront6targetE0EEEvT1_,comdat
.Lfunc_end392:
	.size	_ZN7rocprim17ROCPRIM_400000_NS6detail17trampoline_kernelINS0_14default_configENS1_20scan_config_selectorIN3c104HalfEEEZZNS1_9scan_implILNS1_25lookback_scan_determinismE0ELb0ELb0ES3_PKS6_PS6_S6_ZZZN2at6native31launch_logcumsumexp_cuda_kernelERKNSD_10TensorBaseESH_lENKUlvE_clEvENKUlvE3_clEvEUlS6_S6_E_S6_EEDaPvRmT3_T4_T5_mT6_P12ihipStream_tbENKUlT_T0_E_clISt17integral_constantIbLb1EESY_EEDaST_SU_EUlST_E0_NS1_11comp_targetILNS1_3genE10ELNS1_11target_archE1201ELNS1_3gpuE5ELNS1_3repE0EEENS1_30default_config_static_selectorELNS0_4arch9wavefront6targetE0EEEvT1_, .Lfunc_end392-_ZN7rocprim17ROCPRIM_400000_NS6detail17trampoline_kernelINS0_14default_configENS1_20scan_config_selectorIN3c104HalfEEEZZNS1_9scan_implILNS1_25lookback_scan_determinismE0ELb0ELb0ES3_PKS6_PS6_S6_ZZZN2at6native31launch_logcumsumexp_cuda_kernelERKNSD_10TensorBaseESH_lENKUlvE_clEvENKUlvE3_clEvEUlS6_S6_E_S6_EEDaPvRmT3_T4_T5_mT6_P12ihipStream_tbENKUlT_T0_E_clISt17integral_constantIbLb1EESY_EEDaST_SU_EUlST_E0_NS1_11comp_targetILNS1_3genE10ELNS1_11target_archE1201ELNS1_3gpuE5ELNS1_3repE0EEENS1_30default_config_static_selectorELNS0_4arch9wavefront6targetE0EEEvT1_
                                        ; -- End function
	.set _ZN7rocprim17ROCPRIM_400000_NS6detail17trampoline_kernelINS0_14default_configENS1_20scan_config_selectorIN3c104HalfEEEZZNS1_9scan_implILNS1_25lookback_scan_determinismE0ELb0ELb0ES3_PKS6_PS6_S6_ZZZN2at6native31launch_logcumsumexp_cuda_kernelERKNSD_10TensorBaseESH_lENKUlvE_clEvENKUlvE3_clEvEUlS6_S6_E_S6_EEDaPvRmT3_T4_T5_mT6_P12ihipStream_tbENKUlT_T0_E_clISt17integral_constantIbLb1EESY_EEDaST_SU_EUlST_E0_NS1_11comp_targetILNS1_3genE10ELNS1_11target_archE1201ELNS1_3gpuE5ELNS1_3repE0EEENS1_30default_config_static_selectorELNS0_4arch9wavefront6targetE0EEEvT1_.num_vgpr, 0
	.set _ZN7rocprim17ROCPRIM_400000_NS6detail17trampoline_kernelINS0_14default_configENS1_20scan_config_selectorIN3c104HalfEEEZZNS1_9scan_implILNS1_25lookback_scan_determinismE0ELb0ELb0ES3_PKS6_PS6_S6_ZZZN2at6native31launch_logcumsumexp_cuda_kernelERKNSD_10TensorBaseESH_lENKUlvE_clEvENKUlvE3_clEvEUlS6_S6_E_S6_EEDaPvRmT3_T4_T5_mT6_P12ihipStream_tbENKUlT_T0_E_clISt17integral_constantIbLb1EESY_EEDaST_SU_EUlST_E0_NS1_11comp_targetILNS1_3genE10ELNS1_11target_archE1201ELNS1_3gpuE5ELNS1_3repE0EEENS1_30default_config_static_selectorELNS0_4arch9wavefront6targetE0EEEvT1_.num_agpr, 0
	.set _ZN7rocprim17ROCPRIM_400000_NS6detail17trampoline_kernelINS0_14default_configENS1_20scan_config_selectorIN3c104HalfEEEZZNS1_9scan_implILNS1_25lookback_scan_determinismE0ELb0ELb0ES3_PKS6_PS6_S6_ZZZN2at6native31launch_logcumsumexp_cuda_kernelERKNSD_10TensorBaseESH_lENKUlvE_clEvENKUlvE3_clEvEUlS6_S6_E_S6_EEDaPvRmT3_T4_T5_mT6_P12ihipStream_tbENKUlT_T0_E_clISt17integral_constantIbLb1EESY_EEDaST_SU_EUlST_E0_NS1_11comp_targetILNS1_3genE10ELNS1_11target_archE1201ELNS1_3gpuE5ELNS1_3repE0EEENS1_30default_config_static_selectorELNS0_4arch9wavefront6targetE0EEEvT1_.numbered_sgpr, 0
	.set _ZN7rocprim17ROCPRIM_400000_NS6detail17trampoline_kernelINS0_14default_configENS1_20scan_config_selectorIN3c104HalfEEEZZNS1_9scan_implILNS1_25lookback_scan_determinismE0ELb0ELb0ES3_PKS6_PS6_S6_ZZZN2at6native31launch_logcumsumexp_cuda_kernelERKNSD_10TensorBaseESH_lENKUlvE_clEvENKUlvE3_clEvEUlS6_S6_E_S6_EEDaPvRmT3_T4_T5_mT6_P12ihipStream_tbENKUlT_T0_E_clISt17integral_constantIbLb1EESY_EEDaST_SU_EUlST_E0_NS1_11comp_targetILNS1_3genE10ELNS1_11target_archE1201ELNS1_3gpuE5ELNS1_3repE0EEENS1_30default_config_static_selectorELNS0_4arch9wavefront6targetE0EEEvT1_.num_named_barrier, 0
	.set _ZN7rocprim17ROCPRIM_400000_NS6detail17trampoline_kernelINS0_14default_configENS1_20scan_config_selectorIN3c104HalfEEEZZNS1_9scan_implILNS1_25lookback_scan_determinismE0ELb0ELb0ES3_PKS6_PS6_S6_ZZZN2at6native31launch_logcumsumexp_cuda_kernelERKNSD_10TensorBaseESH_lENKUlvE_clEvENKUlvE3_clEvEUlS6_S6_E_S6_EEDaPvRmT3_T4_T5_mT6_P12ihipStream_tbENKUlT_T0_E_clISt17integral_constantIbLb1EESY_EEDaST_SU_EUlST_E0_NS1_11comp_targetILNS1_3genE10ELNS1_11target_archE1201ELNS1_3gpuE5ELNS1_3repE0EEENS1_30default_config_static_selectorELNS0_4arch9wavefront6targetE0EEEvT1_.private_seg_size, 0
	.set _ZN7rocprim17ROCPRIM_400000_NS6detail17trampoline_kernelINS0_14default_configENS1_20scan_config_selectorIN3c104HalfEEEZZNS1_9scan_implILNS1_25lookback_scan_determinismE0ELb0ELb0ES3_PKS6_PS6_S6_ZZZN2at6native31launch_logcumsumexp_cuda_kernelERKNSD_10TensorBaseESH_lENKUlvE_clEvENKUlvE3_clEvEUlS6_S6_E_S6_EEDaPvRmT3_T4_T5_mT6_P12ihipStream_tbENKUlT_T0_E_clISt17integral_constantIbLb1EESY_EEDaST_SU_EUlST_E0_NS1_11comp_targetILNS1_3genE10ELNS1_11target_archE1201ELNS1_3gpuE5ELNS1_3repE0EEENS1_30default_config_static_selectorELNS0_4arch9wavefront6targetE0EEEvT1_.uses_vcc, 0
	.set _ZN7rocprim17ROCPRIM_400000_NS6detail17trampoline_kernelINS0_14default_configENS1_20scan_config_selectorIN3c104HalfEEEZZNS1_9scan_implILNS1_25lookback_scan_determinismE0ELb0ELb0ES3_PKS6_PS6_S6_ZZZN2at6native31launch_logcumsumexp_cuda_kernelERKNSD_10TensorBaseESH_lENKUlvE_clEvENKUlvE3_clEvEUlS6_S6_E_S6_EEDaPvRmT3_T4_T5_mT6_P12ihipStream_tbENKUlT_T0_E_clISt17integral_constantIbLb1EESY_EEDaST_SU_EUlST_E0_NS1_11comp_targetILNS1_3genE10ELNS1_11target_archE1201ELNS1_3gpuE5ELNS1_3repE0EEENS1_30default_config_static_selectorELNS0_4arch9wavefront6targetE0EEEvT1_.uses_flat_scratch, 0
	.set _ZN7rocprim17ROCPRIM_400000_NS6detail17trampoline_kernelINS0_14default_configENS1_20scan_config_selectorIN3c104HalfEEEZZNS1_9scan_implILNS1_25lookback_scan_determinismE0ELb0ELb0ES3_PKS6_PS6_S6_ZZZN2at6native31launch_logcumsumexp_cuda_kernelERKNSD_10TensorBaseESH_lENKUlvE_clEvENKUlvE3_clEvEUlS6_S6_E_S6_EEDaPvRmT3_T4_T5_mT6_P12ihipStream_tbENKUlT_T0_E_clISt17integral_constantIbLb1EESY_EEDaST_SU_EUlST_E0_NS1_11comp_targetILNS1_3genE10ELNS1_11target_archE1201ELNS1_3gpuE5ELNS1_3repE0EEENS1_30default_config_static_selectorELNS0_4arch9wavefront6targetE0EEEvT1_.has_dyn_sized_stack, 0
	.set _ZN7rocprim17ROCPRIM_400000_NS6detail17trampoline_kernelINS0_14default_configENS1_20scan_config_selectorIN3c104HalfEEEZZNS1_9scan_implILNS1_25lookback_scan_determinismE0ELb0ELb0ES3_PKS6_PS6_S6_ZZZN2at6native31launch_logcumsumexp_cuda_kernelERKNSD_10TensorBaseESH_lENKUlvE_clEvENKUlvE3_clEvEUlS6_S6_E_S6_EEDaPvRmT3_T4_T5_mT6_P12ihipStream_tbENKUlT_T0_E_clISt17integral_constantIbLb1EESY_EEDaST_SU_EUlST_E0_NS1_11comp_targetILNS1_3genE10ELNS1_11target_archE1201ELNS1_3gpuE5ELNS1_3repE0EEENS1_30default_config_static_selectorELNS0_4arch9wavefront6targetE0EEEvT1_.has_recursion, 0
	.set _ZN7rocprim17ROCPRIM_400000_NS6detail17trampoline_kernelINS0_14default_configENS1_20scan_config_selectorIN3c104HalfEEEZZNS1_9scan_implILNS1_25lookback_scan_determinismE0ELb0ELb0ES3_PKS6_PS6_S6_ZZZN2at6native31launch_logcumsumexp_cuda_kernelERKNSD_10TensorBaseESH_lENKUlvE_clEvENKUlvE3_clEvEUlS6_S6_E_S6_EEDaPvRmT3_T4_T5_mT6_P12ihipStream_tbENKUlT_T0_E_clISt17integral_constantIbLb1EESY_EEDaST_SU_EUlST_E0_NS1_11comp_targetILNS1_3genE10ELNS1_11target_archE1201ELNS1_3gpuE5ELNS1_3repE0EEENS1_30default_config_static_selectorELNS0_4arch9wavefront6targetE0EEEvT1_.has_indirect_call, 0
	.section	.AMDGPU.csdata,"",@progbits
; Kernel info:
; codeLenInByte = 0
; TotalNumSgprs: 0
; NumVgprs: 0
; ScratchSize: 0
; MemoryBound: 0
; FloatMode: 240
; IeeeMode: 1
; LDSByteSize: 0 bytes/workgroup (compile time only)
; SGPRBlocks: 0
; VGPRBlocks: 0
; NumSGPRsForWavesPerEU: 1
; NumVGPRsForWavesPerEU: 1
; Occupancy: 16
; WaveLimiterHint : 0
; COMPUTE_PGM_RSRC2:SCRATCH_EN: 0
; COMPUTE_PGM_RSRC2:USER_SGPR: 6
; COMPUTE_PGM_RSRC2:TRAP_HANDLER: 0
; COMPUTE_PGM_RSRC2:TGID_X_EN: 1
; COMPUTE_PGM_RSRC2:TGID_Y_EN: 0
; COMPUTE_PGM_RSRC2:TGID_Z_EN: 0
; COMPUTE_PGM_RSRC2:TIDIG_COMP_CNT: 0
	.section	.text._ZN7rocprim17ROCPRIM_400000_NS6detail17trampoline_kernelINS0_14default_configENS1_20scan_config_selectorIN3c104HalfEEEZZNS1_9scan_implILNS1_25lookback_scan_determinismE0ELb0ELb0ES3_PKS6_PS6_S6_ZZZN2at6native31launch_logcumsumexp_cuda_kernelERKNSD_10TensorBaseESH_lENKUlvE_clEvENKUlvE3_clEvEUlS6_S6_E_S6_EEDaPvRmT3_T4_T5_mT6_P12ihipStream_tbENKUlT_T0_E_clISt17integral_constantIbLb1EESY_EEDaST_SU_EUlST_E0_NS1_11comp_targetILNS1_3genE10ELNS1_11target_archE1200ELNS1_3gpuE4ELNS1_3repE0EEENS1_30default_config_static_selectorELNS0_4arch9wavefront6targetE0EEEvT1_,"axG",@progbits,_ZN7rocprim17ROCPRIM_400000_NS6detail17trampoline_kernelINS0_14default_configENS1_20scan_config_selectorIN3c104HalfEEEZZNS1_9scan_implILNS1_25lookback_scan_determinismE0ELb0ELb0ES3_PKS6_PS6_S6_ZZZN2at6native31launch_logcumsumexp_cuda_kernelERKNSD_10TensorBaseESH_lENKUlvE_clEvENKUlvE3_clEvEUlS6_S6_E_S6_EEDaPvRmT3_T4_T5_mT6_P12ihipStream_tbENKUlT_T0_E_clISt17integral_constantIbLb1EESY_EEDaST_SU_EUlST_E0_NS1_11comp_targetILNS1_3genE10ELNS1_11target_archE1200ELNS1_3gpuE4ELNS1_3repE0EEENS1_30default_config_static_selectorELNS0_4arch9wavefront6targetE0EEEvT1_,comdat
	.globl	_ZN7rocprim17ROCPRIM_400000_NS6detail17trampoline_kernelINS0_14default_configENS1_20scan_config_selectorIN3c104HalfEEEZZNS1_9scan_implILNS1_25lookback_scan_determinismE0ELb0ELb0ES3_PKS6_PS6_S6_ZZZN2at6native31launch_logcumsumexp_cuda_kernelERKNSD_10TensorBaseESH_lENKUlvE_clEvENKUlvE3_clEvEUlS6_S6_E_S6_EEDaPvRmT3_T4_T5_mT6_P12ihipStream_tbENKUlT_T0_E_clISt17integral_constantIbLb1EESY_EEDaST_SU_EUlST_E0_NS1_11comp_targetILNS1_3genE10ELNS1_11target_archE1200ELNS1_3gpuE4ELNS1_3repE0EEENS1_30default_config_static_selectorELNS0_4arch9wavefront6targetE0EEEvT1_ ; -- Begin function _ZN7rocprim17ROCPRIM_400000_NS6detail17trampoline_kernelINS0_14default_configENS1_20scan_config_selectorIN3c104HalfEEEZZNS1_9scan_implILNS1_25lookback_scan_determinismE0ELb0ELb0ES3_PKS6_PS6_S6_ZZZN2at6native31launch_logcumsumexp_cuda_kernelERKNSD_10TensorBaseESH_lENKUlvE_clEvENKUlvE3_clEvEUlS6_S6_E_S6_EEDaPvRmT3_T4_T5_mT6_P12ihipStream_tbENKUlT_T0_E_clISt17integral_constantIbLb1EESY_EEDaST_SU_EUlST_E0_NS1_11comp_targetILNS1_3genE10ELNS1_11target_archE1200ELNS1_3gpuE4ELNS1_3repE0EEENS1_30default_config_static_selectorELNS0_4arch9wavefront6targetE0EEEvT1_
	.p2align	8
	.type	_ZN7rocprim17ROCPRIM_400000_NS6detail17trampoline_kernelINS0_14default_configENS1_20scan_config_selectorIN3c104HalfEEEZZNS1_9scan_implILNS1_25lookback_scan_determinismE0ELb0ELb0ES3_PKS6_PS6_S6_ZZZN2at6native31launch_logcumsumexp_cuda_kernelERKNSD_10TensorBaseESH_lENKUlvE_clEvENKUlvE3_clEvEUlS6_S6_E_S6_EEDaPvRmT3_T4_T5_mT6_P12ihipStream_tbENKUlT_T0_E_clISt17integral_constantIbLb1EESY_EEDaST_SU_EUlST_E0_NS1_11comp_targetILNS1_3genE10ELNS1_11target_archE1200ELNS1_3gpuE4ELNS1_3repE0EEENS1_30default_config_static_selectorELNS0_4arch9wavefront6targetE0EEEvT1_,@function
_ZN7rocprim17ROCPRIM_400000_NS6detail17trampoline_kernelINS0_14default_configENS1_20scan_config_selectorIN3c104HalfEEEZZNS1_9scan_implILNS1_25lookback_scan_determinismE0ELb0ELb0ES3_PKS6_PS6_S6_ZZZN2at6native31launch_logcumsumexp_cuda_kernelERKNSD_10TensorBaseESH_lENKUlvE_clEvENKUlvE3_clEvEUlS6_S6_E_S6_EEDaPvRmT3_T4_T5_mT6_P12ihipStream_tbENKUlT_T0_E_clISt17integral_constantIbLb1EESY_EEDaST_SU_EUlST_E0_NS1_11comp_targetILNS1_3genE10ELNS1_11target_archE1200ELNS1_3gpuE4ELNS1_3repE0EEENS1_30default_config_static_selectorELNS0_4arch9wavefront6targetE0EEEvT1_: ; @_ZN7rocprim17ROCPRIM_400000_NS6detail17trampoline_kernelINS0_14default_configENS1_20scan_config_selectorIN3c104HalfEEEZZNS1_9scan_implILNS1_25lookback_scan_determinismE0ELb0ELb0ES3_PKS6_PS6_S6_ZZZN2at6native31launch_logcumsumexp_cuda_kernelERKNSD_10TensorBaseESH_lENKUlvE_clEvENKUlvE3_clEvEUlS6_S6_E_S6_EEDaPvRmT3_T4_T5_mT6_P12ihipStream_tbENKUlT_T0_E_clISt17integral_constantIbLb1EESY_EEDaST_SU_EUlST_E0_NS1_11comp_targetILNS1_3genE10ELNS1_11target_archE1200ELNS1_3gpuE4ELNS1_3repE0EEENS1_30default_config_static_selectorELNS0_4arch9wavefront6targetE0EEEvT1_
; %bb.0:
	.section	.rodata,"a",@progbits
	.p2align	6, 0x0
	.amdhsa_kernel _ZN7rocprim17ROCPRIM_400000_NS6detail17trampoline_kernelINS0_14default_configENS1_20scan_config_selectorIN3c104HalfEEEZZNS1_9scan_implILNS1_25lookback_scan_determinismE0ELb0ELb0ES3_PKS6_PS6_S6_ZZZN2at6native31launch_logcumsumexp_cuda_kernelERKNSD_10TensorBaseESH_lENKUlvE_clEvENKUlvE3_clEvEUlS6_S6_E_S6_EEDaPvRmT3_T4_T5_mT6_P12ihipStream_tbENKUlT_T0_E_clISt17integral_constantIbLb1EESY_EEDaST_SU_EUlST_E0_NS1_11comp_targetILNS1_3genE10ELNS1_11target_archE1200ELNS1_3gpuE4ELNS1_3repE0EEENS1_30default_config_static_selectorELNS0_4arch9wavefront6targetE0EEEvT1_
		.amdhsa_group_segment_fixed_size 0
		.amdhsa_private_segment_fixed_size 0
		.amdhsa_kernarg_size 32
		.amdhsa_user_sgpr_count 6
		.amdhsa_user_sgpr_private_segment_buffer 1
		.amdhsa_user_sgpr_dispatch_ptr 0
		.amdhsa_user_sgpr_queue_ptr 0
		.amdhsa_user_sgpr_kernarg_segment_ptr 1
		.amdhsa_user_sgpr_dispatch_id 0
		.amdhsa_user_sgpr_flat_scratch_init 0
		.amdhsa_user_sgpr_private_segment_size 0
		.amdhsa_wavefront_size32 1
		.amdhsa_uses_dynamic_stack 0
		.amdhsa_system_sgpr_private_segment_wavefront_offset 0
		.amdhsa_system_sgpr_workgroup_id_x 1
		.amdhsa_system_sgpr_workgroup_id_y 0
		.amdhsa_system_sgpr_workgroup_id_z 0
		.amdhsa_system_sgpr_workgroup_info 0
		.amdhsa_system_vgpr_workitem_id 0
		.amdhsa_next_free_vgpr 1
		.amdhsa_next_free_sgpr 1
		.amdhsa_reserve_vcc 0
		.amdhsa_reserve_flat_scratch 0
		.amdhsa_float_round_mode_32 0
		.amdhsa_float_round_mode_16_64 0
		.amdhsa_float_denorm_mode_32 3
		.amdhsa_float_denorm_mode_16_64 3
		.amdhsa_dx10_clamp 1
		.amdhsa_ieee_mode 1
		.amdhsa_fp16_overflow 0
		.amdhsa_workgroup_processor_mode 1
		.amdhsa_memory_ordered 1
		.amdhsa_forward_progress 1
		.amdhsa_shared_vgpr_count 0
		.amdhsa_exception_fp_ieee_invalid_op 0
		.amdhsa_exception_fp_denorm_src 0
		.amdhsa_exception_fp_ieee_div_zero 0
		.amdhsa_exception_fp_ieee_overflow 0
		.amdhsa_exception_fp_ieee_underflow 0
		.amdhsa_exception_fp_ieee_inexact 0
		.amdhsa_exception_int_div_zero 0
	.end_amdhsa_kernel
	.section	.text._ZN7rocprim17ROCPRIM_400000_NS6detail17trampoline_kernelINS0_14default_configENS1_20scan_config_selectorIN3c104HalfEEEZZNS1_9scan_implILNS1_25lookback_scan_determinismE0ELb0ELb0ES3_PKS6_PS6_S6_ZZZN2at6native31launch_logcumsumexp_cuda_kernelERKNSD_10TensorBaseESH_lENKUlvE_clEvENKUlvE3_clEvEUlS6_S6_E_S6_EEDaPvRmT3_T4_T5_mT6_P12ihipStream_tbENKUlT_T0_E_clISt17integral_constantIbLb1EESY_EEDaST_SU_EUlST_E0_NS1_11comp_targetILNS1_3genE10ELNS1_11target_archE1200ELNS1_3gpuE4ELNS1_3repE0EEENS1_30default_config_static_selectorELNS0_4arch9wavefront6targetE0EEEvT1_,"axG",@progbits,_ZN7rocprim17ROCPRIM_400000_NS6detail17trampoline_kernelINS0_14default_configENS1_20scan_config_selectorIN3c104HalfEEEZZNS1_9scan_implILNS1_25lookback_scan_determinismE0ELb0ELb0ES3_PKS6_PS6_S6_ZZZN2at6native31launch_logcumsumexp_cuda_kernelERKNSD_10TensorBaseESH_lENKUlvE_clEvENKUlvE3_clEvEUlS6_S6_E_S6_EEDaPvRmT3_T4_T5_mT6_P12ihipStream_tbENKUlT_T0_E_clISt17integral_constantIbLb1EESY_EEDaST_SU_EUlST_E0_NS1_11comp_targetILNS1_3genE10ELNS1_11target_archE1200ELNS1_3gpuE4ELNS1_3repE0EEENS1_30default_config_static_selectorELNS0_4arch9wavefront6targetE0EEEvT1_,comdat
.Lfunc_end393:
	.size	_ZN7rocprim17ROCPRIM_400000_NS6detail17trampoline_kernelINS0_14default_configENS1_20scan_config_selectorIN3c104HalfEEEZZNS1_9scan_implILNS1_25lookback_scan_determinismE0ELb0ELb0ES3_PKS6_PS6_S6_ZZZN2at6native31launch_logcumsumexp_cuda_kernelERKNSD_10TensorBaseESH_lENKUlvE_clEvENKUlvE3_clEvEUlS6_S6_E_S6_EEDaPvRmT3_T4_T5_mT6_P12ihipStream_tbENKUlT_T0_E_clISt17integral_constantIbLb1EESY_EEDaST_SU_EUlST_E0_NS1_11comp_targetILNS1_3genE10ELNS1_11target_archE1200ELNS1_3gpuE4ELNS1_3repE0EEENS1_30default_config_static_selectorELNS0_4arch9wavefront6targetE0EEEvT1_, .Lfunc_end393-_ZN7rocprim17ROCPRIM_400000_NS6detail17trampoline_kernelINS0_14default_configENS1_20scan_config_selectorIN3c104HalfEEEZZNS1_9scan_implILNS1_25lookback_scan_determinismE0ELb0ELb0ES3_PKS6_PS6_S6_ZZZN2at6native31launch_logcumsumexp_cuda_kernelERKNSD_10TensorBaseESH_lENKUlvE_clEvENKUlvE3_clEvEUlS6_S6_E_S6_EEDaPvRmT3_T4_T5_mT6_P12ihipStream_tbENKUlT_T0_E_clISt17integral_constantIbLb1EESY_EEDaST_SU_EUlST_E0_NS1_11comp_targetILNS1_3genE10ELNS1_11target_archE1200ELNS1_3gpuE4ELNS1_3repE0EEENS1_30default_config_static_selectorELNS0_4arch9wavefront6targetE0EEEvT1_
                                        ; -- End function
	.set _ZN7rocprim17ROCPRIM_400000_NS6detail17trampoline_kernelINS0_14default_configENS1_20scan_config_selectorIN3c104HalfEEEZZNS1_9scan_implILNS1_25lookback_scan_determinismE0ELb0ELb0ES3_PKS6_PS6_S6_ZZZN2at6native31launch_logcumsumexp_cuda_kernelERKNSD_10TensorBaseESH_lENKUlvE_clEvENKUlvE3_clEvEUlS6_S6_E_S6_EEDaPvRmT3_T4_T5_mT6_P12ihipStream_tbENKUlT_T0_E_clISt17integral_constantIbLb1EESY_EEDaST_SU_EUlST_E0_NS1_11comp_targetILNS1_3genE10ELNS1_11target_archE1200ELNS1_3gpuE4ELNS1_3repE0EEENS1_30default_config_static_selectorELNS0_4arch9wavefront6targetE0EEEvT1_.num_vgpr, 0
	.set _ZN7rocprim17ROCPRIM_400000_NS6detail17trampoline_kernelINS0_14default_configENS1_20scan_config_selectorIN3c104HalfEEEZZNS1_9scan_implILNS1_25lookback_scan_determinismE0ELb0ELb0ES3_PKS6_PS6_S6_ZZZN2at6native31launch_logcumsumexp_cuda_kernelERKNSD_10TensorBaseESH_lENKUlvE_clEvENKUlvE3_clEvEUlS6_S6_E_S6_EEDaPvRmT3_T4_T5_mT6_P12ihipStream_tbENKUlT_T0_E_clISt17integral_constantIbLb1EESY_EEDaST_SU_EUlST_E0_NS1_11comp_targetILNS1_3genE10ELNS1_11target_archE1200ELNS1_3gpuE4ELNS1_3repE0EEENS1_30default_config_static_selectorELNS0_4arch9wavefront6targetE0EEEvT1_.num_agpr, 0
	.set _ZN7rocprim17ROCPRIM_400000_NS6detail17trampoline_kernelINS0_14default_configENS1_20scan_config_selectorIN3c104HalfEEEZZNS1_9scan_implILNS1_25lookback_scan_determinismE0ELb0ELb0ES3_PKS6_PS6_S6_ZZZN2at6native31launch_logcumsumexp_cuda_kernelERKNSD_10TensorBaseESH_lENKUlvE_clEvENKUlvE3_clEvEUlS6_S6_E_S6_EEDaPvRmT3_T4_T5_mT6_P12ihipStream_tbENKUlT_T0_E_clISt17integral_constantIbLb1EESY_EEDaST_SU_EUlST_E0_NS1_11comp_targetILNS1_3genE10ELNS1_11target_archE1200ELNS1_3gpuE4ELNS1_3repE0EEENS1_30default_config_static_selectorELNS0_4arch9wavefront6targetE0EEEvT1_.numbered_sgpr, 0
	.set _ZN7rocprim17ROCPRIM_400000_NS6detail17trampoline_kernelINS0_14default_configENS1_20scan_config_selectorIN3c104HalfEEEZZNS1_9scan_implILNS1_25lookback_scan_determinismE0ELb0ELb0ES3_PKS6_PS6_S6_ZZZN2at6native31launch_logcumsumexp_cuda_kernelERKNSD_10TensorBaseESH_lENKUlvE_clEvENKUlvE3_clEvEUlS6_S6_E_S6_EEDaPvRmT3_T4_T5_mT6_P12ihipStream_tbENKUlT_T0_E_clISt17integral_constantIbLb1EESY_EEDaST_SU_EUlST_E0_NS1_11comp_targetILNS1_3genE10ELNS1_11target_archE1200ELNS1_3gpuE4ELNS1_3repE0EEENS1_30default_config_static_selectorELNS0_4arch9wavefront6targetE0EEEvT1_.num_named_barrier, 0
	.set _ZN7rocprim17ROCPRIM_400000_NS6detail17trampoline_kernelINS0_14default_configENS1_20scan_config_selectorIN3c104HalfEEEZZNS1_9scan_implILNS1_25lookback_scan_determinismE0ELb0ELb0ES3_PKS6_PS6_S6_ZZZN2at6native31launch_logcumsumexp_cuda_kernelERKNSD_10TensorBaseESH_lENKUlvE_clEvENKUlvE3_clEvEUlS6_S6_E_S6_EEDaPvRmT3_T4_T5_mT6_P12ihipStream_tbENKUlT_T0_E_clISt17integral_constantIbLb1EESY_EEDaST_SU_EUlST_E0_NS1_11comp_targetILNS1_3genE10ELNS1_11target_archE1200ELNS1_3gpuE4ELNS1_3repE0EEENS1_30default_config_static_selectorELNS0_4arch9wavefront6targetE0EEEvT1_.private_seg_size, 0
	.set _ZN7rocprim17ROCPRIM_400000_NS6detail17trampoline_kernelINS0_14default_configENS1_20scan_config_selectorIN3c104HalfEEEZZNS1_9scan_implILNS1_25lookback_scan_determinismE0ELb0ELb0ES3_PKS6_PS6_S6_ZZZN2at6native31launch_logcumsumexp_cuda_kernelERKNSD_10TensorBaseESH_lENKUlvE_clEvENKUlvE3_clEvEUlS6_S6_E_S6_EEDaPvRmT3_T4_T5_mT6_P12ihipStream_tbENKUlT_T0_E_clISt17integral_constantIbLb1EESY_EEDaST_SU_EUlST_E0_NS1_11comp_targetILNS1_3genE10ELNS1_11target_archE1200ELNS1_3gpuE4ELNS1_3repE0EEENS1_30default_config_static_selectorELNS0_4arch9wavefront6targetE0EEEvT1_.uses_vcc, 0
	.set _ZN7rocprim17ROCPRIM_400000_NS6detail17trampoline_kernelINS0_14default_configENS1_20scan_config_selectorIN3c104HalfEEEZZNS1_9scan_implILNS1_25lookback_scan_determinismE0ELb0ELb0ES3_PKS6_PS6_S6_ZZZN2at6native31launch_logcumsumexp_cuda_kernelERKNSD_10TensorBaseESH_lENKUlvE_clEvENKUlvE3_clEvEUlS6_S6_E_S6_EEDaPvRmT3_T4_T5_mT6_P12ihipStream_tbENKUlT_T0_E_clISt17integral_constantIbLb1EESY_EEDaST_SU_EUlST_E0_NS1_11comp_targetILNS1_3genE10ELNS1_11target_archE1200ELNS1_3gpuE4ELNS1_3repE0EEENS1_30default_config_static_selectorELNS0_4arch9wavefront6targetE0EEEvT1_.uses_flat_scratch, 0
	.set _ZN7rocprim17ROCPRIM_400000_NS6detail17trampoline_kernelINS0_14default_configENS1_20scan_config_selectorIN3c104HalfEEEZZNS1_9scan_implILNS1_25lookback_scan_determinismE0ELb0ELb0ES3_PKS6_PS6_S6_ZZZN2at6native31launch_logcumsumexp_cuda_kernelERKNSD_10TensorBaseESH_lENKUlvE_clEvENKUlvE3_clEvEUlS6_S6_E_S6_EEDaPvRmT3_T4_T5_mT6_P12ihipStream_tbENKUlT_T0_E_clISt17integral_constantIbLb1EESY_EEDaST_SU_EUlST_E0_NS1_11comp_targetILNS1_3genE10ELNS1_11target_archE1200ELNS1_3gpuE4ELNS1_3repE0EEENS1_30default_config_static_selectorELNS0_4arch9wavefront6targetE0EEEvT1_.has_dyn_sized_stack, 0
	.set _ZN7rocprim17ROCPRIM_400000_NS6detail17trampoline_kernelINS0_14default_configENS1_20scan_config_selectorIN3c104HalfEEEZZNS1_9scan_implILNS1_25lookback_scan_determinismE0ELb0ELb0ES3_PKS6_PS6_S6_ZZZN2at6native31launch_logcumsumexp_cuda_kernelERKNSD_10TensorBaseESH_lENKUlvE_clEvENKUlvE3_clEvEUlS6_S6_E_S6_EEDaPvRmT3_T4_T5_mT6_P12ihipStream_tbENKUlT_T0_E_clISt17integral_constantIbLb1EESY_EEDaST_SU_EUlST_E0_NS1_11comp_targetILNS1_3genE10ELNS1_11target_archE1200ELNS1_3gpuE4ELNS1_3repE0EEENS1_30default_config_static_selectorELNS0_4arch9wavefront6targetE0EEEvT1_.has_recursion, 0
	.set _ZN7rocprim17ROCPRIM_400000_NS6detail17trampoline_kernelINS0_14default_configENS1_20scan_config_selectorIN3c104HalfEEEZZNS1_9scan_implILNS1_25lookback_scan_determinismE0ELb0ELb0ES3_PKS6_PS6_S6_ZZZN2at6native31launch_logcumsumexp_cuda_kernelERKNSD_10TensorBaseESH_lENKUlvE_clEvENKUlvE3_clEvEUlS6_S6_E_S6_EEDaPvRmT3_T4_T5_mT6_P12ihipStream_tbENKUlT_T0_E_clISt17integral_constantIbLb1EESY_EEDaST_SU_EUlST_E0_NS1_11comp_targetILNS1_3genE10ELNS1_11target_archE1200ELNS1_3gpuE4ELNS1_3repE0EEENS1_30default_config_static_selectorELNS0_4arch9wavefront6targetE0EEEvT1_.has_indirect_call, 0
	.section	.AMDGPU.csdata,"",@progbits
; Kernel info:
; codeLenInByte = 0
; TotalNumSgprs: 0
; NumVgprs: 0
; ScratchSize: 0
; MemoryBound: 0
; FloatMode: 240
; IeeeMode: 1
; LDSByteSize: 0 bytes/workgroup (compile time only)
; SGPRBlocks: 0
; VGPRBlocks: 0
; NumSGPRsForWavesPerEU: 1
; NumVGPRsForWavesPerEU: 1
; Occupancy: 16
; WaveLimiterHint : 0
; COMPUTE_PGM_RSRC2:SCRATCH_EN: 0
; COMPUTE_PGM_RSRC2:USER_SGPR: 6
; COMPUTE_PGM_RSRC2:TRAP_HANDLER: 0
; COMPUTE_PGM_RSRC2:TGID_X_EN: 1
; COMPUTE_PGM_RSRC2:TGID_Y_EN: 0
; COMPUTE_PGM_RSRC2:TGID_Z_EN: 0
; COMPUTE_PGM_RSRC2:TIDIG_COMP_CNT: 0
	.section	.text._ZN7rocprim17ROCPRIM_400000_NS6detail17trampoline_kernelINS0_14default_configENS1_20scan_config_selectorIN3c104HalfEEEZZNS1_9scan_implILNS1_25lookback_scan_determinismE0ELb0ELb0ES3_PKS6_PS6_S6_ZZZN2at6native31launch_logcumsumexp_cuda_kernelERKNSD_10TensorBaseESH_lENKUlvE_clEvENKUlvE3_clEvEUlS6_S6_E_S6_EEDaPvRmT3_T4_T5_mT6_P12ihipStream_tbENKUlT_T0_E_clISt17integral_constantIbLb1EESY_EEDaST_SU_EUlST_E0_NS1_11comp_targetILNS1_3genE9ELNS1_11target_archE1100ELNS1_3gpuE3ELNS1_3repE0EEENS1_30default_config_static_selectorELNS0_4arch9wavefront6targetE0EEEvT1_,"axG",@progbits,_ZN7rocprim17ROCPRIM_400000_NS6detail17trampoline_kernelINS0_14default_configENS1_20scan_config_selectorIN3c104HalfEEEZZNS1_9scan_implILNS1_25lookback_scan_determinismE0ELb0ELb0ES3_PKS6_PS6_S6_ZZZN2at6native31launch_logcumsumexp_cuda_kernelERKNSD_10TensorBaseESH_lENKUlvE_clEvENKUlvE3_clEvEUlS6_S6_E_S6_EEDaPvRmT3_T4_T5_mT6_P12ihipStream_tbENKUlT_T0_E_clISt17integral_constantIbLb1EESY_EEDaST_SU_EUlST_E0_NS1_11comp_targetILNS1_3genE9ELNS1_11target_archE1100ELNS1_3gpuE3ELNS1_3repE0EEENS1_30default_config_static_selectorELNS0_4arch9wavefront6targetE0EEEvT1_,comdat
	.globl	_ZN7rocprim17ROCPRIM_400000_NS6detail17trampoline_kernelINS0_14default_configENS1_20scan_config_selectorIN3c104HalfEEEZZNS1_9scan_implILNS1_25lookback_scan_determinismE0ELb0ELb0ES3_PKS6_PS6_S6_ZZZN2at6native31launch_logcumsumexp_cuda_kernelERKNSD_10TensorBaseESH_lENKUlvE_clEvENKUlvE3_clEvEUlS6_S6_E_S6_EEDaPvRmT3_T4_T5_mT6_P12ihipStream_tbENKUlT_T0_E_clISt17integral_constantIbLb1EESY_EEDaST_SU_EUlST_E0_NS1_11comp_targetILNS1_3genE9ELNS1_11target_archE1100ELNS1_3gpuE3ELNS1_3repE0EEENS1_30default_config_static_selectorELNS0_4arch9wavefront6targetE0EEEvT1_ ; -- Begin function _ZN7rocprim17ROCPRIM_400000_NS6detail17trampoline_kernelINS0_14default_configENS1_20scan_config_selectorIN3c104HalfEEEZZNS1_9scan_implILNS1_25lookback_scan_determinismE0ELb0ELb0ES3_PKS6_PS6_S6_ZZZN2at6native31launch_logcumsumexp_cuda_kernelERKNSD_10TensorBaseESH_lENKUlvE_clEvENKUlvE3_clEvEUlS6_S6_E_S6_EEDaPvRmT3_T4_T5_mT6_P12ihipStream_tbENKUlT_T0_E_clISt17integral_constantIbLb1EESY_EEDaST_SU_EUlST_E0_NS1_11comp_targetILNS1_3genE9ELNS1_11target_archE1100ELNS1_3gpuE3ELNS1_3repE0EEENS1_30default_config_static_selectorELNS0_4arch9wavefront6targetE0EEEvT1_
	.p2align	8
	.type	_ZN7rocprim17ROCPRIM_400000_NS6detail17trampoline_kernelINS0_14default_configENS1_20scan_config_selectorIN3c104HalfEEEZZNS1_9scan_implILNS1_25lookback_scan_determinismE0ELb0ELb0ES3_PKS6_PS6_S6_ZZZN2at6native31launch_logcumsumexp_cuda_kernelERKNSD_10TensorBaseESH_lENKUlvE_clEvENKUlvE3_clEvEUlS6_S6_E_S6_EEDaPvRmT3_T4_T5_mT6_P12ihipStream_tbENKUlT_T0_E_clISt17integral_constantIbLb1EESY_EEDaST_SU_EUlST_E0_NS1_11comp_targetILNS1_3genE9ELNS1_11target_archE1100ELNS1_3gpuE3ELNS1_3repE0EEENS1_30default_config_static_selectorELNS0_4arch9wavefront6targetE0EEEvT1_,@function
_ZN7rocprim17ROCPRIM_400000_NS6detail17trampoline_kernelINS0_14default_configENS1_20scan_config_selectorIN3c104HalfEEEZZNS1_9scan_implILNS1_25lookback_scan_determinismE0ELb0ELb0ES3_PKS6_PS6_S6_ZZZN2at6native31launch_logcumsumexp_cuda_kernelERKNSD_10TensorBaseESH_lENKUlvE_clEvENKUlvE3_clEvEUlS6_S6_E_S6_EEDaPvRmT3_T4_T5_mT6_P12ihipStream_tbENKUlT_T0_E_clISt17integral_constantIbLb1EESY_EEDaST_SU_EUlST_E0_NS1_11comp_targetILNS1_3genE9ELNS1_11target_archE1100ELNS1_3gpuE3ELNS1_3repE0EEENS1_30default_config_static_selectorELNS0_4arch9wavefront6targetE0EEEvT1_: ; @_ZN7rocprim17ROCPRIM_400000_NS6detail17trampoline_kernelINS0_14default_configENS1_20scan_config_selectorIN3c104HalfEEEZZNS1_9scan_implILNS1_25lookback_scan_determinismE0ELb0ELb0ES3_PKS6_PS6_S6_ZZZN2at6native31launch_logcumsumexp_cuda_kernelERKNSD_10TensorBaseESH_lENKUlvE_clEvENKUlvE3_clEvEUlS6_S6_E_S6_EEDaPvRmT3_T4_T5_mT6_P12ihipStream_tbENKUlT_T0_E_clISt17integral_constantIbLb1EESY_EEDaST_SU_EUlST_E0_NS1_11comp_targetILNS1_3genE9ELNS1_11target_archE1100ELNS1_3gpuE3ELNS1_3repE0EEENS1_30default_config_static_selectorELNS0_4arch9wavefront6targetE0EEEvT1_
; %bb.0:
	.section	.rodata,"a",@progbits
	.p2align	6, 0x0
	.amdhsa_kernel _ZN7rocprim17ROCPRIM_400000_NS6detail17trampoline_kernelINS0_14default_configENS1_20scan_config_selectorIN3c104HalfEEEZZNS1_9scan_implILNS1_25lookback_scan_determinismE0ELb0ELb0ES3_PKS6_PS6_S6_ZZZN2at6native31launch_logcumsumexp_cuda_kernelERKNSD_10TensorBaseESH_lENKUlvE_clEvENKUlvE3_clEvEUlS6_S6_E_S6_EEDaPvRmT3_T4_T5_mT6_P12ihipStream_tbENKUlT_T0_E_clISt17integral_constantIbLb1EESY_EEDaST_SU_EUlST_E0_NS1_11comp_targetILNS1_3genE9ELNS1_11target_archE1100ELNS1_3gpuE3ELNS1_3repE0EEENS1_30default_config_static_selectorELNS0_4arch9wavefront6targetE0EEEvT1_
		.amdhsa_group_segment_fixed_size 0
		.amdhsa_private_segment_fixed_size 0
		.amdhsa_kernarg_size 32
		.amdhsa_user_sgpr_count 6
		.amdhsa_user_sgpr_private_segment_buffer 1
		.amdhsa_user_sgpr_dispatch_ptr 0
		.amdhsa_user_sgpr_queue_ptr 0
		.amdhsa_user_sgpr_kernarg_segment_ptr 1
		.amdhsa_user_sgpr_dispatch_id 0
		.amdhsa_user_sgpr_flat_scratch_init 0
		.amdhsa_user_sgpr_private_segment_size 0
		.amdhsa_wavefront_size32 1
		.amdhsa_uses_dynamic_stack 0
		.amdhsa_system_sgpr_private_segment_wavefront_offset 0
		.amdhsa_system_sgpr_workgroup_id_x 1
		.amdhsa_system_sgpr_workgroup_id_y 0
		.amdhsa_system_sgpr_workgroup_id_z 0
		.amdhsa_system_sgpr_workgroup_info 0
		.amdhsa_system_vgpr_workitem_id 0
		.amdhsa_next_free_vgpr 1
		.amdhsa_next_free_sgpr 1
		.amdhsa_reserve_vcc 0
		.amdhsa_reserve_flat_scratch 0
		.amdhsa_float_round_mode_32 0
		.amdhsa_float_round_mode_16_64 0
		.amdhsa_float_denorm_mode_32 3
		.amdhsa_float_denorm_mode_16_64 3
		.amdhsa_dx10_clamp 1
		.amdhsa_ieee_mode 1
		.amdhsa_fp16_overflow 0
		.amdhsa_workgroup_processor_mode 1
		.amdhsa_memory_ordered 1
		.amdhsa_forward_progress 1
		.amdhsa_shared_vgpr_count 0
		.amdhsa_exception_fp_ieee_invalid_op 0
		.amdhsa_exception_fp_denorm_src 0
		.amdhsa_exception_fp_ieee_div_zero 0
		.amdhsa_exception_fp_ieee_overflow 0
		.amdhsa_exception_fp_ieee_underflow 0
		.amdhsa_exception_fp_ieee_inexact 0
		.amdhsa_exception_int_div_zero 0
	.end_amdhsa_kernel
	.section	.text._ZN7rocprim17ROCPRIM_400000_NS6detail17trampoline_kernelINS0_14default_configENS1_20scan_config_selectorIN3c104HalfEEEZZNS1_9scan_implILNS1_25lookback_scan_determinismE0ELb0ELb0ES3_PKS6_PS6_S6_ZZZN2at6native31launch_logcumsumexp_cuda_kernelERKNSD_10TensorBaseESH_lENKUlvE_clEvENKUlvE3_clEvEUlS6_S6_E_S6_EEDaPvRmT3_T4_T5_mT6_P12ihipStream_tbENKUlT_T0_E_clISt17integral_constantIbLb1EESY_EEDaST_SU_EUlST_E0_NS1_11comp_targetILNS1_3genE9ELNS1_11target_archE1100ELNS1_3gpuE3ELNS1_3repE0EEENS1_30default_config_static_selectorELNS0_4arch9wavefront6targetE0EEEvT1_,"axG",@progbits,_ZN7rocprim17ROCPRIM_400000_NS6detail17trampoline_kernelINS0_14default_configENS1_20scan_config_selectorIN3c104HalfEEEZZNS1_9scan_implILNS1_25lookback_scan_determinismE0ELb0ELb0ES3_PKS6_PS6_S6_ZZZN2at6native31launch_logcumsumexp_cuda_kernelERKNSD_10TensorBaseESH_lENKUlvE_clEvENKUlvE3_clEvEUlS6_S6_E_S6_EEDaPvRmT3_T4_T5_mT6_P12ihipStream_tbENKUlT_T0_E_clISt17integral_constantIbLb1EESY_EEDaST_SU_EUlST_E0_NS1_11comp_targetILNS1_3genE9ELNS1_11target_archE1100ELNS1_3gpuE3ELNS1_3repE0EEENS1_30default_config_static_selectorELNS0_4arch9wavefront6targetE0EEEvT1_,comdat
.Lfunc_end394:
	.size	_ZN7rocprim17ROCPRIM_400000_NS6detail17trampoline_kernelINS0_14default_configENS1_20scan_config_selectorIN3c104HalfEEEZZNS1_9scan_implILNS1_25lookback_scan_determinismE0ELb0ELb0ES3_PKS6_PS6_S6_ZZZN2at6native31launch_logcumsumexp_cuda_kernelERKNSD_10TensorBaseESH_lENKUlvE_clEvENKUlvE3_clEvEUlS6_S6_E_S6_EEDaPvRmT3_T4_T5_mT6_P12ihipStream_tbENKUlT_T0_E_clISt17integral_constantIbLb1EESY_EEDaST_SU_EUlST_E0_NS1_11comp_targetILNS1_3genE9ELNS1_11target_archE1100ELNS1_3gpuE3ELNS1_3repE0EEENS1_30default_config_static_selectorELNS0_4arch9wavefront6targetE0EEEvT1_, .Lfunc_end394-_ZN7rocprim17ROCPRIM_400000_NS6detail17trampoline_kernelINS0_14default_configENS1_20scan_config_selectorIN3c104HalfEEEZZNS1_9scan_implILNS1_25lookback_scan_determinismE0ELb0ELb0ES3_PKS6_PS6_S6_ZZZN2at6native31launch_logcumsumexp_cuda_kernelERKNSD_10TensorBaseESH_lENKUlvE_clEvENKUlvE3_clEvEUlS6_S6_E_S6_EEDaPvRmT3_T4_T5_mT6_P12ihipStream_tbENKUlT_T0_E_clISt17integral_constantIbLb1EESY_EEDaST_SU_EUlST_E0_NS1_11comp_targetILNS1_3genE9ELNS1_11target_archE1100ELNS1_3gpuE3ELNS1_3repE0EEENS1_30default_config_static_selectorELNS0_4arch9wavefront6targetE0EEEvT1_
                                        ; -- End function
	.set _ZN7rocprim17ROCPRIM_400000_NS6detail17trampoline_kernelINS0_14default_configENS1_20scan_config_selectorIN3c104HalfEEEZZNS1_9scan_implILNS1_25lookback_scan_determinismE0ELb0ELb0ES3_PKS6_PS6_S6_ZZZN2at6native31launch_logcumsumexp_cuda_kernelERKNSD_10TensorBaseESH_lENKUlvE_clEvENKUlvE3_clEvEUlS6_S6_E_S6_EEDaPvRmT3_T4_T5_mT6_P12ihipStream_tbENKUlT_T0_E_clISt17integral_constantIbLb1EESY_EEDaST_SU_EUlST_E0_NS1_11comp_targetILNS1_3genE9ELNS1_11target_archE1100ELNS1_3gpuE3ELNS1_3repE0EEENS1_30default_config_static_selectorELNS0_4arch9wavefront6targetE0EEEvT1_.num_vgpr, 0
	.set _ZN7rocprim17ROCPRIM_400000_NS6detail17trampoline_kernelINS0_14default_configENS1_20scan_config_selectorIN3c104HalfEEEZZNS1_9scan_implILNS1_25lookback_scan_determinismE0ELb0ELb0ES3_PKS6_PS6_S6_ZZZN2at6native31launch_logcumsumexp_cuda_kernelERKNSD_10TensorBaseESH_lENKUlvE_clEvENKUlvE3_clEvEUlS6_S6_E_S6_EEDaPvRmT3_T4_T5_mT6_P12ihipStream_tbENKUlT_T0_E_clISt17integral_constantIbLb1EESY_EEDaST_SU_EUlST_E0_NS1_11comp_targetILNS1_3genE9ELNS1_11target_archE1100ELNS1_3gpuE3ELNS1_3repE0EEENS1_30default_config_static_selectorELNS0_4arch9wavefront6targetE0EEEvT1_.num_agpr, 0
	.set _ZN7rocprim17ROCPRIM_400000_NS6detail17trampoline_kernelINS0_14default_configENS1_20scan_config_selectorIN3c104HalfEEEZZNS1_9scan_implILNS1_25lookback_scan_determinismE0ELb0ELb0ES3_PKS6_PS6_S6_ZZZN2at6native31launch_logcumsumexp_cuda_kernelERKNSD_10TensorBaseESH_lENKUlvE_clEvENKUlvE3_clEvEUlS6_S6_E_S6_EEDaPvRmT3_T4_T5_mT6_P12ihipStream_tbENKUlT_T0_E_clISt17integral_constantIbLb1EESY_EEDaST_SU_EUlST_E0_NS1_11comp_targetILNS1_3genE9ELNS1_11target_archE1100ELNS1_3gpuE3ELNS1_3repE0EEENS1_30default_config_static_selectorELNS0_4arch9wavefront6targetE0EEEvT1_.numbered_sgpr, 0
	.set _ZN7rocprim17ROCPRIM_400000_NS6detail17trampoline_kernelINS0_14default_configENS1_20scan_config_selectorIN3c104HalfEEEZZNS1_9scan_implILNS1_25lookback_scan_determinismE0ELb0ELb0ES3_PKS6_PS6_S6_ZZZN2at6native31launch_logcumsumexp_cuda_kernelERKNSD_10TensorBaseESH_lENKUlvE_clEvENKUlvE3_clEvEUlS6_S6_E_S6_EEDaPvRmT3_T4_T5_mT6_P12ihipStream_tbENKUlT_T0_E_clISt17integral_constantIbLb1EESY_EEDaST_SU_EUlST_E0_NS1_11comp_targetILNS1_3genE9ELNS1_11target_archE1100ELNS1_3gpuE3ELNS1_3repE0EEENS1_30default_config_static_selectorELNS0_4arch9wavefront6targetE0EEEvT1_.num_named_barrier, 0
	.set _ZN7rocprim17ROCPRIM_400000_NS6detail17trampoline_kernelINS0_14default_configENS1_20scan_config_selectorIN3c104HalfEEEZZNS1_9scan_implILNS1_25lookback_scan_determinismE0ELb0ELb0ES3_PKS6_PS6_S6_ZZZN2at6native31launch_logcumsumexp_cuda_kernelERKNSD_10TensorBaseESH_lENKUlvE_clEvENKUlvE3_clEvEUlS6_S6_E_S6_EEDaPvRmT3_T4_T5_mT6_P12ihipStream_tbENKUlT_T0_E_clISt17integral_constantIbLb1EESY_EEDaST_SU_EUlST_E0_NS1_11comp_targetILNS1_3genE9ELNS1_11target_archE1100ELNS1_3gpuE3ELNS1_3repE0EEENS1_30default_config_static_selectorELNS0_4arch9wavefront6targetE0EEEvT1_.private_seg_size, 0
	.set _ZN7rocprim17ROCPRIM_400000_NS6detail17trampoline_kernelINS0_14default_configENS1_20scan_config_selectorIN3c104HalfEEEZZNS1_9scan_implILNS1_25lookback_scan_determinismE0ELb0ELb0ES3_PKS6_PS6_S6_ZZZN2at6native31launch_logcumsumexp_cuda_kernelERKNSD_10TensorBaseESH_lENKUlvE_clEvENKUlvE3_clEvEUlS6_S6_E_S6_EEDaPvRmT3_T4_T5_mT6_P12ihipStream_tbENKUlT_T0_E_clISt17integral_constantIbLb1EESY_EEDaST_SU_EUlST_E0_NS1_11comp_targetILNS1_3genE9ELNS1_11target_archE1100ELNS1_3gpuE3ELNS1_3repE0EEENS1_30default_config_static_selectorELNS0_4arch9wavefront6targetE0EEEvT1_.uses_vcc, 0
	.set _ZN7rocprim17ROCPRIM_400000_NS6detail17trampoline_kernelINS0_14default_configENS1_20scan_config_selectorIN3c104HalfEEEZZNS1_9scan_implILNS1_25lookback_scan_determinismE0ELb0ELb0ES3_PKS6_PS6_S6_ZZZN2at6native31launch_logcumsumexp_cuda_kernelERKNSD_10TensorBaseESH_lENKUlvE_clEvENKUlvE3_clEvEUlS6_S6_E_S6_EEDaPvRmT3_T4_T5_mT6_P12ihipStream_tbENKUlT_T0_E_clISt17integral_constantIbLb1EESY_EEDaST_SU_EUlST_E0_NS1_11comp_targetILNS1_3genE9ELNS1_11target_archE1100ELNS1_3gpuE3ELNS1_3repE0EEENS1_30default_config_static_selectorELNS0_4arch9wavefront6targetE0EEEvT1_.uses_flat_scratch, 0
	.set _ZN7rocprim17ROCPRIM_400000_NS6detail17trampoline_kernelINS0_14default_configENS1_20scan_config_selectorIN3c104HalfEEEZZNS1_9scan_implILNS1_25lookback_scan_determinismE0ELb0ELb0ES3_PKS6_PS6_S6_ZZZN2at6native31launch_logcumsumexp_cuda_kernelERKNSD_10TensorBaseESH_lENKUlvE_clEvENKUlvE3_clEvEUlS6_S6_E_S6_EEDaPvRmT3_T4_T5_mT6_P12ihipStream_tbENKUlT_T0_E_clISt17integral_constantIbLb1EESY_EEDaST_SU_EUlST_E0_NS1_11comp_targetILNS1_3genE9ELNS1_11target_archE1100ELNS1_3gpuE3ELNS1_3repE0EEENS1_30default_config_static_selectorELNS0_4arch9wavefront6targetE0EEEvT1_.has_dyn_sized_stack, 0
	.set _ZN7rocprim17ROCPRIM_400000_NS6detail17trampoline_kernelINS0_14default_configENS1_20scan_config_selectorIN3c104HalfEEEZZNS1_9scan_implILNS1_25lookback_scan_determinismE0ELb0ELb0ES3_PKS6_PS6_S6_ZZZN2at6native31launch_logcumsumexp_cuda_kernelERKNSD_10TensorBaseESH_lENKUlvE_clEvENKUlvE3_clEvEUlS6_S6_E_S6_EEDaPvRmT3_T4_T5_mT6_P12ihipStream_tbENKUlT_T0_E_clISt17integral_constantIbLb1EESY_EEDaST_SU_EUlST_E0_NS1_11comp_targetILNS1_3genE9ELNS1_11target_archE1100ELNS1_3gpuE3ELNS1_3repE0EEENS1_30default_config_static_selectorELNS0_4arch9wavefront6targetE0EEEvT1_.has_recursion, 0
	.set _ZN7rocprim17ROCPRIM_400000_NS6detail17trampoline_kernelINS0_14default_configENS1_20scan_config_selectorIN3c104HalfEEEZZNS1_9scan_implILNS1_25lookback_scan_determinismE0ELb0ELb0ES3_PKS6_PS6_S6_ZZZN2at6native31launch_logcumsumexp_cuda_kernelERKNSD_10TensorBaseESH_lENKUlvE_clEvENKUlvE3_clEvEUlS6_S6_E_S6_EEDaPvRmT3_T4_T5_mT6_P12ihipStream_tbENKUlT_T0_E_clISt17integral_constantIbLb1EESY_EEDaST_SU_EUlST_E0_NS1_11comp_targetILNS1_3genE9ELNS1_11target_archE1100ELNS1_3gpuE3ELNS1_3repE0EEENS1_30default_config_static_selectorELNS0_4arch9wavefront6targetE0EEEvT1_.has_indirect_call, 0
	.section	.AMDGPU.csdata,"",@progbits
; Kernel info:
; codeLenInByte = 0
; TotalNumSgprs: 0
; NumVgprs: 0
; ScratchSize: 0
; MemoryBound: 0
; FloatMode: 240
; IeeeMode: 1
; LDSByteSize: 0 bytes/workgroup (compile time only)
; SGPRBlocks: 0
; VGPRBlocks: 0
; NumSGPRsForWavesPerEU: 1
; NumVGPRsForWavesPerEU: 1
; Occupancy: 16
; WaveLimiterHint : 0
; COMPUTE_PGM_RSRC2:SCRATCH_EN: 0
; COMPUTE_PGM_RSRC2:USER_SGPR: 6
; COMPUTE_PGM_RSRC2:TRAP_HANDLER: 0
; COMPUTE_PGM_RSRC2:TGID_X_EN: 1
; COMPUTE_PGM_RSRC2:TGID_Y_EN: 0
; COMPUTE_PGM_RSRC2:TGID_Z_EN: 0
; COMPUTE_PGM_RSRC2:TIDIG_COMP_CNT: 0
	.section	.text._ZN7rocprim17ROCPRIM_400000_NS6detail17trampoline_kernelINS0_14default_configENS1_20scan_config_selectorIN3c104HalfEEEZZNS1_9scan_implILNS1_25lookback_scan_determinismE0ELb0ELb0ES3_PKS6_PS6_S6_ZZZN2at6native31launch_logcumsumexp_cuda_kernelERKNSD_10TensorBaseESH_lENKUlvE_clEvENKUlvE3_clEvEUlS6_S6_E_S6_EEDaPvRmT3_T4_T5_mT6_P12ihipStream_tbENKUlT_T0_E_clISt17integral_constantIbLb1EESY_EEDaST_SU_EUlST_E0_NS1_11comp_targetILNS1_3genE8ELNS1_11target_archE1030ELNS1_3gpuE2ELNS1_3repE0EEENS1_30default_config_static_selectorELNS0_4arch9wavefront6targetE0EEEvT1_,"axG",@progbits,_ZN7rocprim17ROCPRIM_400000_NS6detail17trampoline_kernelINS0_14default_configENS1_20scan_config_selectorIN3c104HalfEEEZZNS1_9scan_implILNS1_25lookback_scan_determinismE0ELb0ELb0ES3_PKS6_PS6_S6_ZZZN2at6native31launch_logcumsumexp_cuda_kernelERKNSD_10TensorBaseESH_lENKUlvE_clEvENKUlvE3_clEvEUlS6_S6_E_S6_EEDaPvRmT3_T4_T5_mT6_P12ihipStream_tbENKUlT_T0_E_clISt17integral_constantIbLb1EESY_EEDaST_SU_EUlST_E0_NS1_11comp_targetILNS1_3genE8ELNS1_11target_archE1030ELNS1_3gpuE2ELNS1_3repE0EEENS1_30default_config_static_selectorELNS0_4arch9wavefront6targetE0EEEvT1_,comdat
	.globl	_ZN7rocprim17ROCPRIM_400000_NS6detail17trampoline_kernelINS0_14default_configENS1_20scan_config_selectorIN3c104HalfEEEZZNS1_9scan_implILNS1_25lookback_scan_determinismE0ELb0ELb0ES3_PKS6_PS6_S6_ZZZN2at6native31launch_logcumsumexp_cuda_kernelERKNSD_10TensorBaseESH_lENKUlvE_clEvENKUlvE3_clEvEUlS6_S6_E_S6_EEDaPvRmT3_T4_T5_mT6_P12ihipStream_tbENKUlT_T0_E_clISt17integral_constantIbLb1EESY_EEDaST_SU_EUlST_E0_NS1_11comp_targetILNS1_3genE8ELNS1_11target_archE1030ELNS1_3gpuE2ELNS1_3repE0EEENS1_30default_config_static_selectorELNS0_4arch9wavefront6targetE0EEEvT1_ ; -- Begin function _ZN7rocprim17ROCPRIM_400000_NS6detail17trampoline_kernelINS0_14default_configENS1_20scan_config_selectorIN3c104HalfEEEZZNS1_9scan_implILNS1_25lookback_scan_determinismE0ELb0ELb0ES3_PKS6_PS6_S6_ZZZN2at6native31launch_logcumsumexp_cuda_kernelERKNSD_10TensorBaseESH_lENKUlvE_clEvENKUlvE3_clEvEUlS6_S6_E_S6_EEDaPvRmT3_T4_T5_mT6_P12ihipStream_tbENKUlT_T0_E_clISt17integral_constantIbLb1EESY_EEDaST_SU_EUlST_E0_NS1_11comp_targetILNS1_3genE8ELNS1_11target_archE1030ELNS1_3gpuE2ELNS1_3repE0EEENS1_30default_config_static_selectorELNS0_4arch9wavefront6targetE0EEEvT1_
	.p2align	8
	.type	_ZN7rocprim17ROCPRIM_400000_NS6detail17trampoline_kernelINS0_14default_configENS1_20scan_config_selectorIN3c104HalfEEEZZNS1_9scan_implILNS1_25lookback_scan_determinismE0ELb0ELb0ES3_PKS6_PS6_S6_ZZZN2at6native31launch_logcumsumexp_cuda_kernelERKNSD_10TensorBaseESH_lENKUlvE_clEvENKUlvE3_clEvEUlS6_S6_E_S6_EEDaPvRmT3_T4_T5_mT6_P12ihipStream_tbENKUlT_T0_E_clISt17integral_constantIbLb1EESY_EEDaST_SU_EUlST_E0_NS1_11comp_targetILNS1_3genE8ELNS1_11target_archE1030ELNS1_3gpuE2ELNS1_3repE0EEENS1_30default_config_static_selectorELNS0_4arch9wavefront6targetE0EEEvT1_,@function
_ZN7rocprim17ROCPRIM_400000_NS6detail17trampoline_kernelINS0_14default_configENS1_20scan_config_selectorIN3c104HalfEEEZZNS1_9scan_implILNS1_25lookback_scan_determinismE0ELb0ELb0ES3_PKS6_PS6_S6_ZZZN2at6native31launch_logcumsumexp_cuda_kernelERKNSD_10TensorBaseESH_lENKUlvE_clEvENKUlvE3_clEvEUlS6_S6_E_S6_EEDaPvRmT3_T4_T5_mT6_P12ihipStream_tbENKUlT_T0_E_clISt17integral_constantIbLb1EESY_EEDaST_SU_EUlST_E0_NS1_11comp_targetILNS1_3genE8ELNS1_11target_archE1030ELNS1_3gpuE2ELNS1_3repE0EEENS1_30default_config_static_selectorELNS0_4arch9wavefront6targetE0EEEvT1_: ; @_ZN7rocprim17ROCPRIM_400000_NS6detail17trampoline_kernelINS0_14default_configENS1_20scan_config_selectorIN3c104HalfEEEZZNS1_9scan_implILNS1_25lookback_scan_determinismE0ELb0ELb0ES3_PKS6_PS6_S6_ZZZN2at6native31launch_logcumsumexp_cuda_kernelERKNSD_10TensorBaseESH_lENKUlvE_clEvENKUlvE3_clEvEUlS6_S6_E_S6_EEDaPvRmT3_T4_T5_mT6_P12ihipStream_tbENKUlT_T0_E_clISt17integral_constantIbLb1EESY_EEDaST_SU_EUlST_E0_NS1_11comp_targetILNS1_3genE8ELNS1_11target_archE1030ELNS1_3gpuE2ELNS1_3repE0EEENS1_30default_config_static_selectorELNS0_4arch9wavefront6targetE0EEEvT1_
; %bb.0:
	s_load_dwordx4 s[16:19], s[4:5], 0x0
	v_mov_b32_e32 v1, 0
	v_lshlrev_b32_e32 v7, 1, v0
	s_waitcnt lgkmcnt(0)
	global_load_ushort v1, v1, s[16:17]
	v_cmp_gt_u32_e32 vcc_lo, s18, v0
	s_waitcnt vmcnt(0)
	v_mov_b32_e32 v2, v1
	s_and_saveexec_b32 s0, vcc_lo
	s_cbranch_execz .LBB395_2
; %bb.1:
	global_load_ushort v2, v7, s[16:17]
.LBB395_2:
	s_or_b32 exec_lo, exec_lo, s0
	v_or_b32_e32 v3, 64, v0
	v_cmp_gt_u32_e64 s0, s18, v3
	v_mov_b32_e32 v3, v1
	s_and_saveexec_b32 s1, s0
	s_cbranch_execz .LBB395_4
; %bb.3:
	global_load_ushort v3, v7, s[16:17] offset:128
.LBB395_4:
	s_or_b32 exec_lo, exec_lo, s1
	v_or_b32_e32 v4, 0x80, v0
	v_cmp_gt_u32_e64 s1, s18, v4
	v_mov_b32_e32 v4, v1
	s_and_saveexec_b32 s2, s1
	s_cbranch_execz .LBB395_6
; %bb.5:
	global_load_ushort v4, v7, s[16:17] offset:256
.LBB395_6:
	;; [unrolled: 9-line block ×10, first 2 shown]
	s_or_b32 exec_lo, exec_lo, s12
	v_or_b32_e32 v14, 0x2c0, v0
	v_cmp_gt_u32_e64 s12, s18, v14
	v_cmp_le_u32_e64 s13, s18, v14
	s_and_saveexec_b32 s14, s13
	s_xor_b32 s13, exec_lo, s14
	s_andn2_saveexec_b32 s13, s13
	s_cbranch_execz .LBB395_24
; %bb.23:
	v_lshlrev_b32_e32 v1, 1, v0
	global_load_ushort v1, v1, s[16:17] offset:1408
.LBB395_24:
	s_or_b32 exec_lo, exec_lo, s13
	s_waitcnt vmcnt(0)
	ds_write_b16 v7, v2
	ds_write_b16 v7, v3 offset:128
	ds_write_b16 v7, v4 offset:256
	;; [unrolled: 1-line block ×10, first 2 shown]
	v_mad_u32_u24 v5, v0, 22, v7
	ds_write_b16 v7, v1 offset:1408
	s_waitcnt lgkmcnt(0)
	s_barrier
	buffer_gl0_inv
	ds_read2_b64 v[1:4], v5 offset1:1
	ds_read_b64 v[5:6], v5 offset:16
	s_waitcnt lgkmcnt(0)
	s_barrier
	buffer_gl0_inv
	v_cvt_f32_f16_e32 v8, v1
	v_cvt_f32_f16_sdwa v9, v1 dst_sel:DWORD dst_unused:UNUSED_PAD src0_sel:WORD_1
	v_cmp_u_f16_e64 s24, v1, v1
	v_cmp_u_f16_sdwa s13, v1, v1 src0_sel:WORD_1 src1_sel:WORD_1
	v_mov_b32_e32 v19, v1
	v_mov_b32_e32 v20, v8
	v_min_f32_e32 v16, v8, v9
	v_max_f32_e32 v17, v8, v9
	v_mov_b32_e32 v18, v1
	v_cndmask_b32_e64 v10, v16, v8, s24
	v_cndmask_b32_e64 v12, v17, v8, s24
	v_cndmask_b32_e64 v11, v10, v9, s13
	v_cndmask_b32_e64 v10, v12, v9, s13
	v_cmp_class_f32_e64 s15, v11, 0x1f8
	v_cmp_neq_f32_e64 s14, v11, v10
	s_or_b32 s14, s14, s15
	s_and_saveexec_b32 s15, s14
	s_cbranch_execz .LBB395_26
; %bb.25:
	v_sub_f32_e32 v11, v11, v10
	v_mul_f32_e32 v12, 0x3fb8aa3b, v11
	v_cmp_ngt_f32_e64 s14, 0xc2ce8ed0, v11
	v_fma_f32 v13, 0x3fb8aa3b, v11, -v12
	v_rndne_f32_e32 v14, v12
	v_fmamk_f32 v13, v11, 0x32a5705f, v13
	v_sub_f32_e32 v12, v12, v14
	v_add_f32_e32 v12, v12, v13
	v_cvt_i32_f32_e32 v13, v14
	v_exp_f32_e32 v12, v12
	v_ldexp_f32 v12, v12, v13
	v_cndmask_b32_e64 v12, 0, v12, s14
	v_cmp_nlt_f32_e64 s14, 0x42b17218, v11
	v_cndmask_b32_e64 v13, 0x7f800000, v12, s14
	v_add_f32_e32 v14, 1.0, v13
	v_cvt_f64_f32_e32 v[11:12], v14
	v_frexp_exp_i32_f64_e32 v11, v[11:12]
	v_frexp_mant_f32_e32 v12, v14
	v_cmp_gt_f32_e64 s14, 0x3f2aaaab, v12
	v_add_f32_e32 v12, -1.0, v14
	v_sub_f32_e32 v18, v12, v14
	v_sub_f32_e32 v12, v13, v12
	v_add_f32_e32 v18, 1.0, v18
	v_add_f32_e32 v12, v12, v18
	v_subrev_co_ci_u32_e64 v11, null, 0, v11, s14
	s_mov_b32 s14, 0x3e9b6dac
	v_sub_nc_u32_e32 v15, 0, v11
	v_cvt_f32_i32_e32 v11, v11
	v_ldexp_f32 v14, v14, v15
	v_ldexp_f32 v12, v12, v15
	v_add_f32_e32 v19, 1.0, v14
	v_add_f32_e32 v15, -1.0, v14
	v_add_f32_e32 v18, -1.0, v19
	v_add_f32_e32 v20, 1.0, v15
	v_sub_f32_e32 v18, v14, v18
	v_sub_f32_e32 v14, v14, v20
	v_add_f32_e32 v18, v12, v18
	v_add_f32_e32 v12, v12, v14
	;; [unrolled: 1-line block ×4, first 2 shown]
	v_rcp_f32_e32 v14, v20
	v_sub_f32_e32 v19, v19, v20
	v_sub_f32_e32 v15, v15, v21
	v_add_f32_e32 v18, v18, v19
	v_add_f32_e32 v12, v12, v15
	v_mul_f32_e32 v22, v21, v14
	v_mul_f32_e32 v23, v20, v22
	v_fma_f32 v19, v22, v20, -v23
	v_fmac_f32_e32 v19, v22, v18
	v_add_f32_e32 v24, v23, v19
	v_sub_f32_e32 v25, v21, v24
	v_sub_f32_e32 v15, v24, v23
	;; [unrolled: 1-line block ×5, first 2 shown]
	v_add_f32_e32 v12, v12, v21
	v_add_f32_e32 v12, v15, v12
	;; [unrolled: 1-line block ×3, first 2 shown]
	v_mul_f32_e32 v19, v14, v15
	v_sub_f32_e32 v24, v25, v15
	v_mul_f32_e32 v21, v20, v19
	v_add_f32_e32 v12, v12, v24
	v_fma_f32 v20, v19, v20, -v21
	v_fmac_f32_e32 v20, v19, v18
	v_add_f32_e32 v18, v21, v20
	v_sub_f32_e32 v23, v15, v18
	v_sub_f32_e32 v21, v18, v21
	;; [unrolled: 1-line block ×5, first 2 shown]
	v_add_f32_e32 v12, v12, v15
	v_add_f32_e32 v15, v22, v19
	;; [unrolled: 1-line block ×3, first 2 shown]
	v_sub_f32_e32 v18, v15, v22
	v_add_f32_e32 v12, v23, v12
	v_sub_f32_e32 v18, v19, v18
	v_mul_f32_e32 v12, v14, v12
	v_add_f32_e32 v12, v18, v12
	v_add_f32_e32 v14, v15, v12
	v_mul_f32_e32 v18, v14, v14
	v_fmaak_f32 v19, s14, v18, 0x3ecc95a3
	v_mul_f32_e32 v20, v14, v18
	v_cmp_neq_f32_e64 s14, 0x7f800000, v13
	v_fmaak_f32 v18, v18, v19, 0x3f2aaada
	v_ldexp_f32 v19, v14, 1
	v_sub_f32_e32 v14, v14, v15
	v_mul_f32_e32 v18, v20, v18
	v_mul_f32_e32 v20, 0x3f317218, v11
	v_sub_f32_e32 v12, v12, v14
	v_add_f32_e32 v15, v19, v18
	v_ldexp_f32 v12, v12, 1
	v_sub_f32_e32 v14, v15, v19
	v_fma_f32 v19, 0x3f317218, v11, -v20
	v_sub_f32_e32 v14, v18, v14
	v_fmamk_f32 v11, v11, 0xb102e308, v19
	v_add_f32_e32 v12, v12, v14
	v_add_f32_e32 v14, v20, v11
	;; [unrolled: 1-line block ×3, first 2 shown]
	v_sub_f32_e32 v20, v14, v20
	v_add_f32_e32 v19, v14, v18
	v_sub_f32_e32 v15, v18, v15
	v_sub_f32_e32 v11, v11, v20
	v_sub_f32_e32 v21, v19, v14
	v_sub_f32_e32 v12, v12, v15
	v_sub_f32_e32 v22, v19, v21
	v_sub_f32_e32 v15, v18, v21
	v_add_f32_e32 v18, v11, v12
	v_sub_f32_e32 v14, v14, v22
	v_add_f32_e32 v14, v15, v14
	v_sub_f32_e32 v15, v18, v11
	v_add_f32_e32 v14, v18, v14
	v_sub_f32_e32 v18, v18, v15
	v_sub_f32_e32 v12, v12, v15
	v_add_f32_e32 v20, v19, v14
	v_sub_f32_e32 v11, v11, v18
	v_sub_f32_e32 v15, v20, v19
	v_add_f32_e32 v11, v12, v11
	v_sub_f32_e32 v12, v14, v15
	v_add_f32_e32 v11, v11, v12
	v_add_f32_e32 v11, v20, v11
	v_cndmask_b32_e64 v11, 0x7f800000, v11, s14
	v_cmp_gt_f32_e64 s14, 0x33800000, |v13|
	v_cndmask_b32_e64 v11, v11, v13, s14
	v_add_f32_e32 v10, v10, v11
	v_cvt_f16_f32_e32 v19, v10
	v_cvt_f32_f16_e32 v20, v19
	v_mov_b32_e32 v18, v19
.LBB395_26:
	s_or_b32 exec_lo, exec_lo, s15
	v_cvt_f32_f16_e32 v10, v2
	v_max_f32_e32 v11, v20, v20
	v_cmp_u_f16_e64 s14, v19, v19
	v_min_f32_e32 v12, v11, v10
	v_max_f32_e32 v11, v11, v10
	v_cndmask_b32_e64 v12, v12, v20, s14
	v_cndmask_b32_e64 v11, v11, v20, s14
	v_cmp_u_f16_e64 s14, v2, v2
	v_cndmask_b32_e64 v12, v12, v10, s14
	v_cndmask_b32_e64 v11, v11, v10, s14
	v_cmp_class_f32_e64 s16, v12, 0x1f8
	v_cmp_neq_f32_e64 s15, v12, v11
	s_or_b32 s15, s15, s16
	s_and_saveexec_b32 s16, s15
	s_cbranch_execz .LBB395_28
; %bb.27:
	v_sub_f32_e32 v12, v12, v11
	v_mul_f32_e32 v13, 0x3fb8aa3b, v12
	v_cmp_ngt_f32_e64 s15, 0xc2ce8ed0, v12
	v_fma_f32 v14, 0x3fb8aa3b, v12, -v13
	v_rndne_f32_e32 v15, v13
	v_fmamk_f32 v14, v12, 0x32a5705f, v14
	v_sub_f32_e32 v13, v13, v15
	v_add_f32_e32 v13, v13, v14
	v_cvt_i32_f32_e32 v14, v15
	v_exp_f32_e32 v13, v13
	v_ldexp_f32 v13, v13, v14
	v_cndmask_b32_e64 v13, 0, v13, s15
	v_cmp_nlt_f32_e64 s15, 0x42b17218, v12
	v_cndmask_b32_e64 v14, 0x7f800000, v13, s15
	v_add_f32_e32 v15, 1.0, v14
	v_cvt_f64_f32_e32 v[12:13], v15
	v_frexp_exp_i32_f64_e32 v12, v[12:13]
	v_frexp_mant_f32_e32 v13, v15
	v_cmp_gt_f32_e64 s15, 0x3f2aaaab, v13
	v_add_f32_e32 v13, -1.0, v15
	v_sub_f32_e32 v19, v13, v15
	v_sub_f32_e32 v13, v14, v13
	v_add_f32_e32 v19, 1.0, v19
	v_add_f32_e32 v13, v13, v19
	v_subrev_co_ci_u32_e64 v12, null, 0, v12, s15
	s_mov_b32 s15, 0x3e9b6dac
	v_sub_nc_u32_e32 v18, 0, v12
	v_cvt_f32_i32_e32 v12, v12
	v_ldexp_f32 v15, v15, v18
	v_ldexp_f32 v13, v13, v18
	v_add_f32_e32 v20, 1.0, v15
	v_add_f32_e32 v18, -1.0, v15
	v_add_f32_e32 v19, -1.0, v20
	v_add_f32_e32 v21, 1.0, v18
	v_sub_f32_e32 v19, v15, v19
	v_sub_f32_e32 v15, v15, v21
	v_add_f32_e32 v19, v13, v19
	v_add_f32_e32 v13, v13, v15
	;; [unrolled: 1-line block ×4, first 2 shown]
	v_rcp_f32_e32 v15, v21
	v_sub_f32_e32 v20, v20, v21
	v_sub_f32_e32 v18, v18, v22
	v_add_f32_e32 v19, v19, v20
	v_add_f32_e32 v13, v13, v18
	v_mul_f32_e32 v23, v22, v15
	v_mul_f32_e32 v24, v21, v23
	v_fma_f32 v20, v23, v21, -v24
	v_fmac_f32_e32 v20, v23, v19
	v_add_f32_e32 v25, v24, v20
	v_sub_f32_e32 v26, v22, v25
	v_sub_f32_e32 v18, v25, v24
	;; [unrolled: 1-line block ×5, first 2 shown]
	v_add_f32_e32 v13, v13, v22
	v_add_f32_e32 v13, v18, v13
	;; [unrolled: 1-line block ×3, first 2 shown]
	v_mul_f32_e32 v20, v15, v18
	v_sub_f32_e32 v25, v26, v18
	v_mul_f32_e32 v22, v21, v20
	v_add_f32_e32 v13, v13, v25
	v_fma_f32 v21, v20, v21, -v22
	v_fmac_f32_e32 v21, v20, v19
	v_add_f32_e32 v19, v22, v21
	v_sub_f32_e32 v24, v18, v19
	v_sub_f32_e32 v22, v19, v22
	;; [unrolled: 1-line block ×5, first 2 shown]
	v_add_f32_e32 v13, v13, v18
	v_add_f32_e32 v18, v23, v20
	;; [unrolled: 1-line block ×3, first 2 shown]
	v_sub_f32_e32 v19, v18, v23
	v_add_f32_e32 v13, v24, v13
	v_sub_f32_e32 v19, v20, v19
	v_mul_f32_e32 v13, v15, v13
	v_add_f32_e32 v13, v19, v13
	v_add_f32_e32 v15, v18, v13
	v_mul_f32_e32 v19, v15, v15
	v_fmaak_f32 v20, s15, v19, 0x3ecc95a3
	v_mul_f32_e32 v21, v15, v19
	v_cmp_neq_f32_e64 s15, 0x7f800000, v14
	v_fmaak_f32 v19, v19, v20, 0x3f2aaada
	v_ldexp_f32 v20, v15, 1
	v_sub_f32_e32 v15, v15, v18
	v_mul_f32_e32 v19, v21, v19
	v_mul_f32_e32 v21, 0x3f317218, v12
	v_sub_f32_e32 v13, v13, v15
	v_add_f32_e32 v18, v20, v19
	v_ldexp_f32 v13, v13, 1
	v_sub_f32_e32 v15, v18, v20
	v_fma_f32 v20, 0x3f317218, v12, -v21
	v_sub_f32_e32 v15, v19, v15
	v_fmamk_f32 v12, v12, 0xb102e308, v20
	v_add_f32_e32 v13, v13, v15
	v_add_f32_e32 v15, v21, v12
	;; [unrolled: 1-line block ×3, first 2 shown]
	v_sub_f32_e32 v21, v15, v21
	v_add_f32_e32 v20, v15, v19
	v_sub_f32_e32 v18, v19, v18
	v_sub_f32_e32 v12, v12, v21
	;; [unrolled: 1-line block ×6, first 2 shown]
	v_add_f32_e32 v19, v12, v13
	v_sub_f32_e32 v15, v15, v23
	v_add_f32_e32 v15, v18, v15
	v_sub_f32_e32 v18, v19, v12
	;; [unrolled: 2-line block ×3, first 2 shown]
	v_sub_f32_e32 v13, v13, v18
	v_add_f32_e32 v21, v20, v15
	v_sub_f32_e32 v12, v12, v19
	v_sub_f32_e32 v18, v21, v20
	v_add_f32_e32 v12, v13, v12
	v_sub_f32_e32 v13, v15, v18
	v_add_f32_e32 v12, v12, v13
	v_add_f32_e32 v12, v21, v12
	v_cndmask_b32_e64 v12, 0x7f800000, v12, s15
	v_cmp_gt_f32_e64 s15, 0x33800000, |v14|
	v_cndmask_b32_e64 v12, v12, v14, s15
	v_add_f32_e32 v11, v11, v12
	v_cvt_f16_f32_e32 v19, v11
	v_cvt_f32_f16_e32 v20, v19
	v_mov_b32_e32 v18, v19
.LBB395_28:
	s_or_b32 exec_lo, exec_lo, s16
	v_cvt_f32_f16_sdwa v11, v2 dst_sel:DWORD dst_unused:UNUSED_PAD src0_sel:WORD_1
	v_max_f32_e32 v12, v20, v20
	v_cmp_u_f16_e64 s15, v19, v19
	v_min_f32_e32 v13, v12, v11
	v_max_f32_e32 v12, v12, v11
	v_cndmask_b32_e64 v13, v13, v20, s15
	v_cndmask_b32_e64 v14, v12, v20, s15
	v_cmp_u_f16_sdwa s15, v2, v2 src0_sel:WORD_1 src1_sel:WORD_1
	v_cndmask_b32_e64 v12, v13, v11, s15
	v_cndmask_b32_e64 v2, v14, v11, s15
	v_cmp_class_f32_e64 s17, v12, 0x1f8
	v_cmp_neq_f32_e64 s16, v12, v2
	s_or_b32 s16, s16, s17
	s_and_saveexec_b32 s17, s16
	s_cbranch_execz .LBB395_30
; %bb.29:
	v_sub_f32_e32 v12, v12, v2
	v_mul_f32_e32 v13, 0x3fb8aa3b, v12
	v_cmp_ngt_f32_e64 s16, 0xc2ce8ed0, v12
	v_fma_f32 v14, 0x3fb8aa3b, v12, -v13
	v_rndne_f32_e32 v15, v13
	v_fmamk_f32 v14, v12, 0x32a5705f, v14
	v_sub_f32_e32 v13, v13, v15
	v_add_f32_e32 v13, v13, v14
	v_cvt_i32_f32_e32 v14, v15
	v_exp_f32_e32 v13, v13
	v_ldexp_f32 v13, v13, v14
	v_cndmask_b32_e64 v13, 0, v13, s16
	v_cmp_nlt_f32_e64 s16, 0x42b17218, v12
	v_cndmask_b32_e64 v14, 0x7f800000, v13, s16
	v_add_f32_e32 v15, 1.0, v14
	v_cvt_f64_f32_e32 v[12:13], v15
	v_frexp_exp_i32_f64_e32 v12, v[12:13]
	v_frexp_mant_f32_e32 v13, v15
	v_cmp_gt_f32_e64 s16, 0x3f2aaaab, v13
	v_add_f32_e32 v13, -1.0, v15
	v_sub_f32_e32 v19, v13, v15
	v_sub_f32_e32 v13, v14, v13
	v_add_f32_e32 v19, 1.0, v19
	v_add_f32_e32 v13, v13, v19
	v_subrev_co_ci_u32_e64 v12, null, 0, v12, s16
	s_mov_b32 s16, 0x3e9b6dac
	v_sub_nc_u32_e32 v18, 0, v12
	v_cvt_f32_i32_e32 v12, v12
	v_ldexp_f32 v15, v15, v18
	v_ldexp_f32 v13, v13, v18
	v_add_f32_e32 v20, 1.0, v15
	v_add_f32_e32 v18, -1.0, v15
	v_add_f32_e32 v19, -1.0, v20
	v_add_f32_e32 v21, 1.0, v18
	v_sub_f32_e32 v19, v15, v19
	v_sub_f32_e32 v15, v15, v21
	v_add_f32_e32 v19, v13, v19
	v_add_f32_e32 v13, v13, v15
	;; [unrolled: 1-line block ×4, first 2 shown]
	v_rcp_f32_e32 v15, v21
	v_sub_f32_e32 v20, v20, v21
	v_sub_f32_e32 v18, v18, v22
	v_add_f32_e32 v19, v19, v20
	v_add_f32_e32 v13, v13, v18
	v_mul_f32_e32 v23, v22, v15
	v_mul_f32_e32 v24, v21, v23
	v_fma_f32 v20, v23, v21, -v24
	v_fmac_f32_e32 v20, v23, v19
	v_add_f32_e32 v25, v24, v20
	v_sub_f32_e32 v26, v22, v25
	v_sub_f32_e32 v18, v25, v24
	;; [unrolled: 1-line block ×5, first 2 shown]
	v_add_f32_e32 v13, v13, v22
	v_add_f32_e32 v13, v18, v13
	;; [unrolled: 1-line block ×3, first 2 shown]
	v_mul_f32_e32 v20, v15, v18
	v_sub_f32_e32 v25, v26, v18
	v_mul_f32_e32 v22, v21, v20
	v_add_f32_e32 v13, v13, v25
	v_fma_f32 v21, v20, v21, -v22
	v_fmac_f32_e32 v21, v20, v19
	v_add_f32_e32 v19, v22, v21
	v_sub_f32_e32 v24, v18, v19
	v_sub_f32_e32 v22, v19, v22
	;; [unrolled: 1-line block ×5, first 2 shown]
	v_add_f32_e32 v13, v13, v18
	v_add_f32_e32 v18, v23, v20
	;; [unrolled: 1-line block ×3, first 2 shown]
	v_sub_f32_e32 v19, v18, v23
	v_add_f32_e32 v13, v24, v13
	v_sub_f32_e32 v19, v20, v19
	v_mul_f32_e32 v13, v15, v13
	v_add_f32_e32 v13, v19, v13
	v_add_f32_e32 v15, v18, v13
	v_mul_f32_e32 v19, v15, v15
	v_fmaak_f32 v20, s16, v19, 0x3ecc95a3
	v_mul_f32_e32 v21, v15, v19
	v_cmp_neq_f32_e64 s16, 0x7f800000, v14
	v_fmaak_f32 v19, v19, v20, 0x3f2aaada
	v_ldexp_f32 v20, v15, 1
	v_sub_f32_e32 v15, v15, v18
	v_mul_f32_e32 v19, v21, v19
	v_mul_f32_e32 v21, 0x3f317218, v12
	v_sub_f32_e32 v13, v13, v15
	v_add_f32_e32 v18, v20, v19
	v_ldexp_f32 v13, v13, 1
	v_sub_f32_e32 v15, v18, v20
	v_fma_f32 v20, 0x3f317218, v12, -v21
	v_sub_f32_e32 v15, v19, v15
	v_fmamk_f32 v12, v12, 0xb102e308, v20
	v_add_f32_e32 v13, v13, v15
	v_add_f32_e32 v15, v21, v12
	;; [unrolled: 1-line block ×3, first 2 shown]
	v_sub_f32_e32 v21, v15, v21
	v_add_f32_e32 v20, v15, v19
	v_sub_f32_e32 v18, v19, v18
	v_sub_f32_e32 v12, v12, v21
	;; [unrolled: 1-line block ×6, first 2 shown]
	v_add_f32_e32 v19, v12, v13
	v_sub_f32_e32 v15, v15, v23
	v_add_f32_e32 v15, v18, v15
	v_sub_f32_e32 v18, v19, v12
	;; [unrolled: 2-line block ×3, first 2 shown]
	v_sub_f32_e32 v13, v13, v18
	v_add_f32_e32 v21, v20, v15
	v_sub_f32_e32 v12, v12, v19
	v_sub_f32_e32 v18, v21, v20
	v_add_f32_e32 v12, v13, v12
	v_sub_f32_e32 v13, v15, v18
	v_add_f32_e32 v12, v12, v13
	v_add_f32_e32 v12, v21, v12
	v_cndmask_b32_e64 v12, 0x7f800000, v12, s16
	v_cmp_gt_f32_e64 s16, 0x33800000, |v14|
	v_cndmask_b32_e64 v12, v12, v14, s16
	v_add_f32_e32 v2, v2, v12
	v_cvt_f16_f32_e32 v19, v2
	v_cvt_f32_f16_e32 v20, v19
	v_mov_b32_e32 v18, v19
.LBB395_30:
	s_or_b32 exec_lo, exec_lo, s17
	v_cvt_f32_f16_e32 v2, v3
	v_max_f32_e32 v12, v20, v20
	v_cmp_u_f16_e64 s16, v19, v19
	v_min_f32_e32 v13, v12, v2
	v_max_f32_e32 v12, v12, v2
	v_cndmask_b32_e64 v13, v13, v20, s16
	v_cndmask_b32_e64 v12, v12, v20, s16
	v_cmp_u_f16_e64 s16, v3, v3
	v_cndmask_b32_e64 v13, v13, v2, s16
	v_cndmask_b32_e64 v12, v12, v2, s16
	v_cmp_class_f32_e64 s18, v13, 0x1f8
	v_cmp_neq_f32_e64 s17, v13, v12
	s_or_b32 s17, s17, s18
	s_and_saveexec_b32 s18, s17
	s_cbranch_execz .LBB395_32
; %bb.31:
	v_sub_f32_e32 v13, v13, v12
	v_mul_f32_e32 v14, 0x3fb8aa3b, v13
	v_cmp_ngt_f32_e64 s17, 0xc2ce8ed0, v13
	v_fma_f32 v15, 0x3fb8aa3b, v13, -v14
	v_rndne_f32_e32 v18, v14
	v_fmamk_f32 v15, v13, 0x32a5705f, v15
	v_sub_f32_e32 v14, v14, v18
	v_add_f32_e32 v14, v14, v15
	v_cvt_i32_f32_e32 v15, v18
	v_exp_f32_e32 v14, v14
	v_ldexp_f32 v14, v14, v15
	v_cndmask_b32_e64 v14, 0, v14, s17
	v_cmp_nlt_f32_e64 s17, 0x42b17218, v13
	v_cndmask_b32_e64 v15, 0x7f800000, v14, s17
	v_add_f32_e32 v18, 1.0, v15
	v_cvt_f64_f32_e32 v[13:14], v18
	v_frexp_exp_i32_f64_e32 v13, v[13:14]
	v_frexp_mant_f32_e32 v14, v18
	v_cmp_gt_f32_e64 s17, 0x3f2aaaab, v14
	v_add_f32_e32 v14, -1.0, v18
	v_sub_f32_e32 v20, v14, v18
	v_sub_f32_e32 v14, v15, v14
	v_add_f32_e32 v20, 1.0, v20
	v_add_f32_e32 v14, v14, v20
	v_subrev_co_ci_u32_e64 v13, null, 0, v13, s17
	s_mov_b32 s17, 0x3e9b6dac
	v_sub_nc_u32_e32 v19, 0, v13
	v_cvt_f32_i32_e32 v13, v13
	v_ldexp_f32 v18, v18, v19
	v_ldexp_f32 v14, v14, v19
	v_add_f32_e32 v21, 1.0, v18
	v_add_f32_e32 v19, -1.0, v18
	v_add_f32_e32 v20, -1.0, v21
	v_add_f32_e32 v22, 1.0, v19
	v_sub_f32_e32 v20, v18, v20
	v_sub_f32_e32 v18, v18, v22
	v_add_f32_e32 v20, v14, v20
	v_add_f32_e32 v14, v14, v18
	;; [unrolled: 1-line block ×4, first 2 shown]
	v_rcp_f32_e32 v18, v22
	v_sub_f32_e32 v21, v21, v22
	v_sub_f32_e32 v19, v19, v23
	v_add_f32_e32 v20, v20, v21
	v_add_f32_e32 v14, v14, v19
	v_mul_f32_e32 v24, v23, v18
	v_mul_f32_e32 v25, v22, v24
	v_fma_f32 v21, v24, v22, -v25
	v_fmac_f32_e32 v21, v24, v20
	v_add_f32_e32 v26, v25, v21
	v_sub_f32_e32 v27, v23, v26
	v_sub_f32_e32 v19, v26, v25
	;; [unrolled: 1-line block ×5, first 2 shown]
	v_add_f32_e32 v14, v14, v23
	v_add_f32_e32 v14, v19, v14
	;; [unrolled: 1-line block ×3, first 2 shown]
	v_mul_f32_e32 v21, v18, v19
	v_sub_f32_e32 v26, v27, v19
	v_mul_f32_e32 v23, v22, v21
	v_add_f32_e32 v14, v14, v26
	v_fma_f32 v22, v21, v22, -v23
	v_fmac_f32_e32 v22, v21, v20
	v_add_f32_e32 v20, v23, v22
	v_sub_f32_e32 v25, v19, v20
	v_sub_f32_e32 v23, v20, v23
	;; [unrolled: 1-line block ×5, first 2 shown]
	v_add_f32_e32 v14, v14, v19
	v_add_f32_e32 v19, v24, v21
	;; [unrolled: 1-line block ×3, first 2 shown]
	v_sub_f32_e32 v20, v19, v24
	v_add_f32_e32 v14, v25, v14
	v_sub_f32_e32 v20, v21, v20
	v_mul_f32_e32 v14, v18, v14
	v_add_f32_e32 v14, v20, v14
	v_add_f32_e32 v18, v19, v14
	v_mul_f32_e32 v20, v18, v18
	v_fmaak_f32 v21, s17, v20, 0x3ecc95a3
	v_mul_f32_e32 v22, v18, v20
	v_cmp_neq_f32_e64 s17, 0x7f800000, v15
	v_fmaak_f32 v20, v20, v21, 0x3f2aaada
	v_ldexp_f32 v21, v18, 1
	v_sub_f32_e32 v18, v18, v19
	v_mul_f32_e32 v20, v22, v20
	v_mul_f32_e32 v22, 0x3f317218, v13
	v_sub_f32_e32 v14, v14, v18
	v_add_f32_e32 v19, v21, v20
	v_ldexp_f32 v14, v14, 1
	v_sub_f32_e32 v18, v19, v21
	v_fma_f32 v21, 0x3f317218, v13, -v22
	v_sub_f32_e32 v18, v20, v18
	v_fmamk_f32 v13, v13, 0xb102e308, v21
	v_add_f32_e32 v14, v14, v18
	v_add_f32_e32 v18, v22, v13
	;; [unrolled: 1-line block ×3, first 2 shown]
	v_sub_f32_e32 v22, v18, v22
	v_add_f32_e32 v21, v18, v20
	v_sub_f32_e32 v19, v20, v19
	v_sub_f32_e32 v13, v13, v22
	;; [unrolled: 1-line block ×6, first 2 shown]
	v_add_f32_e32 v20, v13, v14
	v_sub_f32_e32 v18, v18, v24
	v_add_f32_e32 v18, v19, v18
	v_sub_f32_e32 v19, v20, v13
	;; [unrolled: 2-line block ×3, first 2 shown]
	v_sub_f32_e32 v14, v14, v19
	v_add_f32_e32 v22, v21, v18
	v_sub_f32_e32 v13, v13, v20
	v_sub_f32_e32 v19, v22, v21
	v_add_f32_e32 v13, v14, v13
	v_sub_f32_e32 v14, v18, v19
	v_add_f32_e32 v13, v13, v14
	v_add_f32_e32 v13, v22, v13
	v_cndmask_b32_e64 v13, 0x7f800000, v13, s17
	v_cmp_gt_f32_e64 s17, 0x33800000, |v15|
	v_cndmask_b32_e64 v13, v13, v15, s17
	v_add_f32_e32 v12, v12, v13
	v_cvt_f16_f32_e32 v19, v12
	v_cvt_f32_f16_e32 v20, v19
	v_mov_b32_e32 v18, v19
.LBB395_32:
	s_or_b32 exec_lo, exec_lo, s18
	v_cvt_f32_f16_sdwa v12, v3 dst_sel:DWORD dst_unused:UNUSED_PAD src0_sel:WORD_1
	v_max_f32_e32 v13, v20, v20
	v_cmp_u_f16_e64 s17, v19, v19
	v_min_f32_e32 v14, v13, v12
	v_max_f32_e32 v13, v13, v12
	v_cndmask_b32_e64 v14, v14, v20, s17
	v_cndmask_b32_e64 v15, v13, v20, s17
	v_cmp_u_f16_sdwa s17, v3, v3 src0_sel:WORD_1 src1_sel:WORD_1
	v_cndmask_b32_e64 v13, v14, v12, s17
	v_cndmask_b32_e64 v3, v15, v12, s17
	v_cmp_class_f32_e64 s19, v13, 0x1f8
	v_cmp_neq_f32_e64 s18, v13, v3
	s_or_b32 s18, s18, s19
	s_and_saveexec_b32 s19, s18
	s_cbranch_execz .LBB395_34
; %bb.33:
	v_sub_f32_e32 v13, v13, v3
	v_mul_f32_e32 v14, 0x3fb8aa3b, v13
	v_cmp_ngt_f32_e64 s18, 0xc2ce8ed0, v13
	v_fma_f32 v15, 0x3fb8aa3b, v13, -v14
	v_rndne_f32_e32 v18, v14
	v_fmamk_f32 v15, v13, 0x32a5705f, v15
	v_sub_f32_e32 v14, v14, v18
	v_add_f32_e32 v14, v14, v15
	v_cvt_i32_f32_e32 v15, v18
	v_exp_f32_e32 v14, v14
	v_ldexp_f32 v14, v14, v15
	v_cndmask_b32_e64 v14, 0, v14, s18
	v_cmp_nlt_f32_e64 s18, 0x42b17218, v13
	v_cndmask_b32_e64 v15, 0x7f800000, v14, s18
	v_add_f32_e32 v18, 1.0, v15
	v_cvt_f64_f32_e32 v[13:14], v18
	v_frexp_exp_i32_f64_e32 v13, v[13:14]
	v_frexp_mant_f32_e32 v14, v18
	v_cmp_gt_f32_e64 s18, 0x3f2aaaab, v14
	v_add_f32_e32 v14, -1.0, v18
	v_sub_f32_e32 v20, v14, v18
	v_sub_f32_e32 v14, v15, v14
	v_add_f32_e32 v20, 1.0, v20
	v_add_f32_e32 v14, v14, v20
	v_subrev_co_ci_u32_e64 v13, null, 0, v13, s18
	s_mov_b32 s18, 0x3e9b6dac
	v_sub_nc_u32_e32 v19, 0, v13
	v_cvt_f32_i32_e32 v13, v13
	v_ldexp_f32 v18, v18, v19
	v_ldexp_f32 v14, v14, v19
	v_add_f32_e32 v21, 1.0, v18
	v_add_f32_e32 v19, -1.0, v18
	v_add_f32_e32 v20, -1.0, v21
	v_add_f32_e32 v22, 1.0, v19
	v_sub_f32_e32 v20, v18, v20
	v_sub_f32_e32 v18, v18, v22
	v_add_f32_e32 v20, v14, v20
	v_add_f32_e32 v14, v14, v18
	;; [unrolled: 1-line block ×4, first 2 shown]
	v_rcp_f32_e32 v18, v22
	v_sub_f32_e32 v21, v21, v22
	v_sub_f32_e32 v19, v19, v23
	v_add_f32_e32 v20, v20, v21
	v_add_f32_e32 v14, v14, v19
	v_mul_f32_e32 v24, v23, v18
	v_mul_f32_e32 v25, v22, v24
	v_fma_f32 v21, v24, v22, -v25
	v_fmac_f32_e32 v21, v24, v20
	v_add_f32_e32 v26, v25, v21
	v_sub_f32_e32 v27, v23, v26
	v_sub_f32_e32 v19, v26, v25
	;; [unrolled: 1-line block ×5, first 2 shown]
	v_add_f32_e32 v14, v14, v23
	v_add_f32_e32 v14, v19, v14
	;; [unrolled: 1-line block ×3, first 2 shown]
	v_mul_f32_e32 v21, v18, v19
	v_sub_f32_e32 v26, v27, v19
	v_mul_f32_e32 v23, v22, v21
	v_add_f32_e32 v14, v14, v26
	v_fma_f32 v22, v21, v22, -v23
	v_fmac_f32_e32 v22, v21, v20
	v_add_f32_e32 v20, v23, v22
	v_sub_f32_e32 v25, v19, v20
	v_sub_f32_e32 v23, v20, v23
	;; [unrolled: 1-line block ×5, first 2 shown]
	v_add_f32_e32 v14, v14, v19
	v_add_f32_e32 v19, v24, v21
	;; [unrolled: 1-line block ×3, first 2 shown]
	v_sub_f32_e32 v20, v19, v24
	v_add_f32_e32 v14, v25, v14
	v_sub_f32_e32 v20, v21, v20
	v_mul_f32_e32 v14, v18, v14
	v_add_f32_e32 v14, v20, v14
	v_add_f32_e32 v18, v19, v14
	v_mul_f32_e32 v20, v18, v18
	v_fmaak_f32 v21, s18, v20, 0x3ecc95a3
	v_mul_f32_e32 v22, v18, v20
	v_cmp_neq_f32_e64 s18, 0x7f800000, v15
	v_fmaak_f32 v20, v20, v21, 0x3f2aaada
	v_ldexp_f32 v21, v18, 1
	v_sub_f32_e32 v18, v18, v19
	v_mul_f32_e32 v20, v22, v20
	v_mul_f32_e32 v22, 0x3f317218, v13
	v_sub_f32_e32 v14, v14, v18
	v_add_f32_e32 v19, v21, v20
	v_ldexp_f32 v14, v14, 1
	v_sub_f32_e32 v18, v19, v21
	v_fma_f32 v21, 0x3f317218, v13, -v22
	v_sub_f32_e32 v18, v20, v18
	v_fmamk_f32 v13, v13, 0xb102e308, v21
	v_add_f32_e32 v14, v14, v18
	v_add_f32_e32 v18, v22, v13
	;; [unrolled: 1-line block ×3, first 2 shown]
	v_sub_f32_e32 v22, v18, v22
	v_add_f32_e32 v21, v18, v20
	v_sub_f32_e32 v19, v20, v19
	v_sub_f32_e32 v13, v13, v22
	;; [unrolled: 1-line block ×6, first 2 shown]
	v_add_f32_e32 v20, v13, v14
	v_sub_f32_e32 v18, v18, v24
	v_add_f32_e32 v18, v19, v18
	v_sub_f32_e32 v19, v20, v13
	;; [unrolled: 2-line block ×3, first 2 shown]
	v_sub_f32_e32 v14, v14, v19
	v_add_f32_e32 v22, v21, v18
	v_sub_f32_e32 v13, v13, v20
	v_sub_f32_e32 v19, v22, v21
	v_add_f32_e32 v13, v14, v13
	v_sub_f32_e32 v14, v18, v19
	v_add_f32_e32 v13, v13, v14
	v_add_f32_e32 v13, v22, v13
	v_cndmask_b32_e64 v13, 0x7f800000, v13, s18
	v_cmp_gt_f32_e64 s18, 0x33800000, |v15|
	v_cndmask_b32_e64 v13, v13, v15, s18
	v_add_f32_e32 v3, v3, v13
	v_cvt_f16_f32_e32 v19, v3
	v_cvt_f32_f16_e32 v20, v19
	v_mov_b32_e32 v18, v19
.LBB395_34:
	s_or_b32 exec_lo, exec_lo, s19
	v_cvt_f32_f16_e32 v3, v4
	v_max_f32_e32 v13, v20, v20
	v_cmp_u_f16_e64 s18, v19, v19
	v_min_f32_e32 v14, v13, v3
	v_max_f32_e32 v13, v13, v3
	v_cndmask_b32_e64 v14, v14, v20, s18
	v_cndmask_b32_e64 v13, v13, v20, s18
	v_cmp_u_f16_e64 s18, v4, v4
	v_cndmask_b32_e64 v14, v14, v3, s18
	v_cndmask_b32_e64 v13, v13, v3, s18
	v_cmp_class_f32_e64 s20, v14, 0x1f8
	v_cmp_neq_f32_e64 s19, v14, v13
	s_or_b32 s19, s19, s20
	s_and_saveexec_b32 s20, s19
	s_cbranch_execz .LBB395_36
; %bb.35:
	v_sub_f32_e32 v14, v14, v13
	v_mul_f32_e32 v15, 0x3fb8aa3b, v14
	v_cmp_ngt_f32_e64 s19, 0xc2ce8ed0, v14
	v_fma_f32 v18, 0x3fb8aa3b, v14, -v15
	v_rndne_f32_e32 v19, v15
	v_fmamk_f32 v18, v14, 0x32a5705f, v18
	v_sub_f32_e32 v15, v15, v19
	v_add_f32_e32 v15, v15, v18
	v_cvt_i32_f32_e32 v18, v19
	v_exp_f32_e32 v15, v15
	v_ldexp_f32 v15, v15, v18
	v_cndmask_b32_e64 v15, 0, v15, s19
	v_cmp_nlt_f32_e64 s19, 0x42b17218, v14
	v_cndmask_b32_e64 v18, 0x7f800000, v15, s19
	v_add_f32_e32 v19, 1.0, v18
	v_cvt_f64_f32_e32 v[14:15], v19
	v_frexp_exp_i32_f64_e32 v14, v[14:15]
	v_frexp_mant_f32_e32 v15, v19
	v_cmp_gt_f32_e64 s19, 0x3f2aaaab, v15
	v_add_f32_e32 v15, -1.0, v19
	v_sub_f32_e32 v21, v15, v19
	v_sub_f32_e32 v15, v18, v15
	v_add_f32_e32 v21, 1.0, v21
	v_add_f32_e32 v15, v15, v21
	v_subrev_co_ci_u32_e64 v14, null, 0, v14, s19
	s_mov_b32 s19, 0x3e9b6dac
	v_sub_nc_u32_e32 v20, 0, v14
	v_cvt_f32_i32_e32 v14, v14
	v_ldexp_f32 v19, v19, v20
	v_ldexp_f32 v15, v15, v20
	v_add_f32_e32 v22, 1.0, v19
	v_add_f32_e32 v20, -1.0, v19
	v_add_f32_e32 v21, -1.0, v22
	v_add_f32_e32 v23, 1.0, v20
	v_sub_f32_e32 v21, v19, v21
	v_sub_f32_e32 v19, v19, v23
	v_add_f32_e32 v21, v15, v21
	v_add_f32_e32 v15, v15, v19
	;; [unrolled: 1-line block ×4, first 2 shown]
	v_rcp_f32_e32 v19, v23
	v_sub_f32_e32 v22, v22, v23
	v_sub_f32_e32 v20, v20, v24
	v_add_f32_e32 v21, v21, v22
	v_add_f32_e32 v15, v15, v20
	v_mul_f32_e32 v25, v24, v19
	v_mul_f32_e32 v26, v23, v25
	v_fma_f32 v22, v25, v23, -v26
	v_fmac_f32_e32 v22, v25, v21
	v_add_f32_e32 v27, v26, v22
	v_sub_f32_e32 v28, v24, v27
	v_sub_f32_e32 v20, v27, v26
	;; [unrolled: 1-line block ×5, first 2 shown]
	v_add_f32_e32 v15, v15, v24
	v_add_f32_e32 v15, v20, v15
	;; [unrolled: 1-line block ×3, first 2 shown]
	v_mul_f32_e32 v22, v19, v20
	v_sub_f32_e32 v27, v28, v20
	v_mul_f32_e32 v24, v23, v22
	v_add_f32_e32 v15, v15, v27
	v_fma_f32 v23, v22, v23, -v24
	v_fmac_f32_e32 v23, v22, v21
	v_add_f32_e32 v21, v24, v23
	v_sub_f32_e32 v26, v20, v21
	v_sub_f32_e32 v24, v21, v24
	;; [unrolled: 1-line block ×5, first 2 shown]
	v_add_f32_e32 v15, v15, v20
	v_add_f32_e32 v20, v25, v22
	;; [unrolled: 1-line block ×3, first 2 shown]
	v_sub_f32_e32 v21, v20, v25
	v_add_f32_e32 v15, v26, v15
	v_sub_f32_e32 v21, v22, v21
	v_mul_f32_e32 v15, v19, v15
	v_add_f32_e32 v15, v21, v15
	v_add_f32_e32 v19, v20, v15
	v_mul_f32_e32 v21, v19, v19
	v_fmaak_f32 v22, s19, v21, 0x3ecc95a3
	v_mul_f32_e32 v23, v19, v21
	v_cmp_neq_f32_e64 s19, 0x7f800000, v18
	v_fmaak_f32 v21, v21, v22, 0x3f2aaada
	v_ldexp_f32 v22, v19, 1
	v_sub_f32_e32 v19, v19, v20
	v_mul_f32_e32 v21, v23, v21
	v_mul_f32_e32 v23, 0x3f317218, v14
	v_sub_f32_e32 v15, v15, v19
	v_add_f32_e32 v20, v22, v21
	v_ldexp_f32 v15, v15, 1
	v_sub_f32_e32 v19, v20, v22
	v_fma_f32 v22, 0x3f317218, v14, -v23
	v_sub_f32_e32 v19, v21, v19
	v_fmamk_f32 v14, v14, 0xb102e308, v22
	v_add_f32_e32 v15, v15, v19
	v_add_f32_e32 v19, v23, v14
	;; [unrolled: 1-line block ×3, first 2 shown]
	v_sub_f32_e32 v23, v19, v23
	v_add_f32_e32 v22, v19, v21
	v_sub_f32_e32 v20, v21, v20
	v_sub_f32_e32 v14, v14, v23
	;; [unrolled: 1-line block ×6, first 2 shown]
	v_add_f32_e32 v21, v14, v15
	v_sub_f32_e32 v19, v19, v25
	v_add_f32_e32 v19, v20, v19
	v_sub_f32_e32 v20, v21, v14
	;; [unrolled: 2-line block ×3, first 2 shown]
	v_sub_f32_e32 v15, v15, v20
	v_add_f32_e32 v23, v22, v19
	v_sub_f32_e32 v14, v14, v21
	v_sub_f32_e32 v20, v23, v22
	v_add_f32_e32 v14, v15, v14
	v_sub_f32_e32 v15, v19, v20
	v_add_f32_e32 v14, v14, v15
	v_add_f32_e32 v14, v23, v14
	v_cndmask_b32_e64 v14, 0x7f800000, v14, s19
	v_cmp_gt_f32_e64 s19, 0x33800000, |v18|
	v_cndmask_b32_e64 v14, v14, v18, s19
	v_add_f32_e32 v13, v13, v14
	v_cvt_f16_f32_e32 v19, v13
	v_cvt_f32_f16_e32 v20, v19
	v_mov_b32_e32 v18, v19
.LBB395_36:
	s_or_b32 exec_lo, exec_lo, s20
	v_cvt_f32_f16_sdwa v13, v4 dst_sel:DWORD dst_unused:UNUSED_PAD src0_sel:WORD_1
	v_max_f32_e32 v14, v20, v20
	v_cmp_u_f16_e64 s19, v19, v19
	v_min_f32_e32 v15, v14, v13
	v_max_f32_e32 v14, v14, v13
	v_cndmask_b32_e64 v15, v15, v20, s19
	v_cndmask_b32_e64 v21, v14, v20, s19
	v_cmp_u_f16_sdwa s19, v4, v4 src0_sel:WORD_1 src1_sel:WORD_1
	v_cndmask_b32_e64 v14, v15, v13, s19
	v_cndmask_b32_e64 v4, v21, v13, s19
	v_cmp_class_f32_e64 s21, v14, 0x1f8
	v_cmp_neq_f32_e64 s20, v14, v4
	s_or_b32 s20, s20, s21
	s_and_saveexec_b32 s21, s20
	s_cbranch_execz .LBB395_38
; %bb.37:
	v_sub_f32_e32 v14, v14, v4
	v_mul_f32_e32 v15, 0x3fb8aa3b, v14
	v_cmp_ngt_f32_e64 s20, 0xc2ce8ed0, v14
	v_fma_f32 v18, 0x3fb8aa3b, v14, -v15
	v_rndne_f32_e32 v19, v15
	v_fmamk_f32 v18, v14, 0x32a5705f, v18
	v_sub_f32_e32 v15, v15, v19
	v_add_f32_e32 v15, v15, v18
	v_cvt_i32_f32_e32 v18, v19
	v_exp_f32_e32 v15, v15
	v_ldexp_f32 v15, v15, v18
	v_cndmask_b32_e64 v15, 0, v15, s20
	v_cmp_nlt_f32_e64 s20, 0x42b17218, v14
	v_cndmask_b32_e64 v18, 0x7f800000, v15, s20
	v_add_f32_e32 v19, 1.0, v18
	v_cvt_f64_f32_e32 v[14:15], v19
	v_frexp_exp_i32_f64_e32 v14, v[14:15]
	v_frexp_mant_f32_e32 v15, v19
	v_cmp_gt_f32_e64 s20, 0x3f2aaaab, v15
	v_add_f32_e32 v15, -1.0, v19
	v_sub_f32_e32 v21, v15, v19
	v_sub_f32_e32 v15, v18, v15
	v_add_f32_e32 v21, 1.0, v21
	v_add_f32_e32 v15, v15, v21
	v_subrev_co_ci_u32_e64 v14, null, 0, v14, s20
	s_mov_b32 s20, 0x3e9b6dac
	v_sub_nc_u32_e32 v20, 0, v14
	v_cvt_f32_i32_e32 v14, v14
	v_ldexp_f32 v19, v19, v20
	v_ldexp_f32 v15, v15, v20
	v_add_f32_e32 v22, 1.0, v19
	v_add_f32_e32 v20, -1.0, v19
	v_add_f32_e32 v21, -1.0, v22
	v_add_f32_e32 v23, 1.0, v20
	v_sub_f32_e32 v21, v19, v21
	v_sub_f32_e32 v19, v19, v23
	v_add_f32_e32 v21, v15, v21
	v_add_f32_e32 v15, v15, v19
	;; [unrolled: 1-line block ×4, first 2 shown]
	v_rcp_f32_e32 v19, v23
	v_sub_f32_e32 v22, v22, v23
	v_sub_f32_e32 v20, v20, v24
	v_add_f32_e32 v21, v21, v22
	v_add_f32_e32 v15, v15, v20
	v_mul_f32_e32 v25, v24, v19
	v_mul_f32_e32 v26, v23, v25
	v_fma_f32 v22, v25, v23, -v26
	v_fmac_f32_e32 v22, v25, v21
	v_add_f32_e32 v27, v26, v22
	v_sub_f32_e32 v28, v24, v27
	v_sub_f32_e32 v20, v27, v26
	;; [unrolled: 1-line block ×5, first 2 shown]
	v_add_f32_e32 v15, v15, v24
	v_add_f32_e32 v15, v20, v15
	;; [unrolled: 1-line block ×3, first 2 shown]
	v_mul_f32_e32 v22, v19, v20
	v_sub_f32_e32 v27, v28, v20
	v_mul_f32_e32 v24, v23, v22
	v_add_f32_e32 v15, v15, v27
	v_fma_f32 v23, v22, v23, -v24
	v_fmac_f32_e32 v23, v22, v21
	v_add_f32_e32 v21, v24, v23
	v_sub_f32_e32 v26, v20, v21
	v_sub_f32_e32 v24, v21, v24
	;; [unrolled: 1-line block ×5, first 2 shown]
	v_add_f32_e32 v15, v15, v20
	v_add_f32_e32 v20, v25, v22
	;; [unrolled: 1-line block ×3, first 2 shown]
	v_sub_f32_e32 v21, v20, v25
	v_add_f32_e32 v15, v26, v15
	v_sub_f32_e32 v21, v22, v21
	v_mul_f32_e32 v15, v19, v15
	v_add_f32_e32 v15, v21, v15
	v_add_f32_e32 v19, v20, v15
	v_mul_f32_e32 v21, v19, v19
	v_fmaak_f32 v22, s20, v21, 0x3ecc95a3
	v_mul_f32_e32 v23, v19, v21
	v_cmp_neq_f32_e64 s20, 0x7f800000, v18
	v_fmaak_f32 v21, v21, v22, 0x3f2aaada
	v_ldexp_f32 v22, v19, 1
	v_sub_f32_e32 v19, v19, v20
	v_mul_f32_e32 v21, v23, v21
	v_mul_f32_e32 v23, 0x3f317218, v14
	v_sub_f32_e32 v15, v15, v19
	v_add_f32_e32 v20, v22, v21
	v_ldexp_f32 v15, v15, 1
	v_sub_f32_e32 v19, v20, v22
	v_fma_f32 v22, 0x3f317218, v14, -v23
	v_sub_f32_e32 v19, v21, v19
	v_fmamk_f32 v14, v14, 0xb102e308, v22
	v_add_f32_e32 v15, v15, v19
	v_add_f32_e32 v19, v23, v14
	;; [unrolled: 1-line block ×3, first 2 shown]
	v_sub_f32_e32 v23, v19, v23
	v_add_f32_e32 v22, v19, v21
	v_sub_f32_e32 v20, v21, v20
	v_sub_f32_e32 v14, v14, v23
	;; [unrolled: 1-line block ×6, first 2 shown]
	v_add_f32_e32 v21, v14, v15
	v_sub_f32_e32 v19, v19, v25
	v_add_f32_e32 v19, v20, v19
	v_sub_f32_e32 v20, v21, v14
	;; [unrolled: 2-line block ×3, first 2 shown]
	v_sub_f32_e32 v15, v15, v20
	v_add_f32_e32 v23, v22, v19
	v_sub_f32_e32 v14, v14, v21
	v_sub_f32_e32 v20, v23, v22
	v_add_f32_e32 v14, v15, v14
	v_sub_f32_e32 v15, v19, v20
	v_add_f32_e32 v14, v14, v15
	v_add_f32_e32 v14, v23, v14
	v_cndmask_b32_e64 v14, 0x7f800000, v14, s20
	v_cmp_gt_f32_e64 s20, 0x33800000, |v18|
	v_cndmask_b32_e64 v14, v14, v18, s20
	v_add_f32_e32 v4, v4, v14
	v_cvt_f16_f32_e32 v19, v4
	v_cvt_f32_f16_e32 v20, v19
	v_mov_b32_e32 v18, v19
.LBB395_38:
	s_or_b32 exec_lo, exec_lo, s21
	v_cvt_f32_f16_e32 v4, v5
	v_max_f32_e32 v14, v20, v20
	v_cmp_u_f16_e64 s20, v19, v19
	v_min_f32_e32 v15, v14, v4
	v_max_f32_e32 v14, v14, v4
	v_cndmask_b32_e64 v15, v15, v20, s20
	v_cndmask_b32_e64 v14, v14, v20, s20
	v_cmp_u_f16_e64 s20, v5, v5
	v_cndmask_b32_e64 v15, v15, v4, s20
	v_cndmask_b32_e64 v14, v14, v4, s20
	v_cmp_class_f32_e64 s22, v15, 0x1f8
	v_cmp_neq_f32_e64 s21, v15, v14
	s_or_b32 s21, s21, s22
	s_and_saveexec_b32 s22, s21
	s_cbranch_execz .LBB395_40
; %bb.39:
	v_sub_f32_e32 v15, v15, v14
	v_mul_f32_e32 v18, 0x3fb8aa3b, v15
	v_cmp_ngt_f32_e64 s21, 0xc2ce8ed0, v15
	v_fma_f32 v19, 0x3fb8aa3b, v15, -v18
	v_rndne_f32_e32 v20, v18
	v_fmamk_f32 v19, v15, 0x32a5705f, v19
	v_sub_f32_e32 v18, v18, v20
	v_add_f32_e32 v18, v18, v19
	v_cvt_i32_f32_e32 v19, v20
	v_exp_f32_e32 v18, v18
	v_ldexp_f32 v18, v18, v19
	v_cndmask_b32_e64 v18, 0, v18, s21
	v_cmp_nlt_f32_e64 s21, 0x42b17218, v15
	v_cndmask_b32_e64 v15, 0x7f800000, v18, s21
	v_add_f32_e32 v20, 1.0, v15
	v_cvt_f64_f32_e32 v[18:19], v20
	v_frexp_exp_i32_f64_e32 v18, v[18:19]
	v_frexp_mant_f32_e32 v19, v20
	v_cmp_gt_f32_e64 s21, 0x3f2aaaab, v19
	v_add_f32_e32 v19, -1.0, v20
	v_sub_f32_e32 v22, v19, v20
	v_sub_f32_e32 v19, v15, v19
	v_add_f32_e32 v22, 1.0, v22
	v_add_f32_e32 v19, v19, v22
	v_subrev_co_ci_u32_e64 v18, null, 0, v18, s21
	s_mov_b32 s21, 0x3e9b6dac
	v_sub_nc_u32_e32 v21, 0, v18
	v_cvt_f32_i32_e32 v18, v18
	v_ldexp_f32 v20, v20, v21
	v_ldexp_f32 v19, v19, v21
	v_add_f32_e32 v23, 1.0, v20
	v_add_f32_e32 v21, -1.0, v20
	v_add_f32_e32 v22, -1.0, v23
	v_add_f32_e32 v24, 1.0, v21
	v_sub_f32_e32 v22, v20, v22
	v_sub_f32_e32 v20, v20, v24
	v_add_f32_e32 v22, v19, v22
	v_add_f32_e32 v19, v19, v20
	;; [unrolled: 1-line block ×4, first 2 shown]
	v_rcp_f32_e32 v20, v24
	v_sub_f32_e32 v23, v23, v24
	v_sub_f32_e32 v21, v21, v25
	v_add_f32_e32 v22, v22, v23
	v_add_f32_e32 v19, v19, v21
	v_mul_f32_e32 v26, v25, v20
	v_mul_f32_e32 v27, v24, v26
	v_fma_f32 v23, v26, v24, -v27
	v_fmac_f32_e32 v23, v26, v22
	v_add_f32_e32 v28, v27, v23
	v_sub_f32_e32 v29, v25, v28
	v_sub_f32_e32 v21, v28, v27
	;; [unrolled: 1-line block ×5, first 2 shown]
	v_add_f32_e32 v19, v19, v25
	v_add_f32_e32 v19, v21, v19
	;; [unrolled: 1-line block ×3, first 2 shown]
	v_mul_f32_e32 v23, v20, v21
	v_sub_f32_e32 v28, v29, v21
	v_mul_f32_e32 v25, v24, v23
	v_add_f32_e32 v19, v19, v28
	v_fma_f32 v24, v23, v24, -v25
	v_fmac_f32_e32 v24, v23, v22
	v_add_f32_e32 v22, v25, v24
	v_sub_f32_e32 v27, v21, v22
	v_sub_f32_e32 v25, v22, v25
	;; [unrolled: 1-line block ×5, first 2 shown]
	v_add_f32_e32 v19, v19, v21
	v_add_f32_e32 v21, v26, v23
	;; [unrolled: 1-line block ×3, first 2 shown]
	v_sub_f32_e32 v22, v21, v26
	v_add_f32_e32 v19, v27, v19
	v_sub_f32_e32 v22, v23, v22
	v_mul_f32_e32 v19, v20, v19
	v_add_f32_e32 v19, v22, v19
	v_add_f32_e32 v20, v21, v19
	v_mul_f32_e32 v22, v20, v20
	v_fmaak_f32 v23, s21, v22, 0x3ecc95a3
	v_mul_f32_e32 v24, v20, v22
	v_cmp_neq_f32_e64 s21, 0x7f800000, v15
	v_fmaak_f32 v22, v22, v23, 0x3f2aaada
	v_ldexp_f32 v23, v20, 1
	v_sub_f32_e32 v20, v20, v21
	v_mul_f32_e32 v22, v24, v22
	v_mul_f32_e32 v24, 0x3f317218, v18
	v_sub_f32_e32 v19, v19, v20
	v_add_f32_e32 v21, v23, v22
	v_ldexp_f32 v19, v19, 1
	v_sub_f32_e32 v20, v21, v23
	v_fma_f32 v23, 0x3f317218, v18, -v24
	v_sub_f32_e32 v20, v22, v20
	v_fmamk_f32 v18, v18, 0xb102e308, v23
	v_add_f32_e32 v19, v19, v20
	v_add_f32_e32 v20, v24, v18
	;; [unrolled: 1-line block ×3, first 2 shown]
	v_sub_f32_e32 v24, v20, v24
	v_add_f32_e32 v23, v20, v22
	v_sub_f32_e32 v21, v22, v21
	v_sub_f32_e32 v18, v18, v24
	;; [unrolled: 1-line block ×6, first 2 shown]
	v_add_f32_e32 v22, v18, v19
	v_sub_f32_e32 v20, v20, v26
	v_add_f32_e32 v20, v21, v20
	v_sub_f32_e32 v21, v22, v18
	;; [unrolled: 2-line block ×3, first 2 shown]
	v_sub_f32_e32 v19, v19, v21
	v_add_f32_e32 v24, v23, v20
	v_sub_f32_e32 v18, v18, v22
	v_sub_f32_e32 v21, v24, v23
	v_add_f32_e32 v18, v19, v18
	v_sub_f32_e32 v19, v20, v21
	v_add_f32_e32 v18, v18, v19
	v_add_f32_e32 v18, v24, v18
	v_cndmask_b32_e64 v18, 0x7f800000, v18, s21
	v_cmp_gt_f32_e64 s21, 0x33800000, |v15|
	v_cndmask_b32_e64 v15, v18, v15, s21
	v_add_f32_e32 v14, v14, v15
	v_cvt_f16_f32_e32 v19, v14
	v_cvt_f32_f16_e32 v20, v19
	v_mov_b32_e32 v18, v19
.LBB395_40:
	s_or_b32 exec_lo, exec_lo, s22
	v_cvt_f32_f16_sdwa v14, v5 dst_sel:DWORD dst_unused:UNUSED_PAD src0_sel:WORD_1
	v_max_f32_e32 v15, v20, v20
	v_cmp_u_f16_e64 s21, v19, v19
	v_min_f32_e32 v21, v15, v14
	v_max_f32_e32 v15, v15, v14
	v_cndmask_b32_e64 v21, v21, v20, s21
	v_cndmask_b32_e64 v22, v15, v20, s21
	v_cmp_u_f16_sdwa s21, v5, v5 src0_sel:WORD_1 src1_sel:WORD_1
	v_cndmask_b32_e64 v15, v21, v14, s21
	v_cndmask_b32_e64 v5, v22, v14, s21
	v_cmp_class_f32_e64 s23, v15, 0x1f8
	v_cmp_neq_f32_e64 s22, v15, v5
	s_or_b32 s22, s22, s23
	s_and_saveexec_b32 s23, s22
	s_cbranch_execz .LBB395_42
; %bb.41:
	v_sub_f32_e32 v15, v15, v5
	v_mul_f32_e32 v18, 0x3fb8aa3b, v15
	v_cmp_ngt_f32_e64 s22, 0xc2ce8ed0, v15
	v_fma_f32 v19, 0x3fb8aa3b, v15, -v18
	v_rndne_f32_e32 v20, v18
	v_fmamk_f32 v19, v15, 0x32a5705f, v19
	v_sub_f32_e32 v18, v18, v20
	v_add_f32_e32 v18, v18, v19
	v_cvt_i32_f32_e32 v19, v20
	v_exp_f32_e32 v18, v18
	v_ldexp_f32 v18, v18, v19
	v_cndmask_b32_e64 v18, 0, v18, s22
	v_cmp_nlt_f32_e64 s22, 0x42b17218, v15
	v_cndmask_b32_e64 v15, 0x7f800000, v18, s22
	v_add_f32_e32 v20, 1.0, v15
	v_cvt_f64_f32_e32 v[18:19], v20
	v_frexp_exp_i32_f64_e32 v18, v[18:19]
	v_frexp_mant_f32_e32 v19, v20
	v_cmp_gt_f32_e64 s22, 0x3f2aaaab, v19
	v_add_f32_e32 v19, -1.0, v20
	v_sub_f32_e32 v22, v19, v20
	v_sub_f32_e32 v19, v15, v19
	v_add_f32_e32 v22, 1.0, v22
	v_add_f32_e32 v19, v19, v22
	v_subrev_co_ci_u32_e64 v18, null, 0, v18, s22
	s_mov_b32 s22, 0x3e9b6dac
	v_sub_nc_u32_e32 v21, 0, v18
	v_cvt_f32_i32_e32 v18, v18
	v_ldexp_f32 v20, v20, v21
	v_ldexp_f32 v19, v19, v21
	v_add_f32_e32 v23, 1.0, v20
	v_add_f32_e32 v21, -1.0, v20
	v_add_f32_e32 v22, -1.0, v23
	v_add_f32_e32 v24, 1.0, v21
	v_sub_f32_e32 v22, v20, v22
	v_sub_f32_e32 v20, v20, v24
	v_add_f32_e32 v22, v19, v22
	v_add_f32_e32 v19, v19, v20
	v_add_f32_e32 v24, v23, v22
	v_add_f32_e32 v25, v21, v19
	v_rcp_f32_e32 v20, v24
	v_sub_f32_e32 v23, v23, v24
	v_sub_f32_e32 v21, v21, v25
	v_add_f32_e32 v22, v22, v23
	v_add_f32_e32 v19, v19, v21
	v_mul_f32_e32 v26, v25, v20
	v_mul_f32_e32 v27, v24, v26
	v_fma_f32 v23, v26, v24, -v27
	v_fmac_f32_e32 v23, v26, v22
	v_add_f32_e32 v28, v27, v23
	v_sub_f32_e32 v29, v25, v28
	v_sub_f32_e32 v21, v28, v27
	;; [unrolled: 1-line block ×5, first 2 shown]
	v_add_f32_e32 v19, v19, v25
	v_add_f32_e32 v19, v21, v19
	;; [unrolled: 1-line block ×3, first 2 shown]
	v_mul_f32_e32 v23, v20, v21
	v_sub_f32_e32 v28, v29, v21
	v_mul_f32_e32 v25, v24, v23
	v_add_f32_e32 v19, v19, v28
	v_fma_f32 v24, v23, v24, -v25
	v_fmac_f32_e32 v24, v23, v22
	v_add_f32_e32 v22, v25, v24
	v_sub_f32_e32 v27, v21, v22
	v_sub_f32_e32 v25, v22, v25
	;; [unrolled: 1-line block ×5, first 2 shown]
	v_add_f32_e32 v19, v19, v21
	v_add_f32_e32 v21, v26, v23
	;; [unrolled: 1-line block ×3, first 2 shown]
	v_sub_f32_e32 v22, v21, v26
	v_add_f32_e32 v19, v27, v19
	v_sub_f32_e32 v22, v23, v22
	v_mul_f32_e32 v19, v20, v19
	v_add_f32_e32 v19, v22, v19
	v_add_f32_e32 v20, v21, v19
	v_mul_f32_e32 v22, v20, v20
	v_fmaak_f32 v23, s22, v22, 0x3ecc95a3
	v_mul_f32_e32 v24, v20, v22
	v_cmp_neq_f32_e64 s22, 0x7f800000, v15
	v_fmaak_f32 v22, v22, v23, 0x3f2aaada
	v_ldexp_f32 v23, v20, 1
	v_sub_f32_e32 v20, v20, v21
	v_mul_f32_e32 v22, v24, v22
	v_mul_f32_e32 v24, 0x3f317218, v18
	v_sub_f32_e32 v19, v19, v20
	v_add_f32_e32 v21, v23, v22
	v_ldexp_f32 v19, v19, 1
	v_sub_f32_e32 v20, v21, v23
	v_fma_f32 v23, 0x3f317218, v18, -v24
	v_sub_f32_e32 v20, v22, v20
	v_fmamk_f32 v18, v18, 0xb102e308, v23
	v_add_f32_e32 v19, v19, v20
	v_add_f32_e32 v20, v24, v18
	;; [unrolled: 1-line block ×3, first 2 shown]
	v_sub_f32_e32 v24, v20, v24
	v_add_f32_e32 v23, v20, v22
	v_sub_f32_e32 v21, v22, v21
	v_sub_f32_e32 v18, v18, v24
	;; [unrolled: 1-line block ×6, first 2 shown]
	v_add_f32_e32 v22, v18, v19
	v_sub_f32_e32 v20, v20, v26
	v_add_f32_e32 v20, v21, v20
	v_sub_f32_e32 v21, v22, v18
	;; [unrolled: 2-line block ×3, first 2 shown]
	v_sub_f32_e32 v19, v19, v21
	v_add_f32_e32 v24, v23, v20
	v_sub_f32_e32 v18, v18, v22
	v_sub_f32_e32 v21, v24, v23
	v_add_f32_e32 v18, v19, v18
	v_sub_f32_e32 v19, v20, v21
	v_add_f32_e32 v18, v18, v19
	v_add_f32_e32 v18, v24, v18
	v_cndmask_b32_e64 v18, 0x7f800000, v18, s22
	v_cmp_gt_f32_e64 s22, 0x33800000, |v15|
	v_cndmask_b32_e64 v15, v18, v15, s22
	v_add_f32_e32 v5, v5, v15
	v_cvt_f16_f32_e32 v19, v5
	v_cvt_f32_f16_e32 v20, v19
	v_mov_b32_e32 v18, v19
.LBB395_42:
	s_or_b32 exec_lo, exec_lo, s23
	v_cvt_f32_f16_e32 v5, v6
	v_max_f32_e32 v15, v20, v20
	v_cmp_u_f16_e64 s22, v19, v19
	v_min_f32_e32 v21, v15, v5
	v_max_f32_e32 v15, v15, v5
	v_cndmask_b32_e64 v21, v21, v20, s22
	v_cndmask_b32_e64 v15, v15, v20, s22
	v_cmp_u_f16_e64 s22, v6, v6
	v_cndmask_b32_e64 v21, v21, v5, s22
	v_cndmask_b32_e64 v15, v15, v5, s22
	v_cmp_class_f32_e64 s25, v21, 0x1f8
	v_cmp_neq_f32_e64 s23, v21, v15
	s_or_b32 s23, s23, s25
	s_and_saveexec_b32 s25, s23
	s_cbranch_execz .LBB395_44
; %bb.43:
	v_sub_f32_e32 v18, v21, v15
	v_mul_f32_e32 v19, 0x3fb8aa3b, v18
	v_cmp_ngt_f32_e64 s23, 0xc2ce8ed0, v18
	v_fma_f32 v20, 0x3fb8aa3b, v18, -v19
	v_rndne_f32_e32 v21, v19
	v_fmamk_f32 v20, v18, 0x32a5705f, v20
	v_sub_f32_e32 v19, v19, v21
	v_add_f32_e32 v19, v19, v20
	v_cvt_i32_f32_e32 v20, v21
	v_exp_f32_e32 v19, v19
	v_ldexp_f32 v19, v19, v20
	v_cndmask_b32_e64 v19, 0, v19, s23
	v_cmp_nlt_f32_e64 s23, 0x42b17218, v18
	v_cndmask_b32_e64 v20, 0x7f800000, v19, s23
	v_add_f32_e32 v21, 1.0, v20
	v_cvt_f64_f32_e32 v[18:19], v21
	v_frexp_exp_i32_f64_e32 v18, v[18:19]
	v_frexp_mant_f32_e32 v19, v21
	v_cmp_gt_f32_e64 s23, 0x3f2aaaab, v19
	v_add_f32_e32 v19, -1.0, v21
	v_sub_f32_e32 v23, v19, v21
	v_sub_f32_e32 v19, v20, v19
	v_add_f32_e32 v23, 1.0, v23
	v_add_f32_e32 v19, v19, v23
	v_subrev_co_ci_u32_e64 v18, null, 0, v18, s23
	s_mov_b32 s23, 0x3e9b6dac
	v_sub_nc_u32_e32 v22, 0, v18
	v_cvt_f32_i32_e32 v18, v18
	v_ldexp_f32 v21, v21, v22
	v_ldexp_f32 v19, v19, v22
	v_add_f32_e32 v24, 1.0, v21
	v_add_f32_e32 v22, -1.0, v21
	v_add_f32_e32 v23, -1.0, v24
	v_add_f32_e32 v25, 1.0, v22
	v_sub_f32_e32 v23, v21, v23
	v_sub_f32_e32 v21, v21, v25
	v_add_f32_e32 v23, v19, v23
	v_add_f32_e32 v19, v19, v21
	;; [unrolled: 1-line block ×4, first 2 shown]
	v_rcp_f32_e32 v21, v25
	v_sub_f32_e32 v24, v24, v25
	v_sub_f32_e32 v22, v22, v26
	v_add_f32_e32 v23, v23, v24
	v_add_f32_e32 v19, v19, v22
	v_mul_f32_e32 v27, v26, v21
	v_mul_f32_e32 v28, v25, v27
	v_fma_f32 v24, v27, v25, -v28
	v_fmac_f32_e32 v24, v27, v23
	v_add_f32_e32 v29, v28, v24
	v_sub_f32_e32 v30, v26, v29
	v_sub_f32_e32 v22, v29, v28
	;; [unrolled: 1-line block ×5, first 2 shown]
	v_add_f32_e32 v19, v19, v26
	v_add_f32_e32 v19, v22, v19
	;; [unrolled: 1-line block ×3, first 2 shown]
	v_mul_f32_e32 v24, v21, v22
	v_sub_f32_e32 v29, v30, v22
	v_mul_f32_e32 v26, v25, v24
	v_add_f32_e32 v19, v19, v29
	v_fma_f32 v25, v24, v25, -v26
	v_fmac_f32_e32 v25, v24, v23
	v_add_f32_e32 v23, v26, v25
	v_sub_f32_e32 v28, v22, v23
	v_sub_f32_e32 v26, v23, v26
	;; [unrolled: 1-line block ×5, first 2 shown]
	v_add_f32_e32 v19, v19, v22
	v_add_f32_e32 v22, v27, v24
	;; [unrolled: 1-line block ×3, first 2 shown]
	v_sub_f32_e32 v23, v22, v27
	v_add_f32_e32 v19, v28, v19
	v_sub_f32_e32 v23, v24, v23
	v_mul_f32_e32 v19, v21, v19
	v_add_f32_e32 v19, v23, v19
	v_add_f32_e32 v21, v22, v19
	v_mul_f32_e32 v23, v21, v21
	v_fmaak_f32 v24, s23, v23, 0x3ecc95a3
	v_mul_f32_e32 v25, v21, v23
	v_cmp_neq_f32_e64 s23, 0x7f800000, v20
	v_fmaak_f32 v23, v23, v24, 0x3f2aaada
	v_ldexp_f32 v24, v21, 1
	v_sub_f32_e32 v21, v21, v22
	v_mul_f32_e32 v23, v25, v23
	v_mul_f32_e32 v25, 0x3f317218, v18
	v_sub_f32_e32 v19, v19, v21
	v_add_f32_e32 v22, v24, v23
	v_ldexp_f32 v19, v19, 1
	v_sub_f32_e32 v21, v22, v24
	v_fma_f32 v24, 0x3f317218, v18, -v25
	v_sub_f32_e32 v21, v23, v21
	v_fmamk_f32 v18, v18, 0xb102e308, v24
	v_add_f32_e32 v19, v19, v21
	v_add_f32_e32 v21, v25, v18
	;; [unrolled: 1-line block ×3, first 2 shown]
	v_sub_f32_e32 v25, v21, v25
	v_add_f32_e32 v24, v21, v23
	v_sub_f32_e32 v22, v23, v22
	v_sub_f32_e32 v18, v18, v25
	;; [unrolled: 1-line block ×6, first 2 shown]
	v_add_f32_e32 v23, v18, v19
	v_sub_f32_e32 v21, v21, v27
	v_add_f32_e32 v21, v22, v21
	v_sub_f32_e32 v22, v23, v18
	;; [unrolled: 2-line block ×3, first 2 shown]
	v_sub_f32_e32 v19, v19, v22
	v_add_f32_e32 v25, v24, v21
	v_sub_f32_e32 v18, v18, v23
	v_sub_f32_e32 v22, v25, v24
	v_add_f32_e32 v18, v19, v18
	v_sub_f32_e32 v19, v21, v22
	v_add_f32_e32 v18, v18, v19
	v_add_f32_e32 v18, v25, v18
	v_cndmask_b32_e64 v18, 0x7f800000, v18, s23
	v_cmp_gt_f32_e64 s23, 0x33800000, |v20|
	v_cndmask_b32_e64 v18, v18, v20, s23
	v_add_f32_e32 v15, v15, v18
	v_cvt_f16_f32_e32 v19, v15
	v_cvt_f32_f16_e32 v20, v19
	v_mov_b32_e32 v18, v19
.LBB395_44:
	s_or_b32 exec_lo, exec_lo, s25
	v_cvt_f32_f16_sdwa v15, v6 dst_sel:DWORD dst_unused:UNUSED_PAD src0_sel:WORD_1
	v_max_f32_e32 v21, v20, v20
	v_cmp_u_f16_e64 s23, v19, v19
	v_min_f32_e32 v22, v21, v15
	v_max_f32_e32 v21, v21, v15
	v_cndmask_b32_e64 v19, v22, v20, s23
	v_cndmask_b32_e64 v20, v21, v20, s23
	v_cmp_u_f16_sdwa s23, v6, v6 src0_sel:WORD_1 src1_sel:WORD_1
	v_cndmask_b32_e64 v19, v19, v15, s23
	v_cndmask_b32_e64 v6, v20, v15, s23
	v_cmp_class_f32_e64 s26, v19, 0x1f8
	v_cmp_neq_f32_e64 s25, v19, v6
	s_or_b32 s25, s25, s26
	s_and_saveexec_b32 s26, s25
	s_cbranch_execz .LBB395_46
; %bb.45:
	v_sub_f32_e32 v18, v19, v6
	v_mul_f32_e32 v19, 0x3fb8aa3b, v18
	v_cmp_ngt_f32_e64 s25, 0xc2ce8ed0, v18
	v_fma_f32 v20, 0x3fb8aa3b, v18, -v19
	v_rndne_f32_e32 v21, v19
	v_fmamk_f32 v20, v18, 0x32a5705f, v20
	v_sub_f32_e32 v19, v19, v21
	v_add_f32_e32 v19, v19, v20
	v_cvt_i32_f32_e32 v20, v21
	v_exp_f32_e32 v19, v19
	v_ldexp_f32 v19, v19, v20
	v_cndmask_b32_e64 v19, 0, v19, s25
	v_cmp_nlt_f32_e64 s25, 0x42b17218, v18
	v_cndmask_b32_e64 v20, 0x7f800000, v19, s25
	v_add_f32_e32 v21, 1.0, v20
	v_cvt_f64_f32_e32 v[18:19], v21
	v_frexp_exp_i32_f64_e32 v18, v[18:19]
	v_frexp_mant_f32_e32 v19, v21
	v_cmp_gt_f32_e64 s25, 0x3f2aaaab, v19
	v_add_f32_e32 v19, -1.0, v21
	v_sub_f32_e32 v23, v19, v21
	v_sub_f32_e32 v19, v20, v19
	v_add_f32_e32 v23, 1.0, v23
	v_add_f32_e32 v19, v19, v23
	v_subrev_co_ci_u32_e64 v18, null, 0, v18, s25
	s_mov_b32 s25, 0x3e9b6dac
	v_sub_nc_u32_e32 v22, 0, v18
	v_cvt_f32_i32_e32 v18, v18
	v_ldexp_f32 v21, v21, v22
	v_ldexp_f32 v19, v19, v22
	v_add_f32_e32 v24, 1.0, v21
	v_add_f32_e32 v22, -1.0, v21
	v_add_f32_e32 v23, -1.0, v24
	v_add_f32_e32 v25, 1.0, v22
	v_sub_f32_e32 v23, v21, v23
	v_sub_f32_e32 v21, v21, v25
	v_add_f32_e32 v23, v19, v23
	v_add_f32_e32 v19, v19, v21
	;; [unrolled: 1-line block ×4, first 2 shown]
	v_rcp_f32_e32 v21, v25
	v_sub_f32_e32 v24, v24, v25
	v_sub_f32_e32 v22, v22, v26
	v_add_f32_e32 v23, v23, v24
	v_add_f32_e32 v19, v19, v22
	v_mul_f32_e32 v27, v26, v21
	v_mul_f32_e32 v28, v25, v27
	v_fma_f32 v24, v27, v25, -v28
	v_fmac_f32_e32 v24, v27, v23
	v_add_f32_e32 v29, v28, v24
	v_sub_f32_e32 v30, v26, v29
	v_sub_f32_e32 v22, v29, v28
	;; [unrolled: 1-line block ×5, first 2 shown]
	v_add_f32_e32 v19, v19, v26
	v_add_f32_e32 v19, v22, v19
	;; [unrolled: 1-line block ×3, first 2 shown]
	v_mul_f32_e32 v24, v21, v22
	v_sub_f32_e32 v29, v30, v22
	v_mul_f32_e32 v26, v25, v24
	v_add_f32_e32 v19, v19, v29
	v_fma_f32 v25, v24, v25, -v26
	v_fmac_f32_e32 v25, v24, v23
	v_add_f32_e32 v23, v26, v25
	v_sub_f32_e32 v28, v22, v23
	v_sub_f32_e32 v26, v23, v26
	;; [unrolled: 1-line block ×5, first 2 shown]
	v_add_f32_e32 v19, v19, v22
	v_add_f32_e32 v22, v27, v24
	;; [unrolled: 1-line block ×3, first 2 shown]
	v_sub_f32_e32 v23, v22, v27
	v_add_f32_e32 v19, v28, v19
	v_sub_f32_e32 v23, v24, v23
	v_mul_f32_e32 v19, v21, v19
	v_add_f32_e32 v19, v23, v19
	v_add_f32_e32 v21, v22, v19
	v_mul_f32_e32 v23, v21, v21
	v_fmaak_f32 v24, s25, v23, 0x3ecc95a3
	v_mul_f32_e32 v25, v21, v23
	v_cmp_neq_f32_e64 s25, 0x7f800000, v20
	v_fmaak_f32 v23, v23, v24, 0x3f2aaada
	v_ldexp_f32 v24, v21, 1
	v_sub_f32_e32 v21, v21, v22
	v_mul_f32_e32 v23, v25, v23
	v_mul_f32_e32 v25, 0x3f317218, v18
	v_sub_f32_e32 v19, v19, v21
	v_add_f32_e32 v22, v24, v23
	v_ldexp_f32 v19, v19, 1
	v_sub_f32_e32 v21, v22, v24
	v_fma_f32 v24, 0x3f317218, v18, -v25
	v_sub_f32_e32 v21, v23, v21
	v_fmamk_f32 v18, v18, 0xb102e308, v24
	v_add_f32_e32 v19, v19, v21
	v_add_f32_e32 v21, v25, v18
	;; [unrolled: 1-line block ×3, first 2 shown]
	v_sub_f32_e32 v25, v21, v25
	v_add_f32_e32 v24, v21, v23
	v_sub_f32_e32 v22, v23, v22
	v_sub_f32_e32 v18, v18, v25
	;; [unrolled: 1-line block ×6, first 2 shown]
	v_add_f32_e32 v23, v18, v19
	v_sub_f32_e32 v21, v21, v27
	v_add_f32_e32 v21, v22, v21
	v_sub_f32_e32 v22, v23, v18
	;; [unrolled: 2-line block ×3, first 2 shown]
	v_sub_f32_e32 v19, v19, v22
	v_add_f32_e32 v25, v24, v21
	v_sub_f32_e32 v18, v18, v23
	v_sub_f32_e32 v22, v25, v24
	v_add_f32_e32 v18, v19, v18
	v_sub_f32_e32 v19, v21, v22
	v_add_f32_e32 v18, v18, v19
	v_add_f32_e32 v18, v25, v18
	v_cndmask_b32_e64 v18, 0x7f800000, v18, s25
	v_cmp_gt_f32_e64 s25, 0x33800000, |v20|
	v_cndmask_b32_e64 v18, v18, v20, s25
	v_add_f32_e32 v6, v6, v18
	v_cvt_f16_f32_e32 v18, v6
.LBB395_46:
	s_or_b32 exec_lo, exec_lo, s26
	s_load_dwordx2 s[26:27], s[4:5], 0x18
	v_lshrrev_b32_e32 v6, 4, v0
	s_mov_b32 s25, exec_lo
	v_and_b32_e32 v6, 2, v6
	v_lshl_add_u32 v6, v0, 1, v6
	ds_write_b16 v6, v18
	s_waitcnt lgkmcnt(0)
	s_barrier
	buffer_gl0_inv
	v_cmpx_gt_u32_e32 32, v0
	s_cbranch_execz .LBB395_74
; %bb.47:
	v_lshrrev_b32_e32 v6, 3, v0
	v_lshlrev_b32_e32 v19, 2, v0
	v_and_b32_e32 v6, 6, v6
	v_add_nc_u32_e32 v6, v6, v19
	ds_read_u16 v20, v6 offset:2
	ds_read_u16 v22, v6
	s_waitcnt lgkmcnt(1)
	v_cvt_f32_f16_e32 v23, v20
	s_waitcnt lgkmcnt(0)
	v_cvt_f32_f16_e32 v19, v22
	v_cmp_u_f16_e64 s4, v22, v22
	v_cmp_u_f16_e64 s5, v20, v20
	v_min_f32_e32 v21, v19, v23
	v_max_f32_e32 v24, v19, v23
	v_cndmask_b32_e64 v21, v21, v19, s4
	v_cndmask_b32_e64 v24, v24, v19, s4
	;; [unrolled: 1-line block ×4, first 2 shown]
	v_cmp_class_f32_e64 s28, v21, 0x1f8
	v_cmp_neq_f32_e64 s5, v21, v20
	s_or_b32 s5, s5, s28
	s_and_saveexec_b32 s28, s5
	s_cbranch_execz .LBB395_49
; %bb.48:
	v_sub_f32_e32 v21, v21, v20
	v_mul_f32_e32 v22, 0x3fb8aa3b, v21
	v_cmp_ngt_f32_e64 s5, 0xc2ce8ed0, v21
	v_fma_f32 v23, 0x3fb8aa3b, v21, -v22
	v_rndne_f32_e32 v24, v22
	v_fmamk_f32 v23, v21, 0x32a5705f, v23
	v_sub_f32_e32 v22, v22, v24
	v_add_f32_e32 v22, v22, v23
	v_cvt_i32_f32_e32 v23, v24
	v_exp_f32_e32 v22, v22
	v_ldexp_f32 v22, v22, v23
	v_cndmask_b32_e64 v22, 0, v22, s5
	v_cmp_nlt_f32_e64 s5, 0x42b17218, v21
	v_cndmask_b32_e64 v23, 0x7f800000, v22, s5
	v_add_f32_e32 v24, 1.0, v23
	v_cvt_f64_f32_e32 v[21:22], v24
	v_frexp_exp_i32_f64_e32 v21, v[21:22]
	v_frexp_mant_f32_e32 v22, v24
	v_cmp_gt_f32_e64 s5, 0x3f2aaaab, v22
	v_add_f32_e32 v22, -1.0, v24
	v_sub_f32_e32 v26, v22, v24
	v_sub_f32_e32 v22, v23, v22
	v_add_f32_e32 v26, 1.0, v26
	v_add_f32_e32 v22, v22, v26
	v_subrev_co_ci_u32_e64 v21, null, 0, v21, s5
	s_mov_b32 s5, 0x3e9b6dac
	v_sub_nc_u32_e32 v25, 0, v21
	v_cvt_f32_i32_e32 v21, v21
	v_ldexp_f32 v24, v24, v25
	v_ldexp_f32 v22, v22, v25
	v_add_f32_e32 v27, 1.0, v24
	v_add_f32_e32 v25, -1.0, v24
	v_add_f32_e32 v26, -1.0, v27
	v_add_f32_e32 v28, 1.0, v25
	v_sub_f32_e32 v26, v24, v26
	v_sub_f32_e32 v24, v24, v28
	v_add_f32_e32 v26, v22, v26
	v_add_f32_e32 v22, v22, v24
	;; [unrolled: 1-line block ×4, first 2 shown]
	v_rcp_f32_e32 v24, v28
	v_sub_f32_e32 v27, v27, v28
	v_sub_f32_e32 v25, v25, v29
	v_add_f32_e32 v26, v26, v27
	v_add_f32_e32 v22, v22, v25
	v_mul_f32_e32 v30, v29, v24
	v_mul_f32_e32 v31, v28, v30
	v_fma_f32 v27, v30, v28, -v31
	v_fmac_f32_e32 v27, v30, v26
	v_add_f32_e32 v32, v31, v27
	v_sub_f32_e32 v33, v29, v32
	v_sub_f32_e32 v25, v32, v31
	;; [unrolled: 1-line block ×5, first 2 shown]
	v_add_f32_e32 v22, v22, v29
	v_add_f32_e32 v22, v25, v22
	;; [unrolled: 1-line block ×3, first 2 shown]
	v_mul_f32_e32 v27, v24, v25
	v_sub_f32_e32 v32, v33, v25
	v_mul_f32_e32 v29, v28, v27
	v_add_f32_e32 v22, v22, v32
	v_fma_f32 v28, v27, v28, -v29
	v_fmac_f32_e32 v28, v27, v26
	v_add_f32_e32 v26, v29, v28
	v_sub_f32_e32 v31, v25, v26
	v_sub_f32_e32 v29, v26, v29
	;; [unrolled: 1-line block ×5, first 2 shown]
	v_add_f32_e32 v22, v22, v25
	v_add_f32_e32 v25, v30, v27
	;; [unrolled: 1-line block ×3, first 2 shown]
	v_sub_f32_e32 v26, v25, v30
	v_add_f32_e32 v22, v31, v22
	v_sub_f32_e32 v26, v27, v26
	v_mul_f32_e32 v22, v24, v22
	v_add_f32_e32 v22, v26, v22
	v_add_f32_e32 v24, v25, v22
	v_mul_f32_e32 v26, v24, v24
	v_fmaak_f32 v27, s5, v26, 0x3ecc95a3
	v_mul_f32_e32 v28, v24, v26
	v_cmp_neq_f32_e64 s5, 0x7f800000, v23
	v_fmaak_f32 v26, v26, v27, 0x3f2aaada
	v_ldexp_f32 v27, v24, 1
	v_sub_f32_e32 v24, v24, v25
	v_mul_f32_e32 v26, v28, v26
	v_mul_f32_e32 v28, 0x3f317218, v21
	v_sub_f32_e32 v22, v22, v24
	v_add_f32_e32 v25, v27, v26
	v_ldexp_f32 v22, v22, 1
	v_sub_f32_e32 v24, v25, v27
	v_fma_f32 v27, 0x3f317218, v21, -v28
	v_sub_f32_e32 v24, v26, v24
	v_fmamk_f32 v21, v21, 0xb102e308, v27
	v_add_f32_e32 v22, v22, v24
	v_add_f32_e32 v24, v28, v21
	;; [unrolled: 1-line block ×3, first 2 shown]
	v_sub_f32_e32 v28, v24, v28
	v_add_f32_e32 v27, v24, v26
	v_sub_f32_e32 v25, v26, v25
	v_sub_f32_e32 v21, v21, v28
	;; [unrolled: 1-line block ×6, first 2 shown]
	v_add_f32_e32 v26, v21, v22
	v_sub_f32_e32 v24, v24, v30
	v_add_f32_e32 v24, v25, v24
	v_sub_f32_e32 v25, v26, v21
	;; [unrolled: 2-line block ×3, first 2 shown]
	v_sub_f32_e32 v22, v22, v25
	v_add_f32_e32 v28, v27, v24
	v_sub_f32_e32 v21, v21, v26
	v_sub_f32_e32 v25, v28, v27
	v_add_f32_e32 v21, v22, v21
	v_sub_f32_e32 v22, v24, v25
	v_add_f32_e32 v21, v21, v22
	v_add_f32_e32 v21, v28, v21
	v_cndmask_b32_e64 v21, 0x7f800000, v21, s5
	v_cmp_gt_f32_e64 s5, 0x33800000, |v23|
	v_cndmask_b32_e64 v21, v21, v23, s5
	v_add_f32_e32 v20, v20, v21
	v_cvt_f16_f32_e32 v22, v20
.LBB395_49:
	s_or_b32 exec_lo, exec_lo, s28
	v_mbcnt_lo_u32_b32 v20, -1, 0
	v_and_b32_e32 v23, 0xffff, v22
	s_mov_b32 s28, exec_lo
	v_and_b32_e32 v21, 15, v20
	v_mov_b32_dpp v24, v23 row_shr:1 row_mask:0xf bank_mask:0xf
	v_cmpx_ne_u32_e32 0, v21
	s_xor_b32 s28, exec_lo, s28
	s_cbranch_execz .LBB395_53
; %bb.50:
	v_cvt_f32_f16_e32 v23, v24
	v_cvt_f32_f16_e32 v25, v22
	v_cmp_u_f16_e64 s5, v24, v24
	v_min_f32_e32 v26, v23, v25
	v_max_f32_e32 v27, v23, v25
	v_cndmask_b32_e64 v26, v26, v23, s5
	v_cndmask_b32_e64 v27, v27, v23, s5
	v_cmp_u_f16_e64 s5, v22, v22
	v_cndmask_b32_e64 v23, v26, v25, s5
	v_cndmask_b32_e64 v22, v27, v25, s5
	v_cmp_class_f32_e64 s29, v23, 0x1f8
	v_cmp_neq_f32_e64 s5, v23, v22
	s_or_b32 s5, s5, s29
	s_and_saveexec_b32 s29, s5
	s_cbranch_execz .LBB395_52
; %bb.51:
	v_sub_f32_e32 v23, v23, v22
	v_mul_f32_e32 v24, 0x3fb8aa3b, v23
	v_cmp_ngt_f32_e64 s5, 0xc2ce8ed0, v23
	v_fma_f32 v25, 0x3fb8aa3b, v23, -v24
	v_rndne_f32_e32 v26, v24
	v_fmamk_f32 v25, v23, 0x32a5705f, v25
	v_sub_f32_e32 v24, v24, v26
	v_add_f32_e32 v24, v24, v25
	v_cvt_i32_f32_e32 v25, v26
	v_exp_f32_e32 v24, v24
	v_ldexp_f32 v24, v24, v25
	v_cndmask_b32_e64 v24, 0, v24, s5
	v_cmp_nlt_f32_e64 s5, 0x42b17218, v23
	v_cndmask_b32_e64 v25, 0x7f800000, v24, s5
	v_add_f32_e32 v26, 1.0, v25
	v_cvt_f64_f32_e32 v[23:24], v26
	v_frexp_exp_i32_f64_e32 v23, v[23:24]
	v_frexp_mant_f32_e32 v24, v26
	v_cmp_gt_f32_e64 s5, 0x3f2aaaab, v24
	v_add_f32_e32 v24, -1.0, v26
	v_sub_f32_e32 v28, v24, v26
	v_sub_f32_e32 v24, v25, v24
	v_add_f32_e32 v28, 1.0, v28
	v_add_f32_e32 v24, v24, v28
	v_subrev_co_ci_u32_e64 v23, null, 0, v23, s5
	s_mov_b32 s5, 0x3e9b6dac
	v_sub_nc_u32_e32 v27, 0, v23
	v_cvt_f32_i32_e32 v23, v23
	v_ldexp_f32 v26, v26, v27
	v_ldexp_f32 v24, v24, v27
	v_add_f32_e32 v29, 1.0, v26
	v_add_f32_e32 v27, -1.0, v26
	v_add_f32_e32 v28, -1.0, v29
	v_add_f32_e32 v30, 1.0, v27
	v_sub_f32_e32 v28, v26, v28
	v_sub_f32_e32 v26, v26, v30
	v_add_f32_e32 v28, v24, v28
	v_add_f32_e32 v24, v24, v26
	;; [unrolled: 1-line block ×4, first 2 shown]
	v_rcp_f32_e32 v26, v30
	v_sub_f32_e32 v29, v29, v30
	v_sub_f32_e32 v27, v27, v31
	v_add_f32_e32 v28, v28, v29
	v_add_f32_e32 v24, v24, v27
	v_mul_f32_e32 v32, v31, v26
	v_mul_f32_e32 v33, v30, v32
	v_fma_f32 v29, v32, v30, -v33
	v_fmac_f32_e32 v29, v32, v28
	v_add_f32_e32 v34, v33, v29
	v_sub_f32_e32 v35, v31, v34
	v_sub_f32_e32 v27, v34, v33
	;; [unrolled: 1-line block ×5, first 2 shown]
	v_add_f32_e32 v24, v24, v31
	v_add_f32_e32 v24, v27, v24
	;; [unrolled: 1-line block ×3, first 2 shown]
	v_mul_f32_e32 v29, v26, v27
	v_sub_f32_e32 v34, v35, v27
	v_mul_f32_e32 v31, v30, v29
	v_add_f32_e32 v24, v24, v34
	v_fma_f32 v30, v29, v30, -v31
	v_fmac_f32_e32 v30, v29, v28
	v_add_f32_e32 v28, v31, v30
	v_sub_f32_e32 v33, v27, v28
	v_sub_f32_e32 v31, v28, v31
	;; [unrolled: 1-line block ×5, first 2 shown]
	v_add_f32_e32 v24, v24, v27
	v_add_f32_e32 v27, v32, v29
	;; [unrolled: 1-line block ×3, first 2 shown]
	v_sub_f32_e32 v28, v27, v32
	v_add_f32_e32 v24, v33, v24
	v_sub_f32_e32 v28, v29, v28
	v_mul_f32_e32 v24, v26, v24
	v_add_f32_e32 v24, v28, v24
	v_add_f32_e32 v26, v27, v24
	v_mul_f32_e32 v28, v26, v26
	v_fmaak_f32 v29, s5, v28, 0x3ecc95a3
	v_mul_f32_e32 v30, v26, v28
	v_cmp_neq_f32_e64 s5, 0x7f800000, v25
	v_fmaak_f32 v28, v28, v29, 0x3f2aaada
	v_ldexp_f32 v29, v26, 1
	v_sub_f32_e32 v26, v26, v27
	v_mul_f32_e32 v28, v30, v28
	v_mul_f32_e32 v30, 0x3f317218, v23
	v_sub_f32_e32 v24, v24, v26
	v_add_f32_e32 v27, v29, v28
	v_ldexp_f32 v24, v24, 1
	v_sub_f32_e32 v26, v27, v29
	v_fma_f32 v29, 0x3f317218, v23, -v30
	v_sub_f32_e32 v26, v28, v26
	v_fmamk_f32 v23, v23, 0xb102e308, v29
	v_add_f32_e32 v24, v24, v26
	v_add_f32_e32 v26, v30, v23
	;; [unrolled: 1-line block ×3, first 2 shown]
	v_sub_f32_e32 v30, v26, v30
	v_add_f32_e32 v29, v26, v28
	v_sub_f32_e32 v27, v28, v27
	v_sub_f32_e32 v23, v23, v30
	;; [unrolled: 1-line block ×6, first 2 shown]
	v_add_f32_e32 v28, v23, v24
	v_sub_f32_e32 v26, v26, v32
	v_add_f32_e32 v26, v27, v26
	v_sub_f32_e32 v27, v28, v23
	;; [unrolled: 2-line block ×3, first 2 shown]
	v_sub_f32_e32 v24, v24, v27
	v_add_f32_e32 v30, v29, v26
	v_sub_f32_e32 v23, v23, v28
	v_sub_f32_e32 v27, v30, v29
	v_add_f32_e32 v23, v24, v23
	v_sub_f32_e32 v24, v26, v27
	v_add_f32_e32 v23, v23, v24
	v_add_f32_e32 v23, v30, v23
	v_cndmask_b32_e64 v23, 0x7f800000, v23, s5
	v_cmp_gt_f32_e64 s5, 0x33800000, |v25|
	v_cndmask_b32_e64 v23, v23, v25, s5
	v_add_f32_e32 v22, v22, v23
	v_cvt_f16_f32_e32 v24, v22
.LBB395_52:
	s_or_b32 exec_lo, exec_lo, s29
	v_and_b32_e32 v23, 0xffff, v24
	v_mov_b32_e32 v22, v24
.LBB395_53:
	s_or_b32 exec_lo, exec_lo, s28
	v_mov_b32_dpp v24, v23 row_shr:2 row_mask:0xf bank_mask:0xf
	s_mov_b32 s28, exec_lo
	v_cmpx_lt_u32_e32 1, v21
	s_cbranch_execz .LBB395_57
; %bb.54:
	v_cvt_f32_f16_e32 v23, v24
	v_cvt_f32_f16_e32 v25, v22
	v_cmp_u_f16_e64 s5, v24, v24
	v_min_f32_e32 v26, v23, v25
	v_max_f32_e32 v27, v23, v25
	v_cndmask_b32_e64 v26, v26, v23, s5
	v_cndmask_b32_e64 v27, v27, v23, s5
	v_cmp_u_f16_e64 s5, v22, v22
	v_cndmask_b32_e64 v23, v26, v25, s5
	v_cndmask_b32_e64 v22, v27, v25, s5
	v_cmp_class_f32_e64 s29, v23, 0x1f8
	v_cmp_neq_f32_e64 s5, v23, v22
	s_or_b32 s5, s5, s29
	s_and_saveexec_b32 s29, s5
	s_cbranch_execz .LBB395_56
; %bb.55:
	v_sub_f32_e32 v23, v23, v22
	v_mul_f32_e32 v24, 0x3fb8aa3b, v23
	v_cmp_ngt_f32_e64 s5, 0xc2ce8ed0, v23
	v_fma_f32 v25, 0x3fb8aa3b, v23, -v24
	v_rndne_f32_e32 v26, v24
	v_fmamk_f32 v25, v23, 0x32a5705f, v25
	v_sub_f32_e32 v24, v24, v26
	v_add_f32_e32 v24, v24, v25
	v_cvt_i32_f32_e32 v25, v26
	v_exp_f32_e32 v24, v24
	v_ldexp_f32 v24, v24, v25
	v_cndmask_b32_e64 v24, 0, v24, s5
	v_cmp_nlt_f32_e64 s5, 0x42b17218, v23
	v_cndmask_b32_e64 v25, 0x7f800000, v24, s5
	v_add_f32_e32 v26, 1.0, v25
	v_cvt_f64_f32_e32 v[23:24], v26
	v_frexp_exp_i32_f64_e32 v23, v[23:24]
	v_frexp_mant_f32_e32 v24, v26
	v_cmp_gt_f32_e64 s5, 0x3f2aaaab, v24
	v_add_f32_e32 v24, -1.0, v26
	v_sub_f32_e32 v28, v24, v26
	v_sub_f32_e32 v24, v25, v24
	v_add_f32_e32 v28, 1.0, v28
	v_add_f32_e32 v24, v24, v28
	v_subrev_co_ci_u32_e64 v23, null, 0, v23, s5
	s_mov_b32 s5, 0x3e9b6dac
	v_sub_nc_u32_e32 v27, 0, v23
	v_cvt_f32_i32_e32 v23, v23
	v_ldexp_f32 v26, v26, v27
	v_ldexp_f32 v24, v24, v27
	v_add_f32_e32 v29, 1.0, v26
	v_add_f32_e32 v27, -1.0, v26
	v_add_f32_e32 v28, -1.0, v29
	v_add_f32_e32 v30, 1.0, v27
	v_sub_f32_e32 v28, v26, v28
	v_sub_f32_e32 v26, v26, v30
	v_add_f32_e32 v28, v24, v28
	v_add_f32_e32 v24, v24, v26
	;; [unrolled: 1-line block ×4, first 2 shown]
	v_rcp_f32_e32 v26, v30
	v_sub_f32_e32 v29, v29, v30
	v_sub_f32_e32 v27, v27, v31
	v_add_f32_e32 v28, v28, v29
	v_add_f32_e32 v24, v24, v27
	v_mul_f32_e32 v32, v31, v26
	v_mul_f32_e32 v33, v30, v32
	v_fma_f32 v29, v32, v30, -v33
	v_fmac_f32_e32 v29, v32, v28
	v_add_f32_e32 v34, v33, v29
	v_sub_f32_e32 v35, v31, v34
	v_sub_f32_e32 v27, v34, v33
	;; [unrolled: 1-line block ×5, first 2 shown]
	v_add_f32_e32 v24, v24, v31
	v_add_f32_e32 v24, v27, v24
	;; [unrolled: 1-line block ×3, first 2 shown]
	v_mul_f32_e32 v29, v26, v27
	v_sub_f32_e32 v34, v35, v27
	v_mul_f32_e32 v31, v30, v29
	v_add_f32_e32 v24, v24, v34
	v_fma_f32 v30, v29, v30, -v31
	v_fmac_f32_e32 v30, v29, v28
	v_add_f32_e32 v28, v31, v30
	v_sub_f32_e32 v33, v27, v28
	v_sub_f32_e32 v31, v28, v31
	;; [unrolled: 1-line block ×5, first 2 shown]
	v_add_f32_e32 v24, v24, v27
	v_add_f32_e32 v27, v32, v29
	;; [unrolled: 1-line block ×3, first 2 shown]
	v_sub_f32_e32 v28, v27, v32
	v_add_f32_e32 v24, v33, v24
	v_sub_f32_e32 v28, v29, v28
	v_mul_f32_e32 v24, v26, v24
	v_add_f32_e32 v24, v28, v24
	v_add_f32_e32 v26, v27, v24
	v_mul_f32_e32 v28, v26, v26
	v_fmaak_f32 v29, s5, v28, 0x3ecc95a3
	v_mul_f32_e32 v30, v26, v28
	v_cmp_neq_f32_e64 s5, 0x7f800000, v25
	v_fmaak_f32 v28, v28, v29, 0x3f2aaada
	v_ldexp_f32 v29, v26, 1
	v_sub_f32_e32 v26, v26, v27
	v_mul_f32_e32 v28, v30, v28
	v_mul_f32_e32 v30, 0x3f317218, v23
	v_sub_f32_e32 v24, v24, v26
	v_add_f32_e32 v27, v29, v28
	v_ldexp_f32 v24, v24, 1
	v_sub_f32_e32 v26, v27, v29
	v_fma_f32 v29, 0x3f317218, v23, -v30
	v_sub_f32_e32 v26, v28, v26
	v_fmamk_f32 v23, v23, 0xb102e308, v29
	v_add_f32_e32 v24, v24, v26
	v_add_f32_e32 v26, v30, v23
	;; [unrolled: 1-line block ×3, first 2 shown]
	v_sub_f32_e32 v30, v26, v30
	v_add_f32_e32 v29, v26, v28
	v_sub_f32_e32 v27, v28, v27
	v_sub_f32_e32 v23, v23, v30
	;; [unrolled: 1-line block ×6, first 2 shown]
	v_add_f32_e32 v28, v23, v24
	v_sub_f32_e32 v26, v26, v32
	v_add_f32_e32 v26, v27, v26
	v_sub_f32_e32 v27, v28, v23
	;; [unrolled: 2-line block ×3, first 2 shown]
	v_sub_f32_e32 v24, v24, v27
	v_add_f32_e32 v30, v29, v26
	v_sub_f32_e32 v23, v23, v28
	v_sub_f32_e32 v27, v30, v29
	v_add_f32_e32 v23, v24, v23
	v_sub_f32_e32 v24, v26, v27
	v_add_f32_e32 v23, v23, v24
	v_add_f32_e32 v23, v30, v23
	v_cndmask_b32_e64 v23, 0x7f800000, v23, s5
	v_cmp_gt_f32_e64 s5, 0x33800000, |v25|
	v_cndmask_b32_e64 v23, v23, v25, s5
	v_add_f32_e32 v22, v22, v23
	v_cvt_f16_f32_e32 v24, v22
.LBB395_56:
	s_or_b32 exec_lo, exec_lo, s29
	v_and_b32_e32 v23, 0xffff, v24
	v_mov_b32_e32 v22, v24
.LBB395_57:
	s_or_b32 exec_lo, exec_lo, s28
	v_mov_b32_dpp v24, v23 row_shr:4 row_mask:0xf bank_mask:0xf
	s_mov_b32 s28, exec_lo
	v_cmpx_lt_u32_e32 3, v21
	s_cbranch_execz .LBB395_61
; %bb.58:
	v_cvt_f32_f16_e32 v23, v24
	v_cvt_f32_f16_e32 v25, v22
	v_cmp_u_f16_e64 s5, v24, v24
	v_min_f32_e32 v26, v23, v25
	v_max_f32_e32 v27, v23, v25
	v_cndmask_b32_e64 v26, v26, v23, s5
	v_cndmask_b32_e64 v27, v27, v23, s5
	v_cmp_u_f16_e64 s5, v22, v22
	v_cndmask_b32_e64 v23, v26, v25, s5
	v_cndmask_b32_e64 v22, v27, v25, s5
	v_cmp_class_f32_e64 s29, v23, 0x1f8
	v_cmp_neq_f32_e64 s5, v23, v22
	s_or_b32 s5, s5, s29
	s_and_saveexec_b32 s29, s5
	s_cbranch_execz .LBB395_60
; %bb.59:
	v_sub_f32_e32 v23, v23, v22
	v_mul_f32_e32 v24, 0x3fb8aa3b, v23
	v_cmp_ngt_f32_e64 s5, 0xc2ce8ed0, v23
	v_fma_f32 v25, 0x3fb8aa3b, v23, -v24
	v_rndne_f32_e32 v26, v24
	v_fmamk_f32 v25, v23, 0x32a5705f, v25
	v_sub_f32_e32 v24, v24, v26
	v_add_f32_e32 v24, v24, v25
	v_cvt_i32_f32_e32 v25, v26
	v_exp_f32_e32 v24, v24
	v_ldexp_f32 v24, v24, v25
	v_cndmask_b32_e64 v24, 0, v24, s5
	v_cmp_nlt_f32_e64 s5, 0x42b17218, v23
	v_cndmask_b32_e64 v25, 0x7f800000, v24, s5
	v_add_f32_e32 v26, 1.0, v25
	v_cvt_f64_f32_e32 v[23:24], v26
	v_frexp_exp_i32_f64_e32 v23, v[23:24]
	v_frexp_mant_f32_e32 v24, v26
	v_cmp_gt_f32_e64 s5, 0x3f2aaaab, v24
	v_add_f32_e32 v24, -1.0, v26
	v_sub_f32_e32 v28, v24, v26
	v_sub_f32_e32 v24, v25, v24
	v_add_f32_e32 v28, 1.0, v28
	v_add_f32_e32 v24, v24, v28
	v_subrev_co_ci_u32_e64 v23, null, 0, v23, s5
	s_mov_b32 s5, 0x3e9b6dac
	v_sub_nc_u32_e32 v27, 0, v23
	v_cvt_f32_i32_e32 v23, v23
	v_ldexp_f32 v26, v26, v27
	v_ldexp_f32 v24, v24, v27
	v_add_f32_e32 v29, 1.0, v26
	v_add_f32_e32 v27, -1.0, v26
	v_add_f32_e32 v28, -1.0, v29
	v_add_f32_e32 v30, 1.0, v27
	v_sub_f32_e32 v28, v26, v28
	v_sub_f32_e32 v26, v26, v30
	v_add_f32_e32 v28, v24, v28
	v_add_f32_e32 v24, v24, v26
	;; [unrolled: 1-line block ×4, first 2 shown]
	v_rcp_f32_e32 v26, v30
	v_sub_f32_e32 v29, v29, v30
	v_sub_f32_e32 v27, v27, v31
	v_add_f32_e32 v28, v28, v29
	v_add_f32_e32 v24, v24, v27
	v_mul_f32_e32 v32, v31, v26
	v_mul_f32_e32 v33, v30, v32
	v_fma_f32 v29, v32, v30, -v33
	v_fmac_f32_e32 v29, v32, v28
	v_add_f32_e32 v34, v33, v29
	v_sub_f32_e32 v35, v31, v34
	v_sub_f32_e32 v27, v34, v33
	;; [unrolled: 1-line block ×5, first 2 shown]
	v_add_f32_e32 v24, v24, v31
	v_add_f32_e32 v24, v27, v24
	;; [unrolled: 1-line block ×3, first 2 shown]
	v_mul_f32_e32 v29, v26, v27
	v_sub_f32_e32 v34, v35, v27
	v_mul_f32_e32 v31, v30, v29
	v_add_f32_e32 v24, v24, v34
	v_fma_f32 v30, v29, v30, -v31
	v_fmac_f32_e32 v30, v29, v28
	v_add_f32_e32 v28, v31, v30
	v_sub_f32_e32 v33, v27, v28
	v_sub_f32_e32 v31, v28, v31
	;; [unrolled: 1-line block ×5, first 2 shown]
	v_add_f32_e32 v24, v24, v27
	v_add_f32_e32 v27, v32, v29
	;; [unrolled: 1-line block ×3, first 2 shown]
	v_sub_f32_e32 v28, v27, v32
	v_add_f32_e32 v24, v33, v24
	v_sub_f32_e32 v28, v29, v28
	v_mul_f32_e32 v24, v26, v24
	v_add_f32_e32 v24, v28, v24
	v_add_f32_e32 v26, v27, v24
	v_mul_f32_e32 v28, v26, v26
	v_fmaak_f32 v29, s5, v28, 0x3ecc95a3
	v_mul_f32_e32 v30, v26, v28
	v_cmp_neq_f32_e64 s5, 0x7f800000, v25
	v_fmaak_f32 v28, v28, v29, 0x3f2aaada
	v_ldexp_f32 v29, v26, 1
	v_sub_f32_e32 v26, v26, v27
	v_mul_f32_e32 v28, v30, v28
	v_mul_f32_e32 v30, 0x3f317218, v23
	v_sub_f32_e32 v24, v24, v26
	v_add_f32_e32 v27, v29, v28
	v_ldexp_f32 v24, v24, 1
	v_sub_f32_e32 v26, v27, v29
	v_fma_f32 v29, 0x3f317218, v23, -v30
	v_sub_f32_e32 v26, v28, v26
	v_fmamk_f32 v23, v23, 0xb102e308, v29
	v_add_f32_e32 v24, v24, v26
	v_add_f32_e32 v26, v30, v23
	;; [unrolled: 1-line block ×3, first 2 shown]
	v_sub_f32_e32 v30, v26, v30
	v_add_f32_e32 v29, v26, v28
	v_sub_f32_e32 v27, v28, v27
	v_sub_f32_e32 v23, v23, v30
	;; [unrolled: 1-line block ×6, first 2 shown]
	v_add_f32_e32 v28, v23, v24
	v_sub_f32_e32 v26, v26, v32
	v_add_f32_e32 v26, v27, v26
	v_sub_f32_e32 v27, v28, v23
	v_add_f32_e32 v26, v28, v26
	v_sub_f32_e32 v28, v28, v27
	v_sub_f32_e32 v24, v24, v27
	v_add_f32_e32 v30, v29, v26
	v_sub_f32_e32 v23, v23, v28
	v_sub_f32_e32 v27, v30, v29
	v_add_f32_e32 v23, v24, v23
	v_sub_f32_e32 v24, v26, v27
	v_add_f32_e32 v23, v23, v24
	v_add_f32_e32 v23, v30, v23
	v_cndmask_b32_e64 v23, 0x7f800000, v23, s5
	v_cmp_gt_f32_e64 s5, 0x33800000, |v25|
	v_cndmask_b32_e64 v23, v23, v25, s5
	v_add_f32_e32 v22, v22, v23
	v_cvt_f16_f32_e32 v24, v22
.LBB395_60:
	s_or_b32 exec_lo, exec_lo, s29
	v_and_b32_e32 v23, 0xffff, v24
	v_mov_b32_e32 v22, v24
.LBB395_61:
	s_or_b32 exec_lo, exec_lo, s28
	v_mov_b32_dpp v24, v23 row_shr:8 row_mask:0xf bank_mask:0xf
	s_mov_b32 s28, exec_lo
	v_cmpx_lt_u32_e32 7, v21
	s_cbranch_execz .LBB395_65
; %bb.62:
	v_cvt_f32_f16_e32 v21, v24
	v_cvt_f32_f16_e32 v23, v22
	v_cmp_u_f16_e64 s5, v24, v24
	v_min_f32_e32 v25, v21, v23
	v_max_f32_e32 v26, v21, v23
	v_cndmask_b32_e64 v25, v25, v21, s5
	v_cndmask_b32_e64 v21, v26, v21, s5
	v_cmp_u_f16_e64 s5, v22, v22
	v_cndmask_b32_e64 v22, v25, v23, s5
	v_cndmask_b32_e64 v21, v21, v23, s5
	v_cmp_class_f32_e64 s29, v22, 0x1f8
	v_cmp_neq_f32_e64 s5, v22, v21
	s_or_b32 s5, s5, s29
	s_and_saveexec_b32 s29, s5
	s_cbranch_execz .LBB395_64
; %bb.63:
	v_sub_f32_e32 v22, v22, v21
	v_mul_f32_e32 v23, 0x3fb8aa3b, v22
	v_cmp_ngt_f32_e64 s5, 0xc2ce8ed0, v22
	v_fma_f32 v24, 0x3fb8aa3b, v22, -v23
	v_rndne_f32_e32 v25, v23
	v_fmamk_f32 v24, v22, 0x32a5705f, v24
	v_sub_f32_e32 v23, v23, v25
	v_add_f32_e32 v23, v23, v24
	v_cvt_i32_f32_e32 v24, v25
	v_exp_f32_e32 v23, v23
	v_ldexp_f32 v23, v23, v24
	v_cndmask_b32_e64 v23, 0, v23, s5
	v_cmp_nlt_f32_e64 s5, 0x42b17218, v22
	v_cndmask_b32_e64 v24, 0x7f800000, v23, s5
	v_add_f32_e32 v25, 1.0, v24
	v_cvt_f64_f32_e32 v[22:23], v25
	v_frexp_exp_i32_f64_e32 v22, v[22:23]
	v_frexp_mant_f32_e32 v23, v25
	v_cmp_gt_f32_e64 s5, 0x3f2aaaab, v23
	v_add_f32_e32 v23, -1.0, v25
	v_sub_f32_e32 v27, v23, v25
	v_sub_f32_e32 v23, v24, v23
	v_add_f32_e32 v27, 1.0, v27
	v_add_f32_e32 v23, v23, v27
	v_subrev_co_ci_u32_e64 v22, null, 0, v22, s5
	s_mov_b32 s5, 0x3e9b6dac
	v_sub_nc_u32_e32 v26, 0, v22
	v_cvt_f32_i32_e32 v22, v22
	v_ldexp_f32 v25, v25, v26
	v_ldexp_f32 v23, v23, v26
	v_add_f32_e32 v28, 1.0, v25
	v_add_f32_e32 v26, -1.0, v25
	v_add_f32_e32 v27, -1.0, v28
	v_add_f32_e32 v29, 1.0, v26
	v_sub_f32_e32 v27, v25, v27
	v_sub_f32_e32 v25, v25, v29
	v_add_f32_e32 v27, v23, v27
	v_add_f32_e32 v23, v23, v25
	;; [unrolled: 1-line block ×4, first 2 shown]
	v_rcp_f32_e32 v25, v29
	v_sub_f32_e32 v28, v28, v29
	v_sub_f32_e32 v26, v26, v30
	v_add_f32_e32 v27, v27, v28
	v_add_f32_e32 v23, v23, v26
	v_mul_f32_e32 v31, v30, v25
	v_mul_f32_e32 v32, v29, v31
	v_fma_f32 v28, v31, v29, -v32
	v_fmac_f32_e32 v28, v31, v27
	v_add_f32_e32 v33, v32, v28
	v_sub_f32_e32 v34, v30, v33
	v_sub_f32_e32 v26, v33, v32
	;; [unrolled: 1-line block ×5, first 2 shown]
	v_add_f32_e32 v23, v23, v30
	v_add_f32_e32 v23, v26, v23
	;; [unrolled: 1-line block ×3, first 2 shown]
	v_mul_f32_e32 v28, v25, v26
	v_sub_f32_e32 v33, v34, v26
	v_mul_f32_e32 v30, v29, v28
	v_add_f32_e32 v23, v23, v33
	v_fma_f32 v29, v28, v29, -v30
	v_fmac_f32_e32 v29, v28, v27
	v_add_f32_e32 v27, v30, v29
	v_sub_f32_e32 v32, v26, v27
	v_sub_f32_e32 v30, v27, v30
	;; [unrolled: 1-line block ×5, first 2 shown]
	v_add_f32_e32 v23, v23, v26
	v_add_f32_e32 v26, v31, v28
	;; [unrolled: 1-line block ×3, first 2 shown]
	v_sub_f32_e32 v27, v26, v31
	v_add_f32_e32 v23, v32, v23
	v_sub_f32_e32 v27, v28, v27
	v_mul_f32_e32 v23, v25, v23
	v_add_f32_e32 v23, v27, v23
	v_add_f32_e32 v25, v26, v23
	v_mul_f32_e32 v27, v25, v25
	v_fmaak_f32 v28, s5, v27, 0x3ecc95a3
	v_mul_f32_e32 v29, v25, v27
	v_cmp_neq_f32_e64 s5, 0x7f800000, v24
	v_fmaak_f32 v27, v27, v28, 0x3f2aaada
	v_ldexp_f32 v28, v25, 1
	v_sub_f32_e32 v25, v25, v26
	v_mul_f32_e32 v27, v29, v27
	v_mul_f32_e32 v29, 0x3f317218, v22
	v_sub_f32_e32 v23, v23, v25
	v_add_f32_e32 v26, v28, v27
	v_ldexp_f32 v23, v23, 1
	v_sub_f32_e32 v25, v26, v28
	v_fma_f32 v28, 0x3f317218, v22, -v29
	v_sub_f32_e32 v25, v27, v25
	v_fmamk_f32 v22, v22, 0xb102e308, v28
	v_add_f32_e32 v23, v23, v25
	v_add_f32_e32 v25, v29, v22
	;; [unrolled: 1-line block ×3, first 2 shown]
	v_sub_f32_e32 v29, v25, v29
	v_add_f32_e32 v28, v25, v27
	v_sub_f32_e32 v26, v27, v26
	v_sub_f32_e32 v22, v22, v29
	;; [unrolled: 1-line block ×6, first 2 shown]
	v_add_f32_e32 v27, v22, v23
	v_sub_f32_e32 v25, v25, v31
	v_add_f32_e32 v25, v26, v25
	v_sub_f32_e32 v26, v27, v22
	;; [unrolled: 2-line block ×3, first 2 shown]
	v_sub_f32_e32 v23, v23, v26
	v_add_f32_e32 v29, v28, v25
	v_sub_f32_e32 v22, v22, v27
	v_sub_f32_e32 v26, v29, v28
	v_add_f32_e32 v22, v23, v22
	v_sub_f32_e32 v23, v25, v26
	v_add_f32_e32 v22, v22, v23
	v_add_f32_e32 v22, v29, v22
	v_cndmask_b32_e64 v22, 0x7f800000, v22, s5
	v_cmp_gt_f32_e64 s5, 0x33800000, |v24|
	v_cndmask_b32_e64 v22, v22, v24, s5
	v_add_f32_e32 v21, v21, v22
	v_cvt_f16_f32_e32 v24, v21
.LBB395_64:
	s_or_b32 exec_lo, exec_lo, s29
	v_and_b32_e32 v23, 0xffff, v24
	v_mov_b32_e32 v22, v24
.LBB395_65:
	s_or_b32 exec_lo, exec_lo, s28
	ds_swizzle_b32 v23, v23 offset:swizzle(BROADCAST,32,15)
	v_and_b32_e32 v21, 16, v20
	s_mov_b32 s28, exec_lo
	v_cmpx_ne_u32_e32 0, v21
	s_cbranch_execz .LBB395_69
; %bb.66:
	s_waitcnt lgkmcnt(0)
	v_cvt_f32_f16_e32 v21, v23
	v_cvt_f32_f16_e32 v24, v22
	v_cmp_u_f16_e64 s5, v23, v23
	v_min_f32_e32 v25, v21, v24
	v_max_f32_e32 v26, v21, v24
	v_cndmask_b32_e64 v25, v25, v21, s5
	v_cndmask_b32_e64 v21, v26, v21, s5
	v_cmp_u_f16_e64 s5, v22, v22
	v_cndmask_b32_e64 v22, v25, v24, s5
	v_cndmask_b32_e64 v21, v21, v24, s5
	v_cmp_class_f32_e64 s29, v22, 0x1f8
	v_cmp_neq_f32_e64 s5, v22, v21
	s_or_b32 s5, s5, s29
	s_and_saveexec_b32 s29, s5
	s_cbranch_execz .LBB395_68
; %bb.67:
	v_sub_f32_e32 v22, v22, v21
	v_mul_f32_e32 v23, 0x3fb8aa3b, v22
	v_cmp_ngt_f32_e64 s5, 0xc2ce8ed0, v22
	v_fma_f32 v24, 0x3fb8aa3b, v22, -v23
	v_rndne_f32_e32 v25, v23
	v_fmamk_f32 v24, v22, 0x32a5705f, v24
	v_sub_f32_e32 v23, v23, v25
	v_add_f32_e32 v23, v23, v24
	v_cvt_i32_f32_e32 v24, v25
	v_exp_f32_e32 v23, v23
	v_ldexp_f32 v23, v23, v24
	v_cndmask_b32_e64 v23, 0, v23, s5
	v_cmp_nlt_f32_e64 s5, 0x42b17218, v22
	v_cndmask_b32_e64 v24, 0x7f800000, v23, s5
	v_add_f32_e32 v25, 1.0, v24
	v_cvt_f64_f32_e32 v[22:23], v25
	v_frexp_exp_i32_f64_e32 v22, v[22:23]
	v_frexp_mant_f32_e32 v23, v25
	v_cmp_gt_f32_e64 s5, 0x3f2aaaab, v23
	v_add_f32_e32 v23, -1.0, v25
	v_sub_f32_e32 v27, v23, v25
	v_sub_f32_e32 v23, v24, v23
	v_add_f32_e32 v27, 1.0, v27
	v_add_f32_e32 v23, v23, v27
	v_subrev_co_ci_u32_e64 v22, null, 0, v22, s5
	s_mov_b32 s5, 0x3e9b6dac
	v_sub_nc_u32_e32 v26, 0, v22
	v_cvt_f32_i32_e32 v22, v22
	v_ldexp_f32 v25, v25, v26
	v_ldexp_f32 v23, v23, v26
	v_add_f32_e32 v28, 1.0, v25
	v_add_f32_e32 v26, -1.0, v25
	v_add_f32_e32 v27, -1.0, v28
	v_add_f32_e32 v29, 1.0, v26
	v_sub_f32_e32 v27, v25, v27
	v_sub_f32_e32 v25, v25, v29
	v_add_f32_e32 v27, v23, v27
	v_add_f32_e32 v23, v23, v25
	;; [unrolled: 1-line block ×4, first 2 shown]
	v_rcp_f32_e32 v25, v29
	v_sub_f32_e32 v28, v28, v29
	v_sub_f32_e32 v26, v26, v30
	v_add_f32_e32 v27, v27, v28
	v_add_f32_e32 v23, v23, v26
	v_mul_f32_e32 v31, v30, v25
	v_mul_f32_e32 v32, v29, v31
	v_fma_f32 v28, v31, v29, -v32
	v_fmac_f32_e32 v28, v31, v27
	v_add_f32_e32 v33, v32, v28
	v_sub_f32_e32 v34, v30, v33
	v_sub_f32_e32 v26, v33, v32
	;; [unrolled: 1-line block ×5, first 2 shown]
	v_add_f32_e32 v23, v23, v30
	v_add_f32_e32 v23, v26, v23
	;; [unrolled: 1-line block ×3, first 2 shown]
	v_mul_f32_e32 v28, v25, v26
	v_sub_f32_e32 v33, v34, v26
	v_mul_f32_e32 v30, v29, v28
	v_add_f32_e32 v23, v23, v33
	v_fma_f32 v29, v28, v29, -v30
	v_fmac_f32_e32 v29, v28, v27
	v_add_f32_e32 v27, v30, v29
	v_sub_f32_e32 v32, v26, v27
	v_sub_f32_e32 v30, v27, v30
	;; [unrolled: 1-line block ×5, first 2 shown]
	v_add_f32_e32 v23, v23, v26
	v_add_f32_e32 v26, v31, v28
	;; [unrolled: 1-line block ×3, first 2 shown]
	v_sub_f32_e32 v27, v26, v31
	v_add_f32_e32 v23, v32, v23
	v_sub_f32_e32 v27, v28, v27
	v_mul_f32_e32 v23, v25, v23
	v_add_f32_e32 v23, v27, v23
	v_add_f32_e32 v25, v26, v23
	v_mul_f32_e32 v27, v25, v25
	v_fmaak_f32 v28, s5, v27, 0x3ecc95a3
	v_mul_f32_e32 v29, v25, v27
	v_cmp_neq_f32_e64 s5, 0x7f800000, v24
	v_fmaak_f32 v27, v27, v28, 0x3f2aaada
	v_ldexp_f32 v28, v25, 1
	v_sub_f32_e32 v25, v25, v26
	v_mul_f32_e32 v27, v29, v27
	v_mul_f32_e32 v29, 0x3f317218, v22
	v_sub_f32_e32 v23, v23, v25
	v_add_f32_e32 v26, v28, v27
	v_ldexp_f32 v23, v23, 1
	v_sub_f32_e32 v25, v26, v28
	v_fma_f32 v28, 0x3f317218, v22, -v29
	v_sub_f32_e32 v25, v27, v25
	v_fmamk_f32 v22, v22, 0xb102e308, v28
	v_add_f32_e32 v23, v23, v25
	v_add_f32_e32 v25, v29, v22
	;; [unrolled: 1-line block ×3, first 2 shown]
	v_sub_f32_e32 v29, v25, v29
	v_add_f32_e32 v28, v25, v27
	v_sub_f32_e32 v26, v27, v26
	v_sub_f32_e32 v22, v22, v29
	;; [unrolled: 1-line block ×6, first 2 shown]
	v_add_f32_e32 v27, v22, v23
	v_sub_f32_e32 v25, v25, v31
	v_add_f32_e32 v25, v26, v25
	v_sub_f32_e32 v26, v27, v22
	;; [unrolled: 2-line block ×3, first 2 shown]
	v_sub_f32_e32 v23, v23, v26
	v_add_f32_e32 v29, v28, v25
	v_sub_f32_e32 v22, v22, v27
	v_sub_f32_e32 v26, v29, v28
	v_add_f32_e32 v22, v23, v22
	v_sub_f32_e32 v23, v25, v26
	v_add_f32_e32 v22, v22, v23
	v_add_f32_e32 v22, v29, v22
	v_cndmask_b32_e64 v22, 0x7f800000, v22, s5
	v_cmp_gt_f32_e64 s5, 0x33800000, |v24|
	v_cndmask_b32_e64 v22, v22, v24, s5
	v_add_f32_e32 v21, v21, v22
	v_cvt_f16_f32_e32 v23, v21
.LBB395_68:
	s_or_b32 exec_lo, exec_lo, s29
	v_mov_b32_e32 v22, v23
.LBB395_69:
	s_or_b32 exec_lo, exec_lo, s28
	v_add_nc_u32_e32 v21, -1, v20
	v_cmp_gt_i32_e64 s5, 0, v21
	v_cndmask_b32_e64 v20, v21, v20, s5
	v_and_b32_e32 v21, 0xffff, v22
	v_lshlrev_b32_e32 v20, 2, v20
	ds_bpermute_b32 v20, v20, v21
	v_max_f32_e32 v21, v19, v19
	s_waitcnt lgkmcnt(0)
	v_cvt_f32_f16_e32 v22, v20
	v_cmp_u_f16_e64 s5, v20, v20
	v_min_f32_e32 v23, v22, v21
	v_max_f32_e32 v21, v22, v21
	v_cndmask_b32_e64 v23, v23, v22, s5
	v_cndmask_b32_e64 v22, v21, v22, s5
	;; [unrolled: 1-line block ×4, first 2 shown]
	v_cmp_class_f32_e64 s5, v21, 0x1f8
	v_cmp_neq_f32_e64 s4, v21, v19
	s_or_b32 s4, s4, s5
	s_and_saveexec_b32 s5, s4
	s_cbranch_execz .LBB395_71
; %bb.70:
	v_sub_f32_e32 v20, v21, v19
	v_mul_f32_e32 v21, 0x3fb8aa3b, v20
	v_cmp_ngt_f32_e64 s4, 0xc2ce8ed0, v20
	v_fma_f32 v22, 0x3fb8aa3b, v20, -v21
	v_rndne_f32_e32 v23, v21
	v_fmamk_f32 v22, v20, 0x32a5705f, v22
	v_sub_f32_e32 v21, v21, v23
	v_add_f32_e32 v21, v21, v22
	v_cvt_i32_f32_e32 v22, v23
	v_exp_f32_e32 v21, v21
	v_ldexp_f32 v21, v21, v22
	v_cndmask_b32_e64 v21, 0, v21, s4
	v_cmp_nlt_f32_e64 s4, 0x42b17218, v20
	v_cndmask_b32_e64 v22, 0x7f800000, v21, s4
	v_add_f32_e32 v23, 1.0, v22
	v_cvt_f64_f32_e32 v[20:21], v23
	v_frexp_exp_i32_f64_e32 v20, v[20:21]
	v_frexp_mant_f32_e32 v21, v23
	v_cmp_gt_f32_e64 s4, 0x3f2aaaab, v21
	v_add_f32_e32 v21, -1.0, v23
	v_sub_f32_e32 v25, v21, v23
	v_sub_f32_e32 v21, v22, v21
	v_add_f32_e32 v25, 1.0, v25
	v_add_f32_e32 v21, v21, v25
	v_subrev_co_ci_u32_e64 v20, null, 0, v20, s4
	s_mov_b32 s4, 0x3e9b6dac
	v_sub_nc_u32_e32 v24, 0, v20
	v_cvt_f32_i32_e32 v20, v20
	v_ldexp_f32 v23, v23, v24
	v_ldexp_f32 v21, v21, v24
	v_add_f32_e32 v26, 1.0, v23
	v_add_f32_e32 v24, -1.0, v23
	v_add_f32_e32 v25, -1.0, v26
	v_add_f32_e32 v27, 1.0, v24
	v_sub_f32_e32 v25, v23, v25
	v_sub_f32_e32 v23, v23, v27
	v_add_f32_e32 v25, v21, v25
	v_add_f32_e32 v21, v21, v23
	;; [unrolled: 1-line block ×4, first 2 shown]
	v_rcp_f32_e32 v23, v27
	v_sub_f32_e32 v26, v26, v27
	v_sub_f32_e32 v24, v24, v28
	v_add_f32_e32 v25, v25, v26
	v_add_f32_e32 v21, v21, v24
	v_mul_f32_e32 v29, v28, v23
	v_mul_f32_e32 v30, v27, v29
	v_fma_f32 v26, v29, v27, -v30
	v_fmac_f32_e32 v26, v29, v25
	v_add_f32_e32 v31, v30, v26
	v_sub_f32_e32 v32, v28, v31
	v_sub_f32_e32 v24, v31, v30
	;; [unrolled: 1-line block ×5, first 2 shown]
	v_add_f32_e32 v21, v21, v28
	v_add_f32_e32 v21, v24, v21
	;; [unrolled: 1-line block ×3, first 2 shown]
	v_mul_f32_e32 v26, v23, v24
	v_sub_f32_e32 v31, v32, v24
	v_mul_f32_e32 v28, v27, v26
	v_add_f32_e32 v21, v21, v31
	v_fma_f32 v27, v26, v27, -v28
	v_fmac_f32_e32 v27, v26, v25
	v_add_f32_e32 v25, v28, v27
	v_sub_f32_e32 v30, v24, v25
	v_sub_f32_e32 v28, v25, v28
	;; [unrolled: 1-line block ×5, first 2 shown]
	v_add_f32_e32 v21, v21, v24
	v_add_f32_e32 v24, v29, v26
	;; [unrolled: 1-line block ×3, first 2 shown]
	v_sub_f32_e32 v25, v24, v29
	v_add_f32_e32 v21, v30, v21
	v_sub_f32_e32 v25, v26, v25
	v_mul_f32_e32 v21, v23, v21
	v_add_f32_e32 v21, v25, v21
	v_add_f32_e32 v23, v24, v21
	v_mul_f32_e32 v25, v23, v23
	v_fmaak_f32 v26, s4, v25, 0x3ecc95a3
	v_mul_f32_e32 v27, v23, v25
	v_cmp_neq_f32_e64 s4, 0x7f800000, v22
	v_fmaak_f32 v25, v25, v26, 0x3f2aaada
	v_ldexp_f32 v26, v23, 1
	v_sub_f32_e32 v23, v23, v24
	v_mul_f32_e32 v25, v27, v25
	v_mul_f32_e32 v27, 0x3f317218, v20
	v_sub_f32_e32 v21, v21, v23
	v_add_f32_e32 v24, v26, v25
	v_ldexp_f32 v21, v21, 1
	v_sub_f32_e32 v23, v24, v26
	v_fma_f32 v26, 0x3f317218, v20, -v27
	v_sub_f32_e32 v23, v25, v23
	v_fmamk_f32 v20, v20, 0xb102e308, v26
	v_add_f32_e32 v21, v21, v23
	v_add_f32_e32 v23, v27, v20
	;; [unrolled: 1-line block ×3, first 2 shown]
	v_sub_f32_e32 v27, v23, v27
	v_add_f32_e32 v26, v23, v25
	v_sub_f32_e32 v24, v25, v24
	v_sub_f32_e32 v20, v20, v27
	;; [unrolled: 1-line block ×6, first 2 shown]
	v_add_f32_e32 v25, v20, v21
	v_sub_f32_e32 v23, v23, v29
	v_add_f32_e32 v23, v24, v23
	v_sub_f32_e32 v24, v25, v20
	;; [unrolled: 2-line block ×3, first 2 shown]
	v_sub_f32_e32 v21, v21, v24
	v_add_f32_e32 v27, v26, v23
	v_sub_f32_e32 v20, v20, v25
	v_sub_f32_e32 v24, v27, v26
	v_add_f32_e32 v20, v21, v20
	v_sub_f32_e32 v21, v23, v24
	v_add_f32_e32 v20, v20, v21
	v_add_f32_e32 v20, v27, v20
	v_cndmask_b32_e64 v20, 0x7f800000, v20, s4
	v_cmp_gt_f32_e64 s4, 0x33800000, |v22|
	v_cndmask_b32_e64 v20, v20, v22, s4
	v_add_f32_e32 v19, v19, v20
	v_cvt_f16_f32_e32 v20, v19
.LBB395_71:
	s_or_b32 exec_lo, exec_lo, s5
	v_cmp_eq_u32_e64 s4, 0, v0
	; wave barrier
	v_cndmask_b32_e64 v19, v20, v18, s4
	ds_write_b16 v6, v19
	; wave barrier
	ds_read_u16 v18, v6 offset:2
	v_cvt_f32_f16_e32 v20, v19
	v_cmp_u_f16_e64 s4, v19, v19
	s_waitcnt lgkmcnt(0)
	v_cvt_f32_f16_e32 v21, v18
	v_min_f32_e32 v22, v20, v21
	v_max_f32_e32 v23, v20, v21
	v_cndmask_b32_e64 v22, v22, v20, s4
	v_cndmask_b32_e64 v23, v23, v20, s4
	v_cmp_u_f16_e64 s4, v18, v18
	v_cndmask_b32_e64 v20, v22, v21, s4
	v_cndmask_b32_e64 v18, v23, v21, s4
	v_cmp_class_f32_e64 s5, v20, 0x1f8
	v_cmp_neq_f32_e64 s4, v20, v18
	s_or_b32 s4, s4, s5
	s_and_saveexec_b32 s5, s4
	s_cbranch_execz .LBB395_73
; %bb.72:
	v_sub_f32_e32 v19, v20, v18
	v_mul_f32_e32 v20, 0x3fb8aa3b, v19
	v_cmp_ngt_f32_e64 s4, 0xc2ce8ed0, v19
	v_fma_f32 v21, 0x3fb8aa3b, v19, -v20
	v_rndne_f32_e32 v22, v20
	v_fmamk_f32 v21, v19, 0x32a5705f, v21
	v_sub_f32_e32 v20, v20, v22
	v_add_f32_e32 v20, v20, v21
	v_cvt_i32_f32_e32 v21, v22
	v_exp_f32_e32 v20, v20
	v_ldexp_f32 v20, v20, v21
	v_cndmask_b32_e64 v20, 0, v20, s4
	v_cmp_nlt_f32_e64 s4, 0x42b17218, v19
	v_cndmask_b32_e64 v21, 0x7f800000, v20, s4
	v_add_f32_e32 v22, 1.0, v21
	v_cvt_f64_f32_e32 v[19:20], v22
	v_frexp_exp_i32_f64_e32 v19, v[19:20]
	v_frexp_mant_f32_e32 v20, v22
	v_cmp_gt_f32_e64 s4, 0x3f2aaaab, v20
	v_add_f32_e32 v20, -1.0, v22
	v_sub_f32_e32 v24, v20, v22
	v_sub_f32_e32 v20, v21, v20
	v_add_f32_e32 v24, 1.0, v24
	v_add_f32_e32 v20, v20, v24
	v_subrev_co_ci_u32_e64 v19, null, 0, v19, s4
	s_mov_b32 s4, 0x3e9b6dac
	v_sub_nc_u32_e32 v23, 0, v19
	v_cvt_f32_i32_e32 v19, v19
	v_ldexp_f32 v22, v22, v23
	v_ldexp_f32 v20, v20, v23
	v_add_f32_e32 v25, 1.0, v22
	v_add_f32_e32 v23, -1.0, v22
	v_add_f32_e32 v24, -1.0, v25
	v_add_f32_e32 v26, 1.0, v23
	v_sub_f32_e32 v24, v22, v24
	v_sub_f32_e32 v22, v22, v26
	v_add_f32_e32 v24, v20, v24
	v_add_f32_e32 v20, v20, v22
	;; [unrolled: 1-line block ×4, first 2 shown]
	v_rcp_f32_e32 v22, v26
	v_sub_f32_e32 v25, v25, v26
	v_sub_f32_e32 v23, v23, v27
	v_add_f32_e32 v24, v24, v25
	v_add_f32_e32 v20, v20, v23
	v_mul_f32_e32 v28, v27, v22
	v_mul_f32_e32 v29, v26, v28
	v_fma_f32 v25, v28, v26, -v29
	v_fmac_f32_e32 v25, v28, v24
	v_add_f32_e32 v30, v29, v25
	v_sub_f32_e32 v31, v27, v30
	v_sub_f32_e32 v23, v30, v29
	;; [unrolled: 1-line block ×5, first 2 shown]
	v_add_f32_e32 v20, v20, v27
	v_add_f32_e32 v20, v23, v20
	;; [unrolled: 1-line block ×3, first 2 shown]
	v_mul_f32_e32 v25, v22, v23
	v_sub_f32_e32 v30, v31, v23
	v_mul_f32_e32 v27, v26, v25
	v_add_f32_e32 v20, v20, v30
	v_fma_f32 v26, v25, v26, -v27
	v_fmac_f32_e32 v26, v25, v24
	v_add_f32_e32 v24, v27, v26
	v_sub_f32_e32 v29, v23, v24
	v_sub_f32_e32 v27, v24, v27
	;; [unrolled: 1-line block ×5, first 2 shown]
	v_add_f32_e32 v20, v20, v23
	v_add_f32_e32 v23, v28, v25
	;; [unrolled: 1-line block ×3, first 2 shown]
	v_sub_f32_e32 v24, v23, v28
	v_add_f32_e32 v20, v29, v20
	v_sub_f32_e32 v24, v25, v24
	v_mul_f32_e32 v20, v22, v20
	v_add_f32_e32 v20, v24, v20
	v_add_f32_e32 v22, v23, v20
	v_mul_f32_e32 v24, v22, v22
	v_fmaak_f32 v25, s4, v24, 0x3ecc95a3
	v_mul_f32_e32 v26, v22, v24
	v_cmp_neq_f32_e64 s4, 0x7f800000, v21
	v_fmaak_f32 v24, v24, v25, 0x3f2aaada
	v_ldexp_f32 v25, v22, 1
	v_sub_f32_e32 v22, v22, v23
	v_mul_f32_e32 v24, v26, v24
	v_mul_f32_e32 v26, 0x3f317218, v19
	v_sub_f32_e32 v20, v20, v22
	v_add_f32_e32 v23, v25, v24
	v_ldexp_f32 v20, v20, 1
	v_sub_f32_e32 v22, v23, v25
	v_fma_f32 v25, 0x3f317218, v19, -v26
	v_sub_f32_e32 v22, v24, v22
	v_fmamk_f32 v19, v19, 0xb102e308, v25
	v_add_f32_e32 v20, v20, v22
	v_add_f32_e32 v22, v26, v19
	;; [unrolled: 1-line block ×3, first 2 shown]
	v_sub_f32_e32 v26, v22, v26
	v_add_f32_e32 v25, v22, v24
	v_sub_f32_e32 v23, v24, v23
	v_sub_f32_e32 v19, v19, v26
	;; [unrolled: 1-line block ×6, first 2 shown]
	v_add_f32_e32 v24, v19, v20
	v_sub_f32_e32 v22, v22, v28
	v_add_f32_e32 v22, v23, v22
	v_sub_f32_e32 v23, v24, v19
	;; [unrolled: 2-line block ×3, first 2 shown]
	v_sub_f32_e32 v20, v20, v23
	v_add_f32_e32 v26, v25, v22
	v_sub_f32_e32 v19, v19, v24
	v_sub_f32_e32 v23, v26, v25
	v_add_f32_e32 v19, v20, v19
	v_sub_f32_e32 v20, v22, v23
	v_add_f32_e32 v19, v19, v20
	v_add_f32_e32 v19, v26, v19
	v_cndmask_b32_e64 v19, 0x7f800000, v19, s4
	v_cmp_gt_f32_e64 s4, 0x33800000, |v21|
	v_cndmask_b32_e64 v19, v19, v21, s4
	v_add_f32_e32 v18, v18, v19
	v_cvt_f16_f32_e32 v19, v18
.LBB395_73:
	s_or_b32 exec_lo, exec_lo, s5
	ds_write_b16 v6, v19 offset:2
.LBB395_74:
	s_or_b32 exec_lo, exec_lo, s25
	v_mul_u32_u24_e32 v6, 22, v0
	v_mov_b32_e32 v18, v1
	s_mov_b32 s5, exec_lo
	s_waitcnt lgkmcnt(0)
	s_barrier
	buffer_gl0_inv
	v_cmpx_ne_u32_e32 0, v0
	s_cbranch_execz .LBB395_78
; %bb.75:
	v_add_nc_u32_e32 v1, -1, v0
	v_lshrrev_b32_e32 v16, 4, v1
	v_and_b32_e32 v16, 0xffffffe, v16
	v_lshl_add_u32 v1, v1, 1, v16
	v_max_f32_e32 v16, v8, v8
	ds_read_u16 v1, v1
	s_waitcnt lgkmcnt(0)
	v_cvt_f32_f16_e32 v19, v1
	v_cmp_u_f16_e64 s4, v1, v1
	v_min_f32_e32 v17, v19, v16
	v_max_f32_e32 v16, v19, v16
	v_cndmask_b32_e64 v17, v17, v19, s4
	v_cndmask_b32_e64 v18, v16, v19, s4
	;; [unrolled: 1-line block ×4, first 2 shown]
	v_cmp_class_f32_e64 s24, v16, 0x1f8
	v_cmp_neq_f32_e64 s4, v16, v8
	s_or_b32 s4, s4, s24
	s_and_saveexec_b32 s24, s4
	s_cbranch_execz .LBB395_77
; %bb.76:
	v_sub_f32_e32 v1, v16, v8
	v_mul_f32_e32 v16, 0x3fb8aa3b, v1
	v_cmp_ngt_f32_e64 s4, 0xc2ce8ed0, v1
	v_fma_f32 v17, 0x3fb8aa3b, v1, -v16
	v_rndne_f32_e32 v18, v16
	v_fmamk_f32 v17, v1, 0x32a5705f, v17
	v_sub_f32_e32 v16, v16, v18
	v_add_f32_e32 v16, v16, v17
	v_cvt_i32_f32_e32 v17, v18
	v_exp_f32_e32 v16, v16
	v_ldexp_f32 v16, v16, v17
	v_cndmask_b32_e64 v16, 0, v16, s4
	v_cmp_nlt_f32_e64 s4, 0x42b17218, v1
	v_cndmask_b32_e64 v1, 0x7f800000, v16, s4
	v_add_f32_e32 v18, 1.0, v1
	v_cvt_f64_f32_e32 v[16:17], v18
	v_frexp_exp_i32_f64_e32 v16, v[16:17]
	v_frexp_mant_f32_e32 v17, v18
	v_cmp_gt_f32_e64 s4, 0x3f2aaaab, v17
	v_add_f32_e32 v17, -1.0, v18
	v_sub_f32_e32 v20, v17, v18
	v_sub_f32_e32 v17, v1, v17
	v_add_f32_e32 v20, 1.0, v20
	v_add_f32_e32 v17, v17, v20
	v_subrev_co_ci_u32_e64 v16, null, 0, v16, s4
	s_mov_b32 s4, 0x3e9b6dac
	v_sub_nc_u32_e32 v19, 0, v16
	v_cvt_f32_i32_e32 v16, v16
	v_ldexp_f32 v18, v18, v19
	v_ldexp_f32 v17, v17, v19
	v_add_f32_e32 v21, 1.0, v18
	v_add_f32_e32 v19, -1.0, v18
	v_add_f32_e32 v20, -1.0, v21
	v_add_f32_e32 v22, 1.0, v19
	v_sub_f32_e32 v20, v18, v20
	v_sub_f32_e32 v18, v18, v22
	v_add_f32_e32 v20, v17, v20
	v_add_f32_e32 v17, v17, v18
	;; [unrolled: 1-line block ×4, first 2 shown]
	v_rcp_f32_e32 v18, v22
	v_sub_f32_e32 v21, v21, v22
	v_sub_f32_e32 v19, v19, v23
	v_add_f32_e32 v20, v20, v21
	v_add_f32_e32 v17, v17, v19
	v_mul_f32_e32 v24, v23, v18
	v_mul_f32_e32 v25, v22, v24
	v_fma_f32 v21, v24, v22, -v25
	v_fmac_f32_e32 v21, v24, v20
	v_add_f32_e32 v26, v25, v21
	v_sub_f32_e32 v27, v23, v26
	v_sub_f32_e32 v19, v26, v25
	;; [unrolled: 1-line block ×5, first 2 shown]
	v_add_f32_e32 v17, v17, v23
	v_add_f32_e32 v17, v19, v17
	;; [unrolled: 1-line block ×3, first 2 shown]
	v_mul_f32_e32 v21, v18, v19
	v_sub_f32_e32 v26, v27, v19
	v_mul_f32_e32 v23, v22, v21
	v_add_f32_e32 v17, v17, v26
	v_fma_f32 v22, v21, v22, -v23
	v_fmac_f32_e32 v22, v21, v20
	v_add_f32_e32 v20, v23, v22
	v_sub_f32_e32 v25, v19, v20
	v_sub_f32_e32 v23, v20, v23
	;; [unrolled: 1-line block ×5, first 2 shown]
	v_add_f32_e32 v17, v17, v19
	v_add_f32_e32 v19, v24, v21
	;; [unrolled: 1-line block ×3, first 2 shown]
	v_sub_f32_e32 v20, v19, v24
	v_add_f32_e32 v17, v25, v17
	v_sub_f32_e32 v20, v21, v20
	v_mul_f32_e32 v17, v18, v17
	v_add_f32_e32 v17, v20, v17
	v_add_f32_e32 v18, v19, v17
	v_mul_f32_e32 v20, v18, v18
	v_fmaak_f32 v21, s4, v20, 0x3ecc95a3
	v_mul_f32_e32 v22, v18, v20
	v_cmp_neq_f32_e64 s4, 0x7f800000, v1
	v_fmaak_f32 v20, v20, v21, 0x3f2aaada
	v_ldexp_f32 v21, v18, 1
	v_sub_f32_e32 v18, v18, v19
	v_mul_f32_e32 v20, v22, v20
	v_mul_f32_e32 v22, 0x3f317218, v16
	v_sub_f32_e32 v17, v17, v18
	v_add_f32_e32 v19, v21, v20
	v_ldexp_f32 v17, v17, 1
	v_sub_f32_e32 v18, v19, v21
	v_fma_f32 v21, 0x3f317218, v16, -v22
	v_sub_f32_e32 v18, v20, v18
	v_fmamk_f32 v16, v16, 0xb102e308, v21
	v_add_f32_e32 v17, v17, v18
	v_add_f32_e32 v18, v22, v16
	;; [unrolled: 1-line block ×3, first 2 shown]
	v_sub_f32_e32 v22, v18, v22
	v_add_f32_e32 v21, v18, v20
	v_sub_f32_e32 v19, v20, v19
	v_sub_f32_e32 v16, v16, v22
	;; [unrolled: 1-line block ×6, first 2 shown]
	v_add_f32_e32 v20, v16, v17
	v_sub_f32_e32 v18, v18, v24
	v_add_f32_e32 v18, v19, v18
	v_sub_f32_e32 v19, v20, v16
	;; [unrolled: 2-line block ×3, first 2 shown]
	v_sub_f32_e32 v17, v17, v19
	v_add_f32_e32 v22, v21, v18
	v_sub_f32_e32 v16, v16, v20
	v_sub_f32_e32 v19, v22, v21
	v_add_f32_e32 v16, v17, v16
	v_sub_f32_e32 v17, v18, v19
	v_add_f32_e32 v16, v16, v17
	v_add_f32_e32 v16, v22, v16
	v_cndmask_b32_e64 v16, 0x7f800000, v16, s4
	v_cmp_gt_f32_e64 s4, 0x33800000, |v1|
	v_cndmask_b32_e64 v1, v16, v1, s4
	v_add_f32_e32 v1, v8, v1
	v_cvt_f16_f32_e32 v1, v1
	v_cvt_f32_f16_e32 v19, v1
.LBB395_77:
	s_or_b32 exec_lo, exec_lo, s24
	v_max_f32_e32 v8, v9, v9
	v_max_f32_e32 v17, v19, v19
	v_mov_b32_e32 v18, v1
	;;#ASMSTART
	;;#ASMEND
	v_min_f32_e32 v16, v17, v8
	v_max_f32_e32 v17, v17, v8
	v_mov_b32_e32 v8, v19
.LBB395_78:
	s_or_b32 exec_lo, exec_lo, s5
	v_cmp_u_f16_e64 s4, v18, v18
	v_cndmask_b32_e64 v16, v16, v8, s4
	v_cndmask_b32_e64 v19, v17, v8, s4
	;; [unrolled: 1-line block ×4, first 2 shown]
	v_mov_b32_e32 v9, v1
	v_cmp_class_f32_e64 s5, v17, 0x1f8
	v_cmp_neq_f32_e64 s4, v17, v16
	s_or_b32 s4, s4, s5
	s_and_saveexec_b32 s5, s4
	s_cbranch_execz .LBB395_80
; %bb.79:
	v_sub_f32_e32 v8, v17, v16
	v_mul_f32_e32 v9, 0x3fb8aa3b, v8
	v_cmp_ngt_f32_e64 s4, 0xc2ce8ed0, v8
	v_fma_f32 v17, 0x3fb8aa3b, v8, -v9
	v_rndne_f32_e32 v18, v9
	v_fmamk_f32 v17, v8, 0x32a5705f, v17
	v_sub_f32_e32 v9, v9, v18
	v_add_f32_e32 v9, v9, v17
	v_cvt_i32_f32_e32 v17, v18
	v_exp_f32_e32 v9, v9
	v_ldexp_f32 v9, v9, v17
	v_cndmask_b32_e64 v9, 0, v9, s4
	v_cmp_nlt_f32_e64 s4, 0x42b17218, v8
	v_cndmask_b32_e64 v17, 0x7f800000, v9, s4
	v_add_f32_e32 v18, 1.0, v17
	v_cvt_f64_f32_e32 v[8:9], v18
	v_frexp_exp_i32_f64_e32 v8, v[8:9]
	v_frexp_mant_f32_e32 v9, v18
	v_cmp_gt_f32_e64 s4, 0x3f2aaaab, v9
	v_add_f32_e32 v9, -1.0, v18
	v_sub_f32_e32 v20, v9, v18
	v_sub_f32_e32 v9, v17, v9
	v_add_f32_e32 v20, 1.0, v20
	v_add_f32_e32 v9, v9, v20
	v_subrev_co_ci_u32_e64 v8, null, 0, v8, s4
	s_mov_b32 s4, 0x3e9b6dac
	v_sub_nc_u32_e32 v19, 0, v8
	v_cvt_f32_i32_e32 v8, v8
	v_ldexp_f32 v18, v18, v19
	v_ldexp_f32 v9, v9, v19
	v_add_f32_e32 v21, 1.0, v18
	v_add_f32_e32 v19, -1.0, v18
	v_add_f32_e32 v20, -1.0, v21
	v_add_f32_e32 v22, 1.0, v19
	v_sub_f32_e32 v20, v18, v20
	v_sub_f32_e32 v18, v18, v22
	v_add_f32_e32 v20, v9, v20
	v_add_f32_e32 v9, v9, v18
	;; [unrolled: 1-line block ×4, first 2 shown]
	v_rcp_f32_e32 v18, v22
	v_sub_f32_e32 v21, v21, v22
	v_sub_f32_e32 v19, v19, v23
	v_add_f32_e32 v20, v20, v21
	v_add_f32_e32 v9, v9, v19
	v_mul_f32_e32 v24, v23, v18
	v_mul_f32_e32 v25, v22, v24
	v_fma_f32 v21, v24, v22, -v25
	v_fmac_f32_e32 v21, v24, v20
	v_add_f32_e32 v26, v25, v21
	v_sub_f32_e32 v27, v23, v26
	v_sub_f32_e32 v19, v26, v25
	;; [unrolled: 1-line block ×5, first 2 shown]
	v_add_f32_e32 v9, v9, v23
	v_add_f32_e32 v9, v19, v9
	;; [unrolled: 1-line block ×3, first 2 shown]
	v_mul_f32_e32 v21, v18, v19
	v_sub_f32_e32 v26, v27, v19
	v_mul_f32_e32 v23, v22, v21
	v_add_f32_e32 v9, v9, v26
	v_fma_f32 v22, v21, v22, -v23
	v_fmac_f32_e32 v22, v21, v20
	v_add_f32_e32 v20, v23, v22
	v_sub_f32_e32 v25, v19, v20
	v_sub_f32_e32 v23, v20, v23
	;; [unrolled: 1-line block ×5, first 2 shown]
	v_add_f32_e32 v9, v9, v19
	v_add_f32_e32 v19, v24, v21
	;; [unrolled: 1-line block ×3, first 2 shown]
	v_sub_f32_e32 v20, v19, v24
	v_add_f32_e32 v9, v25, v9
	v_sub_f32_e32 v20, v21, v20
	v_mul_f32_e32 v9, v18, v9
	v_add_f32_e32 v9, v20, v9
	v_add_f32_e32 v18, v19, v9
	v_mul_f32_e32 v20, v18, v18
	v_fmaak_f32 v21, s4, v20, 0x3ecc95a3
	v_mul_f32_e32 v22, v18, v20
	v_cmp_neq_f32_e64 s4, 0x7f800000, v17
	v_fmaak_f32 v20, v20, v21, 0x3f2aaada
	v_ldexp_f32 v21, v18, 1
	v_sub_f32_e32 v18, v18, v19
	v_mul_f32_e32 v20, v22, v20
	v_mul_f32_e32 v22, 0x3f317218, v8
	v_sub_f32_e32 v9, v9, v18
	v_add_f32_e32 v19, v21, v20
	v_ldexp_f32 v9, v9, 1
	v_sub_f32_e32 v18, v19, v21
	v_fma_f32 v21, 0x3f317218, v8, -v22
	v_sub_f32_e32 v18, v20, v18
	v_fmamk_f32 v8, v8, 0xb102e308, v21
	v_add_f32_e32 v9, v9, v18
	v_add_f32_e32 v18, v22, v8
	;; [unrolled: 1-line block ×3, first 2 shown]
	v_sub_f32_e32 v22, v18, v22
	v_add_f32_e32 v21, v18, v20
	v_sub_f32_e32 v19, v20, v19
	v_sub_f32_e32 v8, v8, v22
	;; [unrolled: 1-line block ×6, first 2 shown]
	v_add_f32_e32 v20, v8, v9
	v_sub_f32_e32 v18, v18, v24
	v_add_f32_e32 v18, v19, v18
	v_sub_f32_e32 v19, v20, v8
	;; [unrolled: 2-line block ×3, first 2 shown]
	v_sub_f32_e32 v9, v9, v19
	v_add_f32_e32 v22, v21, v18
	v_sub_f32_e32 v8, v8, v20
	v_sub_f32_e32 v19, v22, v21
	v_add_f32_e32 v8, v9, v8
	v_sub_f32_e32 v9, v18, v19
	v_add_f32_e32 v8, v8, v9
	v_add_f32_e32 v8, v22, v8
	v_cndmask_b32_e64 v8, 0x7f800000, v8, s4
	v_cmp_gt_f32_e64 s4, 0x33800000, |v17|
	v_cndmask_b32_e64 v8, v8, v17, s4
	v_add_f32_e32 v8, v16, v8
	v_cvt_f16_f32_e32 v18, v8
	v_cvt_f32_f16_e32 v8, v18
	v_mov_b32_e32 v9, v18
.LBB395_80:
	s_or_b32 exec_lo, exec_lo, s5
	v_max_f32_e32 v16, v10, v10
	v_max_f32_e32 v17, v8, v8
	v_cmp_u_f16_e64 s4, v18, v18
	v_min_f32_e32 v19, v17, v16
	v_max_f32_e32 v16, v17, v16
	v_cndmask_b32_e64 v17, v19, v8, s4
	v_cndmask_b32_e64 v16, v16, v8, s4
	;; [unrolled: 1-line block ×4, first 2 shown]
	v_mov_b32_e32 v10, v9
	v_cmp_class_f32_e64 s5, v17, 0x1f8
	v_cmp_neq_f32_e64 s4, v17, v16
	s_or_b32 s4, s4, s5
	s_and_saveexec_b32 s5, s4
	s_cbranch_execz .LBB395_82
; %bb.81:
	v_sub_f32_e32 v8, v17, v16
	v_mul_f32_e32 v10, 0x3fb8aa3b, v8
	v_cmp_ngt_f32_e64 s4, 0xc2ce8ed0, v8
	v_fma_f32 v17, 0x3fb8aa3b, v8, -v10
	v_rndne_f32_e32 v18, v10
	v_fmamk_f32 v17, v8, 0x32a5705f, v17
	v_sub_f32_e32 v10, v10, v18
	v_add_f32_e32 v10, v10, v17
	v_cvt_i32_f32_e32 v17, v18
	v_exp_f32_e32 v10, v10
	v_ldexp_f32 v10, v10, v17
	v_cndmask_b32_e64 v10, 0, v10, s4
	v_cmp_nlt_f32_e64 s4, 0x42b17218, v8
	v_cndmask_b32_e64 v8, 0x7f800000, v10, s4
	v_add_f32_e32 v10, 1.0, v8
	v_cvt_f64_f32_e32 v[17:18], v10
	v_frexp_exp_i32_f64_e32 v17, v[17:18]
	v_frexp_mant_f32_e32 v18, v10
	v_cmp_gt_f32_e64 s4, 0x3f2aaaab, v18
	v_add_f32_e32 v18, -1.0, v10
	v_sub_f32_e32 v20, v18, v10
	v_sub_f32_e32 v18, v8, v18
	v_add_f32_e32 v20, 1.0, v20
	v_add_f32_e32 v18, v18, v20
	v_subrev_co_ci_u32_e64 v17, null, 0, v17, s4
	s_mov_b32 s4, 0x3e9b6dac
	v_sub_nc_u32_e32 v19, 0, v17
	v_cvt_f32_i32_e32 v17, v17
	v_ldexp_f32 v10, v10, v19
	v_ldexp_f32 v18, v18, v19
	v_add_f32_e32 v21, 1.0, v10
	v_add_f32_e32 v19, -1.0, v10
	v_add_f32_e32 v20, -1.0, v21
	v_add_f32_e32 v22, 1.0, v19
	v_sub_f32_e32 v20, v10, v20
	v_sub_f32_e32 v10, v10, v22
	v_add_f32_e32 v20, v18, v20
	v_add_f32_e32 v10, v18, v10
	;; [unrolled: 1-line block ×4, first 2 shown]
	v_rcp_f32_e32 v18, v22
	v_sub_f32_e32 v21, v21, v22
	v_sub_f32_e32 v19, v19, v23
	v_add_f32_e32 v20, v20, v21
	v_add_f32_e32 v10, v10, v19
	v_mul_f32_e32 v24, v23, v18
	v_mul_f32_e32 v25, v22, v24
	v_fma_f32 v21, v24, v22, -v25
	v_fmac_f32_e32 v21, v24, v20
	v_add_f32_e32 v26, v25, v21
	v_sub_f32_e32 v27, v23, v26
	v_sub_f32_e32 v19, v26, v25
	;; [unrolled: 1-line block ×5, first 2 shown]
	v_add_f32_e32 v10, v10, v23
	v_add_f32_e32 v10, v19, v10
	v_add_f32_e32 v19, v27, v10
	v_mul_f32_e32 v21, v18, v19
	v_sub_f32_e32 v26, v27, v19
	v_mul_f32_e32 v23, v22, v21
	v_add_f32_e32 v10, v10, v26
	v_fma_f32 v22, v21, v22, -v23
	v_fmac_f32_e32 v22, v21, v20
	v_add_f32_e32 v20, v23, v22
	v_sub_f32_e32 v25, v19, v20
	v_sub_f32_e32 v23, v20, v23
	;; [unrolled: 1-line block ×5, first 2 shown]
	v_add_f32_e32 v10, v10, v19
	v_add_f32_e32 v19, v24, v21
	;; [unrolled: 1-line block ×3, first 2 shown]
	v_sub_f32_e32 v20, v19, v24
	v_add_f32_e32 v10, v25, v10
	v_sub_f32_e32 v20, v21, v20
	v_mul_f32_e32 v10, v18, v10
	v_add_f32_e32 v10, v20, v10
	v_add_f32_e32 v18, v19, v10
	v_mul_f32_e32 v20, v18, v18
	v_fmaak_f32 v21, s4, v20, 0x3ecc95a3
	v_mul_f32_e32 v22, v18, v20
	v_cmp_neq_f32_e64 s4, 0x7f800000, v8
	v_fmaak_f32 v20, v20, v21, 0x3f2aaada
	v_ldexp_f32 v21, v18, 1
	v_sub_f32_e32 v18, v18, v19
	v_mul_f32_e32 v20, v22, v20
	v_mul_f32_e32 v22, 0x3f317218, v17
	v_sub_f32_e32 v10, v10, v18
	v_add_f32_e32 v19, v21, v20
	v_ldexp_f32 v10, v10, 1
	v_sub_f32_e32 v18, v19, v21
	v_fma_f32 v21, 0x3f317218, v17, -v22
	v_sub_f32_e32 v18, v20, v18
	v_fmamk_f32 v17, v17, 0xb102e308, v21
	v_add_f32_e32 v10, v10, v18
	v_add_f32_e32 v18, v22, v17
	v_add_f32_e32 v20, v19, v10
	v_sub_f32_e32 v22, v18, v22
	v_add_f32_e32 v21, v18, v20
	v_sub_f32_e32 v19, v20, v19
	v_sub_f32_e32 v17, v17, v22
	;; [unrolled: 1-line block ×6, first 2 shown]
	v_add_f32_e32 v20, v17, v10
	v_sub_f32_e32 v18, v18, v24
	v_add_f32_e32 v18, v19, v18
	v_sub_f32_e32 v19, v20, v17
	;; [unrolled: 2-line block ×3, first 2 shown]
	v_sub_f32_e32 v10, v10, v19
	v_add_f32_e32 v22, v21, v18
	v_sub_f32_e32 v17, v17, v20
	v_sub_f32_e32 v19, v22, v21
	v_add_f32_e32 v10, v10, v17
	v_sub_f32_e32 v17, v18, v19
	v_add_f32_e32 v10, v10, v17
	v_add_f32_e32 v10, v22, v10
	v_cndmask_b32_e64 v10, 0x7f800000, v10, s4
	v_cmp_gt_f32_e64 s4, 0x33800000, |v8|
	v_cndmask_b32_e64 v8, v10, v8, s4
	v_add_f32_e32 v8, v16, v8
	v_cvt_f16_f32_e32 v18, v8
	v_cvt_f32_f16_e32 v8, v18
	v_mov_b32_e32 v10, v18
.LBB395_82:
	s_or_b32 exec_lo, exec_lo, s5
	v_max_f32_e32 v16, v11, v11
	v_max_f32_e32 v17, v8, v8
	v_cmp_u_f16_e64 s4, v18, v18
	v_min_f32_e32 v19, v17, v16
	v_max_f32_e32 v16, v17, v16
	v_cndmask_b32_e64 v17, v19, v8, s4
	v_cndmask_b32_e64 v16, v16, v8, s4
	v_cndmask_b32_e64 v17, v17, v11, s15
	v_cndmask_b32_e64 v16, v16, v11, s15
	v_mov_b32_e32 v11, v10
	v_cmp_class_f32_e64 s5, v17, 0x1f8
	v_cmp_neq_f32_e64 s4, v17, v16
	s_or_b32 s4, s4, s5
	s_and_saveexec_b32 s5, s4
	s_cbranch_execz .LBB395_84
; %bb.83:
	v_sub_f32_e32 v8, v17, v16
	v_mul_f32_e32 v11, 0x3fb8aa3b, v8
	v_cmp_ngt_f32_e64 s4, 0xc2ce8ed0, v8
	v_fma_f32 v17, 0x3fb8aa3b, v8, -v11
	v_rndne_f32_e32 v18, v11
	v_fmamk_f32 v17, v8, 0x32a5705f, v17
	v_sub_f32_e32 v11, v11, v18
	v_add_f32_e32 v11, v11, v17
	v_cvt_i32_f32_e32 v17, v18
	v_exp_f32_e32 v11, v11
	v_ldexp_f32 v11, v11, v17
	v_cndmask_b32_e64 v11, 0, v11, s4
	v_cmp_nlt_f32_e64 s4, 0x42b17218, v8
	v_cndmask_b32_e64 v8, 0x7f800000, v11, s4
	v_add_f32_e32 v11, 1.0, v8
	v_cvt_f64_f32_e32 v[17:18], v11
	v_frexp_exp_i32_f64_e32 v17, v[17:18]
	v_frexp_mant_f32_e32 v18, v11
	v_cmp_gt_f32_e64 s4, 0x3f2aaaab, v18
	v_add_f32_e32 v18, -1.0, v11
	v_sub_f32_e32 v20, v18, v11
	v_sub_f32_e32 v18, v8, v18
	v_add_f32_e32 v20, 1.0, v20
	v_add_f32_e32 v18, v18, v20
	v_subrev_co_ci_u32_e64 v17, null, 0, v17, s4
	s_mov_b32 s4, 0x3e9b6dac
	v_sub_nc_u32_e32 v19, 0, v17
	v_cvt_f32_i32_e32 v17, v17
	v_ldexp_f32 v11, v11, v19
	v_ldexp_f32 v18, v18, v19
	v_add_f32_e32 v21, 1.0, v11
	v_add_f32_e32 v19, -1.0, v11
	v_add_f32_e32 v20, -1.0, v21
	v_add_f32_e32 v22, 1.0, v19
	v_sub_f32_e32 v20, v11, v20
	v_sub_f32_e32 v11, v11, v22
	v_add_f32_e32 v20, v18, v20
	v_add_f32_e32 v11, v18, v11
	;; [unrolled: 1-line block ×4, first 2 shown]
	v_rcp_f32_e32 v18, v22
	v_sub_f32_e32 v21, v21, v22
	v_sub_f32_e32 v19, v19, v23
	v_add_f32_e32 v20, v20, v21
	v_add_f32_e32 v11, v11, v19
	v_mul_f32_e32 v24, v23, v18
	v_mul_f32_e32 v25, v22, v24
	v_fma_f32 v21, v24, v22, -v25
	v_fmac_f32_e32 v21, v24, v20
	v_add_f32_e32 v26, v25, v21
	v_sub_f32_e32 v27, v23, v26
	v_sub_f32_e32 v19, v26, v25
	;; [unrolled: 1-line block ×5, first 2 shown]
	v_add_f32_e32 v11, v11, v23
	v_add_f32_e32 v11, v19, v11
	;; [unrolled: 1-line block ×3, first 2 shown]
	v_mul_f32_e32 v21, v18, v19
	v_sub_f32_e32 v26, v27, v19
	v_mul_f32_e32 v23, v22, v21
	v_add_f32_e32 v11, v11, v26
	v_fma_f32 v22, v21, v22, -v23
	v_fmac_f32_e32 v22, v21, v20
	v_add_f32_e32 v20, v23, v22
	v_sub_f32_e32 v25, v19, v20
	v_sub_f32_e32 v23, v20, v23
	;; [unrolled: 1-line block ×5, first 2 shown]
	v_add_f32_e32 v11, v11, v19
	v_add_f32_e32 v19, v24, v21
	;; [unrolled: 1-line block ×3, first 2 shown]
	v_sub_f32_e32 v20, v19, v24
	v_add_f32_e32 v11, v25, v11
	v_sub_f32_e32 v20, v21, v20
	v_mul_f32_e32 v11, v18, v11
	v_add_f32_e32 v11, v20, v11
	v_add_f32_e32 v18, v19, v11
	v_mul_f32_e32 v20, v18, v18
	v_fmaak_f32 v21, s4, v20, 0x3ecc95a3
	v_mul_f32_e32 v22, v18, v20
	v_cmp_neq_f32_e64 s4, 0x7f800000, v8
	v_fmaak_f32 v20, v20, v21, 0x3f2aaada
	v_ldexp_f32 v21, v18, 1
	v_sub_f32_e32 v18, v18, v19
	v_mul_f32_e32 v20, v22, v20
	v_mul_f32_e32 v22, 0x3f317218, v17
	v_sub_f32_e32 v11, v11, v18
	v_add_f32_e32 v19, v21, v20
	v_ldexp_f32 v11, v11, 1
	v_sub_f32_e32 v18, v19, v21
	v_fma_f32 v21, 0x3f317218, v17, -v22
	v_sub_f32_e32 v18, v20, v18
	v_fmamk_f32 v17, v17, 0xb102e308, v21
	v_add_f32_e32 v11, v11, v18
	v_add_f32_e32 v18, v22, v17
	;; [unrolled: 1-line block ×3, first 2 shown]
	v_sub_f32_e32 v22, v18, v22
	v_add_f32_e32 v21, v18, v20
	v_sub_f32_e32 v19, v20, v19
	v_sub_f32_e32 v17, v17, v22
	;; [unrolled: 1-line block ×6, first 2 shown]
	v_add_f32_e32 v20, v17, v11
	v_sub_f32_e32 v18, v18, v24
	v_add_f32_e32 v18, v19, v18
	v_sub_f32_e32 v19, v20, v17
	;; [unrolled: 2-line block ×3, first 2 shown]
	v_sub_f32_e32 v11, v11, v19
	v_add_f32_e32 v22, v21, v18
	v_sub_f32_e32 v17, v17, v20
	v_sub_f32_e32 v19, v22, v21
	v_add_f32_e32 v11, v11, v17
	v_sub_f32_e32 v17, v18, v19
	v_add_f32_e32 v11, v11, v17
	v_add_f32_e32 v11, v22, v11
	v_cndmask_b32_e64 v11, 0x7f800000, v11, s4
	v_cmp_gt_f32_e64 s4, 0x33800000, |v8|
	v_cndmask_b32_e64 v8, v11, v8, s4
	v_add_f32_e32 v8, v16, v8
	v_cvt_f16_f32_e32 v18, v8
	v_cvt_f32_f16_e32 v8, v18
	v_mov_b32_e32 v11, v18
.LBB395_84:
	s_or_b32 exec_lo, exec_lo, s5
	v_max_f32_e32 v16, v2, v2
	v_max_f32_e32 v17, v8, v8
	v_cmp_u_f16_e64 s4, v18, v18
	v_min_f32_e32 v19, v17, v16
	v_max_f32_e32 v16, v17, v16
	v_cndmask_b32_e64 v17, v19, v8, s4
	v_cndmask_b32_e64 v16, v16, v8, s4
	;; [unrolled: 1-line block ×4, first 2 shown]
	v_mov_b32_e32 v2, v11
	v_cmp_class_f32_e64 s5, v17, 0x1f8
	v_cmp_neq_f32_e64 s4, v17, v16
	s_or_b32 s4, s4, s5
	s_and_saveexec_b32 s5, s4
	s_cbranch_execz .LBB395_86
; %bb.85:
	v_sub_f32_e32 v2, v17, v16
	v_mul_f32_e32 v8, 0x3fb8aa3b, v2
	v_cmp_ngt_f32_e64 s4, 0xc2ce8ed0, v2
	v_fma_f32 v17, 0x3fb8aa3b, v2, -v8
	v_rndne_f32_e32 v18, v8
	v_fmamk_f32 v17, v2, 0x32a5705f, v17
	v_sub_f32_e32 v8, v8, v18
	v_add_f32_e32 v8, v8, v17
	v_cvt_i32_f32_e32 v17, v18
	v_exp_f32_e32 v8, v8
	v_ldexp_f32 v8, v8, v17
	v_cndmask_b32_e64 v8, 0, v8, s4
	v_cmp_nlt_f32_e64 s4, 0x42b17218, v2
	v_cndmask_b32_e64 v2, 0x7f800000, v8, s4
	v_add_f32_e32 v8, 1.0, v2
	v_cvt_f64_f32_e32 v[17:18], v8
	v_frexp_exp_i32_f64_e32 v17, v[17:18]
	v_frexp_mant_f32_e32 v18, v8
	v_cmp_gt_f32_e64 s4, 0x3f2aaaab, v18
	v_add_f32_e32 v18, -1.0, v8
	v_sub_f32_e32 v20, v18, v8
	v_sub_f32_e32 v18, v2, v18
	v_add_f32_e32 v20, 1.0, v20
	v_add_f32_e32 v18, v18, v20
	v_subrev_co_ci_u32_e64 v17, null, 0, v17, s4
	s_mov_b32 s4, 0x3e9b6dac
	v_sub_nc_u32_e32 v19, 0, v17
	v_cvt_f32_i32_e32 v17, v17
	v_ldexp_f32 v8, v8, v19
	v_ldexp_f32 v18, v18, v19
	v_add_f32_e32 v21, 1.0, v8
	v_add_f32_e32 v19, -1.0, v8
	v_add_f32_e32 v20, -1.0, v21
	v_add_f32_e32 v22, 1.0, v19
	v_sub_f32_e32 v20, v8, v20
	v_sub_f32_e32 v8, v8, v22
	v_add_f32_e32 v20, v18, v20
	v_add_f32_e32 v8, v18, v8
	v_add_f32_e32 v22, v21, v20
	v_add_f32_e32 v23, v19, v8
	v_rcp_f32_e32 v18, v22
	v_sub_f32_e32 v21, v21, v22
	v_sub_f32_e32 v19, v19, v23
	v_add_f32_e32 v20, v20, v21
	v_add_f32_e32 v8, v8, v19
	v_mul_f32_e32 v24, v23, v18
	v_mul_f32_e32 v25, v22, v24
	v_fma_f32 v21, v24, v22, -v25
	v_fmac_f32_e32 v21, v24, v20
	v_add_f32_e32 v26, v25, v21
	v_sub_f32_e32 v27, v23, v26
	v_sub_f32_e32 v19, v26, v25
	;; [unrolled: 1-line block ×5, first 2 shown]
	v_add_f32_e32 v8, v8, v23
	v_add_f32_e32 v8, v19, v8
	;; [unrolled: 1-line block ×3, first 2 shown]
	v_mul_f32_e32 v21, v18, v19
	v_sub_f32_e32 v26, v27, v19
	v_mul_f32_e32 v23, v22, v21
	v_add_f32_e32 v8, v8, v26
	v_fma_f32 v22, v21, v22, -v23
	v_fmac_f32_e32 v22, v21, v20
	v_add_f32_e32 v20, v23, v22
	v_sub_f32_e32 v25, v19, v20
	v_sub_f32_e32 v23, v20, v23
	;; [unrolled: 1-line block ×5, first 2 shown]
	v_add_f32_e32 v8, v8, v19
	v_add_f32_e32 v19, v24, v21
	;; [unrolled: 1-line block ×3, first 2 shown]
	v_sub_f32_e32 v20, v19, v24
	v_add_f32_e32 v8, v25, v8
	v_sub_f32_e32 v20, v21, v20
	v_mul_f32_e32 v8, v18, v8
	v_add_f32_e32 v8, v20, v8
	v_add_f32_e32 v18, v19, v8
	v_mul_f32_e32 v20, v18, v18
	v_fmaak_f32 v21, s4, v20, 0x3ecc95a3
	v_mul_f32_e32 v22, v18, v20
	v_cmp_neq_f32_e64 s4, 0x7f800000, v2
	v_fmaak_f32 v20, v20, v21, 0x3f2aaada
	v_ldexp_f32 v21, v18, 1
	v_sub_f32_e32 v18, v18, v19
	v_mul_f32_e32 v20, v22, v20
	v_mul_f32_e32 v22, 0x3f317218, v17
	v_sub_f32_e32 v8, v8, v18
	v_add_f32_e32 v19, v21, v20
	v_ldexp_f32 v8, v8, 1
	v_sub_f32_e32 v18, v19, v21
	v_fma_f32 v21, 0x3f317218, v17, -v22
	v_sub_f32_e32 v18, v20, v18
	v_fmamk_f32 v17, v17, 0xb102e308, v21
	v_add_f32_e32 v8, v8, v18
	v_add_f32_e32 v18, v22, v17
	v_add_f32_e32 v20, v19, v8
	v_sub_f32_e32 v22, v18, v22
	v_add_f32_e32 v21, v18, v20
	v_sub_f32_e32 v19, v20, v19
	v_sub_f32_e32 v17, v17, v22
	;; [unrolled: 1-line block ×6, first 2 shown]
	v_add_f32_e32 v20, v17, v8
	v_sub_f32_e32 v18, v18, v24
	v_add_f32_e32 v18, v19, v18
	v_sub_f32_e32 v19, v20, v17
	v_add_f32_e32 v18, v20, v18
	v_sub_f32_e32 v20, v20, v19
	v_sub_f32_e32 v8, v8, v19
	v_add_f32_e32 v22, v21, v18
	v_sub_f32_e32 v17, v17, v20
	v_sub_f32_e32 v19, v22, v21
	v_add_f32_e32 v8, v8, v17
	v_sub_f32_e32 v17, v18, v19
	v_add_f32_e32 v8, v8, v17
	v_add_f32_e32 v8, v22, v8
	v_cndmask_b32_e64 v8, 0x7f800000, v8, s4
	v_cmp_gt_f32_e64 s4, 0x33800000, |v2|
	v_cndmask_b32_e64 v2, v8, v2, s4
	v_add_f32_e32 v2, v16, v2
	v_cvt_f16_f32_e32 v18, v2
	v_cvt_f32_f16_e32 v8, v18
	v_mov_b32_e32 v2, v18
.LBB395_86:
	s_or_b32 exec_lo, exec_lo, s5
	v_max_f32_e32 v16, v12, v12
	v_max_f32_e32 v17, v8, v8
	v_cmp_u_f16_e64 s4, v18, v18
	v_min_f32_e32 v19, v17, v16
	v_max_f32_e32 v16, v17, v16
	v_cndmask_b32_e64 v17, v19, v8, s4
	v_cndmask_b32_e64 v16, v16, v8, s4
	;; [unrolled: 1-line block ×4, first 2 shown]
	v_mov_b32_e32 v12, v2
	v_cmp_class_f32_e64 s5, v17, 0x1f8
	v_cmp_neq_f32_e64 s4, v17, v16
	s_or_b32 s4, s4, s5
	s_and_saveexec_b32 s5, s4
	s_cbranch_execz .LBB395_88
; %bb.87:
	v_sub_f32_e32 v8, v17, v16
	v_mul_f32_e32 v12, 0x3fb8aa3b, v8
	v_cmp_ngt_f32_e64 s4, 0xc2ce8ed0, v8
	v_fma_f32 v17, 0x3fb8aa3b, v8, -v12
	v_rndne_f32_e32 v18, v12
	v_fmamk_f32 v17, v8, 0x32a5705f, v17
	v_sub_f32_e32 v12, v12, v18
	v_add_f32_e32 v12, v12, v17
	v_cvt_i32_f32_e32 v17, v18
	v_exp_f32_e32 v12, v12
	v_ldexp_f32 v12, v12, v17
	v_cndmask_b32_e64 v12, 0, v12, s4
	v_cmp_nlt_f32_e64 s4, 0x42b17218, v8
	v_cndmask_b32_e64 v8, 0x7f800000, v12, s4
	v_add_f32_e32 v12, 1.0, v8
	v_cvt_f64_f32_e32 v[17:18], v12
	v_frexp_exp_i32_f64_e32 v17, v[17:18]
	v_frexp_mant_f32_e32 v18, v12
	v_cmp_gt_f32_e64 s4, 0x3f2aaaab, v18
	v_add_f32_e32 v18, -1.0, v12
	v_sub_f32_e32 v20, v18, v12
	v_sub_f32_e32 v18, v8, v18
	v_add_f32_e32 v20, 1.0, v20
	v_add_f32_e32 v18, v18, v20
	v_subrev_co_ci_u32_e64 v17, null, 0, v17, s4
	s_mov_b32 s4, 0x3e9b6dac
	v_sub_nc_u32_e32 v19, 0, v17
	v_cvt_f32_i32_e32 v17, v17
	v_ldexp_f32 v12, v12, v19
	v_ldexp_f32 v18, v18, v19
	v_add_f32_e32 v21, 1.0, v12
	v_add_f32_e32 v19, -1.0, v12
	v_add_f32_e32 v20, -1.0, v21
	v_add_f32_e32 v22, 1.0, v19
	v_sub_f32_e32 v20, v12, v20
	v_sub_f32_e32 v12, v12, v22
	v_add_f32_e32 v20, v18, v20
	v_add_f32_e32 v12, v18, v12
	;; [unrolled: 1-line block ×4, first 2 shown]
	v_rcp_f32_e32 v18, v22
	v_sub_f32_e32 v21, v21, v22
	v_sub_f32_e32 v19, v19, v23
	v_add_f32_e32 v20, v20, v21
	v_add_f32_e32 v12, v12, v19
	v_mul_f32_e32 v24, v23, v18
	v_mul_f32_e32 v25, v22, v24
	v_fma_f32 v21, v24, v22, -v25
	v_fmac_f32_e32 v21, v24, v20
	v_add_f32_e32 v26, v25, v21
	v_sub_f32_e32 v27, v23, v26
	v_sub_f32_e32 v19, v26, v25
	;; [unrolled: 1-line block ×5, first 2 shown]
	v_add_f32_e32 v12, v12, v23
	v_add_f32_e32 v12, v19, v12
	;; [unrolled: 1-line block ×3, first 2 shown]
	v_mul_f32_e32 v21, v18, v19
	v_sub_f32_e32 v26, v27, v19
	v_mul_f32_e32 v23, v22, v21
	v_add_f32_e32 v12, v12, v26
	v_fma_f32 v22, v21, v22, -v23
	v_fmac_f32_e32 v22, v21, v20
	v_add_f32_e32 v20, v23, v22
	v_sub_f32_e32 v25, v19, v20
	v_sub_f32_e32 v23, v20, v23
	;; [unrolled: 1-line block ×5, first 2 shown]
	v_add_f32_e32 v12, v12, v19
	v_add_f32_e32 v19, v24, v21
	;; [unrolled: 1-line block ×3, first 2 shown]
	v_sub_f32_e32 v20, v19, v24
	v_add_f32_e32 v12, v25, v12
	v_sub_f32_e32 v20, v21, v20
	v_mul_f32_e32 v12, v18, v12
	v_add_f32_e32 v12, v20, v12
	v_add_f32_e32 v18, v19, v12
	v_mul_f32_e32 v20, v18, v18
	v_fmaak_f32 v21, s4, v20, 0x3ecc95a3
	v_mul_f32_e32 v22, v18, v20
	v_cmp_neq_f32_e64 s4, 0x7f800000, v8
	v_fmaak_f32 v20, v20, v21, 0x3f2aaada
	v_ldexp_f32 v21, v18, 1
	v_sub_f32_e32 v18, v18, v19
	v_mul_f32_e32 v20, v22, v20
	v_mul_f32_e32 v22, 0x3f317218, v17
	v_sub_f32_e32 v12, v12, v18
	v_add_f32_e32 v19, v21, v20
	v_ldexp_f32 v12, v12, 1
	v_sub_f32_e32 v18, v19, v21
	v_fma_f32 v21, 0x3f317218, v17, -v22
	v_sub_f32_e32 v18, v20, v18
	v_fmamk_f32 v17, v17, 0xb102e308, v21
	v_add_f32_e32 v12, v12, v18
	v_add_f32_e32 v18, v22, v17
	;; [unrolled: 1-line block ×3, first 2 shown]
	v_sub_f32_e32 v22, v18, v22
	v_add_f32_e32 v21, v18, v20
	v_sub_f32_e32 v19, v20, v19
	v_sub_f32_e32 v17, v17, v22
	;; [unrolled: 1-line block ×6, first 2 shown]
	v_add_f32_e32 v20, v17, v12
	v_sub_f32_e32 v18, v18, v24
	v_add_f32_e32 v18, v19, v18
	v_sub_f32_e32 v19, v20, v17
	;; [unrolled: 2-line block ×3, first 2 shown]
	v_sub_f32_e32 v12, v12, v19
	v_add_f32_e32 v22, v21, v18
	v_sub_f32_e32 v17, v17, v20
	v_sub_f32_e32 v19, v22, v21
	v_add_f32_e32 v12, v12, v17
	v_sub_f32_e32 v17, v18, v19
	v_add_f32_e32 v12, v12, v17
	v_add_f32_e32 v12, v22, v12
	v_cndmask_b32_e64 v12, 0x7f800000, v12, s4
	v_cmp_gt_f32_e64 s4, 0x33800000, |v8|
	v_cndmask_b32_e64 v8, v12, v8, s4
	v_add_f32_e32 v8, v16, v8
	v_cvt_f16_f32_e32 v18, v8
	v_cvt_f32_f16_e32 v8, v18
	v_mov_b32_e32 v12, v18
.LBB395_88:
	s_or_b32 exec_lo, exec_lo, s5
	v_max_f32_e32 v16, v3, v3
	v_max_f32_e32 v17, v8, v8
	v_cmp_u_f16_e64 s4, v18, v18
	v_min_f32_e32 v19, v17, v16
	v_max_f32_e32 v16, v17, v16
	v_cndmask_b32_e64 v17, v19, v8, s4
	v_cndmask_b32_e64 v16, v16, v8, s4
	;; [unrolled: 1-line block ×4, first 2 shown]
	v_mov_b32_e32 v3, v12
	v_cmp_class_f32_e64 s5, v17, 0x1f8
	v_cmp_neq_f32_e64 s4, v17, v16
	s_or_b32 s4, s4, s5
	s_and_saveexec_b32 s5, s4
	s_cbranch_execz .LBB395_90
; %bb.89:
	v_sub_f32_e32 v3, v17, v16
	v_mul_f32_e32 v8, 0x3fb8aa3b, v3
	v_cmp_ngt_f32_e64 s4, 0xc2ce8ed0, v3
	v_fma_f32 v17, 0x3fb8aa3b, v3, -v8
	v_rndne_f32_e32 v18, v8
	v_fmamk_f32 v17, v3, 0x32a5705f, v17
	v_sub_f32_e32 v8, v8, v18
	v_add_f32_e32 v8, v8, v17
	v_cvt_i32_f32_e32 v17, v18
	v_exp_f32_e32 v8, v8
	v_ldexp_f32 v8, v8, v17
	v_cndmask_b32_e64 v8, 0, v8, s4
	v_cmp_nlt_f32_e64 s4, 0x42b17218, v3
	v_cndmask_b32_e64 v3, 0x7f800000, v8, s4
	v_add_f32_e32 v8, 1.0, v3
	v_cvt_f64_f32_e32 v[17:18], v8
	v_frexp_exp_i32_f64_e32 v17, v[17:18]
	v_frexp_mant_f32_e32 v18, v8
	v_cmp_gt_f32_e64 s4, 0x3f2aaaab, v18
	v_add_f32_e32 v18, -1.0, v8
	v_sub_f32_e32 v20, v18, v8
	v_sub_f32_e32 v18, v3, v18
	v_add_f32_e32 v20, 1.0, v20
	v_add_f32_e32 v18, v18, v20
	v_subrev_co_ci_u32_e64 v17, null, 0, v17, s4
	s_mov_b32 s4, 0x3e9b6dac
	v_sub_nc_u32_e32 v19, 0, v17
	v_cvt_f32_i32_e32 v17, v17
	v_ldexp_f32 v8, v8, v19
	v_ldexp_f32 v18, v18, v19
	v_add_f32_e32 v21, 1.0, v8
	v_add_f32_e32 v19, -1.0, v8
	v_add_f32_e32 v20, -1.0, v21
	v_add_f32_e32 v22, 1.0, v19
	v_sub_f32_e32 v20, v8, v20
	v_sub_f32_e32 v8, v8, v22
	v_add_f32_e32 v20, v18, v20
	v_add_f32_e32 v8, v18, v8
	;; [unrolled: 1-line block ×4, first 2 shown]
	v_rcp_f32_e32 v18, v22
	v_sub_f32_e32 v21, v21, v22
	v_sub_f32_e32 v19, v19, v23
	v_add_f32_e32 v20, v20, v21
	v_add_f32_e32 v8, v8, v19
	v_mul_f32_e32 v24, v23, v18
	v_mul_f32_e32 v25, v22, v24
	v_fma_f32 v21, v24, v22, -v25
	v_fmac_f32_e32 v21, v24, v20
	v_add_f32_e32 v26, v25, v21
	v_sub_f32_e32 v27, v23, v26
	v_sub_f32_e32 v19, v26, v25
	;; [unrolled: 1-line block ×5, first 2 shown]
	v_add_f32_e32 v8, v8, v23
	v_add_f32_e32 v8, v19, v8
	;; [unrolled: 1-line block ×3, first 2 shown]
	v_mul_f32_e32 v21, v18, v19
	v_sub_f32_e32 v26, v27, v19
	v_mul_f32_e32 v23, v22, v21
	v_add_f32_e32 v8, v8, v26
	v_fma_f32 v22, v21, v22, -v23
	v_fmac_f32_e32 v22, v21, v20
	v_add_f32_e32 v20, v23, v22
	v_sub_f32_e32 v25, v19, v20
	v_sub_f32_e32 v23, v20, v23
	;; [unrolled: 1-line block ×5, first 2 shown]
	v_add_f32_e32 v8, v8, v19
	v_add_f32_e32 v19, v24, v21
	;; [unrolled: 1-line block ×3, first 2 shown]
	v_sub_f32_e32 v20, v19, v24
	v_add_f32_e32 v8, v25, v8
	v_sub_f32_e32 v20, v21, v20
	v_mul_f32_e32 v8, v18, v8
	v_add_f32_e32 v8, v20, v8
	v_add_f32_e32 v18, v19, v8
	v_mul_f32_e32 v20, v18, v18
	v_fmaak_f32 v21, s4, v20, 0x3ecc95a3
	v_mul_f32_e32 v22, v18, v20
	v_cmp_neq_f32_e64 s4, 0x7f800000, v3
	v_fmaak_f32 v20, v20, v21, 0x3f2aaada
	v_ldexp_f32 v21, v18, 1
	v_sub_f32_e32 v18, v18, v19
	v_mul_f32_e32 v20, v22, v20
	v_mul_f32_e32 v22, 0x3f317218, v17
	v_sub_f32_e32 v8, v8, v18
	v_add_f32_e32 v19, v21, v20
	v_ldexp_f32 v8, v8, 1
	v_sub_f32_e32 v18, v19, v21
	v_fma_f32 v21, 0x3f317218, v17, -v22
	v_sub_f32_e32 v18, v20, v18
	v_fmamk_f32 v17, v17, 0xb102e308, v21
	v_add_f32_e32 v8, v8, v18
	v_add_f32_e32 v18, v22, v17
	;; [unrolled: 1-line block ×3, first 2 shown]
	v_sub_f32_e32 v22, v18, v22
	v_add_f32_e32 v21, v18, v20
	v_sub_f32_e32 v19, v20, v19
	v_sub_f32_e32 v17, v17, v22
	;; [unrolled: 1-line block ×6, first 2 shown]
	v_add_f32_e32 v20, v17, v8
	v_sub_f32_e32 v18, v18, v24
	v_add_f32_e32 v18, v19, v18
	v_sub_f32_e32 v19, v20, v17
	;; [unrolled: 2-line block ×3, first 2 shown]
	v_sub_f32_e32 v8, v8, v19
	v_add_f32_e32 v22, v21, v18
	v_sub_f32_e32 v17, v17, v20
	v_sub_f32_e32 v19, v22, v21
	v_add_f32_e32 v8, v8, v17
	v_sub_f32_e32 v17, v18, v19
	v_add_f32_e32 v8, v8, v17
	v_add_f32_e32 v8, v22, v8
	v_cndmask_b32_e64 v8, 0x7f800000, v8, s4
	v_cmp_gt_f32_e64 s4, 0x33800000, |v3|
	v_cndmask_b32_e64 v3, v8, v3, s4
	v_add_f32_e32 v3, v16, v3
	v_cvt_f16_f32_e32 v18, v3
	v_cvt_f32_f16_e32 v8, v18
	v_mov_b32_e32 v3, v18
.LBB395_90:
	s_or_b32 exec_lo, exec_lo, s5
	v_max_f32_e32 v16, v13, v13
	v_max_f32_e32 v17, v8, v8
	v_cmp_u_f16_e64 s4, v18, v18
	v_min_f32_e32 v19, v17, v16
	v_max_f32_e32 v16, v17, v16
	v_cndmask_b32_e64 v17, v19, v8, s4
	v_cndmask_b32_e64 v16, v16, v8, s4
	;; [unrolled: 1-line block ×4, first 2 shown]
	v_mov_b32_e32 v13, v3
	v_cmp_class_f32_e64 s5, v17, 0x1f8
	v_cmp_neq_f32_e64 s4, v17, v16
	s_or_b32 s4, s4, s5
	s_and_saveexec_b32 s5, s4
	s_cbranch_execz .LBB395_92
; %bb.91:
	v_sub_f32_e32 v8, v17, v16
	v_mul_f32_e32 v13, 0x3fb8aa3b, v8
	v_cmp_ngt_f32_e64 s4, 0xc2ce8ed0, v8
	v_fma_f32 v17, 0x3fb8aa3b, v8, -v13
	v_rndne_f32_e32 v18, v13
	v_fmamk_f32 v17, v8, 0x32a5705f, v17
	v_sub_f32_e32 v13, v13, v18
	v_add_f32_e32 v13, v13, v17
	v_cvt_i32_f32_e32 v17, v18
	v_exp_f32_e32 v13, v13
	v_ldexp_f32 v13, v13, v17
	v_cndmask_b32_e64 v13, 0, v13, s4
	v_cmp_nlt_f32_e64 s4, 0x42b17218, v8
	v_cndmask_b32_e64 v8, 0x7f800000, v13, s4
	v_add_f32_e32 v13, 1.0, v8
	v_cvt_f64_f32_e32 v[17:18], v13
	v_frexp_exp_i32_f64_e32 v17, v[17:18]
	v_frexp_mant_f32_e32 v18, v13
	v_cmp_gt_f32_e64 s4, 0x3f2aaaab, v18
	v_add_f32_e32 v18, -1.0, v13
	v_sub_f32_e32 v20, v18, v13
	v_sub_f32_e32 v18, v8, v18
	v_add_f32_e32 v20, 1.0, v20
	v_add_f32_e32 v18, v18, v20
	v_subrev_co_ci_u32_e64 v17, null, 0, v17, s4
	s_mov_b32 s4, 0x3e9b6dac
	v_sub_nc_u32_e32 v19, 0, v17
	v_cvt_f32_i32_e32 v17, v17
	v_ldexp_f32 v13, v13, v19
	v_ldexp_f32 v18, v18, v19
	v_add_f32_e32 v21, 1.0, v13
	v_add_f32_e32 v19, -1.0, v13
	v_add_f32_e32 v20, -1.0, v21
	v_add_f32_e32 v22, 1.0, v19
	v_sub_f32_e32 v20, v13, v20
	v_sub_f32_e32 v13, v13, v22
	v_add_f32_e32 v20, v18, v20
	v_add_f32_e32 v13, v18, v13
	;; [unrolled: 1-line block ×4, first 2 shown]
	v_rcp_f32_e32 v18, v22
	v_sub_f32_e32 v21, v21, v22
	v_sub_f32_e32 v19, v19, v23
	v_add_f32_e32 v20, v20, v21
	v_add_f32_e32 v13, v13, v19
	v_mul_f32_e32 v24, v23, v18
	v_mul_f32_e32 v25, v22, v24
	v_fma_f32 v21, v24, v22, -v25
	v_fmac_f32_e32 v21, v24, v20
	v_add_f32_e32 v26, v25, v21
	v_sub_f32_e32 v27, v23, v26
	v_sub_f32_e32 v19, v26, v25
	;; [unrolled: 1-line block ×5, first 2 shown]
	v_add_f32_e32 v13, v13, v23
	v_add_f32_e32 v13, v19, v13
	;; [unrolled: 1-line block ×3, first 2 shown]
	v_mul_f32_e32 v21, v18, v19
	v_sub_f32_e32 v26, v27, v19
	v_mul_f32_e32 v23, v22, v21
	v_add_f32_e32 v13, v13, v26
	v_fma_f32 v22, v21, v22, -v23
	v_fmac_f32_e32 v22, v21, v20
	v_add_f32_e32 v20, v23, v22
	v_sub_f32_e32 v25, v19, v20
	v_sub_f32_e32 v23, v20, v23
	v_sub_f32_e32 v19, v19, v25
	v_sub_f32_e32 v19, v19, v20
	v_sub_f32_e32 v20, v23, v22
	v_add_f32_e32 v13, v13, v19
	v_add_f32_e32 v19, v24, v21
	;; [unrolled: 1-line block ×3, first 2 shown]
	v_sub_f32_e32 v20, v19, v24
	v_add_f32_e32 v13, v25, v13
	v_sub_f32_e32 v20, v21, v20
	v_mul_f32_e32 v13, v18, v13
	v_add_f32_e32 v13, v20, v13
	v_add_f32_e32 v18, v19, v13
	v_mul_f32_e32 v20, v18, v18
	v_fmaak_f32 v21, s4, v20, 0x3ecc95a3
	v_mul_f32_e32 v22, v18, v20
	v_cmp_neq_f32_e64 s4, 0x7f800000, v8
	v_fmaak_f32 v20, v20, v21, 0x3f2aaada
	v_ldexp_f32 v21, v18, 1
	v_sub_f32_e32 v18, v18, v19
	v_mul_f32_e32 v20, v22, v20
	v_mul_f32_e32 v22, 0x3f317218, v17
	v_sub_f32_e32 v13, v13, v18
	v_add_f32_e32 v19, v21, v20
	v_ldexp_f32 v13, v13, 1
	v_sub_f32_e32 v18, v19, v21
	v_fma_f32 v21, 0x3f317218, v17, -v22
	v_sub_f32_e32 v18, v20, v18
	v_fmamk_f32 v17, v17, 0xb102e308, v21
	v_add_f32_e32 v13, v13, v18
	v_add_f32_e32 v18, v22, v17
	;; [unrolled: 1-line block ×3, first 2 shown]
	v_sub_f32_e32 v22, v18, v22
	v_add_f32_e32 v21, v18, v20
	v_sub_f32_e32 v19, v20, v19
	v_sub_f32_e32 v17, v17, v22
	;; [unrolled: 1-line block ×6, first 2 shown]
	v_add_f32_e32 v20, v17, v13
	v_sub_f32_e32 v18, v18, v24
	v_add_f32_e32 v18, v19, v18
	v_sub_f32_e32 v19, v20, v17
	v_add_f32_e32 v18, v20, v18
	v_sub_f32_e32 v20, v20, v19
	v_sub_f32_e32 v13, v13, v19
	v_add_f32_e32 v22, v21, v18
	v_sub_f32_e32 v17, v17, v20
	v_sub_f32_e32 v19, v22, v21
	v_add_f32_e32 v13, v13, v17
	v_sub_f32_e32 v17, v18, v19
	v_add_f32_e32 v13, v13, v17
	v_add_f32_e32 v13, v22, v13
	v_cndmask_b32_e64 v13, 0x7f800000, v13, s4
	v_cmp_gt_f32_e64 s4, 0x33800000, |v8|
	v_cndmask_b32_e64 v8, v13, v8, s4
	v_add_f32_e32 v8, v16, v8
	v_cvt_f16_f32_e32 v18, v8
	v_cvt_f32_f16_e32 v8, v18
	v_mov_b32_e32 v13, v18
.LBB395_92:
	s_or_b32 exec_lo, exec_lo, s5
	v_max_f32_e32 v16, v4, v4
	v_max_f32_e32 v17, v8, v8
	v_cmp_u_f16_e64 s4, v18, v18
	v_min_f32_e32 v19, v17, v16
	v_max_f32_e32 v16, v17, v16
	v_cndmask_b32_e64 v17, v19, v8, s4
	v_cndmask_b32_e64 v16, v16, v8, s4
	;; [unrolled: 1-line block ×4, first 2 shown]
	v_mov_b32_e32 v4, v13
	v_cmp_class_f32_e64 s5, v17, 0x1f8
	v_cmp_neq_f32_e64 s4, v17, v16
	s_or_b32 s4, s4, s5
	s_and_saveexec_b32 s5, s4
	s_cbranch_execz .LBB395_94
; %bb.93:
	v_sub_f32_e32 v4, v17, v16
	v_mul_f32_e32 v8, 0x3fb8aa3b, v4
	v_cmp_ngt_f32_e64 s4, 0xc2ce8ed0, v4
	v_fma_f32 v17, 0x3fb8aa3b, v4, -v8
	v_rndne_f32_e32 v18, v8
	v_fmamk_f32 v17, v4, 0x32a5705f, v17
	v_sub_f32_e32 v8, v8, v18
	v_add_f32_e32 v8, v8, v17
	v_cvt_i32_f32_e32 v17, v18
	v_exp_f32_e32 v8, v8
	v_ldexp_f32 v8, v8, v17
	v_cndmask_b32_e64 v8, 0, v8, s4
	v_cmp_nlt_f32_e64 s4, 0x42b17218, v4
	v_cndmask_b32_e64 v4, 0x7f800000, v8, s4
	v_add_f32_e32 v8, 1.0, v4
	v_cvt_f64_f32_e32 v[17:18], v8
	v_frexp_exp_i32_f64_e32 v17, v[17:18]
	v_frexp_mant_f32_e32 v18, v8
	v_cmp_gt_f32_e64 s4, 0x3f2aaaab, v18
	v_add_f32_e32 v18, -1.0, v8
	v_sub_f32_e32 v20, v18, v8
	v_sub_f32_e32 v18, v4, v18
	v_add_f32_e32 v20, 1.0, v20
	v_add_f32_e32 v18, v18, v20
	v_subrev_co_ci_u32_e64 v17, null, 0, v17, s4
	s_mov_b32 s4, 0x3e9b6dac
	v_sub_nc_u32_e32 v19, 0, v17
	v_cvt_f32_i32_e32 v17, v17
	v_ldexp_f32 v8, v8, v19
	v_ldexp_f32 v18, v18, v19
	v_add_f32_e32 v21, 1.0, v8
	v_add_f32_e32 v19, -1.0, v8
	v_add_f32_e32 v20, -1.0, v21
	v_add_f32_e32 v22, 1.0, v19
	v_sub_f32_e32 v20, v8, v20
	v_sub_f32_e32 v8, v8, v22
	v_add_f32_e32 v20, v18, v20
	v_add_f32_e32 v8, v18, v8
	v_add_f32_e32 v22, v21, v20
	v_add_f32_e32 v23, v19, v8
	v_rcp_f32_e32 v18, v22
	v_sub_f32_e32 v21, v21, v22
	v_sub_f32_e32 v19, v19, v23
	v_add_f32_e32 v20, v20, v21
	v_add_f32_e32 v8, v8, v19
	v_mul_f32_e32 v24, v23, v18
	v_mul_f32_e32 v25, v22, v24
	v_fma_f32 v21, v24, v22, -v25
	v_fmac_f32_e32 v21, v24, v20
	v_add_f32_e32 v26, v25, v21
	v_sub_f32_e32 v27, v23, v26
	v_sub_f32_e32 v19, v26, v25
	;; [unrolled: 1-line block ×5, first 2 shown]
	v_add_f32_e32 v8, v8, v23
	v_add_f32_e32 v8, v19, v8
	v_add_f32_e32 v19, v27, v8
	v_mul_f32_e32 v21, v18, v19
	v_sub_f32_e32 v26, v27, v19
	v_mul_f32_e32 v23, v22, v21
	v_add_f32_e32 v8, v8, v26
	v_fma_f32 v22, v21, v22, -v23
	v_fmac_f32_e32 v22, v21, v20
	v_add_f32_e32 v20, v23, v22
	v_sub_f32_e32 v25, v19, v20
	v_sub_f32_e32 v23, v20, v23
	;; [unrolled: 1-line block ×5, first 2 shown]
	v_add_f32_e32 v8, v8, v19
	v_add_f32_e32 v19, v24, v21
	;; [unrolled: 1-line block ×3, first 2 shown]
	v_sub_f32_e32 v20, v19, v24
	v_add_f32_e32 v8, v25, v8
	v_sub_f32_e32 v20, v21, v20
	v_mul_f32_e32 v8, v18, v8
	v_add_f32_e32 v8, v20, v8
	v_add_f32_e32 v18, v19, v8
	v_mul_f32_e32 v20, v18, v18
	v_fmaak_f32 v21, s4, v20, 0x3ecc95a3
	v_mul_f32_e32 v22, v18, v20
	v_cmp_neq_f32_e64 s4, 0x7f800000, v4
	v_fmaak_f32 v20, v20, v21, 0x3f2aaada
	v_ldexp_f32 v21, v18, 1
	v_sub_f32_e32 v18, v18, v19
	v_mul_f32_e32 v20, v22, v20
	v_mul_f32_e32 v22, 0x3f317218, v17
	v_sub_f32_e32 v8, v8, v18
	v_add_f32_e32 v19, v21, v20
	v_ldexp_f32 v8, v8, 1
	v_sub_f32_e32 v18, v19, v21
	v_fma_f32 v21, 0x3f317218, v17, -v22
	v_sub_f32_e32 v18, v20, v18
	v_fmamk_f32 v17, v17, 0xb102e308, v21
	v_add_f32_e32 v8, v8, v18
	v_add_f32_e32 v18, v22, v17
	;; [unrolled: 1-line block ×3, first 2 shown]
	v_sub_f32_e32 v22, v18, v22
	v_add_f32_e32 v21, v18, v20
	v_sub_f32_e32 v19, v20, v19
	v_sub_f32_e32 v17, v17, v22
	v_sub_f32_e32 v23, v21, v18
	v_sub_f32_e32 v8, v8, v19
	v_sub_f32_e32 v24, v21, v23
	v_sub_f32_e32 v19, v20, v23
	v_add_f32_e32 v20, v17, v8
	v_sub_f32_e32 v18, v18, v24
	v_add_f32_e32 v18, v19, v18
	v_sub_f32_e32 v19, v20, v17
	v_add_f32_e32 v18, v20, v18
	v_sub_f32_e32 v20, v20, v19
	v_sub_f32_e32 v8, v8, v19
	v_add_f32_e32 v22, v21, v18
	v_sub_f32_e32 v17, v17, v20
	v_sub_f32_e32 v19, v22, v21
	v_add_f32_e32 v8, v8, v17
	v_sub_f32_e32 v17, v18, v19
	v_add_f32_e32 v8, v8, v17
	v_add_f32_e32 v8, v22, v8
	v_cndmask_b32_e64 v8, 0x7f800000, v8, s4
	v_cmp_gt_f32_e64 s4, 0x33800000, |v4|
	v_cndmask_b32_e64 v4, v8, v4, s4
	v_add_f32_e32 v4, v16, v4
	v_cvt_f16_f32_e32 v18, v4
	v_cvt_f32_f16_e32 v8, v18
	v_mov_b32_e32 v4, v18
.LBB395_94:
	s_or_b32 exec_lo, exec_lo, s5
	v_max_f32_e32 v16, v14, v14
	v_max_f32_e32 v17, v8, v8
	v_cmp_u_f16_e64 s4, v18, v18
	v_min_f32_e32 v19, v17, v16
	v_max_f32_e32 v16, v17, v16
	v_cndmask_b32_e64 v17, v19, v8, s4
	v_cndmask_b32_e64 v16, v16, v8, s4
	;; [unrolled: 1-line block ×4, first 2 shown]
	v_mov_b32_e32 v14, v4
	v_cmp_class_f32_e64 s5, v17, 0x1f8
	v_cmp_neq_f32_e64 s4, v17, v16
	s_or_b32 s4, s4, s5
	s_and_saveexec_b32 s5, s4
	s_cbranch_execz .LBB395_96
; %bb.95:
	v_sub_f32_e32 v8, v17, v16
	v_mul_f32_e32 v14, 0x3fb8aa3b, v8
	v_cmp_ngt_f32_e64 s4, 0xc2ce8ed0, v8
	v_fma_f32 v17, 0x3fb8aa3b, v8, -v14
	v_rndne_f32_e32 v18, v14
	v_fmamk_f32 v17, v8, 0x32a5705f, v17
	v_sub_f32_e32 v14, v14, v18
	v_add_f32_e32 v14, v14, v17
	v_cvt_i32_f32_e32 v17, v18
	v_exp_f32_e32 v14, v14
	v_ldexp_f32 v14, v14, v17
	v_cndmask_b32_e64 v14, 0, v14, s4
	v_cmp_nlt_f32_e64 s4, 0x42b17218, v8
	v_cndmask_b32_e64 v8, 0x7f800000, v14, s4
	v_add_f32_e32 v14, 1.0, v8
	v_cvt_f64_f32_e32 v[17:18], v14
	v_frexp_exp_i32_f64_e32 v17, v[17:18]
	v_frexp_mant_f32_e32 v18, v14
	v_cmp_gt_f32_e64 s4, 0x3f2aaaab, v18
	v_add_f32_e32 v18, -1.0, v14
	v_sub_f32_e32 v20, v18, v14
	v_sub_f32_e32 v18, v8, v18
	v_add_f32_e32 v20, 1.0, v20
	v_add_f32_e32 v18, v18, v20
	v_subrev_co_ci_u32_e64 v17, null, 0, v17, s4
	s_mov_b32 s4, 0x3e9b6dac
	v_sub_nc_u32_e32 v19, 0, v17
	v_cvt_f32_i32_e32 v17, v17
	v_ldexp_f32 v14, v14, v19
	v_ldexp_f32 v18, v18, v19
	v_add_f32_e32 v21, 1.0, v14
	v_add_f32_e32 v19, -1.0, v14
	v_add_f32_e32 v20, -1.0, v21
	v_add_f32_e32 v22, 1.0, v19
	v_sub_f32_e32 v20, v14, v20
	v_sub_f32_e32 v14, v14, v22
	v_add_f32_e32 v20, v18, v20
	v_add_f32_e32 v14, v18, v14
	;; [unrolled: 1-line block ×4, first 2 shown]
	v_rcp_f32_e32 v18, v22
	v_sub_f32_e32 v21, v21, v22
	v_sub_f32_e32 v19, v19, v23
	v_add_f32_e32 v20, v20, v21
	v_add_f32_e32 v14, v14, v19
	v_mul_f32_e32 v24, v23, v18
	v_mul_f32_e32 v25, v22, v24
	v_fma_f32 v21, v24, v22, -v25
	v_fmac_f32_e32 v21, v24, v20
	v_add_f32_e32 v26, v25, v21
	v_sub_f32_e32 v27, v23, v26
	v_sub_f32_e32 v19, v26, v25
	;; [unrolled: 1-line block ×5, first 2 shown]
	v_add_f32_e32 v14, v14, v23
	v_add_f32_e32 v14, v19, v14
	;; [unrolled: 1-line block ×3, first 2 shown]
	v_mul_f32_e32 v21, v18, v19
	v_sub_f32_e32 v26, v27, v19
	v_mul_f32_e32 v23, v22, v21
	v_add_f32_e32 v14, v14, v26
	v_fma_f32 v22, v21, v22, -v23
	v_fmac_f32_e32 v22, v21, v20
	v_add_f32_e32 v20, v23, v22
	v_sub_f32_e32 v25, v19, v20
	v_sub_f32_e32 v23, v20, v23
	;; [unrolled: 1-line block ×5, first 2 shown]
	v_add_f32_e32 v14, v14, v19
	v_add_f32_e32 v19, v24, v21
	;; [unrolled: 1-line block ×3, first 2 shown]
	v_sub_f32_e32 v20, v19, v24
	v_add_f32_e32 v14, v25, v14
	v_sub_f32_e32 v20, v21, v20
	v_mul_f32_e32 v14, v18, v14
	v_add_f32_e32 v14, v20, v14
	v_add_f32_e32 v18, v19, v14
	v_mul_f32_e32 v20, v18, v18
	v_fmaak_f32 v21, s4, v20, 0x3ecc95a3
	v_mul_f32_e32 v22, v18, v20
	v_cmp_neq_f32_e64 s4, 0x7f800000, v8
	v_fmaak_f32 v20, v20, v21, 0x3f2aaada
	v_ldexp_f32 v21, v18, 1
	v_sub_f32_e32 v18, v18, v19
	v_mul_f32_e32 v20, v22, v20
	v_mul_f32_e32 v22, 0x3f317218, v17
	v_sub_f32_e32 v14, v14, v18
	v_add_f32_e32 v19, v21, v20
	v_ldexp_f32 v14, v14, 1
	v_sub_f32_e32 v18, v19, v21
	v_fma_f32 v21, 0x3f317218, v17, -v22
	v_sub_f32_e32 v18, v20, v18
	v_fmamk_f32 v17, v17, 0xb102e308, v21
	v_add_f32_e32 v14, v14, v18
	v_add_f32_e32 v18, v22, v17
	;; [unrolled: 1-line block ×3, first 2 shown]
	v_sub_f32_e32 v22, v18, v22
	v_add_f32_e32 v21, v18, v20
	v_sub_f32_e32 v19, v20, v19
	v_sub_f32_e32 v17, v17, v22
	;; [unrolled: 1-line block ×6, first 2 shown]
	v_add_f32_e32 v20, v17, v14
	v_sub_f32_e32 v18, v18, v24
	v_add_f32_e32 v18, v19, v18
	v_sub_f32_e32 v19, v20, v17
	;; [unrolled: 2-line block ×3, first 2 shown]
	v_sub_f32_e32 v14, v14, v19
	v_add_f32_e32 v22, v21, v18
	v_sub_f32_e32 v17, v17, v20
	v_sub_f32_e32 v19, v22, v21
	v_add_f32_e32 v14, v14, v17
	v_sub_f32_e32 v17, v18, v19
	v_add_f32_e32 v14, v14, v17
	v_add_f32_e32 v14, v22, v14
	v_cndmask_b32_e64 v14, 0x7f800000, v14, s4
	v_cmp_gt_f32_e64 s4, 0x33800000, |v8|
	v_cndmask_b32_e64 v8, v14, v8, s4
	v_add_f32_e32 v8, v16, v8
	v_cvt_f16_f32_e32 v18, v8
	v_cvt_f32_f16_e32 v8, v18
	v_mov_b32_e32 v14, v18
.LBB395_96:
	s_or_b32 exec_lo, exec_lo, s5
	v_max_f32_e32 v16, v5, v5
	v_max_f32_e32 v17, v8, v8
	v_cmp_u_f16_e64 s4, v18, v18
	v_min_f32_e32 v19, v17, v16
	v_max_f32_e32 v16, v17, v16
	v_cndmask_b32_e64 v17, v19, v8, s4
	v_cndmask_b32_e64 v16, v16, v8, s4
	;; [unrolled: 1-line block ×4, first 2 shown]
	v_mov_b32_e32 v5, v14
	v_cmp_class_f32_e64 s5, v17, 0x1f8
	v_cmp_neq_f32_e64 s4, v17, v16
	s_or_b32 s4, s4, s5
	s_and_saveexec_b32 s5, s4
	s_cbranch_execz .LBB395_98
; %bb.97:
	v_sub_f32_e32 v5, v17, v16
	v_mul_f32_e32 v8, 0x3fb8aa3b, v5
	v_cmp_ngt_f32_e64 s4, 0xc2ce8ed0, v5
	v_fma_f32 v17, 0x3fb8aa3b, v5, -v8
	v_rndne_f32_e32 v18, v8
	v_fmamk_f32 v17, v5, 0x32a5705f, v17
	v_sub_f32_e32 v8, v8, v18
	v_add_f32_e32 v8, v8, v17
	v_cvt_i32_f32_e32 v17, v18
	v_exp_f32_e32 v8, v8
	v_ldexp_f32 v8, v8, v17
	v_cndmask_b32_e64 v8, 0, v8, s4
	v_cmp_nlt_f32_e64 s4, 0x42b17218, v5
	v_cndmask_b32_e64 v5, 0x7f800000, v8, s4
	v_add_f32_e32 v8, 1.0, v5
	v_cvt_f64_f32_e32 v[17:18], v8
	v_frexp_exp_i32_f64_e32 v17, v[17:18]
	v_frexp_mant_f32_e32 v18, v8
	v_cmp_gt_f32_e64 s4, 0x3f2aaaab, v18
	v_add_f32_e32 v18, -1.0, v8
	v_sub_f32_e32 v20, v18, v8
	v_sub_f32_e32 v18, v5, v18
	v_add_f32_e32 v20, 1.0, v20
	v_add_f32_e32 v18, v18, v20
	v_subrev_co_ci_u32_e64 v17, null, 0, v17, s4
	s_mov_b32 s4, 0x3e9b6dac
	v_sub_nc_u32_e32 v19, 0, v17
	v_cvt_f32_i32_e32 v17, v17
	v_ldexp_f32 v8, v8, v19
	v_ldexp_f32 v18, v18, v19
	v_add_f32_e32 v21, 1.0, v8
	v_add_f32_e32 v19, -1.0, v8
	v_add_f32_e32 v20, -1.0, v21
	v_add_f32_e32 v22, 1.0, v19
	v_sub_f32_e32 v20, v8, v20
	v_sub_f32_e32 v8, v8, v22
	v_add_f32_e32 v20, v18, v20
	v_add_f32_e32 v8, v18, v8
	;; [unrolled: 1-line block ×4, first 2 shown]
	v_rcp_f32_e32 v18, v22
	v_sub_f32_e32 v21, v21, v22
	v_sub_f32_e32 v19, v19, v23
	v_add_f32_e32 v20, v20, v21
	v_add_f32_e32 v8, v8, v19
	v_mul_f32_e32 v24, v23, v18
	v_mul_f32_e32 v25, v22, v24
	v_fma_f32 v21, v24, v22, -v25
	v_fmac_f32_e32 v21, v24, v20
	v_add_f32_e32 v26, v25, v21
	v_sub_f32_e32 v27, v23, v26
	v_sub_f32_e32 v19, v26, v25
	;; [unrolled: 1-line block ×5, first 2 shown]
	v_add_f32_e32 v8, v8, v23
	v_add_f32_e32 v8, v19, v8
	v_add_f32_e32 v19, v27, v8
	v_mul_f32_e32 v21, v18, v19
	v_sub_f32_e32 v26, v27, v19
	v_mul_f32_e32 v23, v22, v21
	v_add_f32_e32 v8, v8, v26
	v_fma_f32 v22, v21, v22, -v23
	v_fmac_f32_e32 v22, v21, v20
	v_add_f32_e32 v20, v23, v22
	v_sub_f32_e32 v25, v19, v20
	v_sub_f32_e32 v23, v20, v23
	v_sub_f32_e32 v19, v19, v25
	v_sub_f32_e32 v19, v19, v20
	v_sub_f32_e32 v20, v23, v22
	v_add_f32_e32 v8, v8, v19
	v_add_f32_e32 v19, v24, v21
	;; [unrolled: 1-line block ×3, first 2 shown]
	v_sub_f32_e32 v20, v19, v24
	v_add_f32_e32 v8, v25, v8
	v_sub_f32_e32 v20, v21, v20
	v_mul_f32_e32 v8, v18, v8
	v_add_f32_e32 v8, v20, v8
	v_add_f32_e32 v18, v19, v8
	v_mul_f32_e32 v20, v18, v18
	v_fmaak_f32 v21, s4, v20, 0x3ecc95a3
	v_mul_f32_e32 v22, v18, v20
	v_cmp_neq_f32_e64 s4, 0x7f800000, v5
	v_fmaak_f32 v20, v20, v21, 0x3f2aaada
	v_ldexp_f32 v21, v18, 1
	v_sub_f32_e32 v18, v18, v19
	v_mul_f32_e32 v20, v22, v20
	v_mul_f32_e32 v22, 0x3f317218, v17
	v_sub_f32_e32 v8, v8, v18
	v_add_f32_e32 v19, v21, v20
	v_ldexp_f32 v8, v8, 1
	v_sub_f32_e32 v18, v19, v21
	v_fma_f32 v21, 0x3f317218, v17, -v22
	v_sub_f32_e32 v18, v20, v18
	v_fmamk_f32 v17, v17, 0xb102e308, v21
	v_add_f32_e32 v8, v8, v18
	v_add_f32_e32 v18, v22, v17
	;; [unrolled: 1-line block ×3, first 2 shown]
	v_sub_f32_e32 v22, v18, v22
	v_add_f32_e32 v21, v18, v20
	v_sub_f32_e32 v19, v20, v19
	v_sub_f32_e32 v17, v17, v22
	;; [unrolled: 1-line block ×6, first 2 shown]
	v_add_f32_e32 v20, v17, v8
	v_sub_f32_e32 v18, v18, v24
	v_add_f32_e32 v18, v19, v18
	v_sub_f32_e32 v19, v20, v17
	;; [unrolled: 2-line block ×3, first 2 shown]
	v_sub_f32_e32 v8, v8, v19
	v_add_f32_e32 v22, v21, v18
	v_sub_f32_e32 v17, v17, v20
	v_sub_f32_e32 v19, v22, v21
	v_add_f32_e32 v8, v8, v17
	v_sub_f32_e32 v17, v18, v19
	v_add_f32_e32 v8, v8, v17
	v_add_f32_e32 v8, v22, v8
	v_cndmask_b32_e64 v8, 0x7f800000, v8, s4
	v_cmp_gt_f32_e64 s4, 0x33800000, |v5|
	v_cndmask_b32_e64 v5, v8, v5, s4
	v_add_f32_e32 v5, v16, v5
	v_cvt_f16_f32_e32 v18, v5
	v_cvt_f32_f16_e32 v8, v18
	v_mov_b32_e32 v5, v18
.LBB395_98:
	s_or_b32 exec_lo, exec_lo, s5
	v_max_f32_e32 v16, v15, v15
	v_max_f32_e32 v17, v8, v8
	v_cmp_u_f16_e64 s4, v18, v18
	v_min_f32_e32 v19, v17, v16
	v_max_f32_e32 v16, v17, v16
	v_cndmask_b32_e64 v17, v19, v8, s4
	v_cndmask_b32_e64 v8, v16, v8, s4
	;; [unrolled: 1-line block ×4, first 2 shown]
	v_mov_b32_e32 v15, v5
	v_cmp_class_f32_e64 s5, v16, 0x1f8
	v_cmp_neq_f32_e64 s4, v16, v8
	s_or_b32 s4, s4, s5
	s_and_saveexec_b32 s5, s4
	s_cbranch_execz .LBB395_100
; %bb.99:
	v_sub_f32_e32 v15, v16, v8
	v_mul_f32_e32 v16, 0x3fb8aa3b, v15
	v_cmp_ngt_f32_e64 s4, 0xc2ce8ed0, v15
	v_fma_f32 v17, 0x3fb8aa3b, v15, -v16
	v_rndne_f32_e32 v18, v16
	v_fmamk_f32 v17, v15, 0x32a5705f, v17
	v_sub_f32_e32 v16, v16, v18
	v_add_f32_e32 v16, v16, v17
	v_cvt_i32_f32_e32 v17, v18
	v_exp_f32_e32 v16, v16
	v_ldexp_f32 v16, v16, v17
	v_cndmask_b32_e64 v16, 0, v16, s4
	v_cmp_nlt_f32_e64 s4, 0x42b17218, v15
	v_cndmask_b32_e64 v17, 0x7f800000, v16, s4
	v_add_f32_e32 v18, 1.0, v17
	v_cvt_f64_f32_e32 v[15:16], v18
	v_frexp_exp_i32_f64_e32 v15, v[15:16]
	v_frexp_mant_f32_e32 v16, v18
	v_cmp_gt_f32_e64 s4, 0x3f2aaaab, v16
	v_add_f32_e32 v16, -1.0, v18
	v_sub_f32_e32 v20, v16, v18
	v_sub_f32_e32 v16, v17, v16
	v_add_f32_e32 v20, 1.0, v20
	v_add_f32_e32 v16, v16, v20
	v_subrev_co_ci_u32_e64 v15, null, 0, v15, s4
	s_mov_b32 s4, 0x3e9b6dac
	v_sub_nc_u32_e32 v19, 0, v15
	v_cvt_f32_i32_e32 v15, v15
	v_ldexp_f32 v18, v18, v19
	v_ldexp_f32 v16, v16, v19
	v_add_f32_e32 v21, 1.0, v18
	v_add_f32_e32 v19, -1.0, v18
	v_add_f32_e32 v20, -1.0, v21
	v_add_f32_e32 v22, 1.0, v19
	v_sub_f32_e32 v20, v18, v20
	v_sub_f32_e32 v18, v18, v22
	v_add_f32_e32 v20, v16, v20
	v_add_f32_e32 v16, v16, v18
	;; [unrolled: 1-line block ×4, first 2 shown]
	v_rcp_f32_e32 v18, v22
	v_sub_f32_e32 v21, v21, v22
	v_sub_f32_e32 v19, v19, v23
	v_add_f32_e32 v20, v20, v21
	v_add_f32_e32 v16, v16, v19
	v_mul_f32_e32 v24, v23, v18
	v_mul_f32_e32 v25, v22, v24
	v_fma_f32 v21, v24, v22, -v25
	v_fmac_f32_e32 v21, v24, v20
	v_add_f32_e32 v26, v25, v21
	v_sub_f32_e32 v27, v23, v26
	v_sub_f32_e32 v19, v26, v25
	;; [unrolled: 1-line block ×5, first 2 shown]
	v_add_f32_e32 v16, v16, v23
	v_add_f32_e32 v16, v19, v16
	;; [unrolled: 1-line block ×3, first 2 shown]
	v_mul_f32_e32 v21, v18, v19
	v_sub_f32_e32 v26, v27, v19
	v_mul_f32_e32 v23, v22, v21
	v_add_f32_e32 v16, v16, v26
	v_fma_f32 v22, v21, v22, -v23
	v_fmac_f32_e32 v22, v21, v20
	v_add_f32_e32 v20, v23, v22
	v_sub_f32_e32 v25, v19, v20
	v_sub_f32_e32 v23, v20, v23
	;; [unrolled: 1-line block ×5, first 2 shown]
	v_add_f32_e32 v16, v16, v19
	v_add_f32_e32 v19, v24, v21
	;; [unrolled: 1-line block ×3, first 2 shown]
	v_sub_f32_e32 v20, v19, v24
	v_add_f32_e32 v16, v25, v16
	v_sub_f32_e32 v20, v21, v20
	v_mul_f32_e32 v16, v18, v16
	v_add_f32_e32 v16, v20, v16
	v_add_f32_e32 v18, v19, v16
	v_mul_f32_e32 v20, v18, v18
	v_fmaak_f32 v21, s4, v20, 0x3ecc95a3
	v_mul_f32_e32 v22, v18, v20
	v_cmp_neq_f32_e64 s4, 0x7f800000, v17
	v_fmaak_f32 v20, v20, v21, 0x3f2aaada
	v_ldexp_f32 v21, v18, 1
	v_sub_f32_e32 v18, v18, v19
	v_mul_f32_e32 v20, v22, v20
	v_mul_f32_e32 v22, 0x3f317218, v15
	v_sub_f32_e32 v16, v16, v18
	v_add_f32_e32 v19, v21, v20
	v_ldexp_f32 v16, v16, 1
	v_sub_f32_e32 v18, v19, v21
	v_fma_f32 v21, 0x3f317218, v15, -v22
	v_sub_f32_e32 v18, v20, v18
	v_fmamk_f32 v15, v15, 0xb102e308, v21
	v_add_f32_e32 v16, v16, v18
	v_add_f32_e32 v18, v22, v15
	;; [unrolled: 1-line block ×3, first 2 shown]
	v_sub_f32_e32 v22, v18, v22
	v_add_f32_e32 v21, v18, v20
	v_sub_f32_e32 v19, v20, v19
	v_sub_f32_e32 v15, v15, v22
	;; [unrolled: 1-line block ×6, first 2 shown]
	v_add_f32_e32 v20, v15, v16
	v_sub_f32_e32 v18, v18, v24
	v_add_f32_e32 v18, v19, v18
	v_sub_f32_e32 v19, v20, v15
	;; [unrolled: 2-line block ×3, first 2 shown]
	v_sub_f32_e32 v16, v16, v19
	v_add_f32_e32 v22, v21, v18
	v_sub_f32_e32 v15, v15, v20
	v_sub_f32_e32 v19, v22, v21
	v_add_f32_e32 v15, v16, v15
	v_sub_f32_e32 v16, v18, v19
	v_add_f32_e32 v15, v15, v16
	v_add_f32_e32 v15, v22, v15
	v_cndmask_b32_e64 v15, 0x7f800000, v15, s4
	v_cmp_gt_f32_e64 s4, 0x33800000, |v17|
	v_cndmask_b32_e64 v15, v15, v17, s4
	v_add_f32_e32 v8, v8, v15
	v_cvt_f16_f32_e32 v15, v8
.LBB395_100:
	s_or_b32 exec_lo, exec_lo, s5
	v_add_nc_u32_e32 v6, v7, v6
	v_perm_b32 v3, v13, v3, 0x5040100
	v_perm_b32 v2, v12, v2, 0x5040100
	;; [unrolled: 1-line block ×6, first 2 shown]
	s_barrier
	buffer_gl0_inv
	ds_write2_b64 v6, v[9:10], v[2:3] offset1:1
	ds_write_b64 v6, v[4:5] offset:16
	s_waitcnt lgkmcnt(0)
	s_barrier
	buffer_gl0_inv
	ds_read_u16 v13, v7 offset:128
	ds_read_u16 v12, v7 offset:256
	;; [unrolled: 1-line block ×11, first 2 shown]
	v_lshlrev_b32_e32 v0, 1, v0
	v_add_co_u32 v0, s4, s26, v0
	v_add_co_ci_u32_e64 v1, null, s27, 0, s4
	s_and_saveexec_b32 s4, vcc_lo
	s_cbranch_execnz .LBB395_113
; %bb.101:
	s_or_b32 exec_lo, exec_lo, s4
	s_and_saveexec_b32 s4, s0
	s_cbranch_execnz .LBB395_114
.LBB395_102:
	s_or_b32 exec_lo, exec_lo, s4
	s_and_saveexec_b32 s0, s1
	s_cbranch_execnz .LBB395_115
.LBB395_103:
	s_or_b32 exec_lo, exec_lo, s0
	s_and_saveexec_b32 s0, s2
	s_cbranch_execnz .LBB395_116
.LBB395_104:
	s_or_b32 exec_lo, exec_lo, s0
	s_and_saveexec_b32 s0, s3
	s_cbranch_execnz .LBB395_117
.LBB395_105:
	s_or_b32 exec_lo, exec_lo, s0
	s_and_saveexec_b32 s0, s6
	s_cbranch_execnz .LBB395_118
.LBB395_106:
	s_or_b32 exec_lo, exec_lo, s0
	s_and_saveexec_b32 s0, s7
	s_cbranch_execnz .LBB395_119
.LBB395_107:
	s_or_b32 exec_lo, exec_lo, s0
	s_and_saveexec_b32 s0, s8
	s_cbranch_execnz .LBB395_120
.LBB395_108:
	s_or_b32 exec_lo, exec_lo, s0
	s_and_saveexec_b32 s0, s9
	s_cbranch_execnz .LBB395_121
.LBB395_109:
	s_or_b32 exec_lo, exec_lo, s0
	s_and_saveexec_b32 s0, s10
	s_cbranch_execnz .LBB395_122
.LBB395_110:
	s_or_b32 exec_lo, exec_lo, s0
	s_and_saveexec_b32 s0, s11
	s_cbranch_execnz .LBB395_123
.LBB395_111:
	s_or_b32 exec_lo, exec_lo, s0
	s_and_saveexec_b32 s0, s12
	s_cbranch_execnz .LBB395_124
.LBB395_112:
	s_endpgm
.LBB395_113:
	ds_read_u16 v7, v7
	s_waitcnt lgkmcnt(0)
	global_store_short v[0:1], v7, off
	s_or_b32 exec_lo, exec_lo, s4
	s_and_saveexec_b32 s4, s0
	s_cbranch_execz .LBB395_102
.LBB395_114:
	s_waitcnt lgkmcnt(10)
	global_store_short v[0:1], v13, off offset:128
	s_or_b32 exec_lo, exec_lo, s4
	s_and_saveexec_b32 s0, s1
	s_cbranch_execz .LBB395_103
.LBB395_115:
	s_waitcnt lgkmcnt(9)
	global_store_short v[0:1], v12, off offset:256
	s_or_b32 exec_lo, exec_lo, s0
	s_and_saveexec_b32 s0, s2
	s_cbranch_execz .LBB395_104
.LBB395_116:
	s_waitcnt lgkmcnt(8)
	global_store_short v[0:1], v11, off offset:384
	s_or_b32 exec_lo, exec_lo, s0
	s_and_saveexec_b32 s0, s3
	s_cbranch_execz .LBB395_105
.LBB395_117:
	s_waitcnt lgkmcnt(7)
	global_store_short v[0:1], v10, off offset:512
	s_or_b32 exec_lo, exec_lo, s0
	s_and_saveexec_b32 s0, s6
	s_cbranch_execz .LBB395_106
.LBB395_118:
	s_waitcnt lgkmcnt(6)
	global_store_short v[0:1], v9, off offset:640
	s_or_b32 exec_lo, exec_lo, s0
	s_and_saveexec_b32 s0, s7
	s_cbranch_execz .LBB395_107
.LBB395_119:
	s_waitcnt lgkmcnt(5)
	global_store_short v[0:1], v8, off offset:768
	s_or_b32 exec_lo, exec_lo, s0
	s_and_saveexec_b32 s0, s8
	s_cbranch_execz .LBB395_108
.LBB395_120:
	s_waitcnt lgkmcnt(4)
	global_store_short v[0:1], v6, off offset:896
	s_or_b32 exec_lo, exec_lo, s0
	s_and_saveexec_b32 s0, s9
	s_cbranch_execz .LBB395_109
.LBB395_121:
	s_waitcnt lgkmcnt(3)
	global_store_short v[0:1], v5, off offset:1024
	s_or_b32 exec_lo, exec_lo, s0
	s_and_saveexec_b32 s0, s10
	s_cbranch_execz .LBB395_110
.LBB395_122:
	s_waitcnt lgkmcnt(2)
	global_store_short v[0:1], v4, off offset:1152
	s_or_b32 exec_lo, exec_lo, s0
	s_and_saveexec_b32 s0, s11
	s_cbranch_execz .LBB395_111
.LBB395_123:
	s_waitcnt lgkmcnt(1)
	global_store_short v[0:1], v3, off offset:1280
	s_or_b32 exec_lo, exec_lo, s0
	s_and_saveexec_b32 s0, s12
	s_cbranch_execz .LBB395_112
.LBB395_124:
	s_waitcnt lgkmcnt(0)
	global_store_short v[0:1], v2, off offset:1408
	s_endpgm
	.section	.rodata,"a",@progbits
	.p2align	6, 0x0
	.amdhsa_kernel _ZN7rocprim17ROCPRIM_400000_NS6detail17trampoline_kernelINS0_14default_configENS1_20scan_config_selectorIN3c104HalfEEEZZNS1_9scan_implILNS1_25lookback_scan_determinismE0ELb0ELb0ES3_PKS6_PS6_S6_ZZZN2at6native31launch_logcumsumexp_cuda_kernelERKNSD_10TensorBaseESH_lENKUlvE_clEvENKUlvE3_clEvEUlS6_S6_E_S6_EEDaPvRmT3_T4_T5_mT6_P12ihipStream_tbENKUlT_T0_E_clISt17integral_constantIbLb1EESY_EEDaST_SU_EUlST_E0_NS1_11comp_targetILNS1_3genE8ELNS1_11target_archE1030ELNS1_3gpuE2ELNS1_3repE0EEENS1_30default_config_static_selectorELNS0_4arch9wavefront6targetE0EEEvT1_
		.amdhsa_group_segment_fixed_size 1536
		.amdhsa_private_segment_fixed_size 0
		.amdhsa_kernarg_size 32
		.amdhsa_user_sgpr_count 6
		.amdhsa_user_sgpr_private_segment_buffer 1
		.amdhsa_user_sgpr_dispatch_ptr 0
		.amdhsa_user_sgpr_queue_ptr 0
		.amdhsa_user_sgpr_kernarg_segment_ptr 1
		.amdhsa_user_sgpr_dispatch_id 0
		.amdhsa_user_sgpr_flat_scratch_init 0
		.amdhsa_user_sgpr_private_segment_size 0
		.amdhsa_wavefront_size32 1
		.amdhsa_uses_dynamic_stack 0
		.amdhsa_system_sgpr_private_segment_wavefront_offset 0
		.amdhsa_system_sgpr_workgroup_id_x 1
		.amdhsa_system_sgpr_workgroup_id_y 0
		.amdhsa_system_sgpr_workgroup_id_z 0
		.amdhsa_system_sgpr_workgroup_info 0
		.amdhsa_system_vgpr_workitem_id 0
		.amdhsa_next_free_vgpr 36
		.amdhsa_next_free_sgpr 30
		.amdhsa_reserve_vcc 1
		.amdhsa_reserve_flat_scratch 0
		.amdhsa_float_round_mode_32 0
		.amdhsa_float_round_mode_16_64 0
		.amdhsa_float_denorm_mode_32 3
		.amdhsa_float_denorm_mode_16_64 3
		.amdhsa_dx10_clamp 1
		.amdhsa_ieee_mode 1
		.amdhsa_fp16_overflow 0
		.amdhsa_workgroup_processor_mode 1
		.amdhsa_memory_ordered 1
		.amdhsa_forward_progress 1
		.amdhsa_shared_vgpr_count 0
		.amdhsa_exception_fp_ieee_invalid_op 0
		.amdhsa_exception_fp_denorm_src 0
		.amdhsa_exception_fp_ieee_div_zero 0
		.amdhsa_exception_fp_ieee_overflow 0
		.amdhsa_exception_fp_ieee_underflow 0
		.amdhsa_exception_fp_ieee_inexact 0
		.amdhsa_exception_int_div_zero 0
	.end_amdhsa_kernel
	.section	.text._ZN7rocprim17ROCPRIM_400000_NS6detail17trampoline_kernelINS0_14default_configENS1_20scan_config_selectorIN3c104HalfEEEZZNS1_9scan_implILNS1_25lookback_scan_determinismE0ELb0ELb0ES3_PKS6_PS6_S6_ZZZN2at6native31launch_logcumsumexp_cuda_kernelERKNSD_10TensorBaseESH_lENKUlvE_clEvENKUlvE3_clEvEUlS6_S6_E_S6_EEDaPvRmT3_T4_T5_mT6_P12ihipStream_tbENKUlT_T0_E_clISt17integral_constantIbLb1EESY_EEDaST_SU_EUlST_E0_NS1_11comp_targetILNS1_3genE8ELNS1_11target_archE1030ELNS1_3gpuE2ELNS1_3repE0EEENS1_30default_config_static_selectorELNS0_4arch9wavefront6targetE0EEEvT1_,"axG",@progbits,_ZN7rocprim17ROCPRIM_400000_NS6detail17trampoline_kernelINS0_14default_configENS1_20scan_config_selectorIN3c104HalfEEEZZNS1_9scan_implILNS1_25lookback_scan_determinismE0ELb0ELb0ES3_PKS6_PS6_S6_ZZZN2at6native31launch_logcumsumexp_cuda_kernelERKNSD_10TensorBaseESH_lENKUlvE_clEvENKUlvE3_clEvEUlS6_S6_E_S6_EEDaPvRmT3_T4_T5_mT6_P12ihipStream_tbENKUlT_T0_E_clISt17integral_constantIbLb1EESY_EEDaST_SU_EUlST_E0_NS1_11comp_targetILNS1_3genE8ELNS1_11target_archE1030ELNS1_3gpuE2ELNS1_3repE0EEENS1_30default_config_static_selectorELNS0_4arch9wavefront6targetE0EEEvT1_,comdat
.Lfunc_end395:
	.size	_ZN7rocprim17ROCPRIM_400000_NS6detail17trampoline_kernelINS0_14default_configENS1_20scan_config_selectorIN3c104HalfEEEZZNS1_9scan_implILNS1_25lookback_scan_determinismE0ELb0ELb0ES3_PKS6_PS6_S6_ZZZN2at6native31launch_logcumsumexp_cuda_kernelERKNSD_10TensorBaseESH_lENKUlvE_clEvENKUlvE3_clEvEUlS6_S6_E_S6_EEDaPvRmT3_T4_T5_mT6_P12ihipStream_tbENKUlT_T0_E_clISt17integral_constantIbLb1EESY_EEDaST_SU_EUlST_E0_NS1_11comp_targetILNS1_3genE8ELNS1_11target_archE1030ELNS1_3gpuE2ELNS1_3repE0EEENS1_30default_config_static_selectorELNS0_4arch9wavefront6targetE0EEEvT1_, .Lfunc_end395-_ZN7rocprim17ROCPRIM_400000_NS6detail17trampoline_kernelINS0_14default_configENS1_20scan_config_selectorIN3c104HalfEEEZZNS1_9scan_implILNS1_25lookback_scan_determinismE0ELb0ELb0ES3_PKS6_PS6_S6_ZZZN2at6native31launch_logcumsumexp_cuda_kernelERKNSD_10TensorBaseESH_lENKUlvE_clEvENKUlvE3_clEvEUlS6_S6_E_S6_EEDaPvRmT3_T4_T5_mT6_P12ihipStream_tbENKUlT_T0_E_clISt17integral_constantIbLb1EESY_EEDaST_SU_EUlST_E0_NS1_11comp_targetILNS1_3genE8ELNS1_11target_archE1030ELNS1_3gpuE2ELNS1_3repE0EEENS1_30default_config_static_selectorELNS0_4arch9wavefront6targetE0EEEvT1_
                                        ; -- End function
	.set _ZN7rocprim17ROCPRIM_400000_NS6detail17trampoline_kernelINS0_14default_configENS1_20scan_config_selectorIN3c104HalfEEEZZNS1_9scan_implILNS1_25lookback_scan_determinismE0ELb0ELb0ES3_PKS6_PS6_S6_ZZZN2at6native31launch_logcumsumexp_cuda_kernelERKNSD_10TensorBaseESH_lENKUlvE_clEvENKUlvE3_clEvEUlS6_S6_E_S6_EEDaPvRmT3_T4_T5_mT6_P12ihipStream_tbENKUlT_T0_E_clISt17integral_constantIbLb1EESY_EEDaST_SU_EUlST_E0_NS1_11comp_targetILNS1_3genE8ELNS1_11target_archE1030ELNS1_3gpuE2ELNS1_3repE0EEENS1_30default_config_static_selectorELNS0_4arch9wavefront6targetE0EEEvT1_.num_vgpr, 36
	.set _ZN7rocprim17ROCPRIM_400000_NS6detail17trampoline_kernelINS0_14default_configENS1_20scan_config_selectorIN3c104HalfEEEZZNS1_9scan_implILNS1_25lookback_scan_determinismE0ELb0ELb0ES3_PKS6_PS6_S6_ZZZN2at6native31launch_logcumsumexp_cuda_kernelERKNSD_10TensorBaseESH_lENKUlvE_clEvENKUlvE3_clEvEUlS6_S6_E_S6_EEDaPvRmT3_T4_T5_mT6_P12ihipStream_tbENKUlT_T0_E_clISt17integral_constantIbLb1EESY_EEDaST_SU_EUlST_E0_NS1_11comp_targetILNS1_3genE8ELNS1_11target_archE1030ELNS1_3gpuE2ELNS1_3repE0EEENS1_30default_config_static_selectorELNS0_4arch9wavefront6targetE0EEEvT1_.num_agpr, 0
	.set _ZN7rocprim17ROCPRIM_400000_NS6detail17trampoline_kernelINS0_14default_configENS1_20scan_config_selectorIN3c104HalfEEEZZNS1_9scan_implILNS1_25lookback_scan_determinismE0ELb0ELb0ES3_PKS6_PS6_S6_ZZZN2at6native31launch_logcumsumexp_cuda_kernelERKNSD_10TensorBaseESH_lENKUlvE_clEvENKUlvE3_clEvEUlS6_S6_E_S6_EEDaPvRmT3_T4_T5_mT6_P12ihipStream_tbENKUlT_T0_E_clISt17integral_constantIbLb1EESY_EEDaST_SU_EUlST_E0_NS1_11comp_targetILNS1_3genE8ELNS1_11target_archE1030ELNS1_3gpuE2ELNS1_3repE0EEENS1_30default_config_static_selectorELNS0_4arch9wavefront6targetE0EEEvT1_.numbered_sgpr, 30
	.set _ZN7rocprim17ROCPRIM_400000_NS6detail17trampoline_kernelINS0_14default_configENS1_20scan_config_selectorIN3c104HalfEEEZZNS1_9scan_implILNS1_25lookback_scan_determinismE0ELb0ELb0ES3_PKS6_PS6_S6_ZZZN2at6native31launch_logcumsumexp_cuda_kernelERKNSD_10TensorBaseESH_lENKUlvE_clEvENKUlvE3_clEvEUlS6_S6_E_S6_EEDaPvRmT3_T4_T5_mT6_P12ihipStream_tbENKUlT_T0_E_clISt17integral_constantIbLb1EESY_EEDaST_SU_EUlST_E0_NS1_11comp_targetILNS1_3genE8ELNS1_11target_archE1030ELNS1_3gpuE2ELNS1_3repE0EEENS1_30default_config_static_selectorELNS0_4arch9wavefront6targetE0EEEvT1_.num_named_barrier, 0
	.set _ZN7rocprim17ROCPRIM_400000_NS6detail17trampoline_kernelINS0_14default_configENS1_20scan_config_selectorIN3c104HalfEEEZZNS1_9scan_implILNS1_25lookback_scan_determinismE0ELb0ELb0ES3_PKS6_PS6_S6_ZZZN2at6native31launch_logcumsumexp_cuda_kernelERKNSD_10TensorBaseESH_lENKUlvE_clEvENKUlvE3_clEvEUlS6_S6_E_S6_EEDaPvRmT3_T4_T5_mT6_P12ihipStream_tbENKUlT_T0_E_clISt17integral_constantIbLb1EESY_EEDaST_SU_EUlST_E0_NS1_11comp_targetILNS1_3genE8ELNS1_11target_archE1030ELNS1_3gpuE2ELNS1_3repE0EEENS1_30default_config_static_selectorELNS0_4arch9wavefront6targetE0EEEvT1_.private_seg_size, 0
	.set _ZN7rocprim17ROCPRIM_400000_NS6detail17trampoline_kernelINS0_14default_configENS1_20scan_config_selectorIN3c104HalfEEEZZNS1_9scan_implILNS1_25lookback_scan_determinismE0ELb0ELb0ES3_PKS6_PS6_S6_ZZZN2at6native31launch_logcumsumexp_cuda_kernelERKNSD_10TensorBaseESH_lENKUlvE_clEvENKUlvE3_clEvEUlS6_S6_E_S6_EEDaPvRmT3_T4_T5_mT6_P12ihipStream_tbENKUlT_T0_E_clISt17integral_constantIbLb1EESY_EEDaST_SU_EUlST_E0_NS1_11comp_targetILNS1_3genE8ELNS1_11target_archE1030ELNS1_3gpuE2ELNS1_3repE0EEENS1_30default_config_static_selectorELNS0_4arch9wavefront6targetE0EEEvT1_.uses_vcc, 1
	.set _ZN7rocprim17ROCPRIM_400000_NS6detail17trampoline_kernelINS0_14default_configENS1_20scan_config_selectorIN3c104HalfEEEZZNS1_9scan_implILNS1_25lookback_scan_determinismE0ELb0ELb0ES3_PKS6_PS6_S6_ZZZN2at6native31launch_logcumsumexp_cuda_kernelERKNSD_10TensorBaseESH_lENKUlvE_clEvENKUlvE3_clEvEUlS6_S6_E_S6_EEDaPvRmT3_T4_T5_mT6_P12ihipStream_tbENKUlT_T0_E_clISt17integral_constantIbLb1EESY_EEDaST_SU_EUlST_E0_NS1_11comp_targetILNS1_3genE8ELNS1_11target_archE1030ELNS1_3gpuE2ELNS1_3repE0EEENS1_30default_config_static_selectorELNS0_4arch9wavefront6targetE0EEEvT1_.uses_flat_scratch, 0
	.set _ZN7rocprim17ROCPRIM_400000_NS6detail17trampoline_kernelINS0_14default_configENS1_20scan_config_selectorIN3c104HalfEEEZZNS1_9scan_implILNS1_25lookback_scan_determinismE0ELb0ELb0ES3_PKS6_PS6_S6_ZZZN2at6native31launch_logcumsumexp_cuda_kernelERKNSD_10TensorBaseESH_lENKUlvE_clEvENKUlvE3_clEvEUlS6_S6_E_S6_EEDaPvRmT3_T4_T5_mT6_P12ihipStream_tbENKUlT_T0_E_clISt17integral_constantIbLb1EESY_EEDaST_SU_EUlST_E0_NS1_11comp_targetILNS1_3genE8ELNS1_11target_archE1030ELNS1_3gpuE2ELNS1_3repE0EEENS1_30default_config_static_selectorELNS0_4arch9wavefront6targetE0EEEvT1_.has_dyn_sized_stack, 0
	.set _ZN7rocprim17ROCPRIM_400000_NS6detail17trampoline_kernelINS0_14default_configENS1_20scan_config_selectorIN3c104HalfEEEZZNS1_9scan_implILNS1_25lookback_scan_determinismE0ELb0ELb0ES3_PKS6_PS6_S6_ZZZN2at6native31launch_logcumsumexp_cuda_kernelERKNSD_10TensorBaseESH_lENKUlvE_clEvENKUlvE3_clEvEUlS6_S6_E_S6_EEDaPvRmT3_T4_T5_mT6_P12ihipStream_tbENKUlT_T0_E_clISt17integral_constantIbLb1EESY_EEDaST_SU_EUlST_E0_NS1_11comp_targetILNS1_3genE8ELNS1_11target_archE1030ELNS1_3gpuE2ELNS1_3repE0EEENS1_30default_config_static_selectorELNS0_4arch9wavefront6targetE0EEEvT1_.has_recursion, 0
	.set _ZN7rocprim17ROCPRIM_400000_NS6detail17trampoline_kernelINS0_14default_configENS1_20scan_config_selectorIN3c104HalfEEEZZNS1_9scan_implILNS1_25lookback_scan_determinismE0ELb0ELb0ES3_PKS6_PS6_S6_ZZZN2at6native31launch_logcumsumexp_cuda_kernelERKNSD_10TensorBaseESH_lENKUlvE_clEvENKUlvE3_clEvEUlS6_S6_E_S6_EEDaPvRmT3_T4_T5_mT6_P12ihipStream_tbENKUlT_T0_E_clISt17integral_constantIbLb1EESY_EEDaST_SU_EUlST_E0_NS1_11comp_targetILNS1_3genE8ELNS1_11target_archE1030ELNS1_3gpuE2ELNS1_3repE0EEENS1_30default_config_static_selectorELNS0_4arch9wavefront6targetE0EEEvT1_.has_indirect_call, 0
	.section	.AMDGPU.csdata,"",@progbits
; Kernel info:
; codeLenInByte = 24888
; TotalNumSgprs: 32
; NumVgprs: 36
; ScratchSize: 0
; MemoryBound: 0
; FloatMode: 240
; IeeeMode: 1
; LDSByteSize: 1536 bytes/workgroup (compile time only)
; SGPRBlocks: 0
; VGPRBlocks: 4
; NumSGPRsForWavesPerEU: 32
; NumVGPRsForWavesPerEU: 36
; Occupancy: 16
; WaveLimiterHint : 0
; COMPUTE_PGM_RSRC2:SCRATCH_EN: 0
; COMPUTE_PGM_RSRC2:USER_SGPR: 6
; COMPUTE_PGM_RSRC2:TRAP_HANDLER: 0
; COMPUTE_PGM_RSRC2:TGID_X_EN: 1
; COMPUTE_PGM_RSRC2:TGID_Y_EN: 0
; COMPUTE_PGM_RSRC2:TGID_Z_EN: 0
; COMPUTE_PGM_RSRC2:TIDIG_COMP_CNT: 0
	.section	.text._ZN7rocprim17ROCPRIM_400000_NS6detail31init_lookback_scan_state_kernelINS1_19lookback_scan_stateIN3c104HalfELb1ELb1EEENS1_16block_id_wrapperIjLb0EEEEEvT_jT0_jPNS9_10value_typeE,"axG",@progbits,_ZN7rocprim17ROCPRIM_400000_NS6detail31init_lookback_scan_state_kernelINS1_19lookback_scan_stateIN3c104HalfELb1ELb1EEENS1_16block_id_wrapperIjLb0EEEEEvT_jT0_jPNS9_10value_typeE,comdat
	.protected	_ZN7rocprim17ROCPRIM_400000_NS6detail31init_lookback_scan_state_kernelINS1_19lookback_scan_stateIN3c104HalfELb1ELb1EEENS1_16block_id_wrapperIjLb0EEEEEvT_jT0_jPNS9_10value_typeE ; -- Begin function _ZN7rocprim17ROCPRIM_400000_NS6detail31init_lookback_scan_state_kernelINS1_19lookback_scan_stateIN3c104HalfELb1ELb1EEENS1_16block_id_wrapperIjLb0EEEEEvT_jT0_jPNS9_10value_typeE
	.globl	_ZN7rocprim17ROCPRIM_400000_NS6detail31init_lookback_scan_state_kernelINS1_19lookback_scan_stateIN3c104HalfELb1ELb1EEENS1_16block_id_wrapperIjLb0EEEEEvT_jT0_jPNS9_10value_typeE
	.p2align	8
	.type	_ZN7rocprim17ROCPRIM_400000_NS6detail31init_lookback_scan_state_kernelINS1_19lookback_scan_stateIN3c104HalfELb1ELb1EEENS1_16block_id_wrapperIjLb0EEEEEvT_jT0_jPNS9_10value_typeE,@function
_ZN7rocprim17ROCPRIM_400000_NS6detail31init_lookback_scan_state_kernelINS1_19lookback_scan_stateIN3c104HalfELb1ELb1EEENS1_16block_id_wrapperIjLb0EEEEEvT_jT0_jPNS9_10value_typeE: ; @_ZN7rocprim17ROCPRIM_400000_NS6detail31init_lookback_scan_state_kernelINS1_19lookback_scan_stateIN3c104HalfELb1ELb1EEENS1_16block_id_wrapperIjLb0EEEEEvT_jT0_jPNS9_10value_typeE
; %bb.0:
	s_clause 0x3
	s_load_dword s8, s[4:5], 0x2c
	s_load_dwordx2 s[2:3], s[4:5], 0x18
	s_load_dwordx2 s[0:1], s[4:5], 0x0
	s_load_dword s7, s[4:5], 0x8
	s_waitcnt lgkmcnt(0)
	s_and_b32 s8, s8, 0xffff
	s_cmp_eq_u64 s[2:3], 0
	v_mad_u64_u32 v[0:1], null, s6, s8, v[0:1]
	s_cbranch_scc1 .LBB396_9
; %bb.1:
	s_load_dword s4, s[4:5], 0x10
	s_waitcnt lgkmcnt(0)
	s_cmp_lt_u32 s4, s7
	s_cselect_b32 s5, s4, 0
	v_cmp_eq_u32_e32 vcc_lo, s5, v0
	s_mov_b32 s5, 0
	s_and_saveexec_b32 s6, vcc_lo
	s_cbranch_execz .LBB396_8
; %bb.2:
	s_add_i32 s4, s4, 32
	v_mov_b32_e32 v1, 0
	s_lshl_b64 s[4:5], s[4:5], 2
	s_add_u32 s4, s0, s4
	s_addc_u32 s5, s1, s5
	global_load_dword v2, v1, s[4:5] glc dlc
	s_waitcnt vmcnt(0)
	v_and_b32_e32 v3, 0xff0000, v2
	v_cmp_ne_u32_e32 vcc_lo, 0, v3
	s_cbranch_vccnz .LBB396_7
; %bb.3:
	s_mov_b32 s8, 1
.LBB396_4:                              ; =>This Loop Header: Depth=1
                                        ;     Child Loop BB396_5 Depth 2
	s_mov_b32 s9, s8
.LBB396_5:                              ;   Parent Loop BB396_4 Depth=1
                                        ; =>  This Inner Loop Header: Depth=2
	s_add_i32 s9, s9, -1
	s_sleep 1
	s_cmp_eq_u32 s9, 0
	s_cbranch_scc0 .LBB396_5
; %bb.6:                                ;   in Loop: Header=BB396_4 Depth=1
	global_load_dword v2, v1, s[4:5] glc dlc
	s_cmp_lt_u32 s8, 32
	s_cselect_b32 s9, -1, 0
	s_cmp_lg_u32 s9, 0
	s_addc_u32 s8, s8, 0
	s_waitcnt vmcnt(0)
	v_and_b32_e32 v3, 0xff0000, v2
	v_cmp_ne_u32_e32 vcc_lo, 0, v3
	s_cbranch_vccz .LBB396_4
.LBB396_7:
	v_mov_b32_e32 v1, 0
	global_store_short v1, v2, s[2:3]
.LBB396_8:
	s_or_b32 exec_lo, exec_lo, s6
.LBB396_9:
	s_mov_b32 s2, exec_lo
	v_cmpx_gt_u32_e64 s7, v0
	s_cbranch_execz .LBB396_11
; %bb.10:
	v_add_nc_u32_e32 v1, 32, v0
	v_mov_b32_e32 v2, 0
	v_lshlrev_b64 v[3:4], 2, v[1:2]
	v_add_co_u32 v3, vcc_lo, s0, v3
	v_add_co_ci_u32_e64 v4, null, s1, v4, vcc_lo
	global_store_dword v[3:4], v2, off
.LBB396_11:
	s_or_b32 exec_lo, exec_lo, s2
	s_mov_b32 s2, exec_lo
	v_cmpx_gt_u32_e32 32, v0
	s_cbranch_execz .LBB396_13
; %bb.12:
	v_mov_b32_e32 v1, 0
	v_mov_b32_e32 v2, 0xff0000
	v_lshlrev_b64 v[0:1], 2, v[0:1]
	v_add_co_u32 v0, vcc_lo, s0, v0
	v_add_co_ci_u32_e64 v1, null, s1, v1, vcc_lo
	global_store_dword v[0:1], v2, off
.LBB396_13:
	s_endpgm
	.section	.rodata,"a",@progbits
	.p2align	6, 0x0
	.amdhsa_kernel _ZN7rocprim17ROCPRIM_400000_NS6detail31init_lookback_scan_state_kernelINS1_19lookback_scan_stateIN3c104HalfELb1ELb1EEENS1_16block_id_wrapperIjLb0EEEEEvT_jT0_jPNS9_10value_typeE
		.amdhsa_group_segment_fixed_size 0
		.amdhsa_private_segment_fixed_size 0
		.amdhsa_kernarg_size 288
		.amdhsa_user_sgpr_count 6
		.amdhsa_user_sgpr_private_segment_buffer 1
		.amdhsa_user_sgpr_dispatch_ptr 0
		.amdhsa_user_sgpr_queue_ptr 0
		.amdhsa_user_sgpr_kernarg_segment_ptr 1
		.amdhsa_user_sgpr_dispatch_id 0
		.amdhsa_user_sgpr_flat_scratch_init 0
		.amdhsa_user_sgpr_private_segment_size 0
		.amdhsa_wavefront_size32 1
		.amdhsa_uses_dynamic_stack 0
		.amdhsa_system_sgpr_private_segment_wavefront_offset 0
		.amdhsa_system_sgpr_workgroup_id_x 1
		.amdhsa_system_sgpr_workgroup_id_y 0
		.amdhsa_system_sgpr_workgroup_id_z 0
		.amdhsa_system_sgpr_workgroup_info 0
		.amdhsa_system_vgpr_workitem_id 0
		.amdhsa_next_free_vgpr 5
		.amdhsa_next_free_sgpr 10
		.amdhsa_reserve_vcc 1
		.amdhsa_reserve_flat_scratch 0
		.amdhsa_float_round_mode_32 0
		.amdhsa_float_round_mode_16_64 0
		.amdhsa_float_denorm_mode_32 3
		.amdhsa_float_denorm_mode_16_64 3
		.amdhsa_dx10_clamp 1
		.amdhsa_ieee_mode 1
		.amdhsa_fp16_overflow 0
		.amdhsa_workgroup_processor_mode 1
		.amdhsa_memory_ordered 1
		.amdhsa_forward_progress 1
		.amdhsa_shared_vgpr_count 0
		.amdhsa_exception_fp_ieee_invalid_op 0
		.amdhsa_exception_fp_denorm_src 0
		.amdhsa_exception_fp_ieee_div_zero 0
		.amdhsa_exception_fp_ieee_overflow 0
		.amdhsa_exception_fp_ieee_underflow 0
		.amdhsa_exception_fp_ieee_inexact 0
		.amdhsa_exception_int_div_zero 0
	.end_amdhsa_kernel
	.section	.text._ZN7rocprim17ROCPRIM_400000_NS6detail31init_lookback_scan_state_kernelINS1_19lookback_scan_stateIN3c104HalfELb1ELb1EEENS1_16block_id_wrapperIjLb0EEEEEvT_jT0_jPNS9_10value_typeE,"axG",@progbits,_ZN7rocprim17ROCPRIM_400000_NS6detail31init_lookback_scan_state_kernelINS1_19lookback_scan_stateIN3c104HalfELb1ELb1EEENS1_16block_id_wrapperIjLb0EEEEEvT_jT0_jPNS9_10value_typeE,comdat
.Lfunc_end396:
	.size	_ZN7rocprim17ROCPRIM_400000_NS6detail31init_lookback_scan_state_kernelINS1_19lookback_scan_stateIN3c104HalfELb1ELb1EEENS1_16block_id_wrapperIjLb0EEEEEvT_jT0_jPNS9_10value_typeE, .Lfunc_end396-_ZN7rocprim17ROCPRIM_400000_NS6detail31init_lookback_scan_state_kernelINS1_19lookback_scan_stateIN3c104HalfELb1ELb1EEENS1_16block_id_wrapperIjLb0EEEEEvT_jT0_jPNS9_10value_typeE
                                        ; -- End function
	.set _ZN7rocprim17ROCPRIM_400000_NS6detail31init_lookback_scan_state_kernelINS1_19lookback_scan_stateIN3c104HalfELb1ELb1EEENS1_16block_id_wrapperIjLb0EEEEEvT_jT0_jPNS9_10value_typeE.num_vgpr, 5
	.set _ZN7rocprim17ROCPRIM_400000_NS6detail31init_lookback_scan_state_kernelINS1_19lookback_scan_stateIN3c104HalfELb1ELb1EEENS1_16block_id_wrapperIjLb0EEEEEvT_jT0_jPNS9_10value_typeE.num_agpr, 0
	.set _ZN7rocprim17ROCPRIM_400000_NS6detail31init_lookback_scan_state_kernelINS1_19lookback_scan_stateIN3c104HalfELb1ELb1EEENS1_16block_id_wrapperIjLb0EEEEEvT_jT0_jPNS9_10value_typeE.numbered_sgpr, 10
	.set _ZN7rocprim17ROCPRIM_400000_NS6detail31init_lookback_scan_state_kernelINS1_19lookback_scan_stateIN3c104HalfELb1ELb1EEENS1_16block_id_wrapperIjLb0EEEEEvT_jT0_jPNS9_10value_typeE.num_named_barrier, 0
	.set _ZN7rocprim17ROCPRIM_400000_NS6detail31init_lookback_scan_state_kernelINS1_19lookback_scan_stateIN3c104HalfELb1ELb1EEENS1_16block_id_wrapperIjLb0EEEEEvT_jT0_jPNS9_10value_typeE.private_seg_size, 0
	.set _ZN7rocprim17ROCPRIM_400000_NS6detail31init_lookback_scan_state_kernelINS1_19lookback_scan_stateIN3c104HalfELb1ELb1EEENS1_16block_id_wrapperIjLb0EEEEEvT_jT0_jPNS9_10value_typeE.uses_vcc, 1
	.set _ZN7rocprim17ROCPRIM_400000_NS6detail31init_lookback_scan_state_kernelINS1_19lookback_scan_stateIN3c104HalfELb1ELb1EEENS1_16block_id_wrapperIjLb0EEEEEvT_jT0_jPNS9_10value_typeE.uses_flat_scratch, 0
	.set _ZN7rocprim17ROCPRIM_400000_NS6detail31init_lookback_scan_state_kernelINS1_19lookback_scan_stateIN3c104HalfELb1ELb1EEENS1_16block_id_wrapperIjLb0EEEEEvT_jT0_jPNS9_10value_typeE.has_dyn_sized_stack, 0
	.set _ZN7rocprim17ROCPRIM_400000_NS6detail31init_lookback_scan_state_kernelINS1_19lookback_scan_stateIN3c104HalfELb1ELb1EEENS1_16block_id_wrapperIjLb0EEEEEvT_jT0_jPNS9_10value_typeE.has_recursion, 0
	.set _ZN7rocprim17ROCPRIM_400000_NS6detail31init_lookback_scan_state_kernelINS1_19lookback_scan_stateIN3c104HalfELb1ELb1EEENS1_16block_id_wrapperIjLb0EEEEEvT_jT0_jPNS9_10value_typeE.has_indirect_call, 0
	.section	.AMDGPU.csdata,"",@progbits
; Kernel info:
; codeLenInByte = 352
; TotalNumSgprs: 12
; NumVgprs: 5
; ScratchSize: 0
; MemoryBound: 0
; FloatMode: 240
; IeeeMode: 1
; LDSByteSize: 0 bytes/workgroup (compile time only)
; SGPRBlocks: 0
; VGPRBlocks: 0
; NumSGPRsForWavesPerEU: 12
; NumVGPRsForWavesPerEU: 5
; Occupancy: 16
; WaveLimiterHint : 0
; COMPUTE_PGM_RSRC2:SCRATCH_EN: 0
; COMPUTE_PGM_RSRC2:USER_SGPR: 6
; COMPUTE_PGM_RSRC2:TRAP_HANDLER: 0
; COMPUTE_PGM_RSRC2:TGID_X_EN: 1
; COMPUTE_PGM_RSRC2:TGID_Y_EN: 0
; COMPUTE_PGM_RSRC2:TGID_Z_EN: 0
; COMPUTE_PGM_RSRC2:TIDIG_COMP_CNT: 0
	.section	.text._ZN7rocprim17ROCPRIM_400000_NS6detail17trampoline_kernelINS0_14default_configENS1_20scan_config_selectorIN3c104HalfEEEZZNS1_9scan_implILNS1_25lookback_scan_determinismE0ELb0ELb0ES3_PKS6_PS6_S6_ZZZN2at6native31launch_logcumsumexp_cuda_kernelERKNSD_10TensorBaseESH_lENKUlvE_clEvENKUlvE3_clEvEUlS6_S6_E_S6_EEDaPvRmT3_T4_T5_mT6_P12ihipStream_tbENKUlT_T0_E_clISt17integral_constantIbLb1EESX_IbLb0EEEEDaST_SU_EUlST_E_NS1_11comp_targetILNS1_3genE0ELNS1_11target_archE4294967295ELNS1_3gpuE0ELNS1_3repE0EEENS1_30default_config_static_selectorELNS0_4arch9wavefront6targetE0EEEvT1_,"axG",@progbits,_ZN7rocprim17ROCPRIM_400000_NS6detail17trampoline_kernelINS0_14default_configENS1_20scan_config_selectorIN3c104HalfEEEZZNS1_9scan_implILNS1_25lookback_scan_determinismE0ELb0ELb0ES3_PKS6_PS6_S6_ZZZN2at6native31launch_logcumsumexp_cuda_kernelERKNSD_10TensorBaseESH_lENKUlvE_clEvENKUlvE3_clEvEUlS6_S6_E_S6_EEDaPvRmT3_T4_T5_mT6_P12ihipStream_tbENKUlT_T0_E_clISt17integral_constantIbLb1EESX_IbLb0EEEEDaST_SU_EUlST_E_NS1_11comp_targetILNS1_3genE0ELNS1_11target_archE4294967295ELNS1_3gpuE0ELNS1_3repE0EEENS1_30default_config_static_selectorELNS0_4arch9wavefront6targetE0EEEvT1_,comdat
	.globl	_ZN7rocprim17ROCPRIM_400000_NS6detail17trampoline_kernelINS0_14default_configENS1_20scan_config_selectorIN3c104HalfEEEZZNS1_9scan_implILNS1_25lookback_scan_determinismE0ELb0ELb0ES3_PKS6_PS6_S6_ZZZN2at6native31launch_logcumsumexp_cuda_kernelERKNSD_10TensorBaseESH_lENKUlvE_clEvENKUlvE3_clEvEUlS6_S6_E_S6_EEDaPvRmT3_T4_T5_mT6_P12ihipStream_tbENKUlT_T0_E_clISt17integral_constantIbLb1EESX_IbLb0EEEEDaST_SU_EUlST_E_NS1_11comp_targetILNS1_3genE0ELNS1_11target_archE4294967295ELNS1_3gpuE0ELNS1_3repE0EEENS1_30default_config_static_selectorELNS0_4arch9wavefront6targetE0EEEvT1_ ; -- Begin function _ZN7rocprim17ROCPRIM_400000_NS6detail17trampoline_kernelINS0_14default_configENS1_20scan_config_selectorIN3c104HalfEEEZZNS1_9scan_implILNS1_25lookback_scan_determinismE0ELb0ELb0ES3_PKS6_PS6_S6_ZZZN2at6native31launch_logcumsumexp_cuda_kernelERKNSD_10TensorBaseESH_lENKUlvE_clEvENKUlvE3_clEvEUlS6_S6_E_S6_EEDaPvRmT3_T4_T5_mT6_P12ihipStream_tbENKUlT_T0_E_clISt17integral_constantIbLb1EESX_IbLb0EEEEDaST_SU_EUlST_E_NS1_11comp_targetILNS1_3genE0ELNS1_11target_archE4294967295ELNS1_3gpuE0ELNS1_3repE0EEENS1_30default_config_static_selectorELNS0_4arch9wavefront6targetE0EEEvT1_
	.p2align	8
	.type	_ZN7rocprim17ROCPRIM_400000_NS6detail17trampoline_kernelINS0_14default_configENS1_20scan_config_selectorIN3c104HalfEEEZZNS1_9scan_implILNS1_25lookback_scan_determinismE0ELb0ELb0ES3_PKS6_PS6_S6_ZZZN2at6native31launch_logcumsumexp_cuda_kernelERKNSD_10TensorBaseESH_lENKUlvE_clEvENKUlvE3_clEvEUlS6_S6_E_S6_EEDaPvRmT3_T4_T5_mT6_P12ihipStream_tbENKUlT_T0_E_clISt17integral_constantIbLb1EESX_IbLb0EEEEDaST_SU_EUlST_E_NS1_11comp_targetILNS1_3genE0ELNS1_11target_archE4294967295ELNS1_3gpuE0ELNS1_3repE0EEENS1_30default_config_static_selectorELNS0_4arch9wavefront6targetE0EEEvT1_,@function
_ZN7rocprim17ROCPRIM_400000_NS6detail17trampoline_kernelINS0_14default_configENS1_20scan_config_selectorIN3c104HalfEEEZZNS1_9scan_implILNS1_25lookback_scan_determinismE0ELb0ELb0ES3_PKS6_PS6_S6_ZZZN2at6native31launch_logcumsumexp_cuda_kernelERKNSD_10TensorBaseESH_lENKUlvE_clEvENKUlvE3_clEvEUlS6_S6_E_S6_EEDaPvRmT3_T4_T5_mT6_P12ihipStream_tbENKUlT_T0_E_clISt17integral_constantIbLb1EESX_IbLb0EEEEDaST_SU_EUlST_E_NS1_11comp_targetILNS1_3genE0ELNS1_11target_archE4294967295ELNS1_3gpuE0ELNS1_3repE0EEENS1_30default_config_static_selectorELNS0_4arch9wavefront6targetE0EEEvT1_: ; @_ZN7rocprim17ROCPRIM_400000_NS6detail17trampoline_kernelINS0_14default_configENS1_20scan_config_selectorIN3c104HalfEEEZZNS1_9scan_implILNS1_25lookback_scan_determinismE0ELb0ELb0ES3_PKS6_PS6_S6_ZZZN2at6native31launch_logcumsumexp_cuda_kernelERKNSD_10TensorBaseESH_lENKUlvE_clEvENKUlvE3_clEvEUlS6_S6_E_S6_EEDaPvRmT3_T4_T5_mT6_P12ihipStream_tbENKUlT_T0_E_clISt17integral_constantIbLb1EESX_IbLb0EEEEDaST_SU_EUlST_E_NS1_11comp_targetILNS1_3genE0ELNS1_11target_archE4294967295ELNS1_3gpuE0ELNS1_3repE0EEENS1_30default_config_static_selectorELNS0_4arch9wavefront6targetE0EEEvT1_
; %bb.0:
	.section	.rodata,"a",@progbits
	.p2align	6, 0x0
	.amdhsa_kernel _ZN7rocprim17ROCPRIM_400000_NS6detail17trampoline_kernelINS0_14default_configENS1_20scan_config_selectorIN3c104HalfEEEZZNS1_9scan_implILNS1_25lookback_scan_determinismE0ELb0ELb0ES3_PKS6_PS6_S6_ZZZN2at6native31launch_logcumsumexp_cuda_kernelERKNSD_10TensorBaseESH_lENKUlvE_clEvENKUlvE3_clEvEUlS6_S6_E_S6_EEDaPvRmT3_T4_T5_mT6_P12ihipStream_tbENKUlT_T0_E_clISt17integral_constantIbLb1EESX_IbLb0EEEEDaST_SU_EUlST_E_NS1_11comp_targetILNS1_3genE0ELNS1_11target_archE4294967295ELNS1_3gpuE0ELNS1_3repE0EEENS1_30default_config_static_selectorELNS0_4arch9wavefront6targetE0EEEvT1_
		.amdhsa_group_segment_fixed_size 0
		.amdhsa_private_segment_fixed_size 0
		.amdhsa_kernarg_size 96
		.amdhsa_user_sgpr_count 6
		.amdhsa_user_sgpr_private_segment_buffer 1
		.amdhsa_user_sgpr_dispatch_ptr 0
		.amdhsa_user_sgpr_queue_ptr 0
		.amdhsa_user_sgpr_kernarg_segment_ptr 1
		.amdhsa_user_sgpr_dispatch_id 0
		.amdhsa_user_sgpr_flat_scratch_init 0
		.amdhsa_user_sgpr_private_segment_size 0
		.amdhsa_wavefront_size32 1
		.amdhsa_uses_dynamic_stack 0
		.amdhsa_system_sgpr_private_segment_wavefront_offset 0
		.amdhsa_system_sgpr_workgroup_id_x 1
		.amdhsa_system_sgpr_workgroup_id_y 0
		.amdhsa_system_sgpr_workgroup_id_z 0
		.amdhsa_system_sgpr_workgroup_info 0
		.amdhsa_system_vgpr_workitem_id 0
		.amdhsa_next_free_vgpr 1
		.amdhsa_next_free_sgpr 1
		.amdhsa_reserve_vcc 0
		.amdhsa_reserve_flat_scratch 0
		.amdhsa_float_round_mode_32 0
		.amdhsa_float_round_mode_16_64 0
		.amdhsa_float_denorm_mode_32 3
		.amdhsa_float_denorm_mode_16_64 3
		.amdhsa_dx10_clamp 1
		.amdhsa_ieee_mode 1
		.amdhsa_fp16_overflow 0
		.amdhsa_workgroup_processor_mode 1
		.amdhsa_memory_ordered 1
		.amdhsa_forward_progress 1
		.amdhsa_shared_vgpr_count 0
		.amdhsa_exception_fp_ieee_invalid_op 0
		.amdhsa_exception_fp_denorm_src 0
		.amdhsa_exception_fp_ieee_div_zero 0
		.amdhsa_exception_fp_ieee_overflow 0
		.amdhsa_exception_fp_ieee_underflow 0
		.amdhsa_exception_fp_ieee_inexact 0
		.amdhsa_exception_int_div_zero 0
	.end_amdhsa_kernel
	.section	.text._ZN7rocprim17ROCPRIM_400000_NS6detail17trampoline_kernelINS0_14default_configENS1_20scan_config_selectorIN3c104HalfEEEZZNS1_9scan_implILNS1_25lookback_scan_determinismE0ELb0ELb0ES3_PKS6_PS6_S6_ZZZN2at6native31launch_logcumsumexp_cuda_kernelERKNSD_10TensorBaseESH_lENKUlvE_clEvENKUlvE3_clEvEUlS6_S6_E_S6_EEDaPvRmT3_T4_T5_mT6_P12ihipStream_tbENKUlT_T0_E_clISt17integral_constantIbLb1EESX_IbLb0EEEEDaST_SU_EUlST_E_NS1_11comp_targetILNS1_3genE0ELNS1_11target_archE4294967295ELNS1_3gpuE0ELNS1_3repE0EEENS1_30default_config_static_selectorELNS0_4arch9wavefront6targetE0EEEvT1_,"axG",@progbits,_ZN7rocprim17ROCPRIM_400000_NS6detail17trampoline_kernelINS0_14default_configENS1_20scan_config_selectorIN3c104HalfEEEZZNS1_9scan_implILNS1_25lookback_scan_determinismE0ELb0ELb0ES3_PKS6_PS6_S6_ZZZN2at6native31launch_logcumsumexp_cuda_kernelERKNSD_10TensorBaseESH_lENKUlvE_clEvENKUlvE3_clEvEUlS6_S6_E_S6_EEDaPvRmT3_T4_T5_mT6_P12ihipStream_tbENKUlT_T0_E_clISt17integral_constantIbLb1EESX_IbLb0EEEEDaST_SU_EUlST_E_NS1_11comp_targetILNS1_3genE0ELNS1_11target_archE4294967295ELNS1_3gpuE0ELNS1_3repE0EEENS1_30default_config_static_selectorELNS0_4arch9wavefront6targetE0EEEvT1_,comdat
.Lfunc_end397:
	.size	_ZN7rocprim17ROCPRIM_400000_NS6detail17trampoline_kernelINS0_14default_configENS1_20scan_config_selectorIN3c104HalfEEEZZNS1_9scan_implILNS1_25lookback_scan_determinismE0ELb0ELb0ES3_PKS6_PS6_S6_ZZZN2at6native31launch_logcumsumexp_cuda_kernelERKNSD_10TensorBaseESH_lENKUlvE_clEvENKUlvE3_clEvEUlS6_S6_E_S6_EEDaPvRmT3_T4_T5_mT6_P12ihipStream_tbENKUlT_T0_E_clISt17integral_constantIbLb1EESX_IbLb0EEEEDaST_SU_EUlST_E_NS1_11comp_targetILNS1_3genE0ELNS1_11target_archE4294967295ELNS1_3gpuE0ELNS1_3repE0EEENS1_30default_config_static_selectorELNS0_4arch9wavefront6targetE0EEEvT1_, .Lfunc_end397-_ZN7rocprim17ROCPRIM_400000_NS6detail17trampoline_kernelINS0_14default_configENS1_20scan_config_selectorIN3c104HalfEEEZZNS1_9scan_implILNS1_25lookback_scan_determinismE0ELb0ELb0ES3_PKS6_PS6_S6_ZZZN2at6native31launch_logcumsumexp_cuda_kernelERKNSD_10TensorBaseESH_lENKUlvE_clEvENKUlvE3_clEvEUlS6_S6_E_S6_EEDaPvRmT3_T4_T5_mT6_P12ihipStream_tbENKUlT_T0_E_clISt17integral_constantIbLb1EESX_IbLb0EEEEDaST_SU_EUlST_E_NS1_11comp_targetILNS1_3genE0ELNS1_11target_archE4294967295ELNS1_3gpuE0ELNS1_3repE0EEENS1_30default_config_static_selectorELNS0_4arch9wavefront6targetE0EEEvT1_
                                        ; -- End function
	.set _ZN7rocprim17ROCPRIM_400000_NS6detail17trampoline_kernelINS0_14default_configENS1_20scan_config_selectorIN3c104HalfEEEZZNS1_9scan_implILNS1_25lookback_scan_determinismE0ELb0ELb0ES3_PKS6_PS6_S6_ZZZN2at6native31launch_logcumsumexp_cuda_kernelERKNSD_10TensorBaseESH_lENKUlvE_clEvENKUlvE3_clEvEUlS6_S6_E_S6_EEDaPvRmT3_T4_T5_mT6_P12ihipStream_tbENKUlT_T0_E_clISt17integral_constantIbLb1EESX_IbLb0EEEEDaST_SU_EUlST_E_NS1_11comp_targetILNS1_3genE0ELNS1_11target_archE4294967295ELNS1_3gpuE0ELNS1_3repE0EEENS1_30default_config_static_selectorELNS0_4arch9wavefront6targetE0EEEvT1_.num_vgpr, 0
	.set _ZN7rocprim17ROCPRIM_400000_NS6detail17trampoline_kernelINS0_14default_configENS1_20scan_config_selectorIN3c104HalfEEEZZNS1_9scan_implILNS1_25lookback_scan_determinismE0ELb0ELb0ES3_PKS6_PS6_S6_ZZZN2at6native31launch_logcumsumexp_cuda_kernelERKNSD_10TensorBaseESH_lENKUlvE_clEvENKUlvE3_clEvEUlS6_S6_E_S6_EEDaPvRmT3_T4_T5_mT6_P12ihipStream_tbENKUlT_T0_E_clISt17integral_constantIbLb1EESX_IbLb0EEEEDaST_SU_EUlST_E_NS1_11comp_targetILNS1_3genE0ELNS1_11target_archE4294967295ELNS1_3gpuE0ELNS1_3repE0EEENS1_30default_config_static_selectorELNS0_4arch9wavefront6targetE0EEEvT1_.num_agpr, 0
	.set _ZN7rocprim17ROCPRIM_400000_NS6detail17trampoline_kernelINS0_14default_configENS1_20scan_config_selectorIN3c104HalfEEEZZNS1_9scan_implILNS1_25lookback_scan_determinismE0ELb0ELb0ES3_PKS6_PS6_S6_ZZZN2at6native31launch_logcumsumexp_cuda_kernelERKNSD_10TensorBaseESH_lENKUlvE_clEvENKUlvE3_clEvEUlS6_S6_E_S6_EEDaPvRmT3_T4_T5_mT6_P12ihipStream_tbENKUlT_T0_E_clISt17integral_constantIbLb1EESX_IbLb0EEEEDaST_SU_EUlST_E_NS1_11comp_targetILNS1_3genE0ELNS1_11target_archE4294967295ELNS1_3gpuE0ELNS1_3repE0EEENS1_30default_config_static_selectorELNS0_4arch9wavefront6targetE0EEEvT1_.numbered_sgpr, 0
	.set _ZN7rocprim17ROCPRIM_400000_NS6detail17trampoline_kernelINS0_14default_configENS1_20scan_config_selectorIN3c104HalfEEEZZNS1_9scan_implILNS1_25lookback_scan_determinismE0ELb0ELb0ES3_PKS6_PS6_S6_ZZZN2at6native31launch_logcumsumexp_cuda_kernelERKNSD_10TensorBaseESH_lENKUlvE_clEvENKUlvE3_clEvEUlS6_S6_E_S6_EEDaPvRmT3_T4_T5_mT6_P12ihipStream_tbENKUlT_T0_E_clISt17integral_constantIbLb1EESX_IbLb0EEEEDaST_SU_EUlST_E_NS1_11comp_targetILNS1_3genE0ELNS1_11target_archE4294967295ELNS1_3gpuE0ELNS1_3repE0EEENS1_30default_config_static_selectorELNS0_4arch9wavefront6targetE0EEEvT1_.num_named_barrier, 0
	.set _ZN7rocprim17ROCPRIM_400000_NS6detail17trampoline_kernelINS0_14default_configENS1_20scan_config_selectorIN3c104HalfEEEZZNS1_9scan_implILNS1_25lookback_scan_determinismE0ELb0ELb0ES3_PKS6_PS6_S6_ZZZN2at6native31launch_logcumsumexp_cuda_kernelERKNSD_10TensorBaseESH_lENKUlvE_clEvENKUlvE3_clEvEUlS6_S6_E_S6_EEDaPvRmT3_T4_T5_mT6_P12ihipStream_tbENKUlT_T0_E_clISt17integral_constantIbLb1EESX_IbLb0EEEEDaST_SU_EUlST_E_NS1_11comp_targetILNS1_3genE0ELNS1_11target_archE4294967295ELNS1_3gpuE0ELNS1_3repE0EEENS1_30default_config_static_selectorELNS0_4arch9wavefront6targetE0EEEvT1_.private_seg_size, 0
	.set _ZN7rocprim17ROCPRIM_400000_NS6detail17trampoline_kernelINS0_14default_configENS1_20scan_config_selectorIN3c104HalfEEEZZNS1_9scan_implILNS1_25lookback_scan_determinismE0ELb0ELb0ES3_PKS6_PS6_S6_ZZZN2at6native31launch_logcumsumexp_cuda_kernelERKNSD_10TensorBaseESH_lENKUlvE_clEvENKUlvE3_clEvEUlS6_S6_E_S6_EEDaPvRmT3_T4_T5_mT6_P12ihipStream_tbENKUlT_T0_E_clISt17integral_constantIbLb1EESX_IbLb0EEEEDaST_SU_EUlST_E_NS1_11comp_targetILNS1_3genE0ELNS1_11target_archE4294967295ELNS1_3gpuE0ELNS1_3repE0EEENS1_30default_config_static_selectorELNS0_4arch9wavefront6targetE0EEEvT1_.uses_vcc, 0
	.set _ZN7rocprim17ROCPRIM_400000_NS6detail17trampoline_kernelINS0_14default_configENS1_20scan_config_selectorIN3c104HalfEEEZZNS1_9scan_implILNS1_25lookback_scan_determinismE0ELb0ELb0ES3_PKS6_PS6_S6_ZZZN2at6native31launch_logcumsumexp_cuda_kernelERKNSD_10TensorBaseESH_lENKUlvE_clEvENKUlvE3_clEvEUlS6_S6_E_S6_EEDaPvRmT3_T4_T5_mT6_P12ihipStream_tbENKUlT_T0_E_clISt17integral_constantIbLb1EESX_IbLb0EEEEDaST_SU_EUlST_E_NS1_11comp_targetILNS1_3genE0ELNS1_11target_archE4294967295ELNS1_3gpuE0ELNS1_3repE0EEENS1_30default_config_static_selectorELNS0_4arch9wavefront6targetE0EEEvT1_.uses_flat_scratch, 0
	.set _ZN7rocprim17ROCPRIM_400000_NS6detail17trampoline_kernelINS0_14default_configENS1_20scan_config_selectorIN3c104HalfEEEZZNS1_9scan_implILNS1_25lookback_scan_determinismE0ELb0ELb0ES3_PKS6_PS6_S6_ZZZN2at6native31launch_logcumsumexp_cuda_kernelERKNSD_10TensorBaseESH_lENKUlvE_clEvENKUlvE3_clEvEUlS6_S6_E_S6_EEDaPvRmT3_T4_T5_mT6_P12ihipStream_tbENKUlT_T0_E_clISt17integral_constantIbLb1EESX_IbLb0EEEEDaST_SU_EUlST_E_NS1_11comp_targetILNS1_3genE0ELNS1_11target_archE4294967295ELNS1_3gpuE0ELNS1_3repE0EEENS1_30default_config_static_selectorELNS0_4arch9wavefront6targetE0EEEvT1_.has_dyn_sized_stack, 0
	.set _ZN7rocprim17ROCPRIM_400000_NS6detail17trampoline_kernelINS0_14default_configENS1_20scan_config_selectorIN3c104HalfEEEZZNS1_9scan_implILNS1_25lookback_scan_determinismE0ELb0ELb0ES3_PKS6_PS6_S6_ZZZN2at6native31launch_logcumsumexp_cuda_kernelERKNSD_10TensorBaseESH_lENKUlvE_clEvENKUlvE3_clEvEUlS6_S6_E_S6_EEDaPvRmT3_T4_T5_mT6_P12ihipStream_tbENKUlT_T0_E_clISt17integral_constantIbLb1EESX_IbLb0EEEEDaST_SU_EUlST_E_NS1_11comp_targetILNS1_3genE0ELNS1_11target_archE4294967295ELNS1_3gpuE0ELNS1_3repE0EEENS1_30default_config_static_selectorELNS0_4arch9wavefront6targetE0EEEvT1_.has_recursion, 0
	.set _ZN7rocprim17ROCPRIM_400000_NS6detail17trampoline_kernelINS0_14default_configENS1_20scan_config_selectorIN3c104HalfEEEZZNS1_9scan_implILNS1_25lookback_scan_determinismE0ELb0ELb0ES3_PKS6_PS6_S6_ZZZN2at6native31launch_logcumsumexp_cuda_kernelERKNSD_10TensorBaseESH_lENKUlvE_clEvENKUlvE3_clEvEUlS6_S6_E_S6_EEDaPvRmT3_T4_T5_mT6_P12ihipStream_tbENKUlT_T0_E_clISt17integral_constantIbLb1EESX_IbLb0EEEEDaST_SU_EUlST_E_NS1_11comp_targetILNS1_3genE0ELNS1_11target_archE4294967295ELNS1_3gpuE0ELNS1_3repE0EEENS1_30default_config_static_selectorELNS0_4arch9wavefront6targetE0EEEvT1_.has_indirect_call, 0
	.section	.AMDGPU.csdata,"",@progbits
; Kernel info:
; codeLenInByte = 0
; TotalNumSgprs: 0
; NumVgprs: 0
; ScratchSize: 0
; MemoryBound: 0
; FloatMode: 240
; IeeeMode: 1
; LDSByteSize: 0 bytes/workgroup (compile time only)
; SGPRBlocks: 0
; VGPRBlocks: 0
; NumSGPRsForWavesPerEU: 1
; NumVGPRsForWavesPerEU: 1
; Occupancy: 16
; WaveLimiterHint : 0
; COMPUTE_PGM_RSRC2:SCRATCH_EN: 0
; COMPUTE_PGM_RSRC2:USER_SGPR: 6
; COMPUTE_PGM_RSRC2:TRAP_HANDLER: 0
; COMPUTE_PGM_RSRC2:TGID_X_EN: 1
; COMPUTE_PGM_RSRC2:TGID_Y_EN: 0
; COMPUTE_PGM_RSRC2:TGID_Z_EN: 0
; COMPUTE_PGM_RSRC2:TIDIG_COMP_CNT: 0
	.section	.text._ZN7rocprim17ROCPRIM_400000_NS6detail17trampoline_kernelINS0_14default_configENS1_20scan_config_selectorIN3c104HalfEEEZZNS1_9scan_implILNS1_25lookback_scan_determinismE0ELb0ELb0ES3_PKS6_PS6_S6_ZZZN2at6native31launch_logcumsumexp_cuda_kernelERKNSD_10TensorBaseESH_lENKUlvE_clEvENKUlvE3_clEvEUlS6_S6_E_S6_EEDaPvRmT3_T4_T5_mT6_P12ihipStream_tbENKUlT_T0_E_clISt17integral_constantIbLb1EESX_IbLb0EEEEDaST_SU_EUlST_E_NS1_11comp_targetILNS1_3genE5ELNS1_11target_archE942ELNS1_3gpuE9ELNS1_3repE0EEENS1_30default_config_static_selectorELNS0_4arch9wavefront6targetE0EEEvT1_,"axG",@progbits,_ZN7rocprim17ROCPRIM_400000_NS6detail17trampoline_kernelINS0_14default_configENS1_20scan_config_selectorIN3c104HalfEEEZZNS1_9scan_implILNS1_25lookback_scan_determinismE0ELb0ELb0ES3_PKS6_PS6_S6_ZZZN2at6native31launch_logcumsumexp_cuda_kernelERKNSD_10TensorBaseESH_lENKUlvE_clEvENKUlvE3_clEvEUlS6_S6_E_S6_EEDaPvRmT3_T4_T5_mT6_P12ihipStream_tbENKUlT_T0_E_clISt17integral_constantIbLb1EESX_IbLb0EEEEDaST_SU_EUlST_E_NS1_11comp_targetILNS1_3genE5ELNS1_11target_archE942ELNS1_3gpuE9ELNS1_3repE0EEENS1_30default_config_static_selectorELNS0_4arch9wavefront6targetE0EEEvT1_,comdat
	.globl	_ZN7rocprim17ROCPRIM_400000_NS6detail17trampoline_kernelINS0_14default_configENS1_20scan_config_selectorIN3c104HalfEEEZZNS1_9scan_implILNS1_25lookback_scan_determinismE0ELb0ELb0ES3_PKS6_PS6_S6_ZZZN2at6native31launch_logcumsumexp_cuda_kernelERKNSD_10TensorBaseESH_lENKUlvE_clEvENKUlvE3_clEvEUlS6_S6_E_S6_EEDaPvRmT3_T4_T5_mT6_P12ihipStream_tbENKUlT_T0_E_clISt17integral_constantIbLb1EESX_IbLb0EEEEDaST_SU_EUlST_E_NS1_11comp_targetILNS1_3genE5ELNS1_11target_archE942ELNS1_3gpuE9ELNS1_3repE0EEENS1_30default_config_static_selectorELNS0_4arch9wavefront6targetE0EEEvT1_ ; -- Begin function _ZN7rocprim17ROCPRIM_400000_NS6detail17trampoline_kernelINS0_14default_configENS1_20scan_config_selectorIN3c104HalfEEEZZNS1_9scan_implILNS1_25lookback_scan_determinismE0ELb0ELb0ES3_PKS6_PS6_S6_ZZZN2at6native31launch_logcumsumexp_cuda_kernelERKNSD_10TensorBaseESH_lENKUlvE_clEvENKUlvE3_clEvEUlS6_S6_E_S6_EEDaPvRmT3_T4_T5_mT6_P12ihipStream_tbENKUlT_T0_E_clISt17integral_constantIbLb1EESX_IbLb0EEEEDaST_SU_EUlST_E_NS1_11comp_targetILNS1_3genE5ELNS1_11target_archE942ELNS1_3gpuE9ELNS1_3repE0EEENS1_30default_config_static_selectorELNS0_4arch9wavefront6targetE0EEEvT1_
	.p2align	8
	.type	_ZN7rocprim17ROCPRIM_400000_NS6detail17trampoline_kernelINS0_14default_configENS1_20scan_config_selectorIN3c104HalfEEEZZNS1_9scan_implILNS1_25lookback_scan_determinismE0ELb0ELb0ES3_PKS6_PS6_S6_ZZZN2at6native31launch_logcumsumexp_cuda_kernelERKNSD_10TensorBaseESH_lENKUlvE_clEvENKUlvE3_clEvEUlS6_S6_E_S6_EEDaPvRmT3_T4_T5_mT6_P12ihipStream_tbENKUlT_T0_E_clISt17integral_constantIbLb1EESX_IbLb0EEEEDaST_SU_EUlST_E_NS1_11comp_targetILNS1_3genE5ELNS1_11target_archE942ELNS1_3gpuE9ELNS1_3repE0EEENS1_30default_config_static_selectorELNS0_4arch9wavefront6targetE0EEEvT1_,@function
_ZN7rocprim17ROCPRIM_400000_NS6detail17trampoline_kernelINS0_14default_configENS1_20scan_config_selectorIN3c104HalfEEEZZNS1_9scan_implILNS1_25lookback_scan_determinismE0ELb0ELb0ES3_PKS6_PS6_S6_ZZZN2at6native31launch_logcumsumexp_cuda_kernelERKNSD_10TensorBaseESH_lENKUlvE_clEvENKUlvE3_clEvEUlS6_S6_E_S6_EEDaPvRmT3_T4_T5_mT6_P12ihipStream_tbENKUlT_T0_E_clISt17integral_constantIbLb1EESX_IbLb0EEEEDaST_SU_EUlST_E_NS1_11comp_targetILNS1_3genE5ELNS1_11target_archE942ELNS1_3gpuE9ELNS1_3repE0EEENS1_30default_config_static_selectorELNS0_4arch9wavefront6targetE0EEEvT1_: ; @_ZN7rocprim17ROCPRIM_400000_NS6detail17trampoline_kernelINS0_14default_configENS1_20scan_config_selectorIN3c104HalfEEEZZNS1_9scan_implILNS1_25lookback_scan_determinismE0ELb0ELb0ES3_PKS6_PS6_S6_ZZZN2at6native31launch_logcumsumexp_cuda_kernelERKNSD_10TensorBaseESH_lENKUlvE_clEvENKUlvE3_clEvEUlS6_S6_E_S6_EEDaPvRmT3_T4_T5_mT6_P12ihipStream_tbENKUlT_T0_E_clISt17integral_constantIbLb1EESX_IbLb0EEEEDaST_SU_EUlST_E_NS1_11comp_targetILNS1_3genE5ELNS1_11target_archE942ELNS1_3gpuE9ELNS1_3repE0EEENS1_30default_config_static_selectorELNS0_4arch9wavefront6targetE0EEEvT1_
; %bb.0:
	.section	.rodata,"a",@progbits
	.p2align	6, 0x0
	.amdhsa_kernel _ZN7rocprim17ROCPRIM_400000_NS6detail17trampoline_kernelINS0_14default_configENS1_20scan_config_selectorIN3c104HalfEEEZZNS1_9scan_implILNS1_25lookback_scan_determinismE0ELb0ELb0ES3_PKS6_PS6_S6_ZZZN2at6native31launch_logcumsumexp_cuda_kernelERKNSD_10TensorBaseESH_lENKUlvE_clEvENKUlvE3_clEvEUlS6_S6_E_S6_EEDaPvRmT3_T4_T5_mT6_P12ihipStream_tbENKUlT_T0_E_clISt17integral_constantIbLb1EESX_IbLb0EEEEDaST_SU_EUlST_E_NS1_11comp_targetILNS1_3genE5ELNS1_11target_archE942ELNS1_3gpuE9ELNS1_3repE0EEENS1_30default_config_static_selectorELNS0_4arch9wavefront6targetE0EEEvT1_
		.amdhsa_group_segment_fixed_size 0
		.amdhsa_private_segment_fixed_size 0
		.amdhsa_kernarg_size 96
		.amdhsa_user_sgpr_count 6
		.amdhsa_user_sgpr_private_segment_buffer 1
		.amdhsa_user_sgpr_dispatch_ptr 0
		.amdhsa_user_sgpr_queue_ptr 0
		.amdhsa_user_sgpr_kernarg_segment_ptr 1
		.amdhsa_user_sgpr_dispatch_id 0
		.amdhsa_user_sgpr_flat_scratch_init 0
		.amdhsa_user_sgpr_private_segment_size 0
		.amdhsa_wavefront_size32 1
		.amdhsa_uses_dynamic_stack 0
		.amdhsa_system_sgpr_private_segment_wavefront_offset 0
		.amdhsa_system_sgpr_workgroup_id_x 1
		.amdhsa_system_sgpr_workgroup_id_y 0
		.amdhsa_system_sgpr_workgroup_id_z 0
		.amdhsa_system_sgpr_workgroup_info 0
		.amdhsa_system_vgpr_workitem_id 0
		.amdhsa_next_free_vgpr 1
		.amdhsa_next_free_sgpr 1
		.amdhsa_reserve_vcc 0
		.amdhsa_reserve_flat_scratch 0
		.amdhsa_float_round_mode_32 0
		.amdhsa_float_round_mode_16_64 0
		.amdhsa_float_denorm_mode_32 3
		.amdhsa_float_denorm_mode_16_64 3
		.amdhsa_dx10_clamp 1
		.amdhsa_ieee_mode 1
		.amdhsa_fp16_overflow 0
		.amdhsa_workgroup_processor_mode 1
		.amdhsa_memory_ordered 1
		.amdhsa_forward_progress 1
		.amdhsa_shared_vgpr_count 0
		.amdhsa_exception_fp_ieee_invalid_op 0
		.amdhsa_exception_fp_denorm_src 0
		.amdhsa_exception_fp_ieee_div_zero 0
		.amdhsa_exception_fp_ieee_overflow 0
		.amdhsa_exception_fp_ieee_underflow 0
		.amdhsa_exception_fp_ieee_inexact 0
		.amdhsa_exception_int_div_zero 0
	.end_amdhsa_kernel
	.section	.text._ZN7rocprim17ROCPRIM_400000_NS6detail17trampoline_kernelINS0_14default_configENS1_20scan_config_selectorIN3c104HalfEEEZZNS1_9scan_implILNS1_25lookback_scan_determinismE0ELb0ELb0ES3_PKS6_PS6_S6_ZZZN2at6native31launch_logcumsumexp_cuda_kernelERKNSD_10TensorBaseESH_lENKUlvE_clEvENKUlvE3_clEvEUlS6_S6_E_S6_EEDaPvRmT3_T4_T5_mT6_P12ihipStream_tbENKUlT_T0_E_clISt17integral_constantIbLb1EESX_IbLb0EEEEDaST_SU_EUlST_E_NS1_11comp_targetILNS1_3genE5ELNS1_11target_archE942ELNS1_3gpuE9ELNS1_3repE0EEENS1_30default_config_static_selectorELNS0_4arch9wavefront6targetE0EEEvT1_,"axG",@progbits,_ZN7rocprim17ROCPRIM_400000_NS6detail17trampoline_kernelINS0_14default_configENS1_20scan_config_selectorIN3c104HalfEEEZZNS1_9scan_implILNS1_25lookback_scan_determinismE0ELb0ELb0ES3_PKS6_PS6_S6_ZZZN2at6native31launch_logcumsumexp_cuda_kernelERKNSD_10TensorBaseESH_lENKUlvE_clEvENKUlvE3_clEvEUlS6_S6_E_S6_EEDaPvRmT3_T4_T5_mT6_P12ihipStream_tbENKUlT_T0_E_clISt17integral_constantIbLb1EESX_IbLb0EEEEDaST_SU_EUlST_E_NS1_11comp_targetILNS1_3genE5ELNS1_11target_archE942ELNS1_3gpuE9ELNS1_3repE0EEENS1_30default_config_static_selectorELNS0_4arch9wavefront6targetE0EEEvT1_,comdat
.Lfunc_end398:
	.size	_ZN7rocprim17ROCPRIM_400000_NS6detail17trampoline_kernelINS0_14default_configENS1_20scan_config_selectorIN3c104HalfEEEZZNS1_9scan_implILNS1_25lookback_scan_determinismE0ELb0ELb0ES3_PKS6_PS6_S6_ZZZN2at6native31launch_logcumsumexp_cuda_kernelERKNSD_10TensorBaseESH_lENKUlvE_clEvENKUlvE3_clEvEUlS6_S6_E_S6_EEDaPvRmT3_T4_T5_mT6_P12ihipStream_tbENKUlT_T0_E_clISt17integral_constantIbLb1EESX_IbLb0EEEEDaST_SU_EUlST_E_NS1_11comp_targetILNS1_3genE5ELNS1_11target_archE942ELNS1_3gpuE9ELNS1_3repE0EEENS1_30default_config_static_selectorELNS0_4arch9wavefront6targetE0EEEvT1_, .Lfunc_end398-_ZN7rocprim17ROCPRIM_400000_NS6detail17trampoline_kernelINS0_14default_configENS1_20scan_config_selectorIN3c104HalfEEEZZNS1_9scan_implILNS1_25lookback_scan_determinismE0ELb0ELb0ES3_PKS6_PS6_S6_ZZZN2at6native31launch_logcumsumexp_cuda_kernelERKNSD_10TensorBaseESH_lENKUlvE_clEvENKUlvE3_clEvEUlS6_S6_E_S6_EEDaPvRmT3_T4_T5_mT6_P12ihipStream_tbENKUlT_T0_E_clISt17integral_constantIbLb1EESX_IbLb0EEEEDaST_SU_EUlST_E_NS1_11comp_targetILNS1_3genE5ELNS1_11target_archE942ELNS1_3gpuE9ELNS1_3repE0EEENS1_30default_config_static_selectorELNS0_4arch9wavefront6targetE0EEEvT1_
                                        ; -- End function
	.set _ZN7rocprim17ROCPRIM_400000_NS6detail17trampoline_kernelINS0_14default_configENS1_20scan_config_selectorIN3c104HalfEEEZZNS1_9scan_implILNS1_25lookback_scan_determinismE0ELb0ELb0ES3_PKS6_PS6_S6_ZZZN2at6native31launch_logcumsumexp_cuda_kernelERKNSD_10TensorBaseESH_lENKUlvE_clEvENKUlvE3_clEvEUlS6_S6_E_S6_EEDaPvRmT3_T4_T5_mT6_P12ihipStream_tbENKUlT_T0_E_clISt17integral_constantIbLb1EESX_IbLb0EEEEDaST_SU_EUlST_E_NS1_11comp_targetILNS1_3genE5ELNS1_11target_archE942ELNS1_3gpuE9ELNS1_3repE0EEENS1_30default_config_static_selectorELNS0_4arch9wavefront6targetE0EEEvT1_.num_vgpr, 0
	.set _ZN7rocprim17ROCPRIM_400000_NS6detail17trampoline_kernelINS0_14default_configENS1_20scan_config_selectorIN3c104HalfEEEZZNS1_9scan_implILNS1_25lookback_scan_determinismE0ELb0ELb0ES3_PKS6_PS6_S6_ZZZN2at6native31launch_logcumsumexp_cuda_kernelERKNSD_10TensorBaseESH_lENKUlvE_clEvENKUlvE3_clEvEUlS6_S6_E_S6_EEDaPvRmT3_T4_T5_mT6_P12ihipStream_tbENKUlT_T0_E_clISt17integral_constantIbLb1EESX_IbLb0EEEEDaST_SU_EUlST_E_NS1_11comp_targetILNS1_3genE5ELNS1_11target_archE942ELNS1_3gpuE9ELNS1_3repE0EEENS1_30default_config_static_selectorELNS0_4arch9wavefront6targetE0EEEvT1_.num_agpr, 0
	.set _ZN7rocprim17ROCPRIM_400000_NS6detail17trampoline_kernelINS0_14default_configENS1_20scan_config_selectorIN3c104HalfEEEZZNS1_9scan_implILNS1_25lookback_scan_determinismE0ELb0ELb0ES3_PKS6_PS6_S6_ZZZN2at6native31launch_logcumsumexp_cuda_kernelERKNSD_10TensorBaseESH_lENKUlvE_clEvENKUlvE3_clEvEUlS6_S6_E_S6_EEDaPvRmT3_T4_T5_mT6_P12ihipStream_tbENKUlT_T0_E_clISt17integral_constantIbLb1EESX_IbLb0EEEEDaST_SU_EUlST_E_NS1_11comp_targetILNS1_3genE5ELNS1_11target_archE942ELNS1_3gpuE9ELNS1_3repE0EEENS1_30default_config_static_selectorELNS0_4arch9wavefront6targetE0EEEvT1_.numbered_sgpr, 0
	.set _ZN7rocprim17ROCPRIM_400000_NS6detail17trampoline_kernelINS0_14default_configENS1_20scan_config_selectorIN3c104HalfEEEZZNS1_9scan_implILNS1_25lookback_scan_determinismE0ELb0ELb0ES3_PKS6_PS6_S6_ZZZN2at6native31launch_logcumsumexp_cuda_kernelERKNSD_10TensorBaseESH_lENKUlvE_clEvENKUlvE3_clEvEUlS6_S6_E_S6_EEDaPvRmT3_T4_T5_mT6_P12ihipStream_tbENKUlT_T0_E_clISt17integral_constantIbLb1EESX_IbLb0EEEEDaST_SU_EUlST_E_NS1_11comp_targetILNS1_3genE5ELNS1_11target_archE942ELNS1_3gpuE9ELNS1_3repE0EEENS1_30default_config_static_selectorELNS0_4arch9wavefront6targetE0EEEvT1_.num_named_barrier, 0
	.set _ZN7rocprim17ROCPRIM_400000_NS6detail17trampoline_kernelINS0_14default_configENS1_20scan_config_selectorIN3c104HalfEEEZZNS1_9scan_implILNS1_25lookback_scan_determinismE0ELb0ELb0ES3_PKS6_PS6_S6_ZZZN2at6native31launch_logcumsumexp_cuda_kernelERKNSD_10TensorBaseESH_lENKUlvE_clEvENKUlvE3_clEvEUlS6_S6_E_S6_EEDaPvRmT3_T4_T5_mT6_P12ihipStream_tbENKUlT_T0_E_clISt17integral_constantIbLb1EESX_IbLb0EEEEDaST_SU_EUlST_E_NS1_11comp_targetILNS1_3genE5ELNS1_11target_archE942ELNS1_3gpuE9ELNS1_3repE0EEENS1_30default_config_static_selectorELNS0_4arch9wavefront6targetE0EEEvT1_.private_seg_size, 0
	.set _ZN7rocprim17ROCPRIM_400000_NS6detail17trampoline_kernelINS0_14default_configENS1_20scan_config_selectorIN3c104HalfEEEZZNS1_9scan_implILNS1_25lookback_scan_determinismE0ELb0ELb0ES3_PKS6_PS6_S6_ZZZN2at6native31launch_logcumsumexp_cuda_kernelERKNSD_10TensorBaseESH_lENKUlvE_clEvENKUlvE3_clEvEUlS6_S6_E_S6_EEDaPvRmT3_T4_T5_mT6_P12ihipStream_tbENKUlT_T0_E_clISt17integral_constantIbLb1EESX_IbLb0EEEEDaST_SU_EUlST_E_NS1_11comp_targetILNS1_3genE5ELNS1_11target_archE942ELNS1_3gpuE9ELNS1_3repE0EEENS1_30default_config_static_selectorELNS0_4arch9wavefront6targetE0EEEvT1_.uses_vcc, 0
	.set _ZN7rocprim17ROCPRIM_400000_NS6detail17trampoline_kernelINS0_14default_configENS1_20scan_config_selectorIN3c104HalfEEEZZNS1_9scan_implILNS1_25lookback_scan_determinismE0ELb0ELb0ES3_PKS6_PS6_S6_ZZZN2at6native31launch_logcumsumexp_cuda_kernelERKNSD_10TensorBaseESH_lENKUlvE_clEvENKUlvE3_clEvEUlS6_S6_E_S6_EEDaPvRmT3_T4_T5_mT6_P12ihipStream_tbENKUlT_T0_E_clISt17integral_constantIbLb1EESX_IbLb0EEEEDaST_SU_EUlST_E_NS1_11comp_targetILNS1_3genE5ELNS1_11target_archE942ELNS1_3gpuE9ELNS1_3repE0EEENS1_30default_config_static_selectorELNS0_4arch9wavefront6targetE0EEEvT1_.uses_flat_scratch, 0
	.set _ZN7rocprim17ROCPRIM_400000_NS6detail17trampoline_kernelINS0_14default_configENS1_20scan_config_selectorIN3c104HalfEEEZZNS1_9scan_implILNS1_25lookback_scan_determinismE0ELb0ELb0ES3_PKS6_PS6_S6_ZZZN2at6native31launch_logcumsumexp_cuda_kernelERKNSD_10TensorBaseESH_lENKUlvE_clEvENKUlvE3_clEvEUlS6_S6_E_S6_EEDaPvRmT3_T4_T5_mT6_P12ihipStream_tbENKUlT_T0_E_clISt17integral_constantIbLb1EESX_IbLb0EEEEDaST_SU_EUlST_E_NS1_11comp_targetILNS1_3genE5ELNS1_11target_archE942ELNS1_3gpuE9ELNS1_3repE0EEENS1_30default_config_static_selectorELNS0_4arch9wavefront6targetE0EEEvT1_.has_dyn_sized_stack, 0
	.set _ZN7rocprim17ROCPRIM_400000_NS6detail17trampoline_kernelINS0_14default_configENS1_20scan_config_selectorIN3c104HalfEEEZZNS1_9scan_implILNS1_25lookback_scan_determinismE0ELb0ELb0ES3_PKS6_PS6_S6_ZZZN2at6native31launch_logcumsumexp_cuda_kernelERKNSD_10TensorBaseESH_lENKUlvE_clEvENKUlvE3_clEvEUlS6_S6_E_S6_EEDaPvRmT3_T4_T5_mT6_P12ihipStream_tbENKUlT_T0_E_clISt17integral_constantIbLb1EESX_IbLb0EEEEDaST_SU_EUlST_E_NS1_11comp_targetILNS1_3genE5ELNS1_11target_archE942ELNS1_3gpuE9ELNS1_3repE0EEENS1_30default_config_static_selectorELNS0_4arch9wavefront6targetE0EEEvT1_.has_recursion, 0
	.set _ZN7rocprim17ROCPRIM_400000_NS6detail17trampoline_kernelINS0_14default_configENS1_20scan_config_selectorIN3c104HalfEEEZZNS1_9scan_implILNS1_25lookback_scan_determinismE0ELb0ELb0ES3_PKS6_PS6_S6_ZZZN2at6native31launch_logcumsumexp_cuda_kernelERKNSD_10TensorBaseESH_lENKUlvE_clEvENKUlvE3_clEvEUlS6_S6_E_S6_EEDaPvRmT3_T4_T5_mT6_P12ihipStream_tbENKUlT_T0_E_clISt17integral_constantIbLb1EESX_IbLb0EEEEDaST_SU_EUlST_E_NS1_11comp_targetILNS1_3genE5ELNS1_11target_archE942ELNS1_3gpuE9ELNS1_3repE0EEENS1_30default_config_static_selectorELNS0_4arch9wavefront6targetE0EEEvT1_.has_indirect_call, 0
	.section	.AMDGPU.csdata,"",@progbits
; Kernel info:
; codeLenInByte = 0
; TotalNumSgprs: 0
; NumVgprs: 0
; ScratchSize: 0
; MemoryBound: 0
; FloatMode: 240
; IeeeMode: 1
; LDSByteSize: 0 bytes/workgroup (compile time only)
; SGPRBlocks: 0
; VGPRBlocks: 0
; NumSGPRsForWavesPerEU: 1
; NumVGPRsForWavesPerEU: 1
; Occupancy: 16
; WaveLimiterHint : 0
; COMPUTE_PGM_RSRC2:SCRATCH_EN: 0
; COMPUTE_PGM_RSRC2:USER_SGPR: 6
; COMPUTE_PGM_RSRC2:TRAP_HANDLER: 0
; COMPUTE_PGM_RSRC2:TGID_X_EN: 1
; COMPUTE_PGM_RSRC2:TGID_Y_EN: 0
; COMPUTE_PGM_RSRC2:TGID_Z_EN: 0
; COMPUTE_PGM_RSRC2:TIDIG_COMP_CNT: 0
	.section	.text._ZN7rocprim17ROCPRIM_400000_NS6detail17trampoline_kernelINS0_14default_configENS1_20scan_config_selectorIN3c104HalfEEEZZNS1_9scan_implILNS1_25lookback_scan_determinismE0ELb0ELb0ES3_PKS6_PS6_S6_ZZZN2at6native31launch_logcumsumexp_cuda_kernelERKNSD_10TensorBaseESH_lENKUlvE_clEvENKUlvE3_clEvEUlS6_S6_E_S6_EEDaPvRmT3_T4_T5_mT6_P12ihipStream_tbENKUlT_T0_E_clISt17integral_constantIbLb1EESX_IbLb0EEEEDaST_SU_EUlST_E_NS1_11comp_targetILNS1_3genE4ELNS1_11target_archE910ELNS1_3gpuE8ELNS1_3repE0EEENS1_30default_config_static_selectorELNS0_4arch9wavefront6targetE0EEEvT1_,"axG",@progbits,_ZN7rocprim17ROCPRIM_400000_NS6detail17trampoline_kernelINS0_14default_configENS1_20scan_config_selectorIN3c104HalfEEEZZNS1_9scan_implILNS1_25lookback_scan_determinismE0ELb0ELb0ES3_PKS6_PS6_S6_ZZZN2at6native31launch_logcumsumexp_cuda_kernelERKNSD_10TensorBaseESH_lENKUlvE_clEvENKUlvE3_clEvEUlS6_S6_E_S6_EEDaPvRmT3_T4_T5_mT6_P12ihipStream_tbENKUlT_T0_E_clISt17integral_constantIbLb1EESX_IbLb0EEEEDaST_SU_EUlST_E_NS1_11comp_targetILNS1_3genE4ELNS1_11target_archE910ELNS1_3gpuE8ELNS1_3repE0EEENS1_30default_config_static_selectorELNS0_4arch9wavefront6targetE0EEEvT1_,comdat
	.globl	_ZN7rocprim17ROCPRIM_400000_NS6detail17trampoline_kernelINS0_14default_configENS1_20scan_config_selectorIN3c104HalfEEEZZNS1_9scan_implILNS1_25lookback_scan_determinismE0ELb0ELb0ES3_PKS6_PS6_S6_ZZZN2at6native31launch_logcumsumexp_cuda_kernelERKNSD_10TensorBaseESH_lENKUlvE_clEvENKUlvE3_clEvEUlS6_S6_E_S6_EEDaPvRmT3_T4_T5_mT6_P12ihipStream_tbENKUlT_T0_E_clISt17integral_constantIbLb1EESX_IbLb0EEEEDaST_SU_EUlST_E_NS1_11comp_targetILNS1_3genE4ELNS1_11target_archE910ELNS1_3gpuE8ELNS1_3repE0EEENS1_30default_config_static_selectorELNS0_4arch9wavefront6targetE0EEEvT1_ ; -- Begin function _ZN7rocprim17ROCPRIM_400000_NS6detail17trampoline_kernelINS0_14default_configENS1_20scan_config_selectorIN3c104HalfEEEZZNS1_9scan_implILNS1_25lookback_scan_determinismE0ELb0ELb0ES3_PKS6_PS6_S6_ZZZN2at6native31launch_logcumsumexp_cuda_kernelERKNSD_10TensorBaseESH_lENKUlvE_clEvENKUlvE3_clEvEUlS6_S6_E_S6_EEDaPvRmT3_T4_T5_mT6_P12ihipStream_tbENKUlT_T0_E_clISt17integral_constantIbLb1EESX_IbLb0EEEEDaST_SU_EUlST_E_NS1_11comp_targetILNS1_3genE4ELNS1_11target_archE910ELNS1_3gpuE8ELNS1_3repE0EEENS1_30default_config_static_selectorELNS0_4arch9wavefront6targetE0EEEvT1_
	.p2align	8
	.type	_ZN7rocprim17ROCPRIM_400000_NS6detail17trampoline_kernelINS0_14default_configENS1_20scan_config_selectorIN3c104HalfEEEZZNS1_9scan_implILNS1_25lookback_scan_determinismE0ELb0ELb0ES3_PKS6_PS6_S6_ZZZN2at6native31launch_logcumsumexp_cuda_kernelERKNSD_10TensorBaseESH_lENKUlvE_clEvENKUlvE3_clEvEUlS6_S6_E_S6_EEDaPvRmT3_T4_T5_mT6_P12ihipStream_tbENKUlT_T0_E_clISt17integral_constantIbLb1EESX_IbLb0EEEEDaST_SU_EUlST_E_NS1_11comp_targetILNS1_3genE4ELNS1_11target_archE910ELNS1_3gpuE8ELNS1_3repE0EEENS1_30default_config_static_selectorELNS0_4arch9wavefront6targetE0EEEvT1_,@function
_ZN7rocprim17ROCPRIM_400000_NS6detail17trampoline_kernelINS0_14default_configENS1_20scan_config_selectorIN3c104HalfEEEZZNS1_9scan_implILNS1_25lookback_scan_determinismE0ELb0ELb0ES3_PKS6_PS6_S6_ZZZN2at6native31launch_logcumsumexp_cuda_kernelERKNSD_10TensorBaseESH_lENKUlvE_clEvENKUlvE3_clEvEUlS6_S6_E_S6_EEDaPvRmT3_T4_T5_mT6_P12ihipStream_tbENKUlT_T0_E_clISt17integral_constantIbLb1EESX_IbLb0EEEEDaST_SU_EUlST_E_NS1_11comp_targetILNS1_3genE4ELNS1_11target_archE910ELNS1_3gpuE8ELNS1_3repE0EEENS1_30default_config_static_selectorELNS0_4arch9wavefront6targetE0EEEvT1_: ; @_ZN7rocprim17ROCPRIM_400000_NS6detail17trampoline_kernelINS0_14default_configENS1_20scan_config_selectorIN3c104HalfEEEZZNS1_9scan_implILNS1_25lookback_scan_determinismE0ELb0ELb0ES3_PKS6_PS6_S6_ZZZN2at6native31launch_logcumsumexp_cuda_kernelERKNSD_10TensorBaseESH_lENKUlvE_clEvENKUlvE3_clEvEUlS6_S6_E_S6_EEDaPvRmT3_T4_T5_mT6_P12ihipStream_tbENKUlT_T0_E_clISt17integral_constantIbLb1EESX_IbLb0EEEEDaST_SU_EUlST_E_NS1_11comp_targetILNS1_3genE4ELNS1_11target_archE910ELNS1_3gpuE8ELNS1_3repE0EEENS1_30default_config_static_selectorELNS0_4arch9wavefront6targetE0EEEvT1_
; %bb.0:
	.section	.rodata,"a",@progbits
	.p2align	6, 0x0
	.amdhsa_kernel _ZN7rocprim17ROCPRIM_400000_NS6detail17trampoline_kernelINS0_14default_configENS1_20scan_config_selectorIN3c104HalfEEEZZNS1_9scan_implILNS1_25lookback_scan_determinismE0ELb0ELb0ES3_PKS6_PS6_S6_ZZZN2at6native31launch_logcumsumexp_cuda_kernelERKNSD_10TensorBaseESH_lENKUlvE_clEvENKUlvE3_clEvEUlS6_S6_E_S6_EEDaPvRmT3_T4_T5_mT6_P12ihipStream_tbENKUlT_T0_E_clISt17integral_constantIbLb1EESX_IbLb0EEEEDaST_SU_EUlST_E_NS1_11comp_targetILNS1_3genE4ELNS1_11target_archE910ELNS1_3gpuE8ELNS1_3repE0EEENS1_30default_config_static_selectorELNS0_4arch9wavefront6targetE0EEEvT1_
		.amdhsa_group_segment_fixed_size 0
		.amdhsa_private_segment_fixed_size 0
		.amdhsa_kernarg_size 96
		.amdhsa_user_sgpr_count 6
		.amdhsa_user_sgpr_private_segment_buffer 1
		.amdhsa_user_sgpr_dispatch_ptr 0
		.amdhsa_user_sgpr_queue_ptr 0
		.amdhsa_user_sgpr_kernarg_segment_ptr 1
		.amdhsa_user_sgpr_dispatch_id 0
		.amdhsa_user_sgpr_flat_scratch_init 0
		.amdhsa_user_sgpr_private_segment_size 0
		.amdhsa_wavefront_size32 1
		.amdhsa_uses_dynamic_stack 0
		.amdhsa_system_sgpr_private_segment_wavefront_offset 0
		.amdhsa_system_sgpr_workgroup_id_x 1
		.amdhsa_system_sgpr_workgroup_id_y 0
		.amdhsa_system_sgpr_workgroup_id_z 0
		.amdhsa_system_sgpr_workgroup_info 0
		.amdhsa_system_vgpr_workitem_id 0
		.amdhsa_next_free_vgpr 1
		.amdhsa_next_free_sgpr 1
		.amdhsa_reserve_vcc 0
		.amdhsa_reserve_flat_scratch 0
		.amdhsa_float_round_mode_32 0
		.amdhsa_float_round_mode_16_64 0
		.amdhsa_float_denorm_mode_32 3
		.amdhsa_float_denorm_mode_16_64 3
		.amdhsa_dx10_clamp 1
		.amdhsa_ieee_mode 1
		.amdhsa_fp16_overflow 0
		.amdhsa_workgroup_processor_mode 1
		.amdhsa_memory_ordered 1
		.amdhsa_forward_progress 1
		.amdhsa_shared_vgpr_count 0
		.amdhsa_exception_fp_ieee_invalid_op 0
		.amdhsa_exception_fp_denorm_src 0
		.amdhsa_exception_fp_ieee_div_zero 0
		.amdhsa_exception_fp_ieee_overflow 0
		.amdhsa_exception_fp_ieee_underflow 0
		.amdhsa_exception_fp_ieee_inexact 0
		.amdhsa_exception_int_div_zero 0
	.end_amdhsa_kernel
	.section	.text._ZN7rocprim17ROCPRIM_400000_NS6detail17trampoline_kernelINS0_14default_configENS1_20scan_config_selectorIN3c104HalfEEEZZNS1_9scan_implILNS1_25lookback_scan_determinismE0ELb0ELb0ES3_PKS6_PS6_S6_ZZZN2at6native31launch_logcumsumexp_cuda_kernelERKNSD_10TensorBaseESH_lENKUlvE_clEvENKUlvE3_clEvEUlS6_S6_E_S6_EEDaPvRmT3_T4_T5_mT6_P12ihipStream_tbENKUlT_T0_E_clISt17integral_constantIbLb1EESX_IbLb0EEEEDaST_SU_EUlST_E_NS1_11comp_targetILNS1_3genE4ELNS1_11target_archE910ELNS1_3gpuE8ELNS1_3repE0EEENS1_30default_config_static_selectorELNS0_4arch9wavefront6targetE0EEEvT1_,"axG",@progbits,_ZN7rocprim17ROCPRIM_400000_NS6detail17trampoline_kernelINS0_14default_configENS1_20scan_config_selectorIN3c104HalfEEEZZNS1_9scan_implILNS1_25lookback_scan_determinismE0ELb0ELb0ES3_PKS6_PS6_S6_ZZZN2at6native31launch_logcumsumexp_cuda_kernelERKNSD_10TensorBaseESH_lENKUlvE_clEvENKUlvE3_clEvEUlS6_S6_E_S6_EEDaPvRmT3_T4_T5_mT6_P12ihipStream_tbENKUlT_T0_E_clISt17integral_constantIbLb1EESX_IbLb0EEEEDaST_SU_EUlST_E_NS1_11comp_targetILNS1_3genE4ELNS1_11target_archE910ELNS1_3gpuE8ELNS1_3repE0EEENS1_30default_config_static_selectorELNS0_4arch9wavefront6targetE0EEEvT1_,comdat
.Lfunc_end399:
	.size	_ZN7rocprim17ROCPRIM_400000_NS6detail17trampoline_kernelINS0_14default_configENS1_20scan_config_selectorIN3c104HalfEEEZZNS1_9scan_implILNS1_25lookback_scan_determinismE0ELb0ELb0ES3_PKS6_PS6_S6_ZZZN2at6native31launch_logcumsumexp_cuda_kernelERKNSD_10TensorBaseESH_lENKUlvE_clEvENKUlvE3_clEvEUlS6_S6_E_S6_EEDaPvRmT3_T4_T5_mT6_P12ihipStream_tbENKUlT_T0_E_clISt17integral_constantIbLb1EESX_IbLb0EEEEDaST_SU_EUlST_E_NS1_11comp_targetILNS1_3genE4ELNS1_11target_archE910ELNS1_3gpuE8ELNS1_3repE0EEENS1_30default_config_static_selectorELNS0_4arch9wavefront6targetE0EEEvT1_, .Lfunc_end399-_ZN7rocprim17ROCPRIM_400000_NS6detail17trampoline_kernelINS0_14default_configENS1_20scan_config_selectorIN3c104HalfEEEZZNS1_9scan_implILNS1_25lookback_scan_determinismE0ELb0ELb0ES3_PKS6_PS6_S6_ZZZN2at6native31launch_logcumsumexp_cuda_kernelERKNSD_10TensorBaseESH_lENKUlvE_clEvENKUlvE3_clEvEUlS6_S6_E_S6_EEDaPvRmT3_T4_T5_mT6_P12ihipStream_tbENKUlT_T0_E_clISt17integral_constantIbLb1EESX_IbLb0EEEEDaST_SU_EUlST_E_NS1_11comp_targetILNS1_3genE4ELNS1_11target_archE910ELNS1_3gpuE8ELNS1_3repE0EEENS1_30default_config_static_selectorELNS0_4arch9wavefront6targetE0EEEvT1_
                                        ; -- End function
	.set _ZN7rocprim17ROCPRIM_400000_NS6detail17trampoline_kernelINS0_14default_configENS1_20scan_config_selectorIN3c104HalfEEEZZNS1_9scan_implILNS1_25lookback_scan_determinismE0ELb0ELb0ES3_PKS6_PS6_S6_ZZZN2at6native31launch_logcumsumexp_cuda_kernelERKNSD_10TensorBaseESH_lENKUlvE_clEvENKUlvE3_clEvEUlS6_S6_E_S6_EEDaPvRmT3_T4_T5_mT6_P12ihipStream_tbENKUlT_T0_E_clISt17integral_constantIbLb1EESX_IbLb0EEEEDaST_SU_EUlST_E_NS1_11comp_targetILNS1_3genE4ELNS1_11target_archE910ELNS1_3gpuE8ELNS1_3repE0EEENS1_30default_config_static_selectorELNS0_4arch9wavefront6targetE0EEEvT1_.num_vgpr, 0
	.set _ZN7rocprim17ROCPRIM_400000_NS6detail17trampoline_kernelINS0_14default_configENS1_20scan_config_selectorIN3c104HalfEEEZZNS1_9scan_implILNS1_25lookback_scan_determinismE0ELb0ELb0ES3_PKS6_PS6_S6_ZZZN2at6native31launch_logcumsumexp_cuda_kernelERKNSD_10TensorBaseESH_lENKUlvE_clEvENKUlvE3_clEvEUlS6_S6_E_S6_EEDaPvRmT3_T4_T5_mT6_P12ihipStream_tbENKUlT_T0_E_clISt17integral_constantIbLb1EESX_IbLb0EEEEDaST_SU_EUlST_E_NS1_11comp_targetILNS1_3genE4ELNS1_11target_archE910ELNS1_3gpuE8ELNS1_3repE0EEENS1_30default_config_static_selectorELNS0_4arch9wavefront6targetE0EEEvT1_.num_agpr, 0
	.set _ZN7rocprim17ROCPRIM_400000_NS6detail17trampoline_kernelINS0_14default_configENS1_20scan_config_selectorIN3c104HalfEEEZZNS1_9scan_implILNS1_25lookback_scan_determinismE0ELb0ELb0ES3_PKS6_PS6_S6_ZZZN2at6native31launch_logcumsumexp_cuda_kernelERKNSD_10TensorBaseESH_lENKUlvE_clEvENKUlvE3_clEvEUlS6_S6_E_S6_EEDaPvRmT3_T4_T5_mT6_P12ihipStream_tbENKUlT_T0_E_clISt17integral_constantIbLb1EESX_IbLb0EEEEDaST_SU_EUlST_E_NS1_11comp_targetILNS1_3genE4ELNS1_11target_archE910ELNS1_3gpuE8ELNS1_3repE0EEENS1_30default_config_static_selectorELNS0_4arch9wavefront6targetE0EEEvT1_.numbered_sgpr, 0
	.set _ZN7rocprim17ROCPRIM_400000_NS6detail17trampoline_kernelINS0_14default_configENS1_20scan_config_selectorIN3c104HalfEEEZZNS1_9scan_implILNS1_25lookback_scan_determinismE0ELb0ELb0ES3_PKS6_PS6_S6_ZZZN2at6native31launch_logcumsumexp_cuda_kernelERKNSD_10TensorBaseESH_lENKUlvE_clEvENKUlvE3_clEvEUlS6_S6_E_S6_EEDaPvRmT3_T4_T5_mT6_P12ihipStream_tbENKUlT_T0_E_clISt17integral_constantIbLb1EESX_IbLb0EEEEDaST_SU_EUlST_E_NS1_11comp_targetILNS1_3genE4ELNS1_11target_archE910ELNS1_3gpuE8ELNS1_3repE0EEENS1_30default_config_static_selectorELNS0_4arch9wavefront6targetE0EEEvT1_.num_named_barrier, 0
	.set _ZN7rocprim17ROCPRIM_400000_NS6detail17trampoline_kernelINS0_14default_configENS1_20scan_config_selectorIN3c104HalfEEEZZNS1_9scan_implILNS1_25lookback_scan_determinismE0ELb0ELb0ES3_PKS6_PS6_S6_ZZZN2at6native31launch_logcumsumexp_cuda_kernelERKNSD_10TensorBaseESH_lENKUlvE_clEvENKUlvE3_clEvEUlS6_S6_E_S6_EEDaPvRmT3_T4_T5_mT6_P12ihipStream_tbENKUlT_T0_E_clISt17integral_constantIbLb1EESX_IbLb0EEEEDaST_SU_EUlST_E_NS1_11comp_targetILNS1_3genE4ELNS1_11target_archE910ELNS1_3gpuE8ELNS1_3repE0EEENS1_30default_config_static_selectorELNS0_4arch9wavefront6targetE0EEEvT1_.private_seg_size, 0
	.set _ZN7rocprim17ROCPRIM_400000_NS6detail17trampoline_kernelINS0_14default_configENS1_20scan_config_selectorIN3c104HalfEEEZZNS1_9scan_implILNS1_25lookback_scan_determinismE0ELb0ELb0ES3_PKS6_PS6_S6_ZZZN2at6native31launch_logcumsumexp_cuda_kernelERKNSD_10TensorBaseESH_lENKUlvE_clEvENKUlvE3_clEvEUlS6_S6_E_S6_EEDaPvRmT3_T4_T5_mT6_P12ihipStream_tbENKUlT_T0_E_clISt17integral_constantIbLb1EESX_IbLb0EEEEDaST_SU_EUlST_E_NS1_11comp_targetILNS1_3genE4ELNS1_11target_archE910ELNS1_3gpuE8ELNS1_3repE0EEENS1_30default_config_static_selectorELNS0_4arch9wavefront6targetE0EEEvT1_.uses_vcc, 0
	.set _ZN7rocprim17ROCPRIM_400000_NS6detail17trampoline_kernelINS0_14default_configENS1_20scan_config_selectorIN3c104HalfEEEZZNS1_9scan_implILNS1_25lookback_scan_determinismE0ELb0ELb0ES3_PKS6_PS6_S6_ZZZN2at6native31launch_logcumsumexp_cuda_kernelERKNSD_10TensorBaseESH_lENKUlvE_clEvENKUlvE3_clEvEUlS6_S6_E_S6_EEDaPvRmT3_T4_T5_mT6_P12ihipStream_tbENKUlT_T0_E_clISt17integral_constantIbLb1EESX_IbLb0EEEEDaST_SU_EUlST_E_NS1_11comp_targetILNS1_3genE4ELNS1_11target_archE910ELNS1_3gpuE8ELNS1_3repE0EEENS1_30default_config_static_selectorELNS0_4arch9wavefront6targetE0EEEvT1_.uses_flat_scratch, 0
	.set _ZN7rocprim17ROCPRIM_400000_NS6detail17trampoline_kernelINS0_14default_configENS1_20scan_config_selectorIN3c104HalfEEEZZNS1_9scan_implILNS1_25lookback_scan_determinismE0ELb0ELb0ES3_PKS6_PS6_S6_ZZZN2at6native31launch_logcumsumexp_cuda_kernelERKNSD_10TensorBaseESH_lENKUlvE_clEvENKUlvE3_clEvEUlS6_S6_E_S6_EEDaPvRmT3_T4_T5_mT6_P12ihipStream_tbENKUlT_T0_E_clISt17integral_constantIbLb1EESX_IbLb0EEEEDaST_SU_EUlST_E_NS1_11comp_targetILNS1_3genE4ELNS1_11target_archE910ELNS1_3gpuE8ELNS1_3repE0EEENS1_30default_config_static_selectorELNS0_4arch9wavefront6targetE0EEEvT1_.has_dyn_sized_stack, 0
	.set _ZN7rocprim17ROCPRIM_400000_NS6detail17trampoline_kernelINS0_14default_configENS1_20scan_config_selectorIN3c104HalfEEEZZNS1_9scan_implILNS1_25lookback_scan_determinismE0ELb0ELb0ES3_PKS6_PS6_S6_ZZZN2at6native31launch_logcumsumexp_cuda_kernelERKNSD_10TensorBaseESH_lENKUlvE_clEvENKUlvE3_clEvEUlS6_S6_E_S6_EEDaPvRmT3_T4_T5_mT6_P12ihipStream_tbENKUlT_T0_E_clISt17integral_constantIbLb1EESX_IbLb0EEEEDaST_SU_EUlST_E_NS1_11comp_targetILNS1_3genE4ELNS1_11target_archE910ELNS1_3gpuE8ELNS1_3repE0EEENS1_30default_config_static_selectorELNS0_4arch9wavefront6targetE0EEEvT1_.has_recursion, 0
	.set _ZN7rocprim17ROCPRIM_400000_NS6detail17trampoline_kernelINS0_14default_configENS1_20scan_config_selectorIN3c104HalfEEEZZNS1_9scan_implILNS1_25lookback_scan_determinismE0ELb0ELb0ES3_PKS6_PS6_S6_ZZZN2at6native31launch_logcumsumexp_cuda_kernelERKNSD_10TensorBaseESH_lENKUlvE_clEvENKUlvE3_clEvEUlS6_S6_E_S6_EEDaPvRmT3_T4_T5_mT6_P12ihipStream_tbENKUlT_T0_E_clISt17integral_constantIbLb1EESX_IbLb0EEEEDaST_SU_EUlST_E_NS1_11comp_targetILNS1_3genE4ELNS1_11target_archE910ELNS1_3gpuE8ELNS1_3repE0EEENS1_30default_config_static_selectorELNS0_4arch9wavefront6targetE0EEEvT1_.has_indirect_call, 0
	.section	.AMDGPU.csdata,"",@progbits
; Kernel info:
; codeLenInByte = 0
; TotalNumSgprs: 0
; NumVgprs: 0
; ScratchSize: 0
; MemoryBound: 0
; FloatMode: 240
; IeeeMode: 1
; LDSByteSize: 0 bytes/workgroup (compile time only)
; SGPRBlocks: 0
; VGPRBlocks: 0
; NumSGPRsForWavesPerEU: 1
; NumVGPRsForWavesPerEU: 1
; Occupancy: 16
; WaveLimiterHint : 0
; COMPUTE_PGM_RSRC2:SCRATCH_EN: 0
; COMPUTE_PGM_RSRC2:USER_SGPR: 6
; COMPUTE_PGM_RSRC2:TRAP_HANDLER: 0
; COMPUTE_PGM_RSRC2:TGID_X_EN: 1
; COMPUTE_PGM_RSRC2:TGID_Y_EN: 0
; COMPUTE_PGM_RSRC2:TGID_Z_EN: 0
; COMPUTE_PGM_RSRC2:TIDIG_COMP_CNT: 0
	.section	.text._ZN7rocprim17ROCPRIM_400000_NS6detail17trampoline_kernelINS0_14default_configENS1_20scan_config_selectorIN3c104HalfEEEZZNS1_9scan_implILNS1_25lookback_scan_determinismE0ELb0ELb0ES3_PKS6_PS6_S6_ZZZN2at6native31launch_logcumsumexp_cuda_kernelERKNSD_10TensorBaseESH_lENKUlvE_clEvENKUlvE3_clEvEUlS6_S6_E_S6_EEDaPvRmT3_T4_T5_mT6_P12ihipStream_tbENKUlT_T0_E_clISt17integral_constantIbLb1EESX_IbLb0EEEEDaST_SU_EUlST_E_NS1_11comp_targetILNS1_3genE3ELNS1_11target_archE908ELNS1_3gpuE7ELNS1_3repE0EEENS1_30default_config_static_selectorELNS0_4arch9wavefront6targetE0EEEvT1_,"axG",@progbits,_ZN7rocprim17ROCPRIM_400000_NS6detail17trampoline_kernelINS0_14default_configENS1_20scan_config_selectorIN3c104HalfEEEZZNS1_9scan_implILNS1_25lookback_scan_determinismE0ELb0ELb0ES3_PKS6_PS6_S6_ZZZN2at6native31launch_logcumsumexp_cuda_kernelERKNSD_10TensorBaseESH_lENKUlvE_clEvENKUlvE3_clEvEUlS6_S6_E_S6_EEDaPvRmT3_T4_T5_mT6_P12ihipStream_tbENKUlT_T0_E_clISt17integral_constantIbLb1EESX_IbLb0EEEEDaST_SU_EUlST_E_NS1_11comp_targetILNS1_3genE3ELNS1_11target_archE908ELNS1_3gpuE7ELNS1_3repE0EEENS1_30default_config_static_selectorELNS0_4arch9wavefront6targetE0EEEvT1_,comdat
	.globl	_ZN7rocprim17ROCPRIM_400000_NS6detail17trampoline_kernelINS0_14default_configENS1_20scan_config_selectorIN3c104HalfEEEZZNS1_9scan_implILNS1_25lookback_scan_determinismE0ELb0ELb0ES3_PKS6_PS6_S6_ZZZN2at6native31launch_logcumsumexp_cuda_kernelERKNSD_10TensorBaseESH_lENKUlvE_clEvENKUlvE3_clEvEUlS6_S6_E_S6_EEDaPvRmT3_T4_T5_mT6_P12ihipStream_tbENKUlT_T0_E_clISt17integral_constantIbLb1EESX_IbLb0EEEEDaST_SU_EUlST_E_NS1_11comp_targetILNS1_3genE3ELNS1_11target_archE908ELNS1_3gpuE7ELNS1_3repE0EEENS1_30default_config_static_selectorELNS0_4arch9wavefront6targetE0EEEvT1_ ; -- Begin function _ZN7rocprim17ROCPRIM_400000_NS6detail17trampoline_kernelINS0_14default_configENS1_20scan_config_selectorIN3c104HalfEEEZZNS1_9scan_implILNS1_25lookback_scan_determinismE0ELb0ELb0ES3_PKS6_PS6_S6_ZZZN2at6native31launch_logcumsumexp_cuda_kernelERKNSD_10TensorBaseESH_lENKUlvE_clEvENKUlvE3_clEvEUlS6_S6_E_S6_EEDaPvRmT3_T4_T5_mT6_P12ihipStream_tbENKUlT_T0_E_clISt17integral_constantIbLb1EESX_IbLb0EEEEDaST_SU_EUlST_E_NS1_11comp_targetILNS1_3genE3ELNS1_11target_archE908ELNS1_3gpuE7ELNS1_3repE0EEENS1_30default_config_static_selectorELNS0_4arch9wavefront6targetE0EEEvT1_
	.p2align	8
	.type	_ZN7rocprim17ROCPRIM_400000_NS6detail17trampoline_kernelINS0_14default_configENS1_20scan_config_selectorIN3c104HalfEEEZZNS1_9scan_implILNS1_25lookback_scan_determinismE0ELb0ELb0ES3_PKS6_PS6_S6_ZZZN2at6native31launch_logcumsumexp_cuda_kernelERKNSD_10TensorBaseESH_lENKUlvE_clEvENKUlvE3_clEvEUlS6_S6_E_S6_EEDaPvRmT3_T4_T5_mT6_P12ihipStream_tbENKUlT_T0_E_clISt17integral_constantIbLb1EESX_IbLb0EEEEDaST_SU_EUlST_E_NS1_11comp_targetILNS1_3genE3ELNS1_11target_archE908ELNS1_3gpuE7ELNS1_3repE0EEENS1_30default_config_static_selectorELNS0_4arch9wavefront6targetE0EEEvT1_,@function
_ZN7rocprim17ROCPRIM_400000_NS6detail17trampoline_kernelINS0_14default_configENS1_20scan_config_selectorIN3c104HalfEEEZZNS1_9scan_implILNS1_25lookback_scan_determinismE0ELb0ELb0ES3_PKS6_PS6_S6_ZZZN2at6native31launch_logcumsumexp_cuda_kernelERKNSD_10TensorBaseESH_lENKUlvE_clEvENKUlvE3_clEvEUlS6_S6_E_S6_EEDaPvRmT3_T4_T5_mT6_P12ihipStream_tbENKUlT_T0_E_clISt17integral_constantIbLb1EESX_IbLb0EEEEDaST_SU_EUlST_E_NS1_11comp_targetILNS1_3genE3ELNS1_11target_archE908ELNS1_3gpuE7ELNS1_3repE0EEENS1_30default_config_static_selectorELNS0_4arch9wavefront6targetE0EEEvT1_: ; @_ZN7rocprim17ROCPRIM_400000_NS6detail17trampoline_kernelINS0_14default_configENS1_20scan_config_selectorIN3c104HalfEEEZZNS1_9scan_implILNS1_25lookback_scan_determinismE0ELb0ELb0ES3_PKS6_PS6_S6_ZZZN2at6native31launch_logcumsumexp_cuda_kernelERKNSD_10TensorBaseESH_lENKUlvE_clEvENKUlvE3_clEvEUlS6_S6_E_S6_EEDaPvRmT3_T4_T5_mT6_P12ihipStream_tbENKUlT_T0_E_clISt17integral_constantIbLb1EESX_IbLb0EEEEDaST_SU_EUlST_E_NS1_11comp_targetILNS1_3genE3ELNS1_11target_archE908ELNS1_3gpuE7ELNS1_3repE0EEENS1_30default_config_static_selectorELNS0_4arch9wavefront6targetE0EEEvT1_
; %bb.0:
	.section	.rodata,"a",@progbits
	.p2align	6, 0x0
	.amdhsa_kernel _ZN7rocprim17ROCPRIM_400000_NS6detail17trampoline_kernelINS0_14default_configENS1_20scan_config_selectorIN3c104HalfEEEZZNS1_9scan_implILNS1_25lookback_scan_determinismE0ELb0ELb0ES3_PKS6_PS6_S6_ZZZN2at6native31launch_logcumsumexp_cuda_kernelERKNSD_10TensorBaseESH_lENKUlvE_clEvENKUlvE3_clEvEUlS6_S6_E_S6_EEDaPvRmT3_T4_T5_mT6_P12ihipStream_tbENKUlT_T0_E_clISt17integral_constantIbLb1EESX_IbLb0EEEEDaST_SU_EUlST_E_NS1_11comp_targetILNS1_3genE3ELNS1_11target_archE908ELNS1_3gpuE7ELNS1_3repE0EEENS1_30default_config_static_selectorELNS0_4arch9wavefront6targetE0EEEvT1_
		.amdhsa_group_segment_fixed_size 0
		.amdhsa_private_segment_fixed_size 0
		.amdhsa_kernarg_size 96
		.amdhsa_user_sgpr_count 6
		.amdhsa_user_sgpr_private_segment_buffer 1
		.amdhsa_user_sgpr_dispatch_ptr 0
		.amdhsa_user_sgpr_queue_ptr 0
		.amdhsa_user_sgpr_kernarg_segment_ptr 1
		.amdhsa_user_sgpr_dispatch_id 0
		.amdhsa_user_sgpr_flat_scratch_init 0
		.amdhsa_user_sgpr_private_segment_size 0
		.amdhsa_wavefront_size32 1
		.amdhsa_uses_dynamic_stack 0
		.amdhsa_system_sgpr_private_segment_wavefront_offset 0
		.amdhsa_system_sgpr_workgroup_id_x 1
		.amdhsa_system_sgpr_workgroup_id_y 0
		.amdhsa_system_sgpr_workgroup_id_z 0
		.amdhsa_system_sgpr_workgroup_info 0
		.amdhsa_system_vgpr_workitem_id 0
		.amdhsa_next_free_vgpr 1
		.amdhsa_next_free_sgpr 1
		.amdhsa_reserve_vcc 0
		.amdhsa_reserve_flat_scratch 0
		.amdhsa_float_round_mode_32 0
		.amdhsa_float_round_mode_16_64 0
		.amdhsa_float_denorm_mode_32 3
		.amdhsa_float_denorm_mode_16_64 3
		.amdhsa_dx10_clamp 1
		.amdhsa_ieee_mode 1
		.amdhsa_fp16_overflow 0
		.amdhsa_workgroup_processor_mode 1
		.amdhsa_memory_ordered 1
		.amdhsa_forward_progress 1
		.amdhsa_shared_vgpr_count 0
		.amdhsa_exception_fp_ieee_invalid_op 0
		.amdhsa_exception_fp_denorm_src 0
		.amdhsa_exception_fp_ieee_div_zero 0
		.amdhsa_exception_fp_ieee_overflow 0
		.amdhsa_exception_fp_ieee_underflow 0
		.amdhsa_exception_fp_ieee_inexact 0
		.amdhsa_exception_int_div_zero 0
	.end_amdhsa_kernel
	.section	.text._ZN7rocprim17ROCPRIM_400000_NS6detail17trampoline_kernelINS0_14default_configENS1_20scan_config_selectorIN3c104HalfEEEZZNS1_9scan_implILNS1_25lookback_scan_determinismE0ELb0ELb0ES3_PKS6_PS6_S6_ZZZN2at6native31launch_logcumsumexp_cuda_kernelERKNSD_10TensorBaseESH_lENKUlvE_clEvENKUlvE3_clEvEUlS6_S6_E_S6_EEDaPvRmT3_T4_T5_mT6_P12ihipStream_tbENKUlT_T0_E_clISt17integral_constantIbLb1EESX_IbLb0EEEEDaST_SU_EUlST_E_NS1_11comp_targetILNS1_3genE3ELNS1_11target_archE908ELNS1_3gpuE7ELNS1_3repE0EEENS1_30default_config_static_selectorELNS0_4arch9wavefront6targetE0EEEvT1_,"axG",@progbits,_ZN7rocprim17ROCPRIM_400000_NS6detail17trampoline_kernelINS0_14default_configENS1_20scan_config_selectorIN3c104HalfEEEZZNS1_9scan_implILNS1_25lookback_scan_determinismE0ELb0ELb0ES3_PKS6_PS6_S6_ZZZN2at6native31launch_logcumsumexp_cuda_kernelERKNSD_10TensorBaseESH_lENKUlvE_clEvENKUlvE3_clEvEUlS6_S6_E_S6_EEDaPvRmT3_T4_T5_mT6_P12ihipStream_tbENKUlT_T0_E_clISt17integral_constantIbLb1EESX_IbLb0EEEEDaST_SU_EUlST_E_NS1_11comp_targetILNS1_3genE3ELNS1_11target_archE908ELNS1_3gpuE7ELNS1_3repE0EEENS1_30default_config_static_selectorELNS0_4arch9wavefront6targetE0EEEvT1_,comdat
.Lfunc_end400:
	.size	_ZN7rocprim17ROCPRIM_400000_NS6detail17trampoline_kernelINS0_14default_configENS1_20scan_config_selectorIN3c104HalfEEEZZNS1_9scan_implILNS1_25lookback_scan_determinismE0ELb0ELb0ES3_PKS6_PS6_S6_ZZZN2at6native31launch_logcumsumexp_cuda_kernelERKNSD_10TensorBaseESH_lENKUlvE_clEvENKUlvE3_clEvEUlS6_S6_E_S6_EEDaPvRmT3_T4_T5_mT6_P12ihipStream_tbENKUlT_T0_E_clISt17integral_constantIbLb1EESX_IbLb0EEEEDaST_SU_EUlST_E_NS1_11comp_targetILNS1_3genE3ELNS1_11target_archE908ELNS1_3gpuE7ELNS1_3repE0EEENS1_30default_config_static_selectorELNS0_4arch9wavefront6targetE0EEEvT1_, .Lfunc_end400-_ZN7rocprim17ROCPRIM_400000_NS6detail17trampoline_kernelINS0_14default_configENS1_20scan_config_selectorIN3c104HalfEEEZZNS1_9scan_implILNS1_25lookback_scan_determinismE0ELb0ELb0ES3_PKS6_PS6_S6_ZZZN2at6native31launch_logcumsumexp_cuda_kernelERKNSD_10TensorBaseESH_lENKUlvE_clEvENKUlvE3_clEvEUlS6_S6_E_S6_EEDaPvRmT3_T4_T5_mT6_P12ihipStream_tbENKUlT_T0_E_clISt17integral_constantIbLb1EESX_IbLb0EEEEDaST_SU_EUlST_E_NS1_11comp_targetILNS1_3genE3ELNS1_11target_archE908ELNS1_3gpuE7ELNS1_3repE0EEENS1_30default_config_static_selectorELNS0_4arch9wavefront6targetE0EEEvT1_
                                        ; -- End function
	.set _ZN7rocprim17ROCPRIM_400000_NS6detail17trampoline_kernelINS0_14default_configENS1_20scan_config_selectorIN3c104HalfEEEZZNS1_9scan_implILNS1_25lookback_scan_determinismE0ELb0ELb0ES3_PKS6_PS6_S6_ZZZN2at6native31launch_logcumsumexp_cuda_kernelERKNSD_10TensorBaseESH_lENKUlvE_clEvENKUlvE3_clEvEUlS6_S6_E_S6_EEDaPvRmT3_T4_T5_mT6_P12ihipStream_tbENKUlT_T0_E_clISt17integral_constantIbLb1EESX_IbLb0EEEEDaST_SU_EUlST_E_NS1_11comp_targetILNS1_3genE3ELNS1_11target_archE908ELNS1_3gpuE7ELNS1_3repE0EEENS1_30default_config_static_selectorELNS0_4arch9wavefront6targetE0EEEvT1_.num_vgpr, 0
	.set _ZN7rocprim17ROCPRIM_400000_NS6detail17trampoline_kernelINS0_14default_configENS1_20scan_config_selectorIN3c104HalfEEEZZNS1_9scan_implILNS1_25lookback_scan_determinismE0ELb0ELb0ES3_PKS6_PS6_S6_ZZZN2at6native31launch_logcumsumexp_cuda_kernelERKNSD_10TensorBaseESH_lENKUlvE_clEvENKUlvE3_clEvEUlS6_S6_E_S6_EEDaPvRmT3_T4_T5_mT6_P12ihipStream_tbENKUlT_T0_E_clISt17integral_constantIbLb1EESX_IbLb0EEEEDaST_SU_EUlST_E_NS1_11comp_targetILNS1_3genE3ELNS1_11target_archE908ELNS1_3gpuE7ELNS1_3repE0EEENS1_30default_config_static_selectorELNS0_4arch9wavefront6targetE0EEEvT1_.num_agpr, 0
	.set _ZN7rocprim17ROCPRIM_400000_NS6detail17trampoline_kernelINS0_14default_configENS1_20scan_config_selectorIN3c104HalfEEEZZNS1_9scan_implILNS1_25lookback_scan_determinismE0ELb0ELb0ES3_PKS6_PS6_S6_ZZZN2at6native31launch_logcumsumexp_cuda_kernelERKNSD_10TensorBaseESH_lENKUlvE_clEvENKUlvE3_clEvEUlS6_S6_E_S6_EEDaPvRmT3_T4_T5_mT6_P12ihipStream_tbENKUlT_T0_E_clISt17integral_constantIbLb1EESX_IbLb0EEEEDaST_SU_EUlST_E_NS1_11comp_targetILNS1_3genE3ELNS1_11target_archE908ELNS1_3gpuE7ELNS1_3repE0EEENS1_30default_config_static_selectorELNS0_4arch9wavefront6targetE0EEEvT1_.numbered_sgpr, 0
	.set _ZN7rocprim17ROCPRIM_400000_NS6detail17trampoline_kernelINS0_14default_configENS1_20scan_config_selectorIN3c104HalfEEEZZNS1_9scan_implILNS1_25lookback_scan_determinismE0ELb0ELb0ES3_PKS6_PS6_S6_ZZZN2at6native31launch_logcumsumexp_cuda_kernelERKNSD_10TensorBaseESH_lENKUlvE_clEvENKUlvE3_clEvEUlS6_S6_E_S6_EEDaPvRmT3_T4_T5_mT6_P12ihipStream_tbENKUlT_T0_E_clISt17integral_constantIbLb1EESX_IbLb0EEEEDaST_SU_EUlST_E_NS1_11comp_targetILNS1_3genE3ELNS1_11target_archE908ELNS1_3gpuE7ELNS1_3repE0EEENS1_30default_config_static_selectorELNS0_4arch9wavefront6targetE0EEEvT1_.num_named_barrier, 0
	.set _ZN7rocprim17ROCPRIM_400000_NS6detail17trampoline_kernelINS0_14default_configENS1_20scan_config_selectorIN3c104HalfEEEZZNS1_9scan_implILNS1_25lookback_scan_determinismE0ELb0ELb0ES3_PKS6_PS6_S6_ZZZN2at6native31launch_logcumsumexp_cuda_kernelERKNSD_10TensorBaseESH_lENKUlvE_clEvENKUlvE3_clEvEUlS6_S6_E_S6_EEDaPvRmT3_T4_T5_mT6_P12ihipStream_tbENKUlT_T0_E_clISt17integral_constantIbLb1EESX_IbLb0EEEEDaST_SU_EUlST_E_NS1_11comp_targetILNS1_3genE3ELNS1_11target_archE908ELNS1_3gpuE7ELNS1_3repE0EEENS1_30default_config_static_selectorELNS0_4arch9wavefront6targetE0EEEvT1_.private_seg_size, 0
	.set _ZN7rocprim17ROCPRIM_400000_NS6detail17trampoline_kernelINS0_14default_configENS1_20scan_config_selectorIN3c104HalfEEEZZNS1_9scan_implILNS1_25lookback_scan_determinismE0ELb0ELb0ES3_PKS6_PS6_S6_ZZZN2at6native31launch_logcumsumexp_cuda_kernelERKNSD_10TensorBaseESH_lENKUlvE_clEvENKUlvE3_clEvEUlS6_S6_E_S6_EEDaPvRmT3_T4_T5_mT6_P12ihipStream_tbENKUlT_T0_E_clISt17integral_constantIbLb1EESX_IbLb0EEEEDaST_SU_EUlST_E_NS1_11comp_targetILNS1_3genE3ELNS1_11target_archE908ELNS1_3gpuE7ELNS1_3repE0EEENS1_30default_config_static_selectorELNS0_4arch9wavefront6targetE0EEEvT1_.uses_vcc, 0
	.set _ZN7rocprim17ROCPRIM_400000_NS6detail17trampoline_kernelINS0_14default_configENS1_20scan_config_selectorIN3c104HalfEEEZZNS1_9scan_implILNS1_25lookback_scan_determinismE0ELb0ELb0ES3_PKS6_PS6_S6_ZZZN2at6native31launch_logcumsumexp_cuda_kernelERKNSD_10TensorBaseESH_lENKUlvE_clEvENKUlvE3_clEvEUlS6_S6_E_S6_EEDaPvRmT3_T4_T5_mT6_P12ihipStream_tbENKUlT_T0_E_clISt17integral_constantIbLb1EESX_IbLb0EEEEDaST_SU_EUlST_E_NS1_11comp_targetILNS1_3genE3ELNS1_11target_archE908ELNS1_3gpuE7ELNS1_3repE0EEENS1_30default_config_static_selectorELNS0_4arch9wavefront6targetE0EEEvT1_.uses_flat_scratch, 0
	.set _ZN7rocprim17ROCPRIM_400000_NS6detail17trampoline_kernelINS0_14default_configENS1_20scan_config_selectorIN3c104HalfEEEZZNS1_9scan_implILNS1_25lookback_scan_determinismE0ELb0ELb0ES3_PKS6_PS6_S6_ZZZN2at6native31launch_logcumsumexp_cuda_kernelERKNSD_10TensorBaseESH_lENKUlvE_clEvENKUlvE3_clEvEUlS6_S6_E_S6_EEDaPvRmT3_T4_T5_mT6_P12ihipStream_tbENKUlT_T0_E_clISt17integral_constantIbLb1EESX_IbLb0EEEEDaST_SU_EUlST_E_NS1_11comp_targetILNS1_3genE3ELNS1_11target_archE908ELNS1_3gpuE7ELNS1_3repE0EEENS1_30default_config_static_selectorELNS0_4arch9wavefront6targetE0EEEvT1_.has_dyn_sized_stack, 0
	.set _ZN7rocprim17ROCPRIM_400000_NS6detail17trampoline_kernelINS0_14default_configENS1_20scan_config_selectorIN3c104HalfEEEZZNS1_9scan_implILNS1_25lookback_scan_determinismE0ELb0ELb0ES3_PKS6_PS6_S6_ZZZN2at6native31launch_logcumsumexp_cuda_kernelERKNSD_10TensorBaseESH_lENKUlvE_clEvENKUlvE3_clEvEUlS6_S6_E_S6_EEDaPvRmT3_T4_T5_mT6_P12ihipStream_tbENKUlT_T0_E_clISt17integral_constantIbLb1EESX_IbLb0EEEEDaST_SU_EUlST_E_NS1_11comp_targetILNS1_3genE3ELNS1_11target_archE908ELNS1_3gpuE7ELNS1_3repE0EEENS1_30default_config_static_selectorELNS0_4arch9wavefront6targetE0EEEvT1_.has_recursion, 0
	.set _ZN7rocprim17ROCPRIM_400000_NS6detail17trampoline_kernelINS0_14default_configENS1_20scan_config_selectorIN3c104HalfEEEZZNS1_9scan_implILNS1_25lookback_scan_determinismE0ELb0ELb0ES3_PKS6_PS6_S6_ZZZN2at6native31launch_logcumsumexp_cuda_kernelERKNSD_10TensorBaseESH_lENKUlvE_clEvENKUlvE3_clEvEUlS6_S6_E_S6_EEDaPvRmT3_T4_T5_mT6_P12ihipStream_tbENKUlT_T0_E_clISt17integral_constantIbLb1EESX_IbLb0EEEEDaST_SU_EUlST_E_NS1_11comp_targetILNS1_3genE3ELNS1_11target_archE908ELNS1_3gpuE7ELNS1_3repE0EEENS1_30default_config_static_selectorELNS0_4arch9wavefront6targetE0EEEvT1_.has_indirect_call, 0
	.section	.AMDGPU.csdata,"",@progbits
; Kernel info:
; codeLenInByte = 0
; TotalNumSgprs: 0
; NumVgprs: 0
; ScratchSize: 0
; MemoryBound: 0
; FloatMode: 240
; IeeeMode: 1
; LDSByteSize: 0 bytes/workgroup (compile time only)
; SGPRBlocks: 0
; VGPRBlocks: 0
; NumSGPRsForWavesPerEU: 1
; NumVGPRsForWavesPerEU: 1
; Occupancy: 16
; WaveLimiterHint : 0
; COMPUTE_PGM_RSRC2:SCRATCH_EN: 0
; COMPUTE_PGM_RSRC2:USER_SGPR: 6
; COMPUTE_PGM_RSRC2:TRAP_HANDLER: 0
; COMPUTE_PGM_RSRC2:TGID_X_EN: 1
; COMPUTE_PGM_RSRC2:TGID_Y_EN: 0
; COMPUTE_PGM_RSRC2:TGID_Z_EN: 0
; COMPUTE_PGM_RSRC2:TIDIG_COMP_CNT: 0
	.section	.text._ZN7rocprim17ROCPRIM_400000_NS6detail17trampoline_kernelINS0_14default_configENS1_20scan_config_selectorIN3c104HalfEEEZZNS1_9scan_implILNS1_25lookback_scan_determinismE0ELb0ELb0ES3_PKS6_PS6_S6_ZZZN2at6native31launch_logcumsumexp_cuda_kernelERKNSD_10TensorBaseESH_lENKUlvE_clEvENKUlvE3_clEvEUlS6_S6_E_S6_EEDaPvRmT3_T4_T5_mT6_P12ihipStream_tbENKUlT_T0_E_clISt17integral_constantIbLb1EESX_IbLb0EEEEDaST_SU_EUlST_E_NS1_11comp_targetILNS1_3genE2ELNS1_11target_archE906ELNS1_3gpuE6ELNS1_3repE0EEENS1_30default_config_static_selectorELNS0_4arch9wavefront6targetE0EEEvT1_,"axG",@progbits,_ZN7rocprim17ROCPRIM_400000_NS6detail17trampoline_kernelINS0_14default_configENS1_20scan_config_selectorIN3c104HalfEEEZZNS1_9scan_implILNS1_25lookback_scan_determinismE0ELb0ELb0ES3_PKS6_PS6_S6_ZZZN2at6native31launch_logcumsumexp_cuda_kernelERKNSD_10TensorBaseESH_lENKUlvE_clEvENKUlvE3_clEvEUlS6_S6_E_S6_EEDaPvRmT3_T4_T5_mT6_P12ihipStream_tbENKUlT_T0_E_clISt17integral_constantIbLb1EESX_IbLb0EEEEDaST_SU_EUlST_E_NS1_11comp_targetILNS1_3genE2ELNS1_11target_archE906ELNS1_3gpuE6ELNS1_3repE0EEENS1_30default_config_static_selectorELNS0_4arch9wavefront6targetE0EEEvT1_,comdat
	.globl	_ZN7rocprim17ROCPRIM_400000_NS6detail17trampoline_kernelINS0_14default_configENS1_20scan_config_selectorIN3c104HalfEEEZZNS1_9scan_implILNS1_25lookback_scan_determinismE0ELb0ELb0ES3_PKS6_PS6_S6_ZZZN2at6native31launch_logcumsumexp_cuda_kernelERKNSD_10TensorBaseESH_lENKUlvE_clEvENKUlvE3_clEvEUlS6_S6_E_S6_EEDaPvRmT3_T4_T5_mT6_P12ihipStream_tbENKUlT_T0_E_clISt17integral_constantIbLb1EESX_IbLb0EEEEDaST_SU_EUlST_E_NS1_11comp_targetILNS1_3genE2ELNS1_11target_archE906ELNS1_3gpuE6ELNS1_3repE0EEENS1_30default_config_static_selectorELNS0_4arch9wavefront6targetE0EEEvT1_ ; -- Begin function _ZN7rocprim17ROCPRIM_400000_NS6detail17trampoline_kernelINS0_14default_configENS1_20scan_config_selectorIN3c104HalfEEEZZNS1_9scan_implILNS1_25lookback_scan_determinismE0ELb0ELb0ES3_PKS6_PS6_S6_ZZZN2at6native31launch_logcumsumexp_cuda_kernelERKNSD_10TensorBaseESH_lENKUlvE_clEvENKUlvE3_clEvEUlS6_S6_E_S6_EEDaPvRmT3_T4_T5_mT6_P12ihipStream_tbENKUlT_T0_E_clISt17integral_constantIbLb1EESX_IbLb0EEEEDaST_SU_EUlST_E_NS1_11comp_targetILNS1_3genE2ELNS1_11target_archE906ELNS1_3gpuE6ELNS1_3repE0EEENS1_30default_config_static_selectorELNS0_4arch9wavefront6targetE0EEEvT1_
	.p2align	8
	.type	_ZN7rocprim17ROCPRIM_400000_NS6detail17trampoline_kernelINS0_14default_configENS1_20scan_config_selectorIN3c104HalfEEEZZNS1_9scan_implILNS1_25lookback_scan_determinismE0ELb0ELb0ES3_PKS6_PS6_S6_ZZZN2at6native31launch_logcumsumexp_cuda_kernelERKNSD_10TensorBaseESH_lENKUlvE_clEvENKUlvE3_clEvEUlS6_S6_E_S6_EEDaPvRmT3_T4_T5_mT6_P12ihipStream_tbENKUlT_T0_E_clISt17integral_constantIbLb1EESX_IbLb0EEEEDaST_SU_EUlST_E_NS1_11comp_targetILNS1_3genE2ELNS1_11target_archE906ELNS1_3gpuE6ELNS1_3repE0EEENS1_30default_config_static_selectorELNS0_4arch9wavefront6targetE0EEEvT1_,@function
_ZN7rocprim17ROCPRIM_400000_NS6detail17trampoline_kernelINS0_14default_configENS1_20scan_config_selectorIN3c104HalfEEEZZNS1_9scan_implILNS1_25lookback_scan_determinismE0ELb0ELb0ES3_PKS6_PS6_S6_ZZZN2at6native31launch_logcumsumexp_cuda_kernelERKNSD_10TensorBaseESH_lENKUlvE_clEvENKUlvE3_clEvEUlS6_S6_E_S6_EEDaPvRmT3_T4_T5_mT6_P12ihipStream_tbENKUlT_T0_E_clISt17integral_constantIbLb1EESX_IbLb0EEEEDaST_SU_EUlST_E_NS1_11comp_targetILNS1_3genE2ELNS1_11target_archE906ELNS1_3gpuE6ELNS1_3repE0EEENS1_30default_config_static_selectorELNS0_4arch9wavefront6targetE0EEEvT1_: ; @_ZN7rocprim17ROCPRIM_400000_NS6detail17trampoline_kernelINS0_14default_configENS1_20scan_config_selectorIN3c104HalfEEEZZNS1_9scan_implILNS1_25lookback_scan_determinismE0ELb0ELb0ES3_PKS6_PS6_S6_ZZZN2at6native31launch_logcumsumexp_cuda_kernelERKNSD_10TensorBaseESH_lENKUlvE_clEvENKUlvE3_clEvEUlS6_S6_E_S6_EEDaPvRmT3_T4_T5_mT6_P12ihipStream_tbENKUlT_T0_E_clISt17integral_constantIbLb1EESX_IbLb0EEEEDaST_SU_EUlST_E_NS1_11comp_targetILNS1_3genE2ELNS1_11target_archE906ELNS1_3gpuE6ELNS1_3repE0EEENS1_30default_config_static_selectorELNS0_4arch9wavefront6targetE0EEEvT1_
; %bb.0:
	.section	.rodata,"a",@progbits
	.p2align	6, 0x0
	.amdhsa_kernel _ZN7rocprim17ROCPRIM_400000_NS6detail17trampoline_kernelINS0_14default_configENS1_20scan_config_selectorIN3c104HalfEEEZZNS1_9scan_implILNS1_25lookback_scan_determinismE0ELb0ELb0ES3_PKS6_PS6_S6_ZZZN2at6native31launch_logcumsumexp_cuda_kernelERKNSD_10TensorBaseESH_lENKUlvE_clEvENKUlvE3_clEvEUlS6_S6_E_S6_EEDaPvRmT3_T4_T5_mT6_P12ihipStream_tbENKUlT_T0_E_clISt17integral_constantIbLb1EESX_IbLb0EEEEDaST_SU_EUlST_E_NS1_11comp_targetILNS1_3genE2ELNS1_11target_archE906ELNS1_3gpuE6ELNS1_3repE0EEENS1_30default_config_static_selectorELNS0_4arch9wavefront6targetE0EEEvT1_
		.amdhsa_group_segment_fixed_size 0
		.amdhsa_private_segment_fixed_size 0
		.amdhsa_kernarg_size 96
		.amdhsa_user_sgpr_count 6
		.amdhsa_user_sgpr_private_segment_buffer 1
		.amdhsa_user_sgpr_dispatch_ptr 0
		.amdhsa_user_sgpr_queue_ptr 0
		.amdhsa_user_sgpr_kernarg_segment_ptr 1
		.amdhsa_user_sgpr_dispatch_id 0
		.amdhsa_user_sgpr_flat_scratch_init 0
		.amdhsa_user_sgpr_private_segment_size 0
		.amdhsa_wavefront_size32 1
		.amdhsa_uses_dynamic_stack 0
		.amdhsa_system_sgpr_private_segment_wavefront_offset 0
		.amdhsa_system_sgpr_workgroup_id_x 1
		.amdhsa_system_sgpr_workgroup_id_y 0
		.amdhsa_system_sgpr_workgroup_id_z 0
		.amdhsa_system_sgpr_workgroup_info 0
		.amdhsa_system_vgpr_workitem_id 0
		.amdhsa_next_free_vgpr 1
		.amdhsa_next_free_sgpr 1
		.amdhsa_reserve_vcc 0
		.amdhsa_reserve_flat_scratch 0
		.amdhsa_float_round_mode_32 0
		.amdhsa_float_round_mode_16_64 0
		.amdhsa_float_denorm_mode_32 3
		.amdhsa_float_denorm_mode_16_64 3
		.amdhsa_dx10_clamp 1
		.amdhsa_ieee_mode 1
		.amdhsa_fp16_overflow 0
		.amdhsa_workgroup_processor_mode 1
		.amdhsa_memory_ordered 1
		.amdhsa_forward_progress 1
		.amdhsa_shared_vgpr_count 0
		.amdhsa_exception_fp_ieee_invalid_op 0
		.amdhsa_exception_fp_denorm_src 0
		.amdhsa_exception_fp_ieee_div_zero 0
		.amdhsa_exception_fp_ieee_overflow 0
		.amdhsa_exception_fp_ieee_underflow 0
		.amdhsa_exception_fp_ieee_inexact 0
		.amdhsa_exception_int_div_zero 0
	.end_amdhsa_kernel
	.section	.text._ZN7rocprim17ROCPRIM_400000_NS6detail17trampoline_kernelINS0_14default_configENS1_20scan_config_selectorIN3c104HalfEEEZZNS1_9scan_implILNS1_25lookback_scan_determinismE0ELb0ELb0ES3_PKS6_PS6_S6_ZZZN2at6native31launch_logcumsumexp_cuda_kernelERKNSD_10TensorBaseESH_lENKUlvE_clEvENKUlvE3_clEvEUlS6_S6_E_S6_EEDaPvRmT3_T4_T5_mT6_P12ihipStream_tbENKUlT_T0_E_clISt17integral_constantIbLb1EESX_IbLb0EEEEDaST_SU_EUlST_E_NS1_11comp_targetILNS1_3genE2ELNS1_11target_archE906ELNS1_3gpuE6ELNS1_3repE0EEENS1_30default_config_static_selectorELNS0_4arch9wavefront6targetE0EEEvT1_,"axG",@progbits,_ZN7rocprim17ROCPRIM_400000_NS6detail17trampoline_kernelINS0_14default_configENS1_20scan_config_selectorIN3c104HalfEEEZZNS1_9scan_implILNS1_25lookback_scan_determinismE0ELb0ELb0ES3_PKS6_PS6_S6_ZZZN2at6native31launch_logcumsumexp_cuda_kernelERKNSD_10TensorBaseESH_lENKUlvE_clEvENKUlvE3_clEvEUlS6_S6_E_S6_EEDaPvRmT3_T4_T5_mT6_P12ihipStream_tbENKUlT_T0_E_clISt17integral_constantIbLb1EESX_IbLb0EEEEDaST_SU_EUlST_E_NS1_11comp_targetILNS1_3genE2ELNS1_11target_archE906ELNS1_3gpuE6ELNS1_3repE0EEENS1_30default_config_static_selectorELNS0_4arch9wavefront6targetE0EEEvT1_,comdat
.Lfunc_end401:
	.size	_ZN7rocprim17ROCPRIM_400000_NS6detail17trampoline_kernelINS0_14default_configENS1_20scan_config_selectorIN3c104HalfEEEZZNS1_9scan_implILNS1_25lookback_scan_determinismE0ELb0ELb0ES3_PKS6_PS6_S6_ZZZN2at6native31launch_logcumsumexp_cuda_kernelERKNSD_10TensorBaseESH_lENKUlvE_clEvENKUlvE3_clEvEUlS6_S6_E_S6_EEDaPvRmT3_T4_T5_mT6_P12ihipStream_tbENKUlT_T0_E_clISt17integral_constantIbLb1EESX_IbLb0EEEEDaST_SU_EUlST_E_NS1_11comp_targetILNS1_3genE2ELNS1_11target_archE906ELNS1_3gpuE6ELNS1_3repE0EEENS1_30default_config_static_selectorELNS0_4arch9wavefront6targetE0EEEvT1_, .Lfunc_end401-_ZN7rocprim17ROCPRIM_400000_NS6detail17trampoline_kernelINS0_14default_configENS1_20scan_config_selectorIN3c104HalfEEEZZNS1_9scan_implILNS1_25lookback_scan_determinismE0ELb0ELb0ES3_PKS6_PS6_S6_ZZZN2at6native31launch_logcumsumexp_cuda_kernelERKNSD_10TensorBaseESH_lENKUlvE_clEvENKUlvE3_clEvEUlS6_S6_E_S6_EEDaPvRmT3_T4_T5_mT6_P12ihipStream_tbENKUlT_T0_E_clISt17integral_constantIbLb1EESX_IbLb0EEEEDaST_SU_EUlST_E_NS1_11comp_targetILNS1_3genE2ELNS1_11target_archE906ELNS1_3gpuE6ELNS1_3repE0EEENS1_30default_config_static_selectorELNS0_4arch9wavefront6targetE0EEEvT1_
                                        ; -- End function
	.set _ZN7rocprim17ROCPRIM_400000_NS6detail17trampoline_kernelINS0_14default_configENS1_20scan_config_selectorIN3c104HalfEEEZZNS1_9scan_implILNS1_25lookback_scan_determinismE0ELb0ELb0ES3_PKS6_PS6_S6_ZZZN2at6native31launch_logcumsumexp_cuda_kernelERKNSD_10TensorBaseESH_lENKUlvE_clEvENKUlvE3_clEvEUlS6_S6_E_S6_EEDaPvRmT3_T4_T5_mT6_P12ihipStream_tbENKUlT_T0_E_clISt17integral_constantIbLb1EESX_IbLb0EEEEDaST_SU_EUlST_E_NS1_11comp_targetILNS1_3genE2ELNS1_11target_archE906ELNS1_3gpuE6ELNS1_3repE0EEENS1_30default_config_static_selectorELNS0_4arch9wavefront6targetE0EEEvT1_.num_vgpr, 0
	.set _ZN7rocprim17ROCPRIM_400000_NS6detail17trampoline_kernelINS0_14default_configENS1_20scan_config_selectorIN3c104HalfEEEZZNS1_9scan_implILNS1_25lookback_scan_determinismE0ELb0ELb0ES3_PKS6_PS6_S6_ZZZN2at6native31launch_logcumsumexp_cuda_kernelERKNSD_10TensorBaseESH_lENKUlvE_clEvENKUlvE3_clEvEUlS6_S6_E_S6_EEDaPvRmT3_T4_T5_mT6_P12ihipStream_tbENKUlT_T0_E_clISt17integral_constantIbLb1EESX_IbLb0EEEEDaST_SU_EUlST_E_NS1_11comp_targetILNS1_3genE2ELNS1_11target_archE906ELNS1_3gpuE6ELNS1_3repE0EEENS1_30default_config_static_selectorELNS0_4arch9wavefront6targetE0EEEvT1_.num_agpr, 0
	.set _ZN7rocprim17ROCPRIM_400000_NS6detail17trampoline_kernelINS0_14default_configENS1_20scan_config_selectorIN3c104HalfEEEZZNS1_9scan_implILNS1_25lookback_scan_determinismE0ELb0ELb0ES3_PKS6_PS6_S6_ZZZN2at6native31launch_logcumsumexp_cuda_kernelERKNSD_10TensorBaseESH_lENKUlvE_clEvENKUlvE3_clEvEUlS6_S6_E_S6_EEDaPvRmT3_T4_T5_mT6_P12ihipStream_tbENKUlT_T0_E_clISt17integral_constantIbLb1EESX_IbLb0EEEEDaST_SU_EUlST_E_NS1_11comp_targetILNS1_3genE2ELNS1_11target_archE906ELNS1_3gpuE6ELNS1_3repE0EEENS1_30default_config_static_selectorELNS0_4arch9wavefront6targetE0EEEvT1_.numbered_sgpr, 0
	.set _ZN7rocprim17ROCPRIM_400000_NS6detail17trampoline_kernelINS0_14default_configENS1_20scan_config_selectorIN3c104HalfEEEZZNS1_9scan_implILNS1_25lookback_scan_determinismE0ELb0ELb0ES3_PKS6_PS6_S6_ZZZN2at6native31launch_logcumsumexp_cuda_kernelERKNSD_10TensorBaseESH_lENKUlvE_clEvENKUlvE3_clEvEUlS6_S6_E_S6_EEDaPvRmT3_T4_T5_mT6_P12ihipStream_tbENKUlT_T0_E_clISt17integral_constantIbLb1EESX_IbLb0EEEEDaST_SU_EUlST_E_NS1_11comp_targetILNS1_3genE2ELNS1_11target_archE906ELNS1_3gpuE6ELNS1_3repE0EEENS1_30default_config_static_selectorELNS0_4arch9wavefront6targetE0EEEvT1_.num_named_barrier, 0
	.set _ZN7rocprim17ROCPRIM_400000_NS6detail17trampoline_kernelINS0_14default_configENS1_20scan_config_selectorIN3c104HalfEEEZZNS1_9scan_implILNS1_25lookback_scan_determinismE0ELb0ELb0ES3_PKS6_PS6_S6_ZZZN2at6native31launch_logcumsumexp_cuda_kernelERKNSD_10TensorBaseESH_lENKUlvE_clEvENKUlvE3_clEvEUlS6_S6_E_S6_EEDaPvRmT3_T4_T5_mT6_P12ihipStream_tbENKUlT_T0_E_clISt17integral_constantIbLb1EESX_IbLb0EEEEDaST_SU_EUlST_E_NS1_11comp_targetILNS1_3genE2ELNS1_11target_archE906ELNS1_3gpuE6ELNS1_3repE0EEENS1_30default_config_static_selectorELNS0_4arch9wavefront6targetE0EEEvT1_.private_seg_size, 0
	.set _ZN7rocprim17ROCPRIM_400000_NS6detail17trampoline_kernelINS0_14default_configENS1_20scan_config_selectorIN3c104HalfEEEZZNS1_9scan_implILNS1_25lookback_scan_determinismE0ELb0ELb0ES3_PKS6_PS6_S6_ZZZN2at6native31launch_logcumsumexp_cuda_kernelERKNSD_10TensorBaseESH_lENKUlvE_clEvENKUlvE3_clEvEUlS6_S6_E_S6_EEDaPvRmT3_T4_T5_mT6_P12ihipStream_tbENKUlT_T0_E_clISt17integral_constantIbLb1EESX_IbLb0EEEEDaST_SU_EUlST_E_NS1_11comp_targetILNS1_3genE2ELNS1_11target_archE906ELNS1_3gpuE6ELNS1_3repE0EEENS1_30default_config_static_selectorELNS0_4arch9wavefront6targetE0EEEvT1_.uses_vcc, 0
	.set _ZN7rocprim17ROCPRIM_400000_NS6detail17trampoline_kernelINS0_14default_configENS1_20scan_config_selectorIN3c104HalfEEEZZNS1_9scan_implILNS1_25lookback_scan_determinismE0ELb0ELb0ES3_PKS6_PS6_S6_ZZZN2at6native31launch_logcumsumexp_cuda_kernelERKNSD_10TensorBaseESH_lENKUlvE_clEvENKUlvE3_clEvEUlS6_S6_E_S6_EEDaPvRmT3_T4_T5_mT6_P12ihipStream_tbENKUlT_T0_E_clISt17integral_constantIbLb1EESX_IbLb0EEEEDaST_SU_EUlST_E_NS1_11comp_targetILNS1_3genE2ELNS1_11target_archE906ELNS1_3gpuE6ELNS1_3repE0EEENS1_30default_config_static_selectorELNS0_4arch9wavefront6targetE0EEEvT1_.uses_flat_scratch, 0
	.set _ZN7rocprim17ROCPRIM_400000_NS6detail17trampoline_kernelINS0_14default_configENS1_20scan_config_selectorIN3c104HalfEEEZZNS1_9scan_implILNS1_25lookback_scan_determinismE0ELb0ELb0ES3_PKS6_PS6_S6_ZZZN2at6native31launch_logcumsumexp_cuda_kernelERKNSD_10TensorBaseESH_lENKUlvE_clEvENKUlvE3_clEvEUlS6_S6_E_S6_EEDaPvRmT3_T4_T5_mT6_P12ihipStream_tbENKUlT_T0_E_clISt17integral_constantIbLb1EESX_IbLb0EEEEDaST_SU_EUlST_E_NS1_11comp_targetILNS1_3genE2ELNS1_11target_archE906ELNS1_3gpuE6ELNS1_3repE0EEENS1_30default_config_static_selectorELNS0_4arch9wavefront6targetE0EEEvT1_.has_dyn_sized_stack, 0
	.set _ZN7rocprim17ROCPRIM_400000_NS6detail17trampoline_kernelINS0_14default_configENS1_20scan_config_selectorIN3c104HalfEEEZZNS1_9scan_implILNS1_25lookback_scan_determinismE0ELb0ELb0ES3_PKS6_PS6_S6_ZZZN2at6native31launch_logcumsumexp_cuda_kernelERKNSD_10TensorBaseESH_lENKUlvE_clEvENKUlvE3_clEvEUlS6_S6_E_S6_EEDaPvRmT3_T4_T5_mT6_P12ihipStream_tbENKUlT_T0_E_clISt17integral_constantIbLb1EESX_IbLb0EEEEDaST_SU_EUlST_E_NS1_11comp_targetILNS1_3genE2ELNS1_11target_archE906ELNS1_3gpuE6ELNS1_3repE0EEENS1_30default_config_static_selectorELNS0_4arch9wavefront6targetE0EEEvT1_.has_recursion, 0
	.set _ZN7rocprim17ROCPRIM_400000_NS6detail17trampoline_kernelINS0_14default_configENS1_20scan_config_selectorIN3c104HalfEEEZZNS1_9scan_implILNS1_25lookback_scan_determinismE0ELb0ELb0ES3_PKS6_PS6_S6_ZZZN2at6native31launch_logcumsumexp_cuda_kernelERKNSD_10TensorBaseESH_lENKUlvE_clEvENKUlvE3_clEvEUlS6_S6_E_S6_EEDaPvRmT3_T4_T5_mT6_P12ihipStream_tbENKUlT_T0_E_clISt17integral_constantIbLb1EESX_IbLb0EEEEDaST_SU_EUlST_E_NS1_11comp_targetILNS1_3genE2ELNS1_11target_archE906ELNS1_3gpuE6ELNS1_3repE0EEENS1_30default_config_static_selectorELNS0_4arch9wavefront6targetE0EEEvT1_.has_indirect_call, 0
	.section	.AMDGPU.csdata,"",@progbits
; Kernel info:
; codeLenInByte = 0
; TotalNumSgprs: 0
; NumVgprs: 0
; ScratchSize: 0
; MemoryBound: 0
; FloatMode: 240
; IeeeMode: 1
; LDSByteSize: 0 bytes/workgroup (compile time only)
; SGPRBlocks: 0
; VGPRBlocks: 0
; NumSGPRsForWavesPerEU: 1
; NumVGPRsForWavesPerEU: 1
; Occupancy: 16
; WaveLimiterHint : 0
; COMPUTE_PGM_RSRC2:SCRATCH_EN: 0
; COMPUTE_PGM_RSRC2:USER_SGPR: 6
; COMPUTE_PGM_RSRC2:TRAP_HANDLER: 0
; COMPUTE_PGM_RSRC2:TGID_X_EN: 1
; COMPUTE_PGM_RSRC2:TGID_Y_EN: 0
; COMPUTE_PGM_RSRC2:TGID_Z_EN: 0
; COMPUTE_PGM_RSRC2:TIDIG_COMP_CNT: 0
	.section	.text._ZN7rocprim17ROCPRIM_400000_NS6detail17trampoline_kernelINS0_14default_configENS1_20scan_config_selectorIN3c104HalfEEEZZNS1_9scan_implILNS1_25lookback_scan_determinismE0ELb0ELb0ES3_PKS6_PS6_S6_ZZZN2at6native31launch_logcumsumexp_cuda_kernelERKNSD_10TensorBaseESH_lENKUlvE_clEvENKUlvE3_clEvEUlS6_S6_E_S6_EEDaPvRmT3_T4_T5_mT6_P12ihipStream_tbENKUlT_T0_E_clISt17integral_constantIbLb1EESX_IbLb0EEEEDaST_SU_EUlST_E_NS1_11comp_targetILNS1_3genE10ELNS1_11target_archE1201ELNS1_3gpuE5ELNS1_3repE0EEENS1_30default_config_static_selectorELNS0_4arch9wavefront6targetE0EEEvT1_,"axG",@progbits,_ZN7rocprim17ROCPRIM_400000_NS6detail17trampoline_kernelINS0_14default_configENS1_20scan_config_selectorIN3c104HalfEEEZZNS1_9scan_implILNS1_25lookback_scan_determinismE0ELb0ELb0ES3_PKS6_PS6_S6_ZZZN2at6native31launch_logcumsumexp_cuda_kernelERKNSD_10TensorBaseESH_lENKUlvE_clEvENKUlvE3_clEvEUlS6_S6_E_S6_EEDaPvRmT3_T4_T5_mT6_P12ihipStream_tbENKUlT_T0_E_clISt17integral_constantIbLb1EESX_IbLb0EEEEDaST_SU_EUlST_E_NS1_11comp_targetILNS1_3genE10ELNS1_11target_archE1201ELNS1_3gpuE5ELNS1_3repE0EEENS1_30default_config_static_selectorELNS0_4arch9wavefront6targetE0EEEvT1_,comdat
	.globl	_ZN7rocprim17ROCPRIM_400000_NS6detail17trampoline_kernelINS0_14default_configENS1_20scan_config_selectorIN3c104HalfEEEZZNS1_9scan_implILNS1_25lookback_scan_determinismE0ELb0ELb0ES3_PKS6_PS6_S6_ZZZN2at6native31launch_logcumsumexp_cuda_kernelERKNSD_10TensorBaseESH_lENKUlvE_clEvENKUlvE3_clEvEUlS6_S6_E_S6_EEDaPvRmT3_T4_T5_mT6_P12ihipStream_tbENKUlT_T0_E_clISt17integral_constantIbLb1EESX_IbLb0EEEEDaST_SU_EUlST_E_NS1_11comp_targetILNS1_3genE10ELNS1_11target_archE1201ELNS1_3gpuE5ELNS1_3repE0EEENS1_30default_config_static_selectorELNS0_4arch9wavefront6targetE0EEEvT1_ ; -- Begin function _ZN7rocprim17ROCPRIM_400000_NS6detail17trampoline_kernelINS0_14default_configENS1_20scan_config_selectorIN3c104HalfEEEZZNS1_9scan_implILNS1_25lookback_scan_determinismE0ELb0ELb0ES3_PKS6_PS6_S6_ZZZN2at6native31launch_logcumsumexp_cuda_kernelERKNSD_10TensorBaseESH_lENKUlvE_clEvENKUlvE3_clEvEUlS6_S6_E_S6_EEDaPvRmT3_T4_T5_mT6_P12ihipStream_tbENKUlT_T0_E_clISt17integral_constantIbLb1EESX_IbLb0EEEEDaST_SU_EUlST_E_NS1_11comp_targetILNS1_3genE10ELNS1_11target_archE1201ELNS1_3gpuE5ELNS1_3repE0EEENS1_30default_config_static_selectorELNS0_4arch9wavefront6targetE0EEEvT1_
	.p2align	8
	.type	_ZN7rocprim17ROCPRIM_400000_NS6detail17trampoline_kernelINS0_14default_configENS1_20scan_config_selectorIN3c104HalfEEEZZNS1_9scan_implILNS1_25lookback_scan_determinismE0ELb0ELb0ES3_PKS6_PS6_S6_ZZZN2at6native31launch_logcumsumexp_cuda_kernelERKNSD_10TensorBaseESH_lENKUlvE_clEvENKUlvE3_clEvEUlS6_S6_E_S6_EEDaPvRmT3_T4_T5_mT6_P12ihipStream_tbENKUlT_T0_E_clISt17integral_constantIbLb1EESX_IbLb0EEEEDaST_SU_EUlST_E_NS1_11comp_targetILNS1_3genE10ELNS1_11target_archE1201ELNS1_3gpuE5ELNS1_3repE0EEENS1_30default_config_static_selectorELNS0_4arch9wavefront6targetE0EEEvT1_,@function
_ZN7rocprim17ROCPRIM_400000_NS6detail17trampoline_kernelINS0_14default_configENS1_20scan_config_selectorIN3c104HalfEEEZZNS1_9scan_implILNS1_25lookback_scan_determinismE0ELb0ELb0ES3_PKS6_PS6_S6_ZZZN2at6native31launch_logcumsumexp_cuda_kernelERKNSD_10TensorBaseESH_lENKUlvE_clEvENKUlvE3_clEvEUlS6_S6_E_S6_EEDaPvRmT3_T4_T5_mT6_P12ihipStream_tbENKUlT_T0_E_clISt17integral_constantIbLb1EESX_IbLb0EEEEDaST_SU_EUlST_E_NS1_11comp_targetILNS1_3genE10ELNS1_11target_archE1201ELNS1_3gpuE5ELNS1_3repE0EEENS1_30default_config_static_selectorELNS0_4arch9wavefront6targetE0EEEvT1_: ; @_ZN7rocprim17ROCPRIM_400000_NS6detail17trampoline_kernelINS0_14default_configENS1_20scan_config_selectorIN3c104HalfEEEZZNS1_9scan_implILNS1_25lookback_scan_determinismE0ELb0ELb0ES3_PKS6_PS6_S6_ZZZN2at6native31launch_logcumsumexp_cuda_kernelERKNSD_10TensorBaseESH_lENKUlvE_clEvENKUlvE3_clEvEUlS6_S6_E_S6_EEDaPvRmT3_T4_T5_mT6_P12ihipStream_tbENKUlT_T0_E_clISt17integral_constantIbLb1EESX_IbLb0EEEEDaST_SU_EUlST_E_NS1_11comp_targetILNS1_3genE10ELNS1_11target_archE1201ELNS1_3gpuE5ELNS1_3repE0EEENS1_30default_config_static_selectorELNS0_4arch9wavefront6targetE0EEEvT1_
; %bb.0:
	.section	.rodata,"a",@progbits
	.p2align	6, 0x0
	.amdhsa_kernel _ZN7rocprim17ROCPRIM_400000_NS6detail17trampoline_kernelINS0_14default_configENS1_20scan_config_selectorIN3c104HalfEEEZZNS1_9scan_implILNS1_25lookback_scan_determinismE0ELb0ELb0ES3_PKS6_PS6_S6_ZZZN2at6native31launch_logcumsumexp_cuda_kernelERKNSD_10TensorBaseESH_lENKUlvE_clEvENKUlvE3_clEvEUlS6_S6_E_S6_EEDaPvRmT3_T4_T5_mT6_P12ihipStream_tbENKUlT_T0_E_clISt17integral_constantIbLb1EESX_IbLb0EEEEDaST_SU_EUlST_E_NS1_11comp_targetILNS1_3genE10ELNS1_11target_archE1201ELNS1_3gpuE5ELNS1_3repE0EEENS1_30default_config_static_selectorELNS0_4arch9wavefront6targetE0EEEvT1_
		.amdhsa_group_segment_fixed_size 0
		.amdhsa_private_segment_fixed_size 0
		.amdhsa_kernarg_size 96
		.amdhsa_user_sgpr_count 6
		.amdhsa_user_sgpr_private_segment_buffer 1
		.amdhsa_user_sgpr_dispatch_ptr 0
		.amdhsa_user_sgpr_queue_ptr 0
		.amdhsa_user_sgpr_kernarg_segment_ptr 1
		.amdhsa_user_sgpr_dispatch_id 0
		.amdhsa_user_sgpr_flat_scratch_init 0
		.amdhsa_user_sgpr_private_segment_size 0
		.amdhsa_wavefront_size32 1
		.amdhsa_uses_dynamic_stack 0
		.amdhsa_system_sgpr_private_segment_wavefront_offset 0
		.amdhsa_system_sgpr_workgroup_id_x 1
		.amdhsa_system_sgpr_workgroup_id_y 0
		.amdhsa_system_sgpr_workgroup_id_z 0
		.amdhsa_system_sgpr_workgroup_info 0
		.amdhsa_system_vgpr_workitem_id 0
		.amdhsa_next_free_vgpr 1
		.amdhsa_next_free_sgpr 1
		.amdhsa_reserve_vcc 0
		.amdhsa_reserve_flat_scratch 0
		.amdhsa_float_round_mode_32 0
		.amdhsa_float_round_mode_16_64 0
		.amdhsa_float_denorm_mode_32 3
		.amdhsa_float_denorm_mode_16_64 3
		.amdhsa_dx10_clamp 1
		.amdhsa_ieee_mode 1
		.amdhsa_fp16_overflow 0
		.amdhsa_workgroup_processor_mode 1
		.amdhsa_memory_ordered 1
		.amdhsa_forward_progress 1
		.amdhsa_shared_vgpr_count 0
		.amdhsa_exception_fp_ieee_invalid_op 0
		.amdhsa_exception_fp_denorm_src 0
		.amdhsa_exception_fp_ieee_div_zero 0
		.amdhsa_exception_fp_ieee_overflow 0
		.amdhsa_exception_fp_ieee_underflow 0
		.amdhsa_exception_fp_ieee_inexact 0
		.amdhsa_exception_int_div_zero 0
	.end_amdhsa_kernel
	.section	.text._ZN7rocprim17ROCPRIM_400000_NS6detail17trampoline_kernelINS0_14default_configENS1_20scan_config_selectorIN3c104HalfEEEZZNS1_9scan_implILNS1_25lookback_scan_determinismE0ELb0ELb0ES3_PKS6_PS6_S6_ZZZN2at6native31launch_logcumsumexp_cuda_kernelERKNSD_10TensorBaseESH_lENKUlvE_clEvENKUlvE3_clEvEUlS6_S6_E_S6_EEDaPvRmT3_T4_T5_mT6_P12ihipStream_tbENKUlT_T0_E_clISt17integral_constantIbLb1EESX_IbLb0EEEEDaST_SU_EUlST_E_NS1_11comp_targetILNS1_3genE10ELNS1_11target_archE1201ELNS1_3gpuE5ELNS1_3repE0EEENS1_30default_config_static_selectorELNS0_4arch9wavefront6targetE0EEEvT1_,"axG",@progbits,_ZN7rocprim17ROCPRIM_400000_NS6detail17trampoline_kernelINS0_14default_configENS1_20scan_config_selectorIN3c104HalfEEEZZNS1_9scan_implILNS1_25lookback_scan_determinismE0ELb0ELb0ES3_PKS6_PS6_S6_ZZZN2at6native31launch_logcumsumexp_cuda_kernelERKNSD_10TensorBaseESH_lENKUlvE_clEvENKUlvE3_clEvEUlS6_S6_E_S6_EEDaPvRmT3_T4_T5_mT6_P12ihipStream_tbENKUlT_T0_E_clISt17integral_constantIbLb1EESX_IbLb0EEEEDaST_SU_EUlST_E_NS1_11comp_targetILNS1_3genE10ELNS1_11target_archE1201ELNS1_3gpuE5ELNS1_3repE0EEENS1_30default_config_static_selectorELNS0_4arch9wavefront6targetE0EEEvT1_,comdat
.Lfunc_end402:
	.size	_ZN7rocprim17ROCPRIM_400000_NS6detail17trampoline_kernelINS0_14default_configENS1_20scan_config_selectorIN3c104HalfEEEZZNS1_9scan_implILNS1_25lookback_scan_determinismE0ELb0ELb0ES3_PKS6_PS6_S6_ZZZN2at6native31launch_logcumsumexp_cuda_kernelERKNSD_10TensorBaseESH_lENKUlvE_clEvENKUlvE3_clEvEUlS6_S6_E_S6_EEDaPvRmT3_T4_T5_mT6_P12ihipStream_tbENKUlT_T0_E_clISt17integral_constantIbLb1EESX_IbLb0EEEEDaST_SU_EUlST_E_NS1_11comp_targetILNS1_3genE10ELNS1_11target_archE1201ELNS1_3gpuE5ELNS1_3repE0EEENS1_30default_config_static_selectorELNS0_4arch9wavefront6targetE0EEEvT1_, .Lfunc_end402-_ZN7rocprim17ROCPRIM_400000_NS6detail17trampoline_kernelINS0_14default_configENS1_20scan_config_selectorIN3c104HalfEEEZZNS1_9scan_implILNS1_25lookback_scan_determinismE0ELb0ELb0ES3_PKS6_PS6_S6_ZZZN2at6native31launch_logcumsumexp_cuda_kernelERKNSD_10TensorBaseESH_lENKUlvE_clEvENKUlvE3_clEvEUlS6_S6_E_S6_EEDaPvRmT3_T4_T5_mT6_P12ihipStream_tbENKUlT_T0_E_clISt17integral_constantIbLb1EESX_IbLb0EEEEDaST_SU_EUlST_E_NS1_11comp_targetILNS1_3genE10ELNS1_11target_archE1201ELNS1_3gpuE5ELNS1_3repE0EEENS1_30default_config_static_selectorELNS0_4arch9wavefront6targetE0EEEvT1_
                                        ; -- End function
	.set _ZN7rocprim17ROCPRIM_400000_NS6detail17trampoline_kernelINS0_14default_configENS1_20scan_config_selectorIN3c104HalfEEEZZNS1_9scan_implILNS1_25lookback_scan_determinismE0ELb0ELb0ES3_PKS6_PS6_S6_ZZZN2at6native31launch_logcumsumexp_cuda_kernelERKNSD_10TensorBaseESH_lENKUlvE_clEvENKUlvE3_clEvEUlS6_S6_E_S6_EEDaPvRmT3_T4_T5_mT6_P12ihipStream_tbENKUlT_T0_E_clISt17integral_constantIbLb1EESX_IbLb0EEEEDaST_SU_EUlST_E_NS1_11comp_targetILNS1_3genE10ELNS1_11target_archE1201ELNS1_3gpuE5ELNS1_3repE0EEENS1_30default_config_static_selectorELNS0_4arch9wavefront6targetE0EEEvT1_.num_vgpr, 0
	.set _ZN7rocprim17ROCPRIM_400000_NS6detail17trampoline_kernelINS0_14default_configENS1_20scan_config_selectorIN3c104HalfEEEZZNS1_9scan_implILNS1_25lookback_scan_determinismE0ELb0ELb0ES3_PKS6_PS6_S6_ZZZN2at6native31launch_logcumsumexp_cuda_kernelERKNSD_10TensorBaseESH_lENKUlvE_clEvENKUlvE3_clEvEUlS6_S6_E_S6_EEDaPvRmT3_T4_T5_mT6_P12ihipStream_tbENKUlT_T0_E_clISt17integral_constantIbLb1EESX_IbLb0EEEEDaST_SU_EUlST_E_NS1_11comp_targetILNS1_3genE10ELNS1_11target_archE1201ELNS1_3gpuE5ELNS1_3repE0EEENS1_30default_config_static_selectorELNS0_4arch9wavefront6targetE0EEEvT1_.num_agpr, 0
	.set _ZN7rocprim17ROCPRIM_400000_NS6detail17trampoline_kernelINS0_14default_configENS1_20scan_config_selectorIN3c104HalfEEEZZNS1_9scan_implILNS1_25lookback_scan_determinismE0ELb0ELb0ES3_PKS6_PS6_S6_ZZZN2at6native31launch_logcumsumexp_cuda_kernelERKNSD_10TensorBaseESH_lENKUlvE_clEvENKUlvE3_clEvEUlS6_S6_E_S6_EEDaPvRmT3_T4_T5_mT6_P12ihipStream_tbENKUlT_T0_E_clISt17integral_constantIbLb1EESX_IbLb0EEEEDaST_SU_EUlST_E_NS1_11comp_targetILNS1_3genE10ELNS1_11target_archE1201ELNS1_3gpuE5ELNS1_3repE0EEENS1_30default_config_static_selectorELNS0_4arch9wavefront6targetE0EEEvT1_.numbered_sgpr, 0
	.set _ZN7rocprim17ROCPRIM_400000_NS6detail17trampoline_kernelINS0_14default_configENS1_20scan_config_selectorIN3c104HalfEEEZZNS1_9scan_implILNS1_25lookback_scan_determinismE0ELb0ELb0ES3_PKS6_PS6_S6_ZZZN2at6native31launch_logcumsumexp_cuda_kernelERKNSD_10TensorBaseESH_lENKUlvE_clEvENKUlvE3_clEvEUlS6_S6_E_S6_EEDaPvRmT3_T4_T5_mT6_P12ihipStream_tbENKUlT_T0_E_clISt17integral_constantIbLb1EESX_IbLb0EEEEDaST_SU_EUlST_E_NS1_11comp_targetILNS1_3genE10ELNS1_11target_archE1201ELNS1_3gpuE5ELNS1_3repE0EEENS1_30default_config_static_selectorELNS0_4arch9wavefront6targetE0EEEvT1_.num_named_barrier, 0
	.set _ZN7rocprim17ROCPRIM_400000_NS6detail17trampoline_kernelINS0_14default_configENS1_20scan_config_selectorIN3c104HalfEEEZZNS1_9scan_implILNS1_25lookback_scan_determinismE0ELb0ELb0ES3_PKS6_PS6_S6_ZZZN2at6native31launch_logcumsumexp_cuda_kernelERKNSD_10TensorBaseESH_lENKUlvE_clEvENKUlvE3_clEvEUlS6_S6_E_S6_EEDaPvRmT3_T4_T5_mT6_P12ihipStream_tbENKUlT_T0_E_clISt17integral_constantIbLb1EESX_IbLb0EEEEDaST_SU_EUlST_E_NS1_11comp_targetILNS1_3genE10ELNS1_11target_archE1201ELNS1_3gpuE5ELNS1_3repE0EEENS1_30default_config_static_selectorELNS0_4arch9wavefront6targetE0EEEvT1_.private_seg_size, 0
	.set _ZN7rocprim17ROCPRIM_400000_NS6detail17trampoline_kernelINS0_14default_configENS1_20scan_config_selectorIN3c104HalfEEEZZNS1_9scan_implILNS1_25lookback_scan_determinismE0ELb0ELb0ES3_PKS6_PS6_S6_ZZZN2at6native31launch_logcumsumexp_cuda_kernelERKNSD_10TensorBaseESH_lENKUlvE_clEvENKUlvE3_clEvEUlS6_S6_E_S6_EEDaPvRmT3_T4_T5_mT6_P12ihipStream_tbENKUlT_T0_E_clISt17integral_constantIbLb1EESX_IbLb0EEEEDaST_SU_EUlST_E_NS1_11comp_targetILNS1_3genE10ELNS1_11target_archE1201ELNS1_3gpuE5ELNS1_3repE0EEENS1_30default_config_static_selectorELNS0_4arch9wavefront6targetE0EEEvT1_.uses_vcc, 0
	.set _ZN7rocprim17ROCPRIM_400000_NS6detail17trampoline_kernelINS0_14default_configENS1_20scan_config_selectorIN3c104HalfEEEZZNS1_9scan_implILNS1_25lookback_scan_determinismE0ELb0ELb0ES3_PKS6_PS6_S6_ZZZN2at6native31launch_logcumsumexp_cuda_kernelERKNSD_10TensorBaseESH_lENKUlvE_clEvENKUlvE3_clEvEUlS6_S6_E_S6_EEDaPvRmT3_T4_T5_mT6_P12ihipStream_tbENKUlT_T0_E_clISt17integral_constantIbLb1EESX_IbLb0EEEEDaST_SU_EUlST_E_NS1_11comp_targetILNS1_3genE10ELNS1_11target_archE1201ELNS1_3gpuE5ELNS1_3repE0EEENS1_30default_config_static_selectorELNS0_4arch9wavefront6targetE0EEEvT1_.uses_flat_scratch, 0
	.set _ZN7rocprim17ROCPRIM_400000_NS6detail17trampoline_kernelINS0_14default_configENS1_20scan_config_selectorIN3c104HalfEEEZZNS1_9scan_implILNS1_25lookback_scan_determinismE0ELb0ELb0ES3_PKS6_PS6_S6_ZZZN2at6native31launch_logcumsumexp_cuda_kernelERKNSD_10TensorBaseESH_lENKUlvE_clEvENKUlvE3_clEvEUlS6_S6_E_S6_EEDaPvRmT3_T4_T5_mT6_P12ihipStream_tbENKUlT_T0_E_clISt17integral_constantIbLb1EESX_IbLb0EEEEDaST_SU_EUlST_E_NS1_11comp_targetILNS1_3genE10ELNS1_11target_archE1201ELNS1_3gpuE5ELNS1_3repE0EEENS1_30default_config_static_selectorELNS0_4arch9wavefront6targetE0EEEvT1_.has_dyn_sized_stack, 0
	.set _ZN7rocprim17ROCPRIM_400000_NS6detail17trampoline_kernelINS0_14default_configENS1_20scan_config_selectorIN3c104HalfEEEZZNS1_9scan_implILNS1_25lookback_scan_determinismE0ELb0ELb0ES3_PKS6_PS6_S6_ZZZN2at6native31launch_logcumsumexp_cuda_kernelERKNSD_10TensorBaseESH_lENKUlvE_clEvENKUlvE3_clEvEUlS6_S6_E_S6_EEDaPvRmT3_T4_T5_mT6_P12ihipStream_tbENKUlT_T0_E_clISt17integral_constantIbLb1EESX_IbLb0EEEEDaST_SU_EUlST_E_NS1_11comp_targetILNS1_3genE10ELNS1_11target_archE1201ELNS1_3gpuE5ELNS1_3repE0EEENS1_30default_config_static_selectorELNS0_4arch9wavefront6targetE0EEEvT1_.has_recursion, 0
	.set _ZN7rocprim17ROCPRIM_400000_NS6detail17trampoline_kernelINS0_14default_configENS1_20scan_config_selectorIN3c104HalfEEEZZNS1_9scan_implILNS1_25lookback_scan_determinismE0ELb0ELb0ES3_PKS6_PS6_S6_ZZZN2at6native31launch_logcumsumexp_cuda_kernelERKNSD_10TensorBaseESH_lENKUlvE_clEvENKUlvE3_clEvEUlS6_S6_E_S6_EEDaPvRmT3_T4_T5_mT6_P12ihipStream_tbENKUlT_T0_E_clISt17integral_constantIbLb1EESX_IbLb0EEEEDaST_SU_EUlST_E_NS1_11comp_targetILNS1_3genE10ELNS1_11target_archE1201ELNS1_3gpuE5ELNS1_3repE0EEENS1_30default_config_static_selectorELNS0_4arch9wavefront6targetE0EEEvT1_.has_indirect_call, 0
	.section	.AMDGPU.csdata,"",@progbits
; Kernel info:
; codeLenInByte = 0
; TotalNumSgprs: 0
; NumVgprs: 0
; ScratchSize: 0
; MemoryBound: 0
; FloatMode: 240
; IeeeMode: 1
; LDSByteSize: 0 bytes/workgroup (compile time only)
; SGPRBlocks: 0
; VGPRBlocks: 0
; NumSGPRsForWavesPerEU: 1
; NumVGPRsForWavesPerEU: 1
; Occupancy: 16
; WaveLimiterHint : 0
; COMPUTE_PGM_RSRC2:SCRATCH_EN: 0
; COMPUTE_PGM_RSRC2:USER_SGPR: 6
; COMPUTE_PGM_RSRC2:TRAP_HANDLER: 0
; COMPUTE_PGM_RSRC2:TGID_X_EN: 1
; COMPUTE_PGM_RSRC2:TGID_Y_EN: 0
; COMPUTE_PGM_RSRC2:TGID_Z_EN: 0
; COMPUTE_PGM_RSRC2:TIDIG_COMP_CNT: 0
	.section	.text._ZN7rocprim17ROCPRIM_400000_NS6detail17trampoline_kernelINS0_14default_configENS1_20scan_config_selectorIN3c104HalfEEEZZNS1_9scan_implILNS1_25lookback_scan_determinismE0ELb0ELb0ES3_PKS6_PS6_S6_ZZZN2at6native31launch_logcumsumexp_cuda_kernelERKNSD_10TensorBaseESH_lENKUlvE_clEvENKUlvE3_clEvEUlS6_S6_E_S6_EEDaPvRmT3_T4_T5_mT6_P12ihipStream_tbENKUlT_T0_E_clISt17integral_constantIbLb1EESX_IbLb0EEEEDaST_SU_EUlST_E_NS1_11comp_targetILNS1_3genE10ELNS1_11target_archE1200ELNS1_3gpuE4ELNS1_3repE0EEENS1_30default_config_static_selectorELNS0_4arch9wavefront6targetE0EEEvT1_,"axG",@progbits,_ZN7rocprim17ROCPRIM_400000_NS6detail17trampoline_kernelINS0_14default_configENS1_20scan_config_selectorIN3c104HalfEEEZZNS1_9scan_implILNS1_25lookback_scan_determinismE0ELb0ELb0ES3_PKS6_PS6_S6_ZZZN2at6native31launch_logcumsumexp_cuda_kernelERKNSD_10TensorBaseESH_lENKUlvE_clEvENKUlvE3_clEvEUlS6_S6_E_S6_EEDaPvRmT3_T4_T5_mT6_P12ihipStream_tbENKUlT_T0_E_clISt17integral_constantIbLb1EESX_IbLb0EEEEDaST_SU_EUlST_E_NS1_11comp_targetILNS1_3genE10ELNS1_11target_archE1200ELNS1_3gpuE4ELNS1_3repE0EEENS1_30default_config_static_selectorELNS0_4arch9wavefront6targetE0EEEvT1_,comdat
	.globl	_ZN7rocprim17ROCPRIM_400000_NS6detail17trampoline_kernelINS0_14default_configENS1_20scan_config_selectorIN3c104HalfEEEZZNS1_9scan_implILNS1_25lookback_scan_determinismE0ELb0ELb0ES3_PKS6_PS6_S6_ZZZN2at6native31launch_logcumsumexp_cuda_kernelERKNSD_10TensorBaseESH_lENKUlvE_clEvENKUlvE3_clEvEUlS6_S6_E_S6_EEDaPvRmT3_T4_T5_mT6_P12ihipStream_tbENKUlT_T0_E_clISt17integral_constantIbLb1EESX_IbLb0EEEEDaST_SU_EUlST_E_NS1_11comp_targetILNS1_3genE10ELNS1_11target_archE1200ELNS1_3gpuE4ELNS1_3repE0EEENS1_30default_config_static_selectorELNS0_4arch9wavefront6targetE0EEEvT1_ ; -- Begin function _ZN7rocprim17ROCPRIM_400000_NS6detail17trampoline_kernelINS0_14default_configENS1_20scan_config_selectorIN3c104HalfEEEZZNS1_9scan_implILNS1_25lookback_scan_determinismE0ELb0ELb0ES3_PKS6_PS6_S6_ZZZN2at6native31launch_logcumsumexp_cuda_kernelERKNSD_10TensorBaseESH_lENKUlvE_clEvENKUlvE3_clEvEUlS6_S6_E_S6_EEDaPvRmT3_T4_T5_mT6_P12ihipStream_tbENKUlT_T0_E_clISt17integral_constantIbLb1EESX_IbLb0EEEEDaST_SU_EUlST_E_NS1_11comp_targetILNS1_3genE10ELNS1_11target_archE1200ELNS1_3gpuE4ELNS1_3repE0EEENS1_30default_config_static_selectorELNS0_4arch9wavefront6targetE0EEEvT1_
	.p2align	8
	.type	_ZN7rocprim17ROCPRIM_400000_NS6detail17trampoline_kernelINS0_14default_configENS1_20scan_config_selectorIN3c104HalfEEEZZNS1_9scan_implILNS1_25lookback_scan_determinismE0ELb0ELb0ES3_PKS6_PS6_S6_ZZZN2at6native31launch_logcumsumexp_cuda_kernelERKNSD_10TensorBaseESH_lENKUlvE_clEvENKUlvE3_clEvEUlS6_S6_E_S6_EEDaPvRmT3_T4_T5_mT6_P12ihipStream_tbENKUlT_T0_E_clISt17integral_constantIbLb1EESX_IbLb0EEEEDaST_SU_EUlST_E_NS1_11comp_targetILNS1_3genE10ELNS1_11target_archE1200ELNS1_3gpuE4ELNS1_3repE0EEENS1_30default_config_static_selectorELNS0_4arch9wavefront6targetE0EEEvT1_,@function
_ZN7rocprim17ROCPRIM_400000_NS6detail17trampoline_kernelINS0_14default_configENS1_20scan_config_selectorIN3c104HalfEEEZZNS1_9scan_implILNS1_25lookback_scan_determinismE0ELb0ELb0ES3_PKS6_PS6_S6_ZZZN2at6native31launch_logcumsumexp_cuda_kernelERKNSD_10TensorBaseESH_lENKUlvE_clEvENKUlvE3_clEvEUlS6_S6_E_S6_EEDaPvRmT3_T4_T5_mT6_P12ihipStream_tbENKUlT_T0_E_clISt17integral_constantIbLb1EESX_IbLb0EEEEDaST_SU_EUlST_E_NS1_11comp_targetILNS1_3genE10ELNS1_11target_archE1200ELNS1_3gpuE4ELNS1_3repE0EEENS1_30default_config_static_selectorELNS0_4arch9wavefront6targetE0EEEvT1_: ; @_ZN7rocprim17ROCPRIM_400000_NS6detail17trampoline_kernelINS0_14default_configENS1_20scan_config_selectorIN3c104HalfEEEZZNS1_9scan_implILNS1_25lookback_scan_determinismE0ELb0ELb0ES3_PKS6_PS6_S6_ZZZN2at6native31launch_logcumsumexp_cuda_kernelERKNSD_10TensorBaseESH_lENKUlvE_clEvENKUlvE3_clEvEUlS6_S6_E_S6_EEDaPvRmT3_T4_T5_mT6_P12ihipStream_tbENKUlT_T0_E_clISt17integral_constantIbLb1EESX_IbLb0EEEEDaST_SU_EUlST_E_NS1_11comp_targetILNS1_3genE10ELNS1_11target_archE1200ELNS1_3gpuE4ELNS1_3repE0EEENS1_30default_config_static_selectorELNS0_4arch9wavefront6targetE0EEEvT1_
; %bb.0:
	.section	.rodata,"a",@progbits
	.p2align	6, 0x0
	.amdhsa_kernel _ZN7rocprim17ROCPRIM_400000_NS6detail17trampoline_kernelINS0_14default_configENS1_20scan_config_selectorIN3c104HalfEEEZZNS1_9scan_implILNS1_25lookback_scan_determinismE0ELb0ELb0ES3_PKS6_PS6_S6_ZZZN2at6native31launch_logcumsumexp_cuda_kernelERKNSD_10TensorBaseESH_lENKUlvE_clEvENKUlvE3_clEvEUlS6_S6_E_S6_EEDaPvRmT3_T4_T5_mT6_P12ihipStream_tbENKUlT_T0_E_clISt17integral_constantIbLb1EESX_IbLb0EEEEDaST_SU_EUlST_E_NS1_11comp_targetILNS1_3genE10ELNS1_11target_archE1200ELNS1_3gpuE4ELNS1_3repE0EEENS1_30default_config_static_selectorELNS0_4arch9wavefront6targetE0EEEvT1_
		.amdhsa_group_segment_fixed_size 0
		.amdhsa_private_segment_fixed_size 0
		.amdhsa_kernarg_size 96
		.amdhsa_user_sgpr_count 6
		.amdhsa_user_sgpr_private_segment_buffer 1
		.amdhsa_user_sgpr_dispatch_ptr 0
		.amdhsa_user_sgpr_queue_ptr 0
		.amdhsa_user_sgpr_kernarg_segment_ptr 1
		.amdhsa_user_sgpr_dispatch_id 0
		.amdhsa_user_sgpr_flat_scratch_init 0
		.amdhsa_user_sgpr_private_segment_size 0
		.amdhsa_wavefront_size32 1
		.amdhsa_uses_dynamic_stack 0
		.amdhsa_system_sgpr_private_segment_wavefront_offset 0
		.amdhsa_system_sgpr_workgroup_id_x 1
		.amdhsa_system_sgpr_workgroup_id_y 0
		.amdhsa_system_sgpr_workgroup_id_z 0
		.amdhsa_system_sgpr_workgroup_info 0
		.amdhsa_system_vgpr_workitem_id 0
		.amdhsa_next_free_vgpr 1
		.amdhsa_next_free_sgpr 1
		.amdhsa_reserve_vcc 0
		.amdhsa_reserve_flat_scratch 0
		.amdhsa_float_round_mode_32 0
		.amdhsa_float_round_mode_16_64 0
		.amdhsa_float_denorm_mode_32 3
		.amdhsa_float_denorm_mode_16_64 3
		.amdhsa_dx10_clamp 1
		.amdhsa_ieee_mode 1
		.amdhsa_fp16_overflow 0
		.amdhsa_workgroup_processor_mode 1
		.amdhsa_memory_ordered 1
		.amdhsa_forward_progress 1
		.amdhsa_shared_vgpr_count 0
		.amdhsa_exception_fp_ieee_invalid_op 0
		.amdhsa_exception_fp_denorm_src 0
		.amdhsa_exception_fp_ieee_div_zero 0
		.amdhsa_exception_fp_ieee_overflow 0
		.amdhsa_exception_fp_ieee_underflow 0
		.amdhsa_exception_fp_ieee_inexact 0
		.amdhsa_exception_int_div_zero 0
	.end_amdhsa_kernel
	.section	.text._ZN7rocprim17ROCPRIM_400000_NS6detail17trampoline_kernelINS0_14default_configENS1_20scan_config_selectorIN3c104HalfEEEZZNS1_9scan_implILNS1_25lookback_scan_determinismE0ELb0ELb0ES3_PKS6_PS6_S6_ZZZN2at6native31launch_logcumsumexp_cuda_kernelERKNSD_10TensorBaseESH_lENKUlvE_clEvENKUlvE3_clEvEUlS6_S6_E_S6_EEDaPvRmT3_T4_T5_mT6_P12ihipStream_tbENKUlT_T0_E_clISt17integral_constantIbLb1EESX_IbLb0EEEEDaST_SU_EUlST_E_NS1_11comp_targetILNS1_3genE10ELNS1_11target_archE1200ELNS1_3gpuE4ELNS1_3repE0EEENS1_30default_config_static_selectorELNS0_4arch9wavefront6targetE0EEEvT1_,"axG",@progbits,_ZN7rocprim17ROCPRIM_400000_NS6detail17trampoline_kernelINS0_14default_configENS1_20scan_config_selectorIN3c104HalfEEEZZNS1_9scan_implILNS1_25lookback_scan_determinismE0ELb0ELb0ES3_PKS6_PS6_S6_ZZZN2at6native31launch_logcumsumexp_cuda_kernelERKNSD_10TensorBaseESH_lENKUlvE_clEvENKUlvE3_clEvEUlS6_S6_E_S6_EEDaPvRmT3_T4_T5_mT6_P12ihipStream_tbENKUlT_T0_E_clISt17integral_constantIbLb1EESX_IbLb0EEEEDaST_SU_EUlST_E_NS1_11comp_targetILNS1_3genE10ELNS1_11target_archE1200ELNS1_3gpuE4ELNS1_3repE0EEENS1_30default_config_static_selectorELNS0_4arch9wavefront6targetE0EEEvT1_,comdat
.Lfunc_end403:
	.size	_ZN7rocprim17ROCPRIM_400000_NS6detail17trampoline_kernelINS0_14default_configENS1_20scan_config_selectorIN3c104HalfEEEZZNS1_9scan_implILNS1_25lookback_scan_determinismE0ELb0ELb0ES3_PKS6_PS6_S6_ZZZN2at6native31launch_logcumsumexp_cuda_kernelERKNSD_10TensorBaseESH_lENKUlvE_clEvENKUlvE3_clEvEUlS6_S6_E_S6_EEDaPvRmT3_T4_T5_mT6_P12ihipStream_tbENKUlT_T0_E_clISt17integral_constantIbLb1EESX_IbLb0EEEEDaST_SU_EUlST_E_NS1_11comp_targetILNS1_3genE10ELNS1_11target_archE1200ELNS1_3gpuE4ELNS1_3repE0EEENS1_30default_config_static_selectorELNS0_4arch9wavefront6targetE0EEEvT1_, .Lfunc_end403-_ZN7rocprim17ROCPRIM_400000_NS6detail17trampoline_kernelINS0_14default_configENS1_20scan_config_selectorIN3c104HalfEEEZZNS1_9scan_implILNS1_25lookback_scan_determinismE0ELb0ELb0ES3_PKS6_PS6_S6_ZZZN2at6native31launch_logcumsumexp_cuda_kernelERKNSD_10TensorBaseESH_lENKUlvE_clEvENKUlvE3_clEvEUlS6_S6_E_S6_EEDaPvRmT3_T4_T5_mT6_P12ihipStream_tbENKUlT_T0_E_clISt17integral_constantIbLb1EESX_IbLb0EEEEDaST_SU_EUlST_E_NS1_11comp_targetILNS1_3genE10ELNS1_11target_archE1200ELNS1_3gpuE4ELNS1_3repE0EEENS1_30default_config_static_selectorELNS0_4arch9wavefront6targetE0EEEvT1_
                                        ; -- End function
	.set _ZN7rocprim17ROCPRIM_400000_NS6detail17trampoline_kernelINS0_14default_configENS1_20scan_config_selectorIN3c104HalfEEEZZNS1_9scan_implILNS1_25lookback_scan_determinismE0ELb0ELb0ES3_PKS6_PS6_S6_ZZZN2at6native31launch_logcumsumexp_cuda_kernelERKNSD_10TensorBaseESH_lENKUlvE_clEvENKUlvE3_clEvEUlS6_S6_E_S6_EEDaPvRmT3_T4_T5_mT6_P12ihipStream_tbENKUlT_T0_E_clISt17integral_constantIbLb1EESX_IbLb0EEEEDaST_SU_EUlST_E_NS1_11comp_targetILNS1_3genE10ELNS1_11target_archE1200ELNS1_3gpuE4ELNS1_3repE0EEENS1_30default_config_static_selectorELNS0_4arch9wavefront6targetE0EEEvT1_.num_vgpr, 0
	.set _ZN7rocprim17ROCPRIM_400000_NS6detail17trampoline_kernelINS0_14default_configENS1_20scan_config_selectorIN3c104HalfEEEZZNS1_9scan_implILNS1_25lookback_scan_determinismE0ELb0ELb0ES3_PKS6_PS6_S6_ZZZN2at6native31launch_logcumsumexp_cuda_kernelERKNSD_10TensorBaseESH_lENKUlvE_clEvENKUlvE3_clEvEUlS6_S6_E_S6_EEDaPvRmT3_T4_T5_mT6_P12ihipStream_tbENKUlT_T0_E_clISt17integral_constantIbLb1EESX_IbLb0EEEEDaST_SU_EUlST_E_NS1_11comp_targetILNS1_3genE10ELNS1_11target_archE1200ELNS1_3gpuE4ELNS1_3repE0EEENS1_30default_config_static_selectorELNS0_4arch9wavefront6targetE0EEEvT1_.num_agpr, 0
	.set _ZN7rocprim17ROCPRIM_400000_NS6detail17trampoline_kernelINS0_14default_configENS1_20scan_config_selectorIN3c104HalfEEEZZNS1_9scan_implILNS1_25lookback_scan_determinismE0ELb0ELb0ES3_PKS6_PS6_S6_ZZZN2at6native31launch_logcumsumexp_cuda_kernelERKNSD_10TensorBaseESH_lENKUlvE_clEvENKUlvE3_clEvEUlS6_S6_E_S6_EEDaPvRmT3_T4_T5_mT6_P12ihipStream_tbENKUlT_T0_E_clISt17integral_constantIbLb1EESX_IbLb0EEEEDaST_SU_EUlST_E_NS1_11comp_targetILNS1_3genE10ELNS1_11target_archE1200ELNS1_3gpuE4ELNS1_3repE0EEENS1_30default_config_static_selectorELNS0_4arch9wavefront6targetE0EEEvT1_.numbered_sgpr, 0
	.set _ZN7rocprim17ROCPRIM_400000_NS6detail17trampoline_kernelINS0_14default_configENS1_20scan_config_selectorIN3c104HalfEEEZZNS1_9scan_implILNS1_25lookback_scan_determinismE0ELb0ELb0ES3_PKS6_PS6_S6_ZZZN2at6native31launch_logcumsumexp_cuda_kernelERKNSD_10TensorBaseESH_lENKUlvE_clEvENKUlvE3_clEvEUlS6_S6_E_S6_EEDaPvRmT3_T4_T5_mT6_P12ihipStream_tbENKUlT_T0_E_clISt17integral_constantIbLb1EESX_IbLb0EEEEDaST_SU_EUlST_E_NS1_11comp_targetILNS1_3genE10ELNS1_11target_archE1200ELNS1_3gpuE4ELNS1_3repE0EEENS1_30default_config_static_selectorELNS0_4arch9wavefront6targetE0EEEvT1_.num_named_barrier, 0
	.set _ZN7rocprim17ROCPRIM_400000_NS6detail17trampoline_kernelINS0_14default_configENS1_20scan_config_selectorIN3c104HalfEEEZZNS1_9scan_implILNS1_25lookback_scan_determinismE0ELb0ELb0ES3_PKS6_PS6_S6_ZZZN2at6native31launch_logcumsumexp_cuda_kernelERKNSD_10TensorBaseESH_lENKUlvE_clEvENKUlvE3_clEvEUlS6_S6_E_S6_EEDaPvRmT3_T4_T5_mT6_P12ihipStream_tbENKUlT_T0_E_clISt17integral_constantIbLb1EESX_IbLb0EEEEDaST_SU_EUlST_E_NS1_11comp_targetILNS1_3genE10ELNS1_11target_archE1200ELNS1_3gpuE4ELNS1_3repE0EEENS1_30default_config_static_selectorELNS0_4arch9wavefront6targetE0EEEvT1_.private_seg_size, 0
	.set _ZN7rocprim17ROCPRIM_400000_NS6detail17trampoline_kernelINS0_14default_configENS1_20scan_config_selectorIN3c104HalfEEEZZNS1_9scan_implILNS1_25lookback_scan_determinismE0ELb0ELb0ES3_PKS6_PS6_S6_ZZZN2at6native31launch_logcumsumexp_cuda_kernelERKNSD_10TensorBaseESH_lENKUlvE_clEvENKUlvE3_clEvEUlS6_S6_E_S6_EEDaPvRmT3_T4_T5_mT6_P12ihipStream_tbENKUlT_T0_E_clISt17integral_constantIbLb1EESX_IbLb0EEEEDaST_SU_EUlST_E_NS1_11comp_targetILNS1_3genE10ELNS1_11target_archE1200ELNS1_3gpuE4ELNS1_3repE0EEENS1_30default_config_static_selectorELNS0_4arch9wavefront6targetE0EEEvT1_.uses_vcc, 0
	.set _ZN7rocprim17ROCPRIM_400000_NS6detail17trampoline_kernelINS0_14default_configENS1_20scan_config_selectorIN3c104HalfEEEZZNS1_9scan_implILNS1_25lookback_scan_determinismE0ELb0ELb0ES3_PKS6_PS6_S6_ZZZN2at6native31launch_logcumsumexp_cuda_kernelERKNSD_10TensorBaseESH_lENKUlvE_clEvENKUlvE3_clEvEUlS6_S6_E_S6_EEDaPvRmT3_T4_T5_mT6_P12ihipStream_tbENKUlT_T0_E_clISt17integral_constantIbLb1EESX_IbLb0EEEEDaST_SU_EUlST_E_NS1_11comp_targetILNS1_3genE10ELNS1_11target_archE1200ELNS1_3gpuE4ELNS1_3repE0EEENS1_30default_config_static_selectorELNS0_4arch9wavefront6targetE0EEEvT1_.uses_flat_scratch, 0
	.set _ZN7rocprim17ROCPRIM_400000_NS6detail17trampoline_kernelINS0_14default_configENS1_20scan_config_selectorIN3c104HalfEEEZZNS1_9scan_implILNS1_25lookback_scan_determinismE0ELb0ELb0ES3_PKS6_PS6_S6_ZZZN2at6native31launch_logcumsumexp_cuda_kernelERKNSD_10TensorBaseESH_lENKUlvE_clEvENKUlvE3_clEvEUlS6_S6_E_S6_EEDaPvRmT3_T4_T5_mT6_P12ihipStream_tbENKUlT_T0_E_clISt17integral_constantIbLb1EESX_IbLb0EEEEDaST_SU_EUlST_E_NS1_11comp_targetILNS1_3genE10ELNS1_11target_archE1200ELNS1_3gpuE4ELNS1_3repE0EEENS1_30default_config_static_selectorELNS0_4arch9wavefront6targetE0EEEvT1_.has_dyn_sized_stack, 0
	.set _ZN7rocprim17ROCPRIM_400000_NS6detail17trampoline_kernelINS0_14default_configENS1_20scan_config_selectorIN3c104HalfEEEZZNS1_9scan_implILNS1_25lookback_scan_determinismE0ELb0ELb0ES3_PKS6_PS6_S6_ZZZN2at6native31launch_logcumsumexp_cuda_kernelERKNSD_10TensorBaseESH_lENKUlvE_clEvENKUlvE3_clEvEUlS6_S6_E_S6_EEDaPvRmT3_T4_T5_mT6_P12ihipStream_tbENKUlT_T0_E_clISt17integral_constantIbLb1EESX_IbLb0EEEEDaST_SU_EUlST_E_NS1_11comp_targetILNS1_3genE10ELNS1_11target_archE1200ELNS1_3gpuE4ELNS1_3repE0EEENS1_30default_config_static_selectorELNS0_4arch9wavefront6targetE0EEEvT1_.has_recursion, 0
	.set _ZN7rocprim17ROCPRIM_400000_NS6detail17trampoline_kernelINS0_14default_configENS1_20scan_config_selectorIN3c104HalfEEEZZNS1_9scan_implILNS1_25lookback_scan_determinismE0ELb0ELb0ES3_PKS6_PS6_S6_ZZZN2at6native31launch_logcumsumexp_cuda_kernelERKNSD_10TensorBaseESH_lENKUlvE_clEvENKUlvE3_clEvEUlS6_S6_E_S6_EEDaPvRmT3_T4_T5_mT6_P12ihipStream_tbENKUlT_T0_E_clISt17integral_constantIbLb1EESX_IbLb0EEEEDaST_SU_EUlST_E_NS1_11comp_targetILNS1_3genE10ELNS1_11target_archE1200ELNS1_3gpuE4ELNS1_3repE0EEENS1_30default_config_static_selectorELNS0_4arch9wavefront6targetE0EEEvT1_.has_indirect_call, 0
	.section	.AMDGPU.csdata,"",@progbits
; Kernel info:
; codeLenInByte = 0
; TotalNumSgprs: 0
; NumVgprs: 0
; ScratchSize: 0
; MemoryBound: 0
; FloatMode: 240
; IeeeMode: 1
; LDSByteSize: 0 bytes/workgroup (compile time only)
; SGPRBlocks: 0
; VGPRBlocks: 0
; NumSGPRsForWavesPerEU: 1
; NumVGPRsForWavesPerEU: 1
; Occupancy: 16
; WaveLimiterHint : 0
; COMPUTE_PGM_RSRC2:SCRATCH_EN: 0
; COMPUTE_PGM_RSRC2:USER_SGPR: 6
; COMPUTE_PGM_RSRC2:TRAP_HANDLER: 0
; COMPUTE_PGM_RSRC2:TGID_X_EN: 1
; COMPUTE_PGM_RSRC2:TGID_Y_EN: 0
; COMPUTE_PGM_RSRC2:TGID_Z_EN: 0
; COMPUTE_PGM_RSRC2:TIDIG_COMP_CNT: 0
	.section	.text._ZN7rocprim17ROCPRIM_400000_NS6detail17trampoline_kernelINS0_14default_configENS1_20scan_config_selectorIN3c104HalfEEEZZNS1_9scan_implILNS1_25lookback_scan_determinismE0ELb0ELb0ES3_PKS6_PS6_S6_ZZZN2at6native31launch_logcumsumexp_cuda_kernelERKNSD_10TensorBaseESH_lENKUlvE_clEvENKUlvE3_clEvEUlS6_S6_E_S6_EEDaPvRmT3_T4_T5_mT6_P12ihipStream_tbENKUlT_T0_E_clISt17integral_constantIbLb1EESX_IbLb0EEEEDaST_SU_EUlST_E_NS1_11comp_targetILNS1_3genE9ELNS1_11target_archE1100ELNS1_3gpuE3ELNS1_3repE0EEENS1_30default_config_static_selectorELNS0_4arch9wavefront6targetE0EEEvT1_,"axG",@progbits,_ZN7rocprim17ROCPRIM_400000_NS6detail17trampoline_kernelINS0_14default_configENS1_20scan_config_selectorIN3c104HalfEEEZZNS1_9scan_implILNS1_25lookback_scan_determinismE0ELb0ELb0ES3_PKS6_PS6_S6_ZZZN2at6native31launch_logcumsumexp_cuda_kernelERKNSD_10TensorBaseESH_lENKUlvE_clEvENKUlvE3_clEvEUlS6_S6_E_S6_EEDaPvRmT3_T4_T5_mT6_P12ihipStream_tbENKUlT_T0_E_clISt17integral_constantIbLb1EESX_IbLb0EEEEDaST_SU_EUlST_E_NS1_11comp_targetILNS1_3genE9ELNS1_11target_archE1100ELNS1_3gpuE3ELNS1_3repE0EEENS1_30default_config_static_selectorELNS0_4arch9wavefront6targetE0EEEvT1_,comdat
	.globl	_ZN7rocprim17ROCPRIM_400000_NS6detail17trampoline_kernelINS0_14default_configENS1_20scan_config_selectorIN3c104HalfEEEZZNS1_9scan_implILNS1_25lookback_scan_determinismE0ELb0ELb0ES3_PKS6_PS6_S6_ZZZN2at6native31launch_logcumsumexp_cuda_kernelERKNSD_10TensorBaseESH_lENKUlvE_clEvENKUlvE3_clEvEUlS6_S6_E_S6_EEDaPvRmT3_T4_T5_mT6_P12ihipStream_tbENKUlT_T0_E_clISt17integral_constantIbLb1EESX_IbLb0EEEEDaST_SU_EUlST_E_NS1_11comp_targetILNS1_3genE9ELNS1_11target_archE1100ELNS1_3gpuE3ELNS1_3repE0EEENS1_30default_config_static_selectorELNS0_4arch9wavefront6targetE0EEEvT1_ ; -- Begin function _ZN7rocprim17ROCPRIM_400000_NS6detail17trampoline_kernelINS0_14default_configENS1_20scan_config_selectorIN3c104HalfEEEZZNS1_9scan_implILNS1_25lookback_scan_determinismE0ELb0ELb0ES3_PKS6_PS6_S6_ZZZN2at6native31launch_logcumsumexp_cuda_kernelERKNSD_10TensorBaseESH_lENKUlvE_clEvENKUlvE3_clEvEUlS6_S6_E_S6_EEDaPvRmT3_T4_T5_mT6_P12ihipStream_tbENKUlT_T0_E_clISt17integral_constantIbLb1EESX_IbLb0EEEEDaST_SU_EUlST_E_NS1_11comp_targetILNS1_3genE9ELNS1_11target_archE1100ELNS1_3gpuE3ELNS1_3repE0EEENS1_30default_config_static_selectorELNS0_4arch9wavefront6targetE0EEEvT1_
	.p2align	8
	.type	_ZN7rocprim17ROCPRIM_400000_NS6detail17trampoline_kernelINS0_14default_configENS1_20scan_config_selectorIN3c104HalfEEEZZNS1_9scan_implILNS1_25lookback_scan_determinismE0ELb0ELb0ES3_PKS6_PS6_S6_ZZZN2at6native31launch_logcumsumexp_cuda_kernelERKNSD_10TensorBaseESH_lENKUlvE_clEvENKUlvE3_clEvEUlS6_S6_E_S6_EEDaPvRmT3_T4_T5_mT6_P12ihipStream_tbENKUlT_T0_E_clISt17integral_constantIbLb1EESX_IbLb0EEEEDaST_SU_EUlST_E_NS1_11comp_targetILNS1_3genE9ELNS1_11target_archE1100ELNS1_3gpuE3ELNS1_3repE0EEENS1_30default_config_static_selectorELNS0_4arch9wavefront6targetE0EEEvT1_,@function
_ZN7rocprim17ROCPRIM_400000_NS6detail17trampoline_kernelINS0_14default_configENS1_20scan_config_selectorIN3c104HalfEEEZZNS1_9scan_implILNS1_25lookback_scan_determinismE0ELb0ELb0ES3_PKS6_PS6_S6_ZZZN2at6native31launch_logcumsumexp_cuda_kernelERKNSD_10TensorBaseESH_lENKUlvE_clEvENKUlvE3_clEvEUlS6_S6_E_S6_EEDaPvRmT3_T4_T5_mT6_P12ihipStream_tbENKUlT_T0_E_clISt17integral_constantIbLb1EESX_IbLb0EEEEDaST_SU_EUlST_E_NS1_11comp_targetILNS1_3genE9ELNS1_11target_archE1100ELNS1_3gpuE3ELNS1_3repE0EEENS1_30default_config_static_selectorELNS0_4arch9wavefront6targetE0EEEvT1_: ; @_ZN7rocprim17ROCPRIM_400000_NS6detail17trampoline_kernelINS0_14default_configENS1_20scan_config_selectorIN3c104HalfEEEZZNS1_9scan_implILNS1_25lookback_scan_determinismE0ELb0ELb0ES3_PKS6_PS6_S6_ZZZN2at6native31launch_logcumsumexp_cuda_kernelERKNSD_10TensorBaseESH_lENKUlvE_clEvENKUlvE3_clEvEUlS6_S6_E_S6_EEDaPvRmT3_T4_T5_mT6_P12ihipStream_tbENKUlT_T0_E_clISt17integral_constantIbLb1EESX_IbLb0EEEEDaST_SU_EUlST_E_NS1_11comp_targetILNS1_3genE9ELNS1_11target_archE1100ELNS1_3gpuE3ELNS1_3repE0EEENS1_30default_config_static_selectorELNS0_4arch9wavefront6targetE0EEEvT1_
; %bb.0:
	.section	.rodata,"a",@progbits
	.p2align	6, 0x0
	.amdhsa_kernel _ZN7rocprim17ROCPRIM_400000_NS6detail17trampoline_kernelINS0_14default_configENS1_20scan_config_selectorIN3c104HalfEEEZZNS1_9scan_implILNS1_25lookback_scan_determinismE0ELb0ELb0ES3_PKS6_PS6_S6_ZZZN2at6native31launch_logcumsumexp_cuda_kernelERKNSD_10TensorBaseESH_lENKUlvE_clEvENKUlvE3_clEvEUlS6_S6_E_S6_EEDaPvRmT3_T4_T5_mT6_P12ihipStream_tbENKUlT_T0_E_clISt17integral_constantIbLb1EESX_IbLb0EEEEDaST_SU_EUlST_E_NS1_11comp_targetILNS1_3genE9ELNS1_11target_archE1100ELNS1_3gpuE3ELNS1_3repE0EEENS1_30default_config_static_selectorELNS0_4arch9wavefront6targetE0EEEvT1_
		.amdhsa_group_segment_fixed_size 0
		.amdhsa_private_segment_fixed_size 0
		.amdhsa_kernarg_size 96
		.amdhsa_user_sgpr_count 6
		.amdhsa_user_sgpr_private_segment_buffer 1
		.amdhsa_user_sgpr_dispatch_ptr 0
		.amdhsa_user_sgpr_queue_ptr 0
		.amdhsa_user_sgpr_kernarg_segment_ptr 1
		.amdhsa_user_sgpr_dispatch_id 0
		.amdhsa_user_sgpr_flat_scratch_init 0
		.amdhsa_user_sgpr_private_segment_size 0
		.amdhsa_wavefront_size32 1
		.amdhsa_uses_dynamic_stack 0
		.amdhsa_system_sgpr_private_segment_wavefront_offset 0
		.amdhsa_system_sgpr_workgroup_id_x 1
		.amdhsa_system_sgpr_workgroup_id_y 0
		.amdhsa_system_sgpr_workgroup_id_z 0
		.amdhsa_system_sgpr_workgroup_info 0
		.amdhsa_system_vgpr_workitem_id 0
		.amdhsa_next_free_vgpr 1
		.amdhsa_next_free_sgpr 1
		.amdhsa_reserve_vcc 0
		.amdhsa_reserve_flat_scratch 0
		.amdhsa_float_round_mode_32 0
		.amdhsa_float_round_mode_16_64 0
		.amdhsa_float_denorm_mode_32 3
		.amdhsa_float_denorm_mode_16_64 3
		.amdhsa_dx10_clamp 1
		.amdhsa_ieee_mode 1
		.amdhsa_fp16_overflow 0
		.amdhsa_workgroup_processor_mode 1
		.amdhsa_memory_ordered 1
		.amdhsa_forward_progress 1
		.amdhsa_shared_vgpr_count 0
		.amdhsa_exception_fp_ieee_invalid_op 0
		.amdhsa_exception_fp_denorm_src 0
		.amdhsa_exception_fp_ieee_div_zero 0
		.amdhsa_exception_fp_ieee_overflow 0
		.amdhsa_exception_fp_ieee_underflow 0
		.amdhsa_exception_fp_ieee_inexact 0
		.amdhsa_exception_int_div_zero 0
	.end_amdhsa_kernel
	.section	.text._ZN7rocprim17ROCPRIM_400000_NS6detail17trampoline_kernelINS0_14default_configENS1_20scan_config_selectorIN3c104HalfEEEZZNS1_9scan_implILNS1_25lookback_scan_determinismE0ELb0ELb0ES3_PKS6_PS6_S6_ZZZN2at6native31launch_logcumsumexp_cuda_kernelERKNSD_10TensorBaseESH_lENKUlvE_clEvENKUlvE3_clEvEUlS6_S6_E_S6_EEDaPvRmT3_T4_T5_mT6_P12ihipStream_tbENKUlT_T0_E_clISt17integral_constantIbLb1EESX_IbLb0EEEEDaST_SU_EUlST_E_NS1_11comp_targetILNS1_3genE9ELNS1_11target_archE1100ELNS1_3gpuE3ELNS1_3repE0EEENS1_30default_config_static_selectorELNS0_4arch9wavefront6targetE0EEEvT1_,"axG",@progbits,_ZN7rocprim17ROCPRIM_400000_NS6detail17trampoline_kernelINS0_14default_configENS1_20scan_config_selectorIN3c104HalfEEEZZNS1_9scan_implILNS1_25lookback_scan_determinismE0ELb0ELb0ES3_PKS6_PS6_S6_ZZZN2at6native31launch_logcumsumexp_cuda_kernelERKNSD_10TensorBaseESH_lENKUlvE_clEvENKUlvE3_clEvEUlS6_S6_E_S6_EEDaPvRmT3_T4_T5_mT6_P12ihipStream_tbENKUlT_T0_E_clISt17integral_constantIbLb1EESX_IbLb0EEEEDaST_SU_EUlST_E_NS1_11comp_targetILNS1_3genE9ELNS1_11target_archE1100ELNS1_3gpuE3ELNS1_3repE0EEENS1_30default_config_static_selectorELNS0_4arch9wavefront6targetE0EEEvT1_,comdat
.Lfunc_end404:
	.size	_ZN7rocprim17ROCPRIM_400000_NS6detail17trampoline_kernelINS0_14default_configENS1_20scan_config_selectorIN3c104HalfEEEZZNS1_9scan_implILNS1_25lookback_scan_determinismE0ELb0ELb0ES3_PKS6_PS6_S6_ZZZN2at6native31launch_logcumsumexp_cuda_kernelERKNSD_10TensorBaseESH_lENKUlvE_clEvENKUlvE3_clEvEUlS6_S6_E_S6_EEDaPvRmT3_T4_T5_mT6_P12ihipStream_tbENKUlT_T0_E_clISt17integral_constantIbLb1EESX_IbLb0EEEEDaST_SU_EUlST_E_NS1_11comp_targetILNS1_3genE9ELNS1_11target_archE1100ELNS1_3gpuE3ELNS1_3repE0EEENS1_30default_config_static_selectorELNS0_4arch9wavefront6targetE0EEEvT1_, .Lfunc_end404-_ZN7rocprim17ROCPRIM_400000_NS6detail17trampoline_kernelINS0_14default_configENS1_20scan_config_selectorIN3c104HalfEEEZZNS1_9scan_implILNS1_25lookback_scan_determinismE0ELb0ELb0ES3_PKS6_PS6_S6_ZZZN2at6native31launch_logcumsumexp_cuda_kernelERKNSD_10TensorBaseESH_lENKUlvE_clEvENKUlvE3_clEvEUlS6_S6_E_S6_EEDaPvRmT3_T4_T5_mT6_P12ihipStream_tbENKUlT_T0_E_clISt17integral_constantIbLb1EESX_IbLb0EEEEDaST_SU_EUlST_E_NS1_11comp_targetILNS1_3genE9ELNS1_11target_archE1100ELNS1_3gpuE3ELNS1_3repE0EEENS1_30default_config_static_selectorELNS0_4arch9wavefront6targetE0EEEvT1_
                                        ; -- End function
	.set _ZN7rocprim17ROCPRIM_400000_NS6detail17trampoline_kernelINS0_14default_configENS1_20scan_config_selectorIN3c104HalfEEEZZNS1_9scan_implILNS1_25lookback_scan_determinismE0ELb0ELb0ES3_PKS6_PS6_S6_ZZZN2at6native31launch_logcumsumexp_cuda_kernelERKNSD_10TensorBaseESH_lENKUlvE_clEvENKUlvE3_clEvEUlS6_S6_E_S6_EEDaPvRmT3_T4_T5_mT6_P12ihipStream_tbENKUlT_T0_E_clISt17integral_constantIbLb1EESX_IbLb0EEEEDaST_SU_EUlST_E_NS1_11comp_targetILNS1_3genE9ELNS1_11target_archE1100ELNS1_3gpuE3ELNS1_3repE0EEENS1_30default_config_static_selectorELNS0_4arch9wavefront6targetE0EEEvT1_.num_vgpr, 0
	.set _ZN7rocprim17ROCPRIM_400000_NS6detail17trampoline_kernelINS0_14default_configENS1_20scan_config_selectorIN3c104HalfEEEZZNS1_9scan_implILNS1_25lookback_scan_determinismE0ELb0ELb0ES3_PKS6_PS6_S6_ZZZN2at6native31launch_logcumsumexp_cuda_kernelERKNSD_10TensorBaseESH_lENKUlvE_clEvENKUlvE3_clEvEUlS6_S6_E_S6_EEDaPvRmT3_T4_T5_mT6_P12ihipStream_tbENKUlT_T0_E_clISt17integral_constantIbLb1EESX_IbLb0EEEEDaST_SU_EUlST_E_NS1_11comp_targetILNS1_3genE9ELNS1_11target_archE1100ELNS1_3gpuE3ELNS1_3repE0EEENS1_30default_config_static_selectorELNS0_4arch9wavefront6targetE0EEEvT1_.num_agpr, 0
	.set _ZN7rocprim17ROCPRIM_400000_NS6detail17trampoline_kernelINS0_14default_configENS1_20scan_config_selectorIN3c104HalfEEEZZNS1_9scan_implILNS1_25lookback_scan_determinismE0ELb0ELb0ES3_PKS6_PS6_S6_ZZZN2at6native31launch_logcumsumexp_cuda_kernelERKNSD_10TensorBaseESH_lENKUlvE_clEvENKUlvE3_clEvEUlS6_S6_E_S6_EEDaPvRmT3_T4_T5_mT6_P12ihipStream_tbENKUlT_T0_E_clISt17integral_constantIbLb1EESX_IbLb0EEEEDaST_SU_EUlST_E_NS1_11comp_targetILNS1_3genE9ELNS1_11target_archE1100ELNS1_3gpuE3ELNS1_3repE0EEENS1_30default_config_static_selectorELNS0_4arch9wavefront6targetE0EEEvT1_.numbered_sgpr, 0
	.set _ZN7rocprim17ROCPRIM_400000_NS6detail17trampoline_kernelINS0_14default_configENS1_20scan_config_selectorIN3c104HalfEEEZZNS1_9scan_implILNS1_25lookback_scan_determinismE0ELb0ELb0ES3_PKS6_PS6_S6_ZZZN2at6native31launch_logcumsumexp_cuda_kernelERKNSD_10TensorBaseESH_lENKUlvE_clEvENKUlvE3_clEvEUlS6_S6_E_S6_EEDaPvRmT3_T4_T5_mT6_P12ihipStream_tbENKUlT_T0_E_clISt17integral_constantIbLb1EESX_IbLb0EEEEDaST_SU_EUlST_E_NS1_11comp_targetILNS1_3genE9ELNS1_11target_archE1100ELNS1_3gpuE3ELNS1_3repE0EEENS1_30default_config_static_selectorELNS0_4arch9wavefront6targetE0EEEvT1_.num_named_barrier, 0
	.set _ZN7rocprim17ROCPRIM_400000_NS6detail17trampoline_kernelINS0_14default_configENS1_20scan_config_selectorIN3c104HalfEEEZZNS1_9scan_implILNS1_25lookback_scan_determinismE0ELb0ELb0ES3_PKS6_PS6_S6_ZZZN2at6native31launch_logcumsumexp_cuda_kernelERKNSD_10TensorBaseESH_lENKUlvE_clEvENKUlvE3_clEvEUlS6_S6_E_S6_EEDaPvRmT3_T4_T5_mT6_P12ihipStream_tbENKUlT_T0_E_clISt17integral_constantIbLb1EESX_IbLb0EEEEDaST_SU_EUlST_E_NS1_11comp_targetILNS1_3genE9ELNS1_11target_archE1100ELNS1_3gpuE3ELNS1_3repE0EEENS1_30default_config_static_selectorELNS0_4arch9wavefront6targetE0EEEvT1_.private_seg_size, 0
	.set _ZN7rocprim17ROCPRIM_400000_NS6detail17trampoline_kernelINS0_14default_configENS1_20scan_config_selectorIN3c104HalfEEEZZNS1_9scan_implILNS1_25lookback_scan_determinismE0ELb0ELb0ES3_PKS6_PS6_S6_ZZZN2at6native31launch_logcumsumexp_cuda_kernelERKNSD_10TensorBaseESH_lENKUlvE_clEvENKUlvE3_clEvEUlS6_S6_E_S6_EEDaPvRmT3_T4_T5_mT6_P12ihipStream_tbENKUlT_T0_E_clISt17integral_constantIbLb1EESX_IbLb0EEEEDaST_SU_EUlST_E_NS1_11comp_targetILNS1_3genE9ELNS1_11target_archE1100ELNS1_3gpuE3ELNS1_3repE0EEENS1_30default_config_static_selectorELNS0_4arch9wavefront6targetE0EEEvT1_.uses_vcc, 0
	.set _ZN7rocprim17ROCPRIM_400000_NS6detail17trampoline_kernelINS0_14default_configENS1_20scan_config_selectorIN3c104HalfEEEZZNS1_9scan_implILNS1_25lookback_scan_determinismE0ELb0ELb0ES3_PKS6_PS6_S6_ZZZN2at6native31launch_logcumsumexp_cuda_kernelERKNSD_10TensorBaseESH_lENKUlvE_clEvENKUlvE3_clEvEUlS6_S6_E_S6_EEDaPvRmT3_T4_T5_mT6_P12ihipStream_tbENKUlT_T0_E_clISt17integral_constantIbLb1EESX_IbLb0EEEEDaST_SU_EUlST_E_NS1_11comp_targetILNS1_3genE9ELNS1_11target_archE1100ELNS1_3gpuE3ELNS1_3repE0EEENS1_30default_config_static_selectorELNS0_4arch9wavefront6targetE0EEEvT1_.uses_flat_scratch, 0
	.set _ZN7rocprim17ROCPRIM_400000_NS6detail17trampoline_kernelINS0_14default_configENS1_20scan_config_selectorIN3c104HalfEEEZZNS1_9scan_implILNS1_25lookback_scan_determinismE0ELb0ELb0ES3_PKS6_PS6_S6_ZZZN2at6native31launch_logcumsumexp_cuda_kernelERKNSD_10TensorBaseESH_lENKUlvE_clEvENKUlvE3_clEvEUlS6_S6_E_S6_EEDaPvRmT3_T4_T5_mT6_P12ihipStream_tbENKUlT_T0_E_clISt17integral_constantIbLb1EESX_IbLb0EEEEDaST_SU_EUlST_E_NS1_11comp_targetILNS1_3genE9ELNS1_11target_archE1100ELNS1_3gpuE3ELNS1_3repE0EEENS1_30default_config_static_selectorELNS0_4arch9wavefront6targetE0EEEvT1_.has_dyn_sized_stack, 0
	.set _ZN7rocprim17ROCPRIM_400000_NS6detail17trampoline_kernelINS0_14default_configENS1_20scan_config_selectorIN3c104HalfEEEZZNS1_9scan_implILNS1_25lookback_scan_determinismE0ELb0ELb0ES3_PKS6_PS6_S6_ZZZN2at6native31launch_logcumsumexp_cuda_kernelERKNSD_10TensorBaseESH_lENKUlvE_clEvENKUlvE3_clEvEUlS6_S6_E_S6_EEDaPvRmT3_T4_T5_mT6_P12ihipStream_tbENKUlT_T0_E_clISt17integral_constantIbLb1EESX_IbLb0EEEEDaST_SU_EUlST_E_NS1_11comp_targetILNS1_3genE9ELNS1_11target_archE1100ELNS1_3gpuE3ELNS1_3repE0EEENS1_30default_config_static_selectorELNS0_4arch9wavefront6targetE0EEEvT1_.has_recursion, 0
	.set _ZN7rocprim17ROCPRIM_400000_NS6detail17trampoline_kernelINS0_14default_configENS1_20scan_config_selectorIN3c104HalfEEEZZNS1_9scan_implILNS1_25lookback_scan_determinismE0ELb0ELb0ES3_PKS6_PS6_S6_ZZZN2at6native31launch_logcumsumexp_cuda_kernelERKNSD_10TensorBaseESH_lENKUlvE_clEvENKUlvE3_clEvEUlS6_S6_E_S6_EEDaPvRmT3_T4_T5_mT6_P12ihipStream_tbENKUlT_T0_E_clISt17integral_constantIbLb1EESX_IbLb0EEEEDaST_SU_EUlST_E_NS1_11comp_targetILNS1_3genE9ELNS1_11target_archE1100ELNS1_3gpuE3ELNS1_3repE0EEENS1_30default_config_static_selectorELNS0_4arch9wavefront6targetE0EEEvT1_.has_indirect_call, 0
	.section	.AMDGPU.csdata,"",@progbits
; Kernel info:
; codeLenInByte = 0
; TotalNumSgprs: 0
; NumVgprs: 0
; ScratchSize: 0
; MemoryBound: 0
; FloatMode: 240
; IeeeMode: 1
; LDSByteSize: 0 bytes/workgroup (compile time only)
; SGPRBlocks: 0
; VGPRBlocks: 0
; NumSGPRsForWavesPerEU: 1
; NumVGPRsForWavesPerEU: 1
; Occupancy: 16
; WaveLimiterHint : 0
; COMPUTE_PGM_RSRC2:SCRATCH_EN: 0
; COMPUTE_PGM_RSRC2:USER_SGPR: 6
; COMPUTE_PGM_RSRC2:TRAP_HANDLER: 0
; COMPUTE_PGM_RSRC2:TGID_X_EN: 1
; COMPUTE_PGM_RSRC2:TGID_Y_EN: 0
; COMPUTE_PGM_RSRC2:TGID_Z_EN: 0
; COMPUTE_PGM_RSRC2:TIDIG_COMP_CNT: 0
	.section	.text._ZN7rocprim17ROCPRIM_400000_NS6detail17trampoline_kernelINS0_14default_configENS1_20scan_config_selectorIN3c104HalfEEEZZNS1_9scan_implILNS1_25lookback_scan_determinismE0ELb0ELb0ES3_PKS6_PS6_S6_ZZZN2at6native31launch_logcumsumexp_cuda_kernelERKNSD_10TensorBaseESH_lENKUlvE_clEvENKUlvE3_clEvEUlS6_S6_E_S6_EEDaPvRmT3_T4_T5_mT6_P12ihipStream_tbENKUlT_T0_E_clISt17integral_constantIbLb1EESX_IbLb0EEEEDaST_SU_EUlST_E_NS1_11comp_targetILNS1_3genE8ELNS1_11target_archE1030ELNS1_3gpuE2ELNS1_3repE0EEENS1_30default_config_static_selectorELNS0_4arch9wavefront6targetE0EEEvT1_,"axG",@progbits,_ZN7rocprim17ROCPRIM_400000_NS6detail17trampoline_kernelINS0_14default_configENS1_20scan_config_selectorIN3c104HalfEEEZZNS1_9scan_implILNS1_25lookback_scan_determinismE0ELb0ELb0ES3_PKS6_PS6_S6_ZZZN2at6native31launch_logcumsumexp_cuda_kernelERKNSD_10TensorBaseESH_lENKUlvE_clEvENKUlvE3_clEvEUlS6_S6_E_S6_EEDaPvRmT3_T4_T5_mT6_P12ihipStream_tbENKUlT_T0_E_clISt17integral_constantIbLb1EESX_IbLb0EEEEDaST_SU_EUlST_E_NS1_11comp_targetILNS1_3genE8ELNS1_11target_archE1030ELNS1_3gpuE2ELNS1_3repE0EEENS1_30default_config_static_selectorELNS0_4arch9wavefront6targetE0EEEvT1_,comdat
	.globl	_ZN7rocprim17ROCPRIM_400000_NS6detail17trampoline_kernelINS0_14default_configENS1_20scan_config_selectorIN3c104HalfEEEZZNS1_9scan_implILNS1_25lookback_scan_determinismE0ELb0ELb0ES3_PKS6_PS6_S6_ZZZN2at6native31launch_logcumsumexp_cuda_kernelERKNSD_10TensorBaseESH_lENKUlvE_clEvENKUlvE3_clEvEUlS6_S6_E_S6_EEDaPvRmT3_T4_T5_mT6_P12ihipStream_tbENKUlT_T0_E_clISt17integral_constantIbLb1EESX_IbLb0EEEEDaST_SU_EUlST_E_NS1_11comp_targetILNS1_3genE8ELNS1_11target_archE1030ELNS1_3gpuE2ELNS1_3repE0EEENS1_30default_config_static_selectorELNS0_4arch9wavefront6targetE0EEEvT1_ ; -- Begin function _ZN7rocprim17ROCPRIM_400000_NS6detail17trampoline_kernelINS0_14default_configENS1_20scan_config_selectorIN3c104HalfEEEZZNS1_9scan_implILNS1_25lookback_scan_determinismE0ELb0ELb0ES3_PKS6_PS6_S6_ZZZN2at6native31launch_logcumsumexp_cuda_kernelERKNSD_10TensorBaseESH_lENKUlvE_clEvENKUlvE3_clEvEUlS6_S6_E_S6_EEDaPvRmT3_T4_T5_mT6_P12ihipStream_tbENKUlT_T0_E_clISt17integral_constantIbLb1EESX_IbLb0EEEEDaST_SU_EUlST_E_NS1_11comp_targetILNS1_3genE8ELNS1_11target_archE1030ELNS1_3gpuE2ELNS1_3repE0EEENS1_30default_config_static_selectorELNS0_4arch9wavefront6targetE0EEEvT1_
	.p2align	8
	.type	_ZN7rocprim17ROCPRIM_400000_NS6detail17trampoline_kernelINS0_14default_configENS1_20scan_config_selectorIN3c104HalfEEEZZNS1_9scan_implILNS1_25lookback_scan_determinismE0ELb0ELb0ES3_PKS6_PS6_S6_ZZZN2at6native31launch_logcumsumexp_cuda_kernelERKNSD_10TensorBaseESH_lENKUlvE_clEvENKUlvE3_clEvEUlS6_S6_E_S6_EEDaPvRmT3_T4_T5_mT6_P12ihipStream_tbENKUlT_T0_E_clISt17integral_constantIbLb1EESX_IbLb0EEEEDaST_SU_EUlST_E_NS1_11comp_targetILNS1_3genE8ELNS1_11target_archE1030ELNS1_3gpuE2ELNS1_3repE0EEENS1_30default_config_static_selectorELNS0_4arch9wavefront6targetE0EEEvT1_,@function
_ZN7rocprim17ROCPRIM_400000_NS6detail17trampoline_kernelINS0_14default_configENS1_20scan_config_selectorIN3c104HalfEEEZZNS1_9scan_implILNS1_25lookback_scan_determinismE0ELb0ELb0ES3_PKS6_PS6_S6_ZZZN2at6native31launch_logcumsumexp_cuda_kernelERKNSD_10TensorBaseESH_lENKUlvE_clEvENKUlvE3_clEvEUlS6_S6_E_S6_EEDaPvRmT3_T4_T5_mT6_P12ihipStream_tbENKUlT_T0_E_clISt17integral_constantIbLb1EESX_IbLb0EEEEDaST_SU_EUlST_E_NS1_11comp_targetILNS1_3genE8ELNS1_11target_archE1030ELNS1_3gpuE2ELNS1_3repE0EEENS1_30default_config_static_selectorELNS0_4arch9wavefront6targetE0EEEvT1_: ; @_ZN7rocprim17ROCPRIM_400000_NS6detail17trampoline_kernelINS0_14default_configENS1_20scan_config_selectorIN3c104HalfEEEZZNS1_9scan_implILNS1_25lookback_scan_determinismE0ELb0ELb0ES3_PKS6_PS6_S6_ZZZN2at6native31launch_logcumsumexp_cuda_kernelERKNSD_10TensorBaseESH_lENKUlvE_clEvENKUlvE3_clEvEUlS6_S6_E_S6_EEDaPvRmT3_T4_T5_mT6_P12ihipStream_tbENKUlT_T0_E_clISt17integral_constantIbLb1EESX_IbLb0EEEEDaST_SU_EUlST_E_NS1_11comp_targetILNS1_3genE8ELNS1_11target_archE1030ELNS1_3gpuE2ELNS1_3repE0EEENS1_30default_config_static_selectorELNS0_4arch9wavefront6targetE0EEEvT1_
; %bb.0:
	s_endpgm
	.section	.rodata,"a",@progbits
	.p2align	6, 0x0
	.amdhsa_kernel _ZN7rocprim17ROCPRIM_400000_NS6detail17trampoline_kernelINS0_14default_configENS1_20scan_config_selectorIN3c104HalfEEEZZNS1_9scan_implILNS1_25lookback_scan_determinismE0ELb0ELb0ES3_PKS6_PS6_S6_ZZZN2at6native31launch_logcumsumexp_cuda_kernelERKNSD_10TensorBaseESH_lENKUlvE_clEvENKUlvE3_clEvEUlS6_S6_E_S6_EEDaPvRmT3_T4_T5_mT6_P12ihipStream_tbENKUlT_T0_E_clISt17integral_constantIbLb1EESX_IbLb0EEEEDaST_SU_EUlST_E_NS1_11comp_targetILNS1_3genE8ELNS1_11target_archE1030ELNS1_3gpuE2ELNS1_3repE0EEENS1_30default_config_static_selectorELNS0_4arch9wavefront6targetE0EEEvT1_
		.amdhsa_group_segment_fixed_size 0
		.amdhsa_private_segment_fixed_size 0
		.amdhsa_kernarg_size 96
		.amdhsa_user_sgpr_count 6
		.amdhsa_user_sgpr_private_segment_buffer 1
		.amdhsa_user_sgpr_dispatch_ptr 0
		.amdhsa_user_sgpr_queue_ptr 0
		.amdhsa_user_sgpr_kernarg_segment_ptr 1
		.amdhsa_user_sgpr_dispatch_id 0
		.amdhsa_user_sgpr_flat_scratch_init 0
		.amdhsa_user_sgpr_private_segment_size 0
		.amdhsa_wavefront_size32 1
		.amdhsa_uses_dynamic_stack 0
		.amdhsa_system_sgpr_private_segment_wavefront_offset 0
		.amdhsa_system_sgpr_workgroup_id_x 1
		.amdhsa_system_sgpr_workgroup_id_y 0
		.amdhsa_system_sgpr_workgroup_id_z 0
		.amdhsa_system_sgpr_workgroup_info 0
		.amdhsa_system_vgpr_workitem_id 0
		.amdhsa_next_free_vgpr 1
		.amdhsa_next_free_sgpr 1
		.amdhsa_reserve_vcc 0
		.amdhsa_reserve_flat_scratch 0
		.amdhsa_float_round_mode_32 0
		.amdhsa_float_round_mode_16_64 0
		.amdhsa_float_denorm_mode_32 3
		.amdhsa_float_denorm_mode_16_64 3
		.amdhsa_dx10_clamp 1
		.amdhsa_ieee_mode 1
		.amdhsa_fp16_overflow 0
		.amdhsa_workgroup_processor_mode 1
		.amdhsa_memory_ordered 1
		.amdhsa_forward_progress 1
		.amdhsa_shared_vgpr_count 0
		.amdhsa_exception_fp_ieee_invalid_op 0
		.amdhsa_exception_fp_denorm_src 0
		.amdhsa_exception_fp_ieee_div_zero 0
		.amdhsa_exception_fp_ieee_overflow 0
		.amdhsa_exception_fp_ieee_underflow 0
		.amdhsa_exception_fp_ieee_inexact 0
		.amdhsa_exception_int_div_zero 0
	.end_amdhsa_kernel
	.section	.text._ZN7rocprim17ROCPRIM_400000_NS6detail17trampoline_kernelINS0_14default_configENS1_20scan_config_selectorIN3c104HalfEEEZZNS1_9scan_implILNS1_25lookback_scan_determinismE0ELb0ELb0ES3_PKS6_PS6_S6_ZZZN2at6native31launch_logcumsumexp_cuda_kernelERKNSD_10TensorBaseESH_lENKUlvE_clEvENKUlvE3_clEvEUlS6_S6_E_S6_EEDaPvRmT3_T4_T5_mT6_P12ihipStream_tbENKUlT_T0_E_clISt17integral_constantIbLb1EESX_IbLb0EEEEDaST_SU_EUlST_E_NS1_11comp_targetILNS1_3genE8ELNS1_11target_archE1030ELNS1_3gpuE2ELNS1_3repE0EEENS1_30default_config_static_selectorELNS0_4arch9wavefront6targetE0EEEvT1_,"axG",@progbits,_ZN7rocprim17ROCPRIM_400000_NS6detail17trampoline_kernelINS0_14default_configENS1_20scan_config_selectorIN3c104HalfEEEZZNS1_9scan_implILNS1_25lookback_scan_determinismE0ELb0ELb0ES3_PKS6_PS6_S6_ZZZN2at6native31launch_logcumsumexp_cuda_kernelERKNSD_10TensorBaseESH_lENKUlvE_clEvENKUlvE3_clEvEUlS6_S6_E_S6_EEDaPvRmT3_T4_T5_mT6_P12ihipStream_tbENKUlT_T0_E_clISt17integral_constantIbLb1EESX_IbLb0EEEEDaST_SU_EUlST_E_NS1_11comp_targetILNS1_3genE8ELNS1_11target_archE1030ELNS1_3gpuE2ELNS1_3repE0EEENS1_30default_config_static_selectorELNS0_4arch9wavefront6targetE0EEEvT1_,comdat
.Lfunc_end405:
	.size	_ZN7rocprim17ROCPRIM_400000_NS6detail17trampoline_kernelINS0_14default_configENS1_20scan_config_selectorIN3c104HalfEEEZZNS1_9scan_implILNS1_25lookback_scan_determinismE0ELb0ELb0ES3_PKS6_PS6_S6_ZZZN2at6native31launch_logcumsumexp_cuda_kernelERKNSD_10TensorBaseESH_lENKUlvE_clEvENKUlvE3_clEvEUlS6_S6_E_S6_EEDaPvRmT3_T4_T5_mT6_P12ihipStream_tbENKUlT_T0_E_clISt17integral_constantIbLb1EESX_IbLb0EEEEDaST_SU_EUlST_E_NS1_11comp_targetILNS1_3genE8ELNS1_11target_archE1030ELNS1_3gpuE2ELNS1_3repE0EEENS1_30default_config_static_selectorELNS0_4arch9wavefront6targetE0EEEvT1_, .Lfunc_end405-_ZN7rocprim17ROCPRIM_400000_NS6detail17trampoline_kernelINS0_14default_configENS1_20scan_config_selectorIN3c104HalfEEEZZNS1_9scan_implILNS1_25lookback_scan_determinismE0ELb0ELb0ES3_PKS6_PS6_S6_ZZZN2at6native31launch_logcumsumexp_cuda_kernelERKNSD_10TensorBaseESH_lENKUlvE_clEvENKUlvE3_clEvEUlS6_S6_E_S6_EEDaPvRmT3_T4_T5_mT6_P12ihipStream_tbENKUlT_T0_E_clISt17integral_constantIbLb1EESX_IbLb0EEEEDaST_SU_EUlST_E_NS1_11comp_targetILNS1_3genE8ELNS1_11target_archE1030ELNS1_3gpuE2ELNS1_3repE0EEENS1_30default_config_static_selectorELNS0_4arch9wavefront6targetE0EEEvT1_
                                        ; -- End function
	.set _ZN7rocprim17ROCPRIM_400000_NS6detail17trampoline_kernelINS0_14default_configENS1_20scan_config_selectorIN3c104HalfEEEZZNS1_9scan_implILNS1_25lookback_scan_determinismE0ELb0ELb0ES3_PKS6_PS6_S6_ZZZN2at6native31launch_logcumsumexp_cuda_kernelERKNSD_10TensorBaseESH_lENKUlvE_clEvENKUlvE3_clEvEUlS6_S6_E_S6_EEDaPvRmT3_T4_T5_mT6_P12ihipStream_tbENKUlT_T0_E_clISt17integral_constantIbLb1EESX_IbLb0EEEEDaST_SU_EUlST_E_NS1_11comp_targetILNS1_3genE8ELNS1_11target_archE1030ELNS1_3gpuE2ELNS1_3repE0EEENS1_30default_config_static_selectorELNS0_4arch9wavefront6targetE0EEEvT1_.num_vgpr, 0
	.set _ZN7rocprim17ROCPRIM_400000_NS6detail17trampoline_kernelINS0_14default_configENS1_20scan_config_selectorIN3c104HalfEEEZZNS1_9scan_implILNS1_25lookback_scan_determinismE0ELb0ELb0ES3_PKS6_PS6_S6_ZZZN2at6native31launch_logcumsumexp_cuda_kernelERKNSD_10TensorBaseESH_lENKUlvE_clEvENKUlvE3_clEvEUlS6_S6_E_S6_EEDaPvRmT3_T4_T5_mT6_P12ihipStream_tbENKUlT_T0_E_clISt17integral_constantIbLb1EESX_IbLb0EEEEDaST_SU_EUlST_E_NS1_11comp_targetILNS1_3genE8ELNS1_11target_archE1030ELNS1_3gpuE2ELNS1_3repE0EEENS1_30default_config_static_selectorELNS0_4arch9wavefront6targetE0EEEvT1_.num_agpr, 0
	.set _ZN7rocprim17ROCPRIM_400000_NS6detail17trampoline_kernelINS0_14default_configENS1_20scan_config_selectorIN3c104HalfEEEZZNS1_9scan_implILNS1_25lookback_scan_determinismE0ELb0ELb0ES3_PKS6_PS6_S6_ZZZN2at6native31launch_logcumsumexp_cuda_kernelERKNSD_10TensorBaseESH_lENKUlvE_clEvENKUlvE3_clEvEUlS6_S6_E_S6_EEDaPvRmT3_T4_T5_mT6_P12ihipStream_tbENKUlT_T0_E_clISt17integral_constantIbLb1EESX_IbLb0EEEEDaST_SU_EUlST_E_NS1_11comp_targetILNS1_3genE8ELNS1_11target_archE1030ELNS1_3gpuE2ELNS1_3repE0EEENS1_30default_config_static_selectorELNS0_4arch9wavefront6targetE0EEEvT1_.numbered_sgpr, 0
	.set _ZN7rocprim17ROCPRIM_400000_NS6detail17trampoline_kernelINS0_14default_configENS1_20scan_config_selectorIN3c104HalfEEEZZNS1_9scan_implILNS1_25lookback_scan_determinismE0ELb0ELb0ES3_PKS6_PS6_S6_ZZZN2at6native31launch_logcumsumexp_cuda_kernelERKNSD_10TensorBaseESH_lENKUlvE_clEvENKUlvE3_clEvEUlS6_S6_E_S6_EEDaPvRmT3_T4_T5_mT6_P12ihipStream_tbENKUlT_T0_E_clISt17integral_constantIbLb1EESX_IbLb0EEEEDaST_SU_EUlST_E_NS1_11comp_targetILNS1_3genE8ELNS1_11target_archE1030ELNS1_3gpuE2ELNS1_3repE0EEENS1_30default_config_static_selectorELNS0_4arch9wavefront6targetE0EEEvT1_.num_named_barrier, 0
	.set _ZN7rocprim17ROCPRIM_400000_NS6detail17trampoline_kernelINS0_14default_configENS1_20scan_config_selectorIN3c104HalfEEEZZNS1_9scan_implILNS1_25lookback_scan_determinismE0ELb0ELb0ES3_PKS6_PS6_S6_ZZZN2at6native31launch_logcumsumexp_cuda_kernelERKNSD_10TensorBaseESH_lENKUlvE_clEvENKUlvE3_clEvEUlS6_S6_E_S6_EEDaPvRmT3_T4_T5_mT6_P12ihipStream_tbENKUlT_T0_E_clISt17integral_constantIbLb1EESX_IbLb0EEEEDaST_SU_EUlST_E_NS1_11comp_targetILNS1_3genE8ELNS1_11target_archE1030ELNS1_3gpuE2ELNS1_3repE0EEENS1_30default_config_static_selectorELNS0_4arch9wavefront6targetE0EEEvT1_.private_seg_size, 0
	.set _ZN7rocprim17ROCPRIM_400000_NS6detail17trampoline_kernelINS0_14default_configENS1_20scan_config_selectorIN3c104HalfEEEZZNS1_9scan_implILNS1_25lookback_scan_determinismE0ELb0ELb0ES3_PKS6_PS6_S6_ZZZN2at6native31launch_logcumsumexp_cuda_kernelERKNSD_10TensorBaseESH_lENKUlvE_clEvENKUlvE3_clEvEUlS6_S6_E_S6_EEDaPvRmT3_T4_T5_mT6_P12ihipStream_tbENKUlT_T0_E_clISt17integral_constantIbLb1EESX_IbLb0EEEEDaST_SU_EUlST_E_NS1_11comp_targetILNS1_3genE8ELNS1_11target_archE1030ELNS1_3gpuE2ELNS1_3repE0EEENS1_30default_config_static_selectorELNS0_4arch9wavefront6targetE0EEEvT1_.uses_vcc, 0
	.set _ZN7rocprim17ROCPRIM_400000_NS6detail17trampoline_kernelINS0_14default_configENS1_20scan_config_selectorIN3c104HalfEEEZZNS1_9scan_implILNS1_25lookback_scan_determinismE0ELb0ELb0ES3_PKS6_PS6_S6_ZZZN2at6native31launch_logcumsumexp_cuda_kernelERKNSD_10TensorBaseESH_lENKUlvE_clEvENKUlvE3_clEvEUlS6_S6_E_S6_EEDaPvRmT3_T4_T5_mT6_P12ihipStream_tbENKUlT_T0_E_clISt17integral_constantIbLb1EESX_IbLb0EEEEDaST_SU_EUlST_E_NS1_11comp_targetILNS1_3genE8ELNS1_11target_archE1030ELNS1_3gpuE2ELNS1_3repE0EEENS1_30default_config_static_selectorELNS0_4arch9wavefront6targetE0EEEvT1_.uses_flat_scratch, 0
	.set _ZN7rocprim17ROCPRIM_400000_NS6detail17trampoline_kernelINS0_14default_configENS1_20scan_config_selectorIN3c104HalfEEEZZNS1_9scan_implILNS1_25lookback_scan_determinismE0ELb0ELb0ES3_PKS6_PS6_S6_ZZZN2at6native31launch_logcumsumexp_cuda_kernelERKNSD_10TensorBaseESH_lENKUlvE_clEvENKUlvE3_clEvEUlS6_S6_E_S6_EEDaPvRmT3_T4_T5_mT6_P12ihipStream_tbENKUlT_T0_E_clISt17integral_constantIbLb1EESX_IbLb0EEEEDaST_SU_EUlST_E_NS1_11comp_targetILNS1_3genE8ELNS1_11target_archE1030ELNS1_3gpuE2ELNS1_3repE0EEENS1_30default_config_static_selectorELNS0_4arch9wavefront6targetE0EEEvT1_.has_dyn_sized_stack, 0
	.set _ZN7rocprim17ROCPRIM_400000_NS6detail17trampoline_kernelINS0_14default_configENS1_20scan_config_selectorIN3c104HalfEEEZZNS1_9scan_implILNS1_25lookback_scan_determinismE0ELb0ELb0ES3_PKS6_PS6_S6_ZZZN2at6native31launch_logcumsumexp_cuda_kernelERKNSD_10TensorBaseESH_lENKUlvE_clEvENKUlvE3_clEvEUlS6_S6_E_S6_EEDaPvRmT3_T4_T5_mT6_P12ihipStream_tbENKUlT_T0_E_clISt17integral_constantIbLb1EESX_IbLb0EEEEDaST_SU_EUlST_E_NS1_11comp_targetILNS1_3genE8ELNS1_11target_archE1030ELNS1_3gpuE2ELNS1_3repE0EEENS1_30default_config_static_selectorELNS0_4arch9wavefront6targetE0EEEvT1_.has_recursion, 0
	.set _ZN7rocprim17ROCPRIM_400000_NS6detail17trampoline_kernelINS0_14default_configENS1_20scan_config_selectorIN3c104HalfEEEZZNS1_9scan_implILNS1_25lookback_scan_determinismE0ELb0ELb0ES3_PKS6_PS6_S6_ZZZN2at6native31launch_logcumsumexp_cuda_kernelERKNSD_10TensorBaseESH_lENKUlvE_clEvENKUlvE3_clEvEUlS6_S6_E_S6_EEDaPvRmT3_T4_T5_mT6_P12ihipStream_tbENKUlT_T0_E_clISt17integral_constantIbLb1EESX_IbLb0EEEEDaST_SU_EUlST_E_NS1_11comp_targetILNS1_3genE8ELNS1_11target_archE1030ELNS1_3gpuE2ELNS1_3repE0EEENS1_30default_config_static_selectorELNS0_4arch9wavefront6targetE0EEEvT1_.has_indirect_call, 0
	.section	.AMDGPU.csdata,"",@progbits
; Kernel info:
; codeLenInByte = 4
; TotalNumSgprs: 0
; NumVgprs: 0
; ScratchSize: 0
; MemoryBound: 0
; FloatMode: 240
; IeeeMode: 1
; LDSByteSize: 0 bytes/workgroup (compile time only)
; SGPRBlocks: 0
; VGPRBlocks: 0
; NumSGPRsForWavesPerEU: 1
; NumVGPRsForWavesPerEU: 1
; Occupancy: 16
; WaveLimiterHint : 0
; COMPUTE_PGM_RSRC2:SCRATCH_EN: 0
; COMPUTE_PGM_RSRC2:USER_SGPR: 6
; COMPUTE_PGM_RSRC2:TRAP_HANDLER: 0
; COMPUTE_PGM_RSRC2:TGID_X_EN: 1
; COMPUTE_PGM_RSRC2:TGID_Y_EN: 0
; COMPUTE_PGM_RSRC2:TGID_Z_EN: 0
; COMPUTE_PGM_RSRC2:TIDIG_COMP_CNT: 0
	.section	.text._ZN7rocprim17ROCPRIM_400000_NS6detail17trampoline_kernelINS0_14default_configENS1_20scan_config_selectorIN3c104HalfEEEZZNS1_9scan_implILNS1_25lookback_scan_determinismE0ELb0ELb0ES3_PKS6_PS6_S6_ZZZN2at6native31launch_logcumsumexp_cuda_kernelERKNSD_10TensorBaseESH_lENKUlvE_clEvENKUlvE3_clEvEUlS6_S6_E_S6_EEDaPvRmT3_T4_T5_mT6_P12ihipStream_tbENKUlT_T0_E_clISt17integral_constantIbLb1EESX_IbLb0EEEEDaST_SU_EUlST_E0_NS1_11comp_targetILNS1_3genE0ELNS1_11target_archE4294967295ELNS1_3gpuE0ELNS1_3repE0EEENS1_30default_config_static_selectorELNS0_4arch9wavefront6targetE0EEEvT1_,"axG",@progbits,_ZN7rocprim17ROCPRIM_400000_NS6detail17trampoline_kernelINS0_14default_configENS1_20scan_config_selectorIN3c104HalfEEEZZNS1_9scan_implILNS1_25lookback_scan_determinismE0ELb0ELb0ES3_PKS6_PS6_S6_ZZZN2at6native31launch_logcumsumexp_cuda_kernelERKNSD_10TensorBaseESH_lENKUlvE_clEvENKUlvE3_clEvEUlS6_S6_E_S6_EEDaPvRmT3_T4_T5_mT6_P12ihipStream_tbENKUlT_T0_E_clISt17integral_constantIbLb1EESX_IbLb0EEEEDaST_SU_EUlST_E0_NS1_11comp_targetILNS1_3genE0ELNS1_11target_archE4294967295ELNS1_3gpuE0ELNS1_3repE0EEENS1_30default_config_static_selectorELNS0_4arch9wavefront6targetE0EEEvT1_,comdat
	.globl	_ZN7rocprim17ROCPRIM_400000_NS6detail17trampoline_kernelINS0_14default_configENS1_20scan_config_selectorIN3c104HalfEEEZZNS1_9scan_implILNS1_25lookback_scan_determinismE0ELb0ELb0ES3_PKS6_PS6_S6_ZZZN2at6native31launch_logcumsumexp_cuda_kernelERKNSD_10TensorBaseESH_lENKUlvE_clEvENKUlvE3_clEvEUlS6_S6_E_S6_EEDaPvRmT3_T4_T5_mT6_P12ihipStream_tbENKUlT_T0_E_clISt17integral_constantIbLb1EESX_IbLb0EEEEDaST_SU_EUlST_E0_NS1_11comp_targetILNS1_3genE0ELNS1_11target_archE4294967295ELNS1_3gpuE0ELNS1_3repE0EEENS1_30default_config_static_selectorELNS0_4arch9wavefront6targetE0EEEvT1_ ; -- Begin function _ZN7rocprim17ROCPRIM_400000_NS6detail17trampoline_kernelINS0_14default_configENS1_20scan_config_selectorIN3c104HalfEEEZZNS1_9scan_implILNS1_25lookback_scan_determinismE0ELb0ELb0ES3_PKS6_PS6_S6_ZZZN2at6native31launch_logcumsumexp_cuda_kernelERKNSD_10TensorBaseESH_lENKUlvE_clEvENKUlvE3_clEvEUlS6_S6_E_S6_EEDaPvRmT3_T4_T5_mT6_P12ihipStream_tbENKUlT_T0_E_clISt17integral_constantIbLb1EESX_IbLb0EEEEDaST_SU_EUlST_E0_NS1_11comp_targetILNS1_3genE0ELNS1_11target_archE4294967295ELNS1_3gpuE0ELNS1_3repE0EEENS1_30default_config_static_selectorELNS0_4arch9wavefront6targetE0EEEvT1_
	.p2align	8
	.type	_ZN7rocprim17ROCPRIM_400000_NS6detail17trampoline_kernelINS0_14default_configENS1_20scan_config_selectorIN3c104HalfEEEZZNS1_9scan_implILNS1_25lookback_scan_determinismE0ELb0ELb0ES3_PKS6_PS6_S6_ZZZN2at6native31launch_logcumsumexp_cuda_kernelERKNSD_10TensorBaseESH_lENKUlvE_clEvENKUlvE3_clEvEUlS6_S6_E_S6_EEDaPvRmT3_T4_T5_mT6_P12ihipStream_tbENKUlT_T0_E_clISt17integral_constantIbLb1EESX_IbLb0EEEEDaST_SU_EUlST_E0_NS1_11comp_targetILNS1_3genE0ELNS1_11target_archE4294967295ELNS1_3gpuE0ELNS1_3repE0EEENS1_30default_config_static_selectorELNS0_4arch9wavefront6targetE0EEEvT1_,@function
_ZN7rocprim17ROCPRIM_400000_NS6detail17trampoline_kernelINS0_14default_configENS1_20scan_config_selectorIN3c104HalfEEEZZNS1_9scan_implILNS1_25lookback_scan_determinismE0ELb0ELb0ES3_PKS6_PS6_S6_ZZZN2at6native31launch_logcumsumexp_cuda_kernelERKNSD_10TensorBaseESH_lENKUlvE_clEvENKUlvE3_clEvEUlS6_S6_E_S6_EEDaPvRmT3_T4_T5_mT6_P12ihipStream_tbENKUlT_T0_E_clISt17integral_constantIbLb1EESX_IbLb0EEEEDaST_SU_EUlST_E0_NS1_11comp_targetILNS1_3genE0ELNS1_11target_archE4294967295ELNS1_3gpuE0ELNS1_3repE0EEENS1_30default_config_static_selectorELNS0_4arch9wavefront6targetE0EEEvT1_: ; @_ZN7rocprim17ROCPRIM_400000_NS6detail17trampoline_kernelINS0_14default_configENS1_20scan_config_selectorIN3c104HalfEEEZZNS1_9scan_implILNS1_25lookback_scan_determinismE0ELb0ELb0ES3_PKS6_PS6_S6_ZZZN2at6native31launch_logcumsumexp_cuda_kernelERKNSD_10TensorBaseESH_lENKUlvE_clEvENKUlvE3_clEvEUlS6_S6_E_S6_EEDaPvRmT3_T4_T5_mT6_P12ihipStream_tbENKUlT_T0_E_clISt17integral_constantIbLb1EESX_IbLb0EEEEDaST_SU_EUlST_E0_NS1_11comp_targetILNS1_3genE0ELNS1_11target_archE4294967295ELNS1_3gpuE0ELNS1_3repE0EEENS1_30default_config_static_selectorELNS0_4arch9wavefront6targetE0EEEvT1_
; %bb.0:
	.section	.rodata,"a",@progbits
	.p2align	6, 0x0
	.amdhsa_kernel _ZN7rocprim17ROCPRIM_400000_NS6detail17trampoline_kernelINS0_14default_configENS1_20scan_config_selectorIN3c104HalfEEEZZNS1_9scan_implILNS1_25lookback_scan_determinismE0ELb0ELb0ES3_PKS6_PS6_S6_ZZZN2at6native31launch_logcumsumexp_cuda_kernelERKNSD_10TensorBaseESH_lENKUlvE_clEvENKUlvE3_clEvEUlS6_S6_E_S6_EEDaPvRmT3_T4_T5_mT6_P12ihipStream_tbENKUlT_T0_E_clISt17integral_constantIbLb1EESX_IbLb0EEEEDaST_SU_EUlST_E0_NS1_11comp_targetILNS1_3genE0ELNS1_11target_archE4294967295ELNS1_3gpuE0ELNS1_3repE0EEENS1_30default_config_static_selectorELNS0_4arch9wavefront6targetE0EEEvT1_
		.amdhsa_group_segment_fixed_size 0
		.amdhsa_private_segment_fixed_size 0
		.amdhsa_kernarg_size 32
		.amdhsa_user_sgpr_count 6
		.amdhsa_user_sgpr_private_segment_buffer 1
		.amdhsa_user_sgpr_dispatch_ptr 0
		.amdhsa_user_sgpr_queue_ptr 0
		.amdhsa_user_sgpr_kernarg_segment_ptr 1
		.amdhsa_user_sgpr_dispatch_id 0
		.amdhsa_user_sgpr_flat_scratch_init 0
		.amdhsa_user_sgpr_private_segment_size 0
		.amdhsa_wavefront_size32 1
		.amdhsa_uses_dynamic_stack 0
		.amdhsa_system_sgpr_private_segment_wavefront_offset 0
		.amdhsa_system_sgpr_workgroup_id_x 1
		.amdhsa_system_sgpr_workgroup_id_y 0
		.amdhsa_system_sgpr_workgroup_id_z 0
		.amdhsa_system_sgpr_workgroup_info 0
		.amdhsa_system_vgpr_workitem_id 0
		.amdhsa_next_free_vgpr 1
		.amdhsa_next_free_sgpr 1
		.amdhsa_reserve_vcc 0
		.amdhsa_reserve_flat_scratch 0
		.amdhsa_float_round_mode_32 0
		.amdhsa_float_round_mode_16_64 0
		.amdhsa_float_denorm_mode_32 3
		.amdhsa_float_denorm_mode_16_64 3
		.amdhsa_dx10_clamp 1
		.amdhsa_ieee_mode 1
		.amdhsa_fp16_overflow 0
		.amdhsa_workgroup_processor_mode 1
		.amdhsa_memory_ordered 1
		.amdhsa_forward_progress 1
		.amdhsa_shared_vgpr_count 0
		.amdhsa_exception_fp_ieee_invalid_op 0
		.amdhsa_exception_fp_denorm_src 0
		.amdhsa_exception_fp_ieee_div_zero 0
		.amdhsa_exception_fp_ieee_overflow 0
		.amdhsa_exception_fp_ieee_underflow 0
		.amdhsa_exception_fp_ieee_inexact 0
		.amdhsa_exception_int_div_zero 0
	.end_amdhsa_kernel
	.section	.text._ZN7rocprim17ROCPRIM_400000_NS6detail17trampoline_kernelINS0_14default_configENS1_20scan_config_selectorIN3c104HalfEEEZZNS1_9scan_implILNS1_25lookback_scan_determinismE0ELb0ELb0ES3_PKS6_PS6_S6_ZZZN2at6native31launch_logcumsumexp_cuda_kernelERKNSD_10TensorBaseESH_lENKUlvE_clEvENKUlvE3_clEvEUlS6_S6_E_S6_EEDaPvRmT3_T4_T5_mT6_P12ihipStream_tbENKUlT_T0_E_clISt17integral_constantIbLb1EESX_IbLb0EEEEDaST_SU_EUlST_E0_NS1_11comp_targetILNS1_3genE0ELNS1_11target_archE4294967295ELNS1_3gpuE0ELNS1_3repE0EEENS1_30default_config_static_selectorELNS0_4arch9wavefront6targetE0EEEvT1_,"axG",@progbits,_ZN7rocprim17ROCPRIM_400000_NS6detail17trampoline_kernelINS0_14default_configENS1_20scan_config_selectorIN3c104HalfEEEZZNS1_9scan_implILNS1_25lookback_scan_determinismE0ELb0ELb0ES3_PKS6_PS6_S6_ZZZN2at6native31launch_logcumsumexp_cuda_kernelERKNSD_10TensorBaseESH_lENKUlvE_clEvENKUlvE3_clEvEUlS6_S6_E_S6_EEDaPvRmT3_T4_T5_mT6_P12ihipStream_tbENKUlT_T0_E_clISt17integral_constantIbLb1EESX_IbLb0EEEEDaST_SU_EUlST_E0_NS1_11comp_targetILNS1_3genE0ELNS1_11target_archE4294967295ELNS1_3gpuE0ELNS1_3repE0EEENS1_30default_config_static_selectorELNS0_4arch9wavefront6targetE0EEEvT1_,comdat
.Lfunc_end406:
	.size	_ZN7rocprim17ROCPRIM_400000_NS6detail17trampoline_kernelINS0_14default_configENS1_20scan_config_selectorIN3c104HalfEEEZZNS1_9scan_implILNS1_25lookback_scan_determinismE0ELb0ELb0ES3_PKS6_PS6_S6_ZZZN2at6native31launch_logcumsumexp_cuda_kernelERKNSD_10TensorBaseESH_lENKUlvE_clEvENKUlvE3_clEvEUlS6_S6_E_S6_EEDaPvRmT3_T4_T5_mT6_P12ihipStream_tbENKUlT_T0_E_clISt17integral_constantIbLb1EESX_IbLb0EEEEDaST_SU_EUlST_E0_NS1_11comp_targetILNS1_3genE0ELNS1_11target_archE4294967295ELNS1_3gpuE0ELNS1_3repE0EEENS1_30default_config_static_selectorELNS0_4arch9wavefront6targetE0EEEvT1_, .Lfunc_end406-_ZN7rocprim17ROCPRIM_400000_NS6detail17trampoline_kernelINS0_14default_configENS1_20scan_config_selectorIN3c104HalfEEEZZNS1_9scan_implILNS1_25lookback_scan_determinismE0ELb0ELb0ES3_PKS6_PS6_S6_ZZZN2at6native31launch_logcumsumexp_cuda_kernelERKNSD_10TensorBaseESH_lENKUlvE_clEvENKUlvE3_clEvEUlS6_S6_E_S6_EEDaPvRmT3_T4_T5_mT6_P12ihipStream_tbENKUlT_T0_E_clISt17integral_constantIbLb1EESX_IbLb0EEEEDaST_SU_EUlST_E0_NS1_11comp_targetILNS1_3genE0ELNS1_11target_archE4294967295ELNS1_3gpuE0ELNS1_3repE0EEENS1_30default_config_static_selectorELNS0_4arch9wavefront6targetE0EEEvT1_
                                        ; -- End function
	.set _ZN7rocprim17ROCPRIM_400000_NS6detail17trampoline_kernelINS0_14default_configENS1_20scan_config_selectorIN3c104HalfEEEZZNS1_9scan_implILNS1_25lookback_scan_determinismE0ELb0ELb0ES3_PKS6_PS6_S6_ZZZN2at6native31launch_logcumsumexp_cuda_kernelERKNSD_10TensorBaseESH_lENKUlvE_clEvENKUlvE3_clEvEUlS6_S6_E_S6_EEDaPvRmT3_T4_T5_mT6_P12ihipStream_tbENKUlT_T0_E_clISt17integral_constantIbLb1EESX_IbLb0EEEEDaST_SU_EUlST_E0_NS1_11comp_targetILNS1_3genE0ELNS1_11target_archE4294967295ELNS1_3gpuE0ELNS1_3repE0EEENS1_30default_config_static_selectorELNS0_4arch9wavefront6targetE0EEEvT1_.num_vgpr, 0
	.set _ZN7rocprim17ROCPRIM_400000_NS6detail17trampoline_kernelINS0_14default_configENS1_20scan_config_selectorIN3c104HalfEEEZZNS1_9scan_implILNS1_25lookback_scan_determinismE0ELb0ELb0ES3_PKS6_PS6_S6_ZZZN2at6native31launch_logcumsumexp_cuda_kernelERKNSD_10TensorBaseESH_lENKUlvE_clEvENKUlvE3_clEvEUlS6_S6_E_S6_EEDaPvRmT3_T4_T5_mT6_P12ihipStream_tbENKUlT_T0_E_clISt17integral_constantIbLb1EESX_IbLb0EEEEDaST_SU_EUlST_E0_NS1_11comp_targetILNS1_3genE0ELNS1_11target_archE4294967295ELNS1_3gpuE0ELNS1_3repE0EEENS1_30default_config_static_selectorELNS0_4arch9wavefront6targetE0EEEvT1_.num_agpr, 0
	.set _ZN7rocprim17ROCPRIM_400000_NS6detail17trampoline_kernelINS0_14default_configENS1_20scan_config_selectorIN3c104HalfEEEZZNS1_9scan_implILNS1_25lookback_scan_determinismE0ELb0ELb0ES3_PKS6_PS6_S6_ZZZN2at6native31launch_logcumsumexp_cuda_kernelERKNSD_10TensorBaseESH_lENKUlvE_clEvENKUlvE3_clEvEUlS6_S6_E_S6_EEDaPvRmT3_T4_T5_mT6_P12ihipStream_tbENKUlT_T0_E_clISt17integral_constantIbLb1EESX_IbLb0EEEEDaST_SU_EUlST_E0_NS1_11comp_targetILNS1_3genE0ELNS1_11target_archE4294967295ELNS1_3gpuE0ELNS1_3repE0EEENS1_30default_config_static_selectorELNS0_4arch9wavefront6targetE0EEEvT1_.numbered_sgpr, 0
	.set _ZN7rocprim17ROCPRIM_400000_NS6detail17trampoline_kernelINS0_14default_configENS1_20scan_config_selectorIN3c104HalfEEEZZNS1_9scan_implILNS1_25lookback_scan_determinismE0ELb0ELb0ES3_PKS6_PS6_S6_ZZZN2at6native31launch_logcumsumexp_cuda_kernelERKNSD_10TensorBaseESH_lENKUlvE_clEvENKUlvE3_clEvEUlS6_S6_E_S6_EEDaPvRmT3_T4_T5_mT6_P12ihipStream_tbENKUlT_T0_E_clISt17integral_constantIbLb1EESX_IbLb0EEEEDaST_SU_EUlST_E0_NS1_11comp_targetILNS1_3genE0ELNS1_11target_archE4294967295ELNS1_3gpuE0ELNS1_3repE0EEENS1_30default_config_static_selectorELNS0_4arch9wavefront6targetE0EEEvT1_.num_named_barrier, 0
	.set _ZN7rocprim17ROCPRIM_400000_NS6detail17trampoline_kernelINS0_14default_configENS1_20scan_config_selectorIN3c104HalfEEEZZNS1_9scan_implILNS1_25lookback_scan_determinismE0ELb0ELb0ES3_PKS6_PS6_S6_ZZZN2at6native31launch_logcumsumexp_cuda_kernelERKNSD_10TensorBaseESH_lENKUlvE_clEvENKUlvE3_clEvEUlS6_S6_E_S6_EEDaPvRmT3_T4_T5_mT6_P12ihipStream_tbENKUlT_T0_E_clISt17integral_constantIbLb1EESX_IbLb0EEEEDaST_SU_EUlST_E0_NS1_11comp_targetILNS1_3genE0ELNS1_11target_archE4294967295ELNS1_3gpuE0ELNS1_3repE0EEENS1_30default_config_static_selectorELNS0_4arch9wavefront6targetE0EEEvT1_.private_seg_size, 0
	.set _ZN7rocprim17ROCPRIM_400000_NS6detail17trampoline_kernelINS0_14default_configENS1_20scan_config_selectorIN3c104HalfEEEZZNS1_9scan_implILNS1_25lookback_scan_determinismE0ELb0ELb0ES3_PKS6_PS6_S6_ZZZN2at6native31launch_logcumsumexp_cuda_kernelERKNSD_10TensorBaseESH_lENKUlvE_clEvENKUlvE3_clEvEUlS6_S6_E_S6_EEDaPvRmT3_T4_T5_mT6_P12ihipStream_tbENKUlT_T0_E_clISt17integral_constantIbLb1EESX_IbLb0EEEEDaST_SU_EUlST_E0_NS1_11comp_targetILNS1_3genE0ELNS1_11target_archE4294967295ELNS1_3gpuE0ELNS1_3repE0EEENS1_30default_config_static_selectorELNS0_4arch9wavefront6targetE0EEEvT1_.uses_vcc, 0
	.set _ZN7rocprim17ROCPRIM_400000_NS6detail17trampoline_kernelINS0_14default_configENS1_20scan_config_selectorIN3c104HalfEEEZZNS1_9scan_implILNS1_25lookback_scan_determinismE0ELb0ELb0ES3_PKS6_PS6_S6_ZZZN2at6native31launch_logcumsumexp_cuda_kernelERKNSD_10TensorBaseESH_lENKUlvE_clEvENKUlvE3_clEvEUlS6_S6_E_S6_EEDaPvRmT3_T4_T5_mT6_P12ihipStream_tbENKUlT_T0_E_clISt17integral_constantIbLb1EESX_IbLb0EEEEDaST_SU_EUlST_E0_NS1_11comp_targetILNS1_3genE0ELNS1_11target_archE4294967295ELNS1_3gpuE0ELNS1_3repE0EEENS1_30default_config_static_selectorELNS0_4arch9wavefront6targetE0EEEvT1_.uses_flat_scratch, 0
	.set _ZN7rocprim17ROCPRIM_400000_NS6detail17trampoline_kernelINS0_14default_configENS1_20scan_config_selectorIN3c104HalfEEEZZNS1_9scan_implILNS1_25lookback_scan_determinismE0ELb0ELb0ES3_PKS6_PS6_S6_ZZZN2at6native31launch_logcumsumexp_cuda_kernelERKNSD_10TensorBaseESH_lENKUlvE_clEvENKUlvE3_clEvEUlS6_S6_E_S6_EEDaPvRmT3_T4_T5_mT6_P12ihipStream_tbENKUlT_T0_E_clISt17integral_constantIbLb1EESX_IbLb0EEEEDaST_SU_EUlST_E0_NS1_11comp_targetILNS1_3genE0ELNS1_11target_archE4294967295ELNS1_3gpuE0ELNS1_3repE0EEENS1_30default_config_static_selectorELNS0_4arch9wavefront6targetE0EEEvT1_.has_dyn_sized_stack, 0
	.set _ZN7rocprim17ROCPRIM_400000_NS6detail17trampoline_kernelINS0_14default_configENS1_20scan_config_selectorIN3c104HalfEEEZZNS1_9scan_implILNS1_25lookback_scan_determinismE0ELb0ELb0ES3_PKS6_PS6_S6_ZZZN2at6native31launch_logcumsumexp_cuda_kernelERKNSD_10TensorBaseESH_lENKUlvE_clEvENKUlvE3_clEvEUlS6_S6_E_S6_EEDaPvRmT3_T4_T5_mT6_P12ihipStream_tbENKUlT_T0_E_clISt17integral_constantIbLb1EESX_IbLb0EEEEDaST_SU_EUlST_E0_NS1_11comp_targetILNS1_3genE0ELNS1_11target_archE4294967295ELNS1_3gpuE0ELNS1_3repE0EEENS1_30default_config_static_selectorELNS0_4arch9wavefront6targetE0EEEvT1_.has_recursion, 0
	.set _ZN7rocprim17ROCPRIM_400000_NS6detail17trampoline_kernelINS0_14default_configENS1_20scan_config_selectorIN3c104HalfEEEZZNS1_9scan_implILNS1_25lookback_scan_determinismE0ELb0ELb0ES3_PKS6_PS6_S6_ZZZN2at6native31launch_logcumsumexp_cuda_kernelERKNSD_10TensorBaseESH_lENKUlvE_clEvENKUlvE3_clEvEUlS6_S6_E_S6_EEDaPvRmT3_T4_T5_mT6_P12ihipStream_tbENKUlT_T0_E_clISt17integral_constantIbLb1EESX_IbLb0EEEEDaST_SU_EUlST_E0_NS1_11comp_targetILNS1_3genE0ELNS1_11target_archE4294967295ELNS1_3gpuE0ELNS1_3repE0EEENS1_30default_config_static_selectorELNS0_4arch9wavefront6targetE0EEEvT1_.has_indirect_call, 0
	.section	.AMDGPU.csdata,"",@progbits
; Kernel info:
; codeLenInByte = 0
; TotalNumSgprs: 0
; NumVgprs: 0
; ScratchSize: 0
; MemoryBound: 0
; FloatMode: 240
; IeeeMode: 1
; LDSByteSize: 0 bytes/workgroup (compile time only)
; SGPRBlocks: 0
; VGPRBlocks: 0
; NumSGPRsForWavesPerEU: 1
; NumVGPRsForWavesPerEU: 1
; Occupancy: 16
; WaveLimiterHint : 0
; COMPUTE_PGM_RSRC2:SCRATCH_EN: 0
; COMPUTE_PGM_RSRC2:USER_SGPR: 6
; COMPUTE_PGM_RSRC2:TRAP_HANDLER: 0
; COMPUTE_PGM_RSRC2:TGID_X_EN: 1
; COMPUTE_PGM_RSRC2:TGID_Y_EN: 0
; COMPUTE_PGM_RSRC2:TGID_Z_EN: 0
; COMPUTE_PGM_RSRC2:TIDIG_COMP_CNT: 0
	.section	.text._ZN7rocprim17ROCPRIM_400000_NS6detail17trampoline_kernelINS0_14default_configENS1_20scan_config_selectorIN3c104HalfEEEZZNS1_9scan_implILNS1_25lookback_scan_determinismE0ELb0ELb0ES3_PKS6_PS6_S6_ZZZN2at6native31launch_logcumsumexp_cuda_kernelERKNSD_10TensorBaseESH_lENKUlvE_clEvENKUlvE3_clEvEUlS6_S6_E_S6_EEDaPvRmT3_T4_T5_mT6_P12ihipStream_tbENKUlT_T0_E_clISt17integral_constantIbLb1EESX_IbLb0EEEEDaST_SU_EUlST_E0_NS1_11comp_targetILNS1_3genE5ELNS1_11target_archE942ELNS1_3gpuE9ELNS1_3repE0EEENS1_30default_config_static_selectorELNS0_4arch9wavefront6targetE0EEEvT1_,"axG",@progbits,_ZN7rocprim17ROCPRIM_400000_NS6detail17trampoline_kernelINS0_14default_configENS1_20scan_config_selectorIN3c104HalfEEEZZNS1_9scan_implILNS1_25lookback_scan_determinismE0ELb0ELb0ES3_PKS6_PS6_S6_ZZZN2at6native31launch_logcumsumexp_cuda_kernelERKNSD_10TensorBaseESH_lENKUlvE_clEvENKUlvE3_clEvEUlS6_S6_E_S6_EEDaPvRmT3_T4_T5_mT6_P12ihipStream_tbENKUlT_T0_E_clISt17integral_constantIbLb1EESX_IbLb0EEEEDaST_SU_EUlST_E0_NS1_11comp_targetILNS1_3genE5ELNS1_11target_archE942ELNS1_3gpuE9ELNS1_3repE0EEENS1_30default_config_static_selectorELNS0_4arch9wavefront6targetE0EEEvT1_,comdat
	.globl	_ZN7rocprim17ROCPRIM_400000_NS6detail17trampoline_kernelINS0_14default_configENS1_20scan_config_selectorIN3c104HalfEEEZZNS1_9scan_implILNS1_25lookback_scan_determinismE0ELb0ELb0ES3_PKS6_PS6_S6_ZZZN2at6native31launch_logcumsumexp_cuda_kernelERKNSD_10TensorBaseESH_lENKUlvE_clEvENKUlvE3_clEvEUlS6_S6_E_S6_EEDaPvRmT3_T4_T5_mT6_P12ihipStream_tbENKUlT_T0_E_clISt17integral_constantIbLb1EESX_IbLb0EEEEDaST_SU_EUlST_E0_NS1_11comp_targetILNS1_3genE5ELNS1_11target_archE942ELNS1_3gpuE9ELNS1_3repE0EEENS1_30default_config_static_selectorELNS0_4arch9wavefront6targetE0EEEvT1_ ; -- Begin function _ZN7rocprim17ROCPRIM_400000_NS6detail17trampoline_kernelINS0_14default_configENS1_20scan_config_selectorIN3c104HalfEEEZZNS1_9scan_implILNS1_25lookback_scan_determinismE0ELb0ELb0ES3_PKS6_PS6_S6_ZZZN2at6native31launch_logcumsumexp_cuda_kernelERKNSD_10TensorBaseESH_lENKUlvE_clEvENKUlvE3_clEvEUlS6_S6_E_S6_EEDaPvRmT3_T4_T5_mT6_P12ihipStream_tbENKUlT_T0_E_clISt17integral_constantIbLb1EESX_IbLb0EEEEDaST_SU_EUlST_E0_NS1_11comp_targetILNS1_3genE5ELNS1_11target_archE942ELNS1_3gpuE9ELNS1_3repE0EEENS1_30default_config_static_selectorELNS0_4arch9wavefront6targetE0EEEvT1_
	.p2align	8
	.type	_ZN7rocprim17ROCPRIM_400000_NS6detail17trampoline_kernelINS0_14default_configENS1_20scan_config_selectorIN3c104HalfEEEZZNS1_9scan_implILNS1_25lookback_scan_determinismE0ELb0ELb0ES3_PKS6_PS6_S6_ZZZN2at6native31launch_logcumsumexp_cuda_kernelERKNSD_10TensorBaseESH_lENKUlvE_clEvENKUlvE3_clEvEUlS6_S6_E_S6_EEDaPvRmT3_T4_T5_mT6_P12ihipStream_tbENKUlT_T0_E_clISt17integral_constantIbLb1EESX_IbLb0EEEEDaST_SU_EUlST_E0_NS1_11comp_targetILNS1_3genE5ELNS1_11target_archE942ELNS1_3gpuE9ELNS1_3repE0EEENS1_30default_config_static_selectorELNS0_4arch9wavefront6targetE0EEEvT1_,@function
_ZN7rocprim17ROCPRIM_400000_NS6detail17trampoline_kernelINS0_14default_configENS1_20scan_config_selectorIN3c104HalfEEEZZNS1_9scan_implILNS1_25lookback_scan_determinismE0ELb0ELb0ES3_PKS6_PS6_S6_ZZZN2at6native31launch_logcumsumexp_cuda_kernelERKNSD_10TensorBaseESH_lENKUlvE_clEvENKUlvE3_clEvEUlS6_S6_E_S6_EEDaPvRmT3_T4_T5_mT6_P12ihipStream_tbENKUlT_T0_E_clISt17integral_constantIbLb1EESX_IbLb0EEEEDaST_SU_EUlST_E0_NS1_11comp_targetILNS1_3genE5ELNS1_11target_archE942ELNS1_3gpuE9ELNS1_3repE0EEENS1_30default_config_static_selectorELNS0_4arch9wavefront6targetE0EEEvT1_: ; @_ZN7rocprim17ROCPRIM_400000_NS6detail17trampoline_kernelINS0_14default_configENS1_20scan_config_selectorIN3c104HalfEEEZZNS1_9scan_implILNS1_25lookback_scan_determinismE0ELb0ELb0ES3_PKS6_PS6_S6_ZZZN2at6native31launch_logcumsumexp_cuda_kernelERKNSD_10TensorBaseESH_lENKUlvE_clEvENKUlvE3_clEvEUlS6_S6_E_S6_EEDaPvRmT3_T4_T5_mT6_P12ihipStream_tbENKUlT_T0_E_clISt17integral_constantIbLb1EESX_IbLb0EEEEDaST_SU_EUlST_E0_NS1_11comp_targetILNS1_3genE5ELNS1_11target_archE942ELNS1_3gpuE9ELNS1_3repE0EEENS1_30default_config_static_selectorELNS0_4arch9wavefront6targetE0EEEvT1_
; %bb.0:
	.section	.rodata,"a",@progbits
	.p2align	6, 0x0
	.amdhsa_kernel _ZN7rocprim17ROCPRIM_400000_NS6detail17trampoline_kernelINS0_14default_configENS1_20scan_config_selectorIN3c104HalfEEEZZNS1_9scan_implILNS1_25lookback_scan_determinismE0ELb0ELb0ES3_PKS6_PS6_S6_ZZZN2at6native31launch_logcumsumexp_cuda_kernelERKNSD_10TensorBaseESH_lENKUlvE_clEvENKUlvE3_clEvEUlS6_S6_E_S6_EEDaPvRmT3_T4_T5_mT6_P12ihipStream_tbENKUlT_T0_E_clISt17integral_constantIbLb1EESX_IbLb0EEEEDaST_SU_EUlST_E0_NS1_11comp_targetILNS1_3genE5ELNS1_11target_archE942ELNS1_3gpuE9ELNS1_3repE0EEENS1_30default_config_static_selectorELNS0_4arch9wavefront6targetE0EEEvT1_
		.amdhsa_group_segment_fixed_size 0
		.amdhsa_private_segment_fixed_size 0
		.amdhsa_kernarg_size 32
		.amdhsa_user_sgpr_count 6
		.amdhsa_user_sgpr_private_segment_buffer 1
		.amdhsa_user_sgpr_dispatch_ptr 0
		.amdhsa_user_sgpr_queue_ptr 0
		.amdhsa_user_sgpr_kernarg_segment_ptr 1
		.amdhsa_user_sgpr_dispatch_id 0
		.amdhsa_user_sgpr_flat_scratch_init 0
		.amdhsa_user_sgpr_private_segment_size 0
		.amdhsa_wavefront_size32 1
		.amdhsa_uses_dynamic_stack 0
		.amdhsa_system_sgpr_private_segment_wavefront_offset 0
		.amdhsa_system_sgpr_workgroup_id_x 1
		.amdhsa_system_sgpr_workgroup_id_y 0
		.amdhsa_system_sgpr_workgroup_id_z 0
		.amdhsa_system_sgpr_workgroup_info 0
		.amdhsa_system_vgpr_workitem_id 0
		.amdhsa_next_free_vgpr 1
		.amdhsa_next_free_sgpr 1
		.amdhsa_reserve_vcc 0
		.amdhsa_reserve_flat_scratch 0
		.amdhsa_float_round_mode_32 0
		.amdhsa_float_round_mode_16_64 0
		.amdhsa_float_denorm_mode_32 3
		.amdhsa_float_denorm_mode_16_64 3
		.amdhsa_dx10_clamp 1
		.amdhsa_ieee_mode 1
		.amdhsa_fp16_overflow 0
		.amdhsa_workgroup_processor_mode 1
		.amdhsa_memory_ordered 1
		.amdhsa_forward_progress 1
		.amdhsa_shared_vgpr_count 0
		.amdhsa_exception_fp_ieee_invalid_op 0
		.amdhsa_exception_fp_denorm_src 0
		.amdhsa_exception_fp_ieee_div_zero 0
		.amdhsa_exception_fp_ieee_overflow 0
		.amdhsa_exception_fp_ieee_underflow 0
		.amdhsa_exception_fp_ieee_inexact 0
		.amdhsa_exception_int_div_zero 0
	.end_amdhsa_kernel
	.section	.text._ZN7rocprim17ROCPRIM_400000_NS6detail17trampoline_kernelINS0_14default_configENS1_20scan_config_selectorIN3c104HalfEEEZZNS1_9scan_implILNS1_25lookback_scan_determinismE0ELb0ELb0ES3_PKS6_PS6_S6_ZZZN2at6native31launch_logcumsumexp_cuda_kernelERKNSD_10TensorBaseESH_lENKUlvE_clEvENKUlvE3_clEvEUlS6_S6_E_S6_EEDaPvRmT3_T4_T5_mT6_P12ihipStream_tbENKUlT_T0_E_clISt17integral_constantIbLb1EESX_IbLb0EEEEDaST_SU_EUlST_E0_NS1_11comp_targetILNS1_3genE5ELNS1_11target_archE942ELNS1_3gpuE9ELNS1_3repE0EEENS1_30default_config_static_selectorELNS0_4arch9wavefront6targetE0EEEvT1_,"axG",@progbits,_ZN7rocprim17ROCPRIM_400000_NS6detail17trampoline_kernelINS0_14default_configENS1_20scan_config_selectorIN3c104HalfEEEZZNS1_9scan_implILNS1_25lookback_scan_determinismE0ELb0ELb0ES3_PKS6_PS6_S6_ZZZN2at6native31launch_logcumsumexp_cuda_kernelERKNSD_10TensorBaseESH_lENKUlvE_clEvENKUlvE3_clEvEUlS6_S6_E_S6_EEDaPvRmT3_T4_T5_mT6_P12ihipStream_tbENKUlT_T0_E_clISt17integral_constantIbLb1EESX_IbLb0EEEEDaST_SU_EUlST_E0_NS1_11comp_targetILNS1_3genE5ELNS1_11target_archE942ELNS1_3gpuE9ELNS1_3repE0EEENS1_30default_config_static_selectorELNS0_4arch9wavefront6targetE0EEEvT1_,comdat
.Lfunc_end407:
	.size	_ZN7rocprim17ROCPRIM_400000_NS6detail17trampoline_kernelINS0_14default_configENS1_20scan_config_selectorIN3c104HalfEEEZZNS1_9scan_implILNS1_25lookback_scan_determinismE0ELb0ELb0ES3_PKS6_PS6_S6_ZZZN2at6native31launch_logcumsumexp_cuda_kernelERKNSD_10TensorBaseESH_lENKUlvE_clEvENKUlvE3_clEvEUlS6_S6_E_S6_EEDaPvRmT3_T4_T5_mT6_P12ihipStream_tbENKUlT_T0_E_clISt17integral_constantIbLb1EESX_IbLb0EEEEDaST_SU_EUlST_E0_NS1_11comp_targetILNS1_3genE5ELNS1_11target_archE942ELNS1_3gpuE9ELNS1_3repE0EEENS1_30default_config_static_selectorELNS0_4arch9wavefront6targetE0EEEvT1_, .Lfunc_end407-_ZN7rocprim17ROCPRIM_400000_NS6detail17trampoline_kernelINS0_14default_configENS1_20scan_config_selectorIN3c104HalfEEEZZNS1_9scan_implILNS1_25lookback_scan_determinismE0ELb0ELb0ES3_PKS6_PS6_S6_ZZZN2at6native31launch_logcumsumexp_cuda_kernelERKNSD_10TensorBaseESH_lENKUlvE_clEvENKUlvE3_clEvEUlS6_S6_E_S6_EEDaPvRmT3_T4_T5_mT6_P12ihipStream_tbENKUlT_T0_E_clISt17integral_constantIbLb1EESX_IbLb0EEEEDaST_SU_EUlST_E0_NS1_11comp_targetILNS1_3genE5ELNS1_11target_archE942ELNS1_3gpuE9ELNS1_3repE0EEENS1_30default_config_static_selectorELNS0_4arch9wavefront6targetE0EEEvT1_
                                        ; -- End function
	.set _ZN7rocprim17ROCPRIM_400000_NS6detail17trampoline_kernelINS0_14default_configENS1_20scan_config_selectorIN3c104HalfEEEZZNS1_9scan_implILNS1_25lookback_scan_determinismE0ELb0ELb0ES3_PKS6_PS6_S6_ZZZN2at6native31launch_logcumsumexp_cuda_kernelERKNSD_10TensorBaseESH_lENKUlvE_clEvENKUlvE3_clEvEUlS6_S6_E_S6_EEDaPvRmT3_T4_T5_mT6_P12ihipStream_tbENKUlT_T0_E_clISt17integral_constantIbLb1EESX_IbLb0EEEEDaST_SU_EUlST_E0_NS1_11comp_targetILNS1_3genE5ELNS1_11target_archE942ELNS1_3gpuE9ELNS1_3repE0EEENS1_30default_config_static_selectorELNS0_4arch9wavefront6targetE0EEEvT1_.num_vgpr, 0
	.set _ZN7rocprim17ROCPRIM_400000_NS6detail17trampoline_kernelINS0_14default_configENS1_20scan_config_selectorIN3c104HalfEEEZZNS1_9scan_implILNS1_25lookback_scan_determinismE0ELb0ELb0ES3_PKS6_PS6_S6_ZZZN2at6native31launch_logcumsumexp_cuda_kernelERKNSD_10TensorBaseESH_lENKUlvE_clEvENKUlvE3_clEvEUlS6_S6_E_S6_EEDaPvRmT3_T4_T5_mT6_P12ihipStream_tbENKUlT_T0_E_clISt17integral_constantIbLb1EESX_IbLb0EEEEDaST_SU_EUlST_E0_NS1_11comp_targetILNS1_3genE5ELNS1_11target_archE942ELNS1_3gpuE9ELNS1_3repE0EEENS1_30default_config_static_selectorELNS0_4arch9wavefront6targetE0EEEvT1_.num_agpr, 0
	.set _ZN7rocprim17ROCPRIM_400000_NS6detail17trampoline_kernelINS0_14default_configENS1_20scan_config_selectorIN3c104HalfEEEZZNS1_9scan_implILNS1_25lookback_scan_determinismE0ELb0ELb0ES3_PKS6_PS6_S6_ZZZN2at6native31launch_logcumsumexp_cuda_kernelERKNSD_10TensorBaseESH_lENKUlvE_clEvENKUlvE3_clEvEUlS6_S6_E_S6_EEDaPvRmT3_T4_T5_mT6_P12ihipStream_tbENKUlT_T0_E_clISt17integral_constantIbLb1EESX_IbLb0EEEEDaST_SU_EUlST_E0_NS1_11comp_targetILNS1_3genE5ELNS1_11target_archE942ELNS1_3gpuE9ELNS1_3repE0EEENS1_30default_config_static_selectorELNS0_4arch9wavefront6targetE0EEEvT1_.numbered_sgpr, 0
	.set _ZN7rocprim17ROCPRIM_400000_NS6detail17trampoline_kernelINS0_14default_configENS1_20scan_config_selectorIN3c104HalfEEEZZNS1_9scan_implILNS1_25lookback_scan_determinismE0ELb0ELb0ES3_PKS6_PS6_S6_ZZZN2at6native31launch_logcumsumexp_cuda_kernelERKNSD_10TensorBaseESH_lENKUlvE_clEvENKUlvE3_clEvEUlS6_S6_E_S6_EEDaPvRmT3_T4_T5_mT6_P12ihipStream_tbENKUlT_T0_E_clISt17integral_constantIbLb1EESX_IbLb0EEEEDaST_SU_EUlST_E0_NS1_11comp_targetILNS1_3genE5ELNS1_11target_archE942ELNS1_3gpuE9ELNS1_3repE0EEENS1_30default_config_static_selectorELNS0_4arch9wavefront6targetE0EEEvT1_.num_named_barrier, 0
	.set _ZN7rocprim17ROCPRIM_400000_NS6detail17trampoline_kernelINS0_14default_configENS1_20scan_config_selectorIN3c104HalfEEEZZNS1_9scan_implILNS1_25lookback_scan_determinismE0ELb0ELb0ES3_PKS6_PS6_S6_ZZZN2at6native31launch_logcumsumexp_cuda_kernelERKNSD_10TensorBaseESH_lENKUlvE_clEvENKUlvE3_clEvEUlS6_S6_E_S6_EEDaPvRmT3_T4_T5_mT6_P12ihipStream_tbENKUlT_T0_E_clISt17integral_constantIbLb1EESX_IbLb0EEEEDaST_SU_EUlST_E0_NS1_11comp_targetILNS1_3genE5ELNS1_11target_archE942ELNS1_3gpuE9ELNS1_3repE0EEENS1_30default_config_static_selectorELNS0_4arch9wavefront6targetE0EEEvT1_.private_seg_size, 0
	.set _ZN7rocprim17ROCPRIM_400000_NS6detail17trampoline_kernelINS0_14default_configENS1_20scan_config_selectorIN3c104HalfEEEZZNS1_9scan_implILNS1_25lookback_scan_determinismE0ELb0ELb0ES3_PKS6_PS6_S6_ZZZN2at6native31launch_logcumsumexp_cuda_kernelERKNSD_10TensorBaseESH_lENKUlvE_clEvENKUlvE3_clEvEUlS6_S6_E_S6_EEDaPvRmT3_T4_T5_mT6_P12ihipStream_tbENKUlT_T0_E_clISt17integral_constantIbLb1EESX_IbLb0EEEEDaST_SU_EUlST_E0_NS1_11comp_targetILNS1_3genE5ELNS1_11target_archE942ELNS1_3gpuE9ELNS1_3repE0EEENS1_30default_config_static_selectorELNS0_4arch9wavefront6targetE0EEEvT1_.uses_vcc, 0
	.set _ZN7rocprim17ROCPRIM_400000_NS6detail17trampoline_kernelINS0_14default_configENS1_20scan_config_selectorIN3c104HalfEEEZZNS1_9scan_implILNS1_25lookback_scan_determinismE0ELb0ELb0ES3_PKS6_PS6_S6_ZZZN2at6native31launch_logcumsumexp_cuda_kernelERKNSD_10TensorBaseESH_lENKUlvE_clEvENKUlvE3_clEvEUlS6_S6_E_S6_EEDaPvRmT3_T4_T5_mT6_P12ihipStream_tbENKUlT_T0_E_clISt17integral_constantIbLb1EESX_IbLb0EEEEDaST_SU_EUlST_E0_NS1_11comp_targetILNS1_3genE5ELNS1_11target_archE942ELNS1_3gpuE9ELNS1_3repE0EEENS1_30default_config_static_selectorELNS0_4arch9wavefront6targetE0EEEvT1_.uses_flat_scratch, 0
	.set _ZN7rocprim17ROCPRIM_400000_NS6detail17trampoline_kernelINS0_14default_configENS1_20scan_config_selectorIN3c104HalfEEEZZNS1_9scan_implILNS1_25lookback_scan_determinismE0ELb0ELb0ES3_PKS6_PS6_S6_ZZZN2at6native31launch_logcumsumexp_cuda_kernelERKNSD_10TensorBaseESH_lENKUlvE_clEvENKUlvE3_clEvEUlS6_S6_E_S6_EEDaPvRmT3_T4_T5_mT6_P12ihipStream_tbENKUlT_T0_E_clISt17integral_constantIbLb1EESX_IbLb0EEEEDaST_SU_EUlST_E0_NS1_11comp_targetILNS1_3genE5ELNS1_11target_archE942ELNS1_3gpuE9ELNS1_3repE0EEENS1_30default_config_static_selectorELNS0_4arch9wavefront6targetE0EEEvT1_.has_dyn_sized_stack, 0
	.set _ZN7rocprim17ROCPRIM_400000_NS6detail17trampoline_kernelINS0_14default_configENS1_20scan_config_selectorIN3c104HalfEEEZZNS1_9scan_implILNS1_25lookback_scan_determinismE0ELb0ELb0ES3_PKS6_PS6_S6_ZZZN2at6native31launch_logcumsumexp_cuda_kernelERKNSD_10TensorBaseESH_lENKUlvE_clEvENKUlvE3_clEvEUlS6_S6_E_S6_EEDaPvRmT3_T4_T5_mT6_P12ihipStream_tbENKUlT_T0_E_clISt17integral_constantIbLb1EESX_IbLb0EEEEDaST_SU_EUlST_E0_NS1_11comp_targetILNS1_3genE5ELNS1_11target_archE942ELNS1_3gpuE9ELNS1_3repE0EEENS1_30default_config_static_selectorELNS0_4arch9wavefront6targetE0EEEvT1_.has_recursion, 0
	.set _ZN7rocprim17ROCPRIM_400000_NS6detail17trampoline_kernelINS0_14default_configENS1_20scan_config_selectorIN3c104HalfEEEZZNS1_9scan_implILNS1_25lookback_scan_determinismE0ELb0ELb0ES3_PKS6_PS6_S6_ZZZN2at6native31launch_logcumsumexp_cuda_kernelERKNSD_10TensorBaseESH_lENKUlvE_clEvENKUlvE3_clEvEUlS6_S6_E_S6_EEDaPvRmT3_T4_T5_mT6_P12ihipStream_tbENKUlT_T0_E_clISt17integral_constantIbLb1EESX_IbLb0EEEEDaST_SU_EUlST_E0_NS1_11comp_targetILNS1_3genE5ELNS1_11target_archE942ELNS1_3gpuE9ELNS1_3repE0EEENS1_30default_config_static_selectorELNS0_4arch9wavefront6targetE0EEEvT1_.has_indirect_call, 0
	.section	.AMDGPU.csdata,"",@progbits
; Kernel info:
; codeLenInByte = 0
; TotalNumSgprs: 0
; NumVgprs: 0
; ScratchSize: 0
; MemoryBound: 0
; FloatMode: 240
; IeeeMode: 1
; LDSByteSize: 0 bytes/workgroup (compile time only)
; SGPRBlocks: 0
; VGPRBlocks: 0
; NumSGPRsForWavesPerEU: 1
; NumVGPRsForWavesPerEU: 1
; Occupancy: 16
; WaveLimiterHint : 0
; COMPUTE_PGM_RSRC2:SCRATCH_EN: 0
; COMPUTE_PGM_RSRC2:USER_SGPR: 6
; COMPUTE_PGM_RSRC2:TRAP_HANDLER: 0
; COMPUTE_PGM_RSRC2:TGID_X_EN: 1
; COMPUTE_PGM_RSRC2:TGID_Y_EN: 0
; COMPUTE_PGM_RSRC2:TGID_Z_EN: 0
; COMPUTE_PGM_RSRC2:TIDIG_COMP_CNT: 0
	.section	.text._ZN7rocprim17ROCPRIM_400000_NS6detail17trampoline_kernelINS0_14default_configENS1_20scan_config_selectorIN3c104HalfEEEZZNS1_9scan_implILNS1_25lookback_scan_determinismE0ELb0ELb0ES3_PKS6_PS6_S6_ZZZN2at6native31launch_logcumsumexp_cuda_kernelERKNSD_10TensorBaseESH_lENKUlvE_clEvENKUlvE3_clEvEUlS6_S6_E_S6_EEDaPvRmT3_T4_T5_mT6_P12ihipStream_tbENKUlT_T0_E_clISt17integral_constantIbLb1EESX_IbLb0EEEEDaST_SU_EUlST_E0_NS1_11comp_targetILNS1_3genE4ELNS1_11target_archE910ELNS1_3gpuE8ELNS1_3repE0EEENS1_30default_config_static_selectorELNS0_4arch9wavefront6targetE0EEEvT1_,"axG",@progbits,_ZN7rocprim17ROCPRIM_400000_NS6detail17trampoline_kernelINS0_14default_configENS1_20scan_config_selectorIN3c104HalfEEEZZNS1_9scan_implILNS1_25lookback_scan_determinismE0ELb0ELb0ES3_PKS6_PS6_S6_ZZZN2at6native31launch_logcumsumexp_cuda_kernelERKNSD_10TensorBaseESH_lENKUlvE_clEvENKUlvE3_clEvEUlS6_S6_E_S6_EEDaPvRmT3_T4_T5_mT6_P12ihipStream_tbENKUlT_T0_E_clISt17integral_constantIbLb1EESX_IbLb0EEEEDaST_SU_EUlST_E0_NS1_11comp_targetILNS1_3genE4ELNS1_11target_archE910ELNS1_3gpuE8ELNS1_3repE0EEENS1_30default_config_static_selectorELNS0_4arch9wavefront6targetE0EEEvT1_,comdat
	.globl	_ZN7rocprim17ROCPRIM_400000_NS6detail17trampoline_kernelINS0_14default_configENS1_20scan_config_selectorIN3c104HalfEEEZZNS1_9scan_implILNS1_25lookback_scan_determinismE0ELb0ELb0ES3_PKS6_PS6_S6_ZZZN2at6native31launch_logcumsumexp_cuda_kernelERKNSD_10TensorBaseESH_lENKUlvE_clEvENKUlvE3_clEvEUlS6_S6_E_S6_EEDaPvRmT3_T4_T5_mT6_P12ihipStream_tbENKUlT_T0_E_clISt17integral_constantIbLb1EESX_IbLb0EEEEDaST_SU_EUlST_E0_NS1_11comp_targetILNS1_3genE4ELNS1_11target_archE910ELNS1_3gpuE8ELNS1_3repE0EEENS1_30default_config_static_selectorELNS0_4arch9wavefront6targetE0EEEvT1_ ; -- Begin function _ZN7rocprim17ROCPRIM_400000_NS6detail17trampoline_kernelINS0_14default_configENS1_20scan_config_selectorIN3c104HalfEEEZZNS1_9scan_implILNS1_25lookback_scan_determinismE0ELb0ELb0ES3_PKS6_PS6_S6_ZZZN2at6native31launch_logcumsumexp_cuda_kernelERKNSD_10TensorBaseESH_lENKUlvE_clEvENKUlvE3_clEvEUlS6_S6_E_S6_EEDaPvRmT3_T4_T5_mT6_P12ihipStream_tbENKUlT_T0_E_clISt17integral_constantIbLb1EESX_IbLb0EEEEDaST_SU_EUlST_E0_NS1_11comp_targetILNS1_3genE4ELNS1_11target_archE910ELNS1_3gpuE8ELNS1_3repE0EEENS1_30default_config_static_selectorELNS0_4arch9wavefront6targetE0EEEvT1_
	.p2align	8
	.type	_ZN7rocprim17ROCPRIM_400000_NS6detail17trampoline_kernelINS0_14default_configENS1_20scan_config_selectorIN3c104HalfEEEZZNS1_9scan_implILNS1_25lookback_scan_determinismE0ELb0ELb0ES3_PKS6_PS6_S6_ZZZN2at6native31launch_logcumsumexp_cuda_kernelERKNSD_10TensorBaseESH_lENKUlvE_clEvENKUlvE3_clEvEUlS6_S6_E_S6_EEDaPvRmT3_T4_T5_mT6_P12ihipStream_tbENKUlT_T0_E_clISt17integral_constantIbLb1EESX_IbLb0EEEEDaST_SU_EUlST_E0_NS1_11comp_targetILNS1_3genE4ELNS1_11target_archE910ELNS1_3gpuE8ELNS1_3repE0EEENS1_30default_config_static_selectorELNS0_4arch9wavefront6targetE0EEEvT1_,@function
_ZN7rocprim17ROCPRIM_400000_NS6detail17trampoline_kernelINS0_14default_configENS1_20scan_config_selectorIN3c104HalfEEEZZNS1_9scan_implILNS1_25lookback_scan_determinismE0ELb0ELb0ES3_PKS6_PS6_S6_ZZZN2at6native31launch_logcumsumexp_cuda_kernelERKNSD_10TensorBaseESH_lENKUlvE_clEvENKUlvE3_clEvEUlS6_S6_E_S6_EEDaPvRmT3_T4_T5_mT6_P12ihipStream_tbENKUlT_T0_E_clISt17integral_constantIbLb1EESX_IbLb0EEEEDaST_SU_EUlST_E0_NS1_11comp_targetILNS1_3genE4ELNS1_11target_archE910ELNS1_3gpuE8ELNS1_3repE0EEENS1_30default_config_static_selectorELNS0_4arch9wavefront6targetE0EEEvT1_: ; @_ZN7rocprim17ROCPRIM_400000_NS6detail17trampoline_kernelINS0_14default_configENS1_20scan_config_selectorIN3c104HalfEEEZZNS1_9scan_implILNS1_25lookback_scan_determinismE0ELb0ELb0ES3_PKS6_PS6_S6_ZZZN2at6native31launch_logcumsumexp_cuda_kernelERKNSD_10TensorBaseESH_lENKUlvE_clEvENKUlvE3_clEvEUlS6_S6_E_S6_EEDaPvRmT3_T4_T5_mT6_P12ihipStream_tbENKUlT_T0_E_clISt17integral_constantIbLb1EESX_IbLb0EEEEDaST_SU_EUlST_E0_NS1_11comp_targetILNS1_3genE4ELNS1_11target_archE910ELNS1_3gpuE8ELNS1_3repE0EEENS1_30default_config_static_selectorELNS0_4arch9wavefront6targetE0EEEvT1_
; %bb.0:
	.section	.rodata,"a",@progbits
	.p2align	6, 0x0
	.amdhsa_kernel _ZN7rocprim17ROCPRIM_400000_NS6detail17trampoline_kernelINS0_14default_configENS1_20scan_config_selectorIN3c104HalfEEEZZNS1_9scan_implILNS1_25lookback_scan_determinismE0ELb0ELb0ES3_PKS6_PS6_S6_ZZZN2at6native31launch_logcumsumexp_cuda_kernelERKNSD_10TensorBaseESH_lENKUlvE_clEvENKUlvE3_clEvEUlS6_S6_E_S6_EEDaPvRmT3_T4_T5_mT6_P12ihipStream_tbENKUlT_T0_E_clISt17integral_constantIbLb1EESX_IbLb0EEEEDaST_SU_EUlST_E0_NS1_11comp_targetILNS1_3genE4ELNS1_11target_archE910ELNS1_3gpuE8ELNS1_3repE0EEENS1_30default_config_static_selectorELNS0_4arch9wavefront6targetE0EEEvT1_
		.amdhsa_group_segment_fixed_size 0
		.amdhsa_private_segment_fixed_size 0
		.amdhsa_kernarg_size 32
		.amdhsa_user_sgpr_count 6
		.amdhsa_user_sgpr_private_segment_buffer 1
		.amdhsa_user_sgpr_dispatch_ptr 0
		.amdhsa_user_sgpr_queue_ptr 0
		.amdhsa_user_sgpr_kernarg_segment_ptr 1
		.amdhsa_user_sgpr_dispatch_id 0
		.amdhsa_user_sgpr_flat_scratch_init 0
		.amdhsa_user_sgpr_private_segment_size 0
		.amdhsa_wavefront_size32 1
		.amdhsa_uses_dynamic_stack 0
		.amdhsa_system_sgpr_private_segment_wavefront_offset 0
		.amdhsa_system_sgpr_workgroup_id_x 1
		.amdhsa_system_sgpr_workgroup_id_y 0
		.amdhsa_system_sgpr_workgroup_id_z 0
		.amdhsa_system_sgpr_workgroup_info 0
		.amdhsa_system_vgpr_workitem_id 0
		.amdhsa_next_free_vgpr 1
		.amdhsa_next_free_sgpr 1
		.amdhsa_reserve_vcc 0
		.amdhsa_reserve_flat_scratch 0
		.amdhsa_float_round_mode_32 0
		.amdhsa_float_round_mode_16_64 0
		.amdhsa_float_denorm_mode_32 3
		.amdhsa_float_denorm_mode_16_64 3
		.amdhsa_dx10_clamp 1
		.amdhsa_ieee_mode 1
		.amdhsa_fp16_overflow 0
		.amdhsa_workgroup_processor_mode 1
		.amdhsa_memory_ordered 1
		.amdhsa_forward_progress 1
		.amdhsa_shared_vgpr_count 0
		.amdhsa_exception_fp_ieee_invalid_op 0
		.amdhsa_exception_fp_denorm_src 0
		.amdhsa_exception_fp_ieee_div_zero 0
		.amdhsa_exception_fp_ieee_overflow 0
		.amdhsa_exception_fp_ieee_underflow 0
		.amdhsa_exception_fp_ieee_inexact 0
		.amdhsa_exception_int_div_zero 0
	.end_amdhsa_kernel
	.section	.text._ZN7rocprim17ROCPRIM_400000_NS6detail17trampoline_kernelINS0_14default_configENS1_20scan_config_selectorIN3c104HalfEEEZZNS1_9scan_implILNS1_25lookback_scan_determinismE0ELb0ELb0ES3_PKS6_PS6_S6_ZZZN2at6native31launch_logcumsumexp_cuda_kernelERKNSD_10TensorBaseESH_lENKUlvE_clEvENKUlvE3_clEvEUlS6_S6_E_S6_EEDaPvRmT3_T4_T5_mT6_P12ihipStream_tbENKUlT_T0_E_clISt17integral_constantIbLb1EESX_IbLb0EEEEDaST_SU_EUlST_E0_NS1_11comp_targetILNS1_3genE4ELNS1_11target_archE910ELNS1_3gpuE8ELNS1_3repE0EEENS1_30default_config_static_selectorELNS0_4arch9wavefront6targetE0EEEvT1_,"axG",@progbits,_ZN7rocprim17ROCPRIM_400000_NS6detail17trampoline_kernelINS0_14default_configENS1_20scan_config_selectorIN3c104HalfEEEZZNS1_9scan_implILNS1_25lookback_scan_determinismE0ELb0ELb0ES3_PKS6_PS6_S6_ZZZN2at6native31launch_logcumsumexp_cuda_kernelERKNSD_10TensorBaseESH_lENKUlvE_clEvENKUlvE3_clEvEUlS6_S6_E_S6_EEDaPvRmT3_T4_T5_mT6_P12ihipStream_tbENKUlT_T0_E_clISt17integral_constantIbLb1EESX_IbLb0EEEEDaST_SU_EUlST_E0_NS1_11comp_targetILNS1_3genE4ELNS1_11target_archE910ELNS1_3gpuE8ELNS1_3repE0EEENS1_30default_config_static_selectorELNS0_4arch9wavefront6targetE0EEEvT1_,comdat
.Lfunc_end408:
	.size	_ZN7rocprim17ROCPRIM_400000_NS6detail17trampoline_kernelINS0_14default_configENS1_20scan_config_selectorIN3c104HalfEEEZZNS1_9scan_implILNS1_25lookback_scan_determinismE0ELb0ELb0ES3_PKS6_PS6_S6_ZZZN2at6native31launch_logcumsumexp_cuda_kernelERKNSD_10TensorBaseESH_lENKUlvE_clEvENKUlvE3_clEvEUlS6_S6_E_S6_EEDaPvRmT3_T4_T5_mT6_P12ihipStream_tbENKUlT_T0_E_clISt17integral_constantIbLb1EESX_IbLb0EEEEDaST_SU_EUlST_E0_NS1_11comp_targetILNS1_3genE4ELNS1_11target_archE910ELNS1_3gpuE8ELNS1_3repE0EEENS1_30default_config_static_selectorELNS0_4arch9wavefront6targetE0EEEvT1_, .Lfunc_end408-_ZN7rocprim17ROCPRIM_400000_NS6detail17trampoline_kernelINS0_14default_configENS1_20scan_config_selectorIN3c104HalfEEEZZNS1_9scan_implILNS1_25lookback_scan_determinismE0ELb0ELb0ES3_PKS6_PS6_S6_ZZZN2at6native31launch_logcumsumexp_cuda_kernelERKNSD_10TensorBaseESH_lENKUlvE_clEvENKUlvE3_clEvEUlS6_S6_E_S6_EEDaPvRmT3_T4_T5_mT6_P12ihipStream_tbENKUlT_T0_E_clISt17integral_constantIbLb1EESX_IbLb0EEEEDaST_SU_EUlST_E0_NS1_11comp_targetILNS1_3genE4ELNS1_11target_archE910ELNS1_3gpuE8ELNS1_3repE0EEENS1_30default_config_static_selectorELNS0_4arch9wavefront6targetE0EEEvT1_
                                        ; -- End function
	.set _ZN7rocprim17ROCPRIM_400000_NS6detail17trampoline_kernelINS0_14default_configENS1_20scan_config_selectorIN3c104HalfEEEZZNS1_9scan_implILNS1_25lookback_scan_determinismE0ELb0ELb0ES3_PKS6_PS6_S6_ZZZN2at6native31launch_logcumsumexp_cuda_kernelERKNSD_10TensorBaseESH_lENKUlvE_clEvENKUlvE3_clEvEUlS6_S6_E_S6_EEDaPvRmT3_T4_T5_mT6_P12ihipStream_tbENKUlT_T0_E_clISt17integral_constantIbLb1EESX_IbLb0EEEEDaST_SU_EUlST_E0_NS1_11comp_targetILNS1_3genE4ELNS1_11target_archE910ELNS1_3gpuE8ELNS1_3repE0EEENS1_30default_config_static_selectorELNS0_4arch9wavefront6targetE0EEEvT1_.num_vgpr, 0
	.set _ZN7rocprim17ROCPRIM_400000_NS6detail17trampoline_kernelINS0_14default_configENS1_20scan_config_selectorIN3c104HalfEEEZZNS1_9scan_implILNS1_25lookback_scan_determinismE0ELb0ELb0ES3_PKS6_PS6_S6_ZZZN2at6native31launch_logcumsumexp_cuda_kernelERKNSD_10TensorBaseESH_lENKUlvE_clEvENKUlvE3_clEvEUlS6_S6_E_S6_EEDaPvRmT3_T4_T5_mT6_P12ihipStream_tbENKUlT_T0_E_clISt17integral_constantIbLb1EESX_IbLb0EEEEDaST_SU_EUlST_E0_NS1_11comp_targetILNS1_3genE4ELNS1_11target_archE910ELNS1_3gpuE8ELNS1_3repE0EEENS1_30default_config_static_selectorELNS0_4arch9wavefront6targetE0EEEvT1_.num_agpr, 0
	.set _ZN7rocprim17ROCPRIM_400000_NS6detail17trampoline_kernelINS0_14default_configENS1_20scan_config_selectorIN3c104HalfEEEZZNS1_9scan_implILNS1_25lookback_scan_determinismE0ELb0ELb0ES3_PKS6_PS6_S6_ZZZN2at6native31launch_logcumsumexp_cuda_kernelERKNSD_10TensorBaseESH_lENKUlvE_clEvENKUlvE3_clEvEUlS6_S6_E_S6_EEDaPvRmT3_T4_T5_mT6_P12ihipStream_tbENKUlT_T0_E_clISt17integral_constantIbLb1EESX_IbLb0EEEEDaST_SU_EUlST_E0_NS1_11comp_targetILNS1_3genE4ELNS1_11target_archE910ELNS1_3gpuE8ELNS1_3repE0EEENS1_30default_config_static_selectorELNS0_4arch9wavefront6targetE0EEEvT1_.numbered_sgpr, 0
	.set _ZN7rocprim17ROCPRIM_400000_NS6detail17trampoline_kernelINS0_14default_configENS1_20scan_config_selectorIN3c104HalfEEEZZNS1_9scan_implILNS1_25lookback_scan_determinismE0ELb0ELb0ES3_PKS6_PS6_S6_ZZZN2at6native31launch_logcumsumexp_cuda_kernelERKNSD_10TensorBaseESH_lENKUlvE_clEvENKUlvE3_clEvEUlS6_S6_E_S6_EEDaPvRmT3_T4_T5_mT6_P12ihipStream_tbENKUlT_T0_E_clISt17integral_constantIbLb1EESX_IbLb0EEEEDaST_SU_EUlST_E0_NS1_11comp_targetILNS1_3genE4ELNS1_11target_archE910ELNS1_3gpuE8ELNS1_3repE0EEENS1_30default_config_static_selectorELNS0_4arch9wavefront6targetE0EEEvT1_.num_named_barrier, 0
	.set _ZN7rocprim17ROCPRIM_400000_NS6detail17trampoline_kernelINS0_14default_configENS1_20scan_config_selectorIN3c104HalfEEEZZNS1_9scan_implILNS1_25lookback_scan_determinismE0ELb0ELb0ES3_PKS6_PS6_S6_ZZZN2at6native31launch_logcumsumexp_cuda_kernelERKNSD_10TensorBaseESH_lENKUlvE_clEvENKUlvE3_clEvEUlS6_S6_E_S6_EEDaPvRmT3_T4_T5_mT6_P12ihipStream_tbENKUlT_T0_E_clISt17integral_constantIbLb1EESX_IbLb0EEEEDaST_SU_EUlST_E0_NS1_11comp_targetILNS1_3genE4ELNS1_11target_archE910ELNS1_3gpuE8ELNS1_3repE0EEENS1_30default_config_static_selectorELNS0_4arch9wavefront6targetE0EEEvT1_.private_seg_size, 0
	.set _ZN7rocprim17ROCPRIM_400000_NS6detail17trampoline_kernelINS0_14default_configENS1_20scan_config_selectorIN3c104HalfEEEZZNS1_9scan_implILNS1_25lookback_scan_determinismE0ELb0ELb0ES3_PKS6_PS6_S6_ZZZN2at6native31launch_logcumsumexp_cuda_kernelERKNSD_10TensorBaseESH_lENKUlvE_clEvENKUlvE3_clEvEUlS6_S6_E_S6_EEDaPvRmT3_T4_T5_mT6_P12ihipStream_tbENKUlT_T0_E_clISt17integral_constantIbLb1EESX_IbLb0EEEEDaST_SU_EUlST_E0_NS1_11comp_targetILNS1_3genE4ELNS1_11target_archE910ELNS1_3gpuE8ELNS1_3repE0EEENS1_30default_config_static_selectorELNS0_4arch9wavefront6targetE0EEEvT1_.uses_vcc, 0
	.set _ZN7rocprim17ROCPRIM_400000_NS6detail17trampoline_kernelINS0_14default_configENS1_20scan_config_selectorIN3c104HalfEEEZZNS1_9scan_implILNS1_25lookback_scan_determinismE0ELb0ELb0ES3_PKS6_PS6_S6_ZZZN2at6native31launch_logcumsumexp_cuda_kernelERKNSD_10TensorBaseESH_lENKUlvE_clEvENKUlvE3_clEvEUlS6_S6_E_S6_EEDaPvRmT3_T4_T5_mT6_P12ihipStream_tbENKUlT_T0_E_clISt17integral_constantIbLb1EESX_IbLb0EEEEDaST_SU_EUlST_E0_NS1_11comp_targetILNS1_3genE4ELNS1_11target_archE910ELNS1_3gpuE8ELNS1_3repE0EEENS1_30default_config_static_selectorELNS0_4arch9wavefront6targetE0EEEvT1_.uses_flat_scratch, 0
	.set _ZN7rocprim17ROCPRIM_400000_NS6detail17trampoline_kernelINS0_14default_configENS1_20scan_config_selectorIN3c104HalfEEEZZNS1_9scan_implILNS1_25lookback_scan_determinismE0ELb0ELb0ES3_PKS6_PS6_S6_ZZZN2at6native31launch_logcumsumexp_cuda_kernelERKNSD_10TensorBaseESH_lENKUlvE_clEvENKUlvE3_clEvEUlS6_S6_E_S6_EEDaPvRmT3_T4_T5_mT6_P12ihipStream_tbENKUlT_T0_E_clISt17integral_constantIbLb1EESX_IbLb0EEEEDaST_SU_EUlST_E0_NS1_11comp_targetILNS1_3genE4ELNS1_11target_archE910ELNS1_3gpuE8ELNS1_3repE0EEENS1_30default_config_static_selectorELNS0_4arch9wavefront6targetE0EEEvT1_.has_dyn_sized_stack, 0
	.set _ZN7rocprim17ROCPRIM_400000_NS6detail17trampoline_kernelINS0_14default_configENS1_20scan_config_selectorIN3c104HalfEEEZZNS1_9scan_implILNS1_25lookback_scan_determinismE0ELb0ELb0ES3_PKS6_PS6_S6_ZZZN2at6native31launch_logcumsumexp_cuda_kernelERKNSD_10TensorBaseESH_lENKUlvE_clEvENKUlvE3_clEvEUlS6_S6_E_S6_EEDaPvRmT3_T4_T5_mT6_P12ihipStream_tbENKUlT_T0_E_clISt17integral_constantIbLb1EESX_IbLb0EEEEDaST_SU_EUlST_E0_NS1_11comp_targetILNS1_3genE4ELNS1_11target_archE910ELNS1_3gpuE8ELNS1_3repE0EEENS1_30default_config_static_selectorELNS0_4arch9wavefront6targetE0EEEvT1_.has_recursion, 0
	.set _ZN7rocprim17ROCPRIM_400000_NS6detail17trampoline_kernelINS0_14default_configENS1_20scan_config_selectorIN3c104HalfEEEZZNS1_9scan_implILNS1_25lookback_scan_determinismE0ELb0ELb0ES3_PKS6_PS6_S6_ZZZN2at6native31launch_logcumsumexp_cuda_kernelERKNSD_10TensorBaseESH_lENKUlvE_clEvENKUlvE3_clEvEUlS6_S6_E_S6_EEDaPvRmT3_T4_T5_mT6_P12ihipStream_tbENKUlT_T0_E_clISt17integral_constantIbLb1EESX_IbLb0EEEEDaST_SU_EUlST_E0_NS1_11comp_targetILNS1_3genE4ELNS1_11target_archE910ELNS1_3gpuE8ELNS1_3repE0EEENS1_30default_config_static_selectorELNS0_4arch9wavefront6targetE0EEEvT1_.has_indirect_call, 0
	.section	.AMDGPU.csdata,"",@progbits
; Kernel info:
; codeLenInByte = 0
; TotalNumSgprs: 0
; NumVgprs: 0
; ScratchSize: 0
; MemoryBound: 0
; FloatMode: 240
; IeeeMode: 1
; LDSByteSize: 0 bytes/workgroup (compile time only)
; SGPRBlocks: 0
; VGPRBlocks: 0
; NumSGPRsForWavesPerEU: 1
; NumVGPRsForWavesPerEU: 1
; Occupancy: 16
; WaveLimiterHint : 0
; COMPUTE_PGM_RSRC2:SCRATCH_EN: 0
; COMPUTE_PGM_RSRC2:USER_SGPR: 6
; COMPUTE_PGM_RSRC2:TRAP_HANDLER: 0
; COMPUTE_PGM_RSRC2:TGID_X_EN: 1
; COMPUTE_PGM_RSRC2:TGID_Y_EN: 0
; COMPUTE_PGM_RSRC2:TGID_Z_EN: 0
; COMPUTE_PGM_RSRC2:TIDIG_COMP_CNT: 0
	.section	.text._ZN7rocprim17ROCPRIM_400000_NS6detail17trampoline_kernelINS0_14default_configENS1_20scan_config_selectorIN3c104HalfEEEZZNS1_9scan_implILNS1_25lookback_scan_determinismE0ELb0ELb0ES3_PKS6_PS6_S6_ZZZN2at6native31launch_logcumsumexp_cuda_kernelERKNSD_10TensorBaseESH_lENKUlvE_clEvENKUlvE3_clEvEUlS6_S6_E_S6_EEDaPvRmT3_T4_T5_mT6_P12ihipStream_tbENKUlT_T0_E_clISt17integral_constantIbLb1EESX_IbLb0EEEEDaST_SU_EUlST_E0_NS1_11comp_targetILNS1_3genE3ELNS1_11target_archE908ELNS1_3gpuE7ELNS1_3repE0EEENS1_30default_config_static_selectorELNS0_4arch9wavefront6targetE0EEEvT1_,"axG",@progbits,_ZN7rocprim17ROCPRIM_400000_NS6detail17trampoline_kernelINS0_14default_configENS1_20scan_config_selectorIN3c104HalfEEEZZNS1_9scan_implILNS1_25lookback_scan_determinismE0ELb0ELb0ES3_PKS6_PS6_S6_ZZZN2at6native31launch_logcumsumexp_cuda_kernelERKNSD_10TensorBaseESH_lENKUlvE_clEvENKUlvE3_clEvEUlS6_S6_E_S6_EEDaPvRmT3_T4_T5_mT6_P12ihipStream_tbENKUlT_T0_E_clISt17integral_constantIbLb1EESX_IbLb0EEEEDaST_SU_EUlST_E0_NS1_11comp_targetILNS1_3genE3ELNS1_11target_archE908ELNS1_3gpuE7ELNS1_3repE0EEENS1_30default_config_static_selectorELNS0_4arch9wavefront6targetE0EEEvT1_,comdat
	.globl	_ZN7rocprim17ROCPRIM_400000_NS6detail17trampoline_kernelINS0_14default_configENS1_20scan_config_selectorIN3c104HalfEEEZZNS1_9scan_implILNS1_25lookback_scan_determinismE0ELb0ELb0ES3_PKS6_PS6_S6_ZZZN2at6native31launch_logcumsumexp_cuda_kernelERKNSD_10TensorBaseESH_lENKUlvE_clEvENKUlvE3_clEvEUlS6_S6_E_S6_EEDaPvRmT3_T4_T5_mT6_P12ihipStream_tbENKUlT_T0_E_clISt17integral_constantIbLb1EESX_IbLb0EEEEDaST_SU_EUlST_E0_NS1_11comp_targetILNS1_3genE3ELNS1_11target_archE908ELNS1_3gpuE7ELNS1_3repE0EEENS1_30default_config_static_selectorELNS0_4arch9wavefront6targetE0EEEvT1_ ; -- Begin function _ZN7rocprim17ROCPRIM_400000_NS6detail17trampoline_kernelINS0_14default_configENS1_20scan_config_selectorIN3c104HalfEEEZZNS1_9scan_implILNS1_25lookback_scan_determinismE0ELb0ELb0ES3_PKS6_PS6_S6_ZZZN2at6native31launch_logcumsumexp_cuda_kernelERKNSD_10TensorBaseESH_lENKUlvE_clEvENKUlvE3_clEvEUlS6_S6_E_S6_EEDaPvRmT3_T4_T5_mT6_P12ihipStream_tbENKUlT_T0_E_clISt17integral_constantIbLb1EESX_IbLb0EEEEDaST_SU_EUlST_E0_NS1_11comp_targetILNS1_3genE3ELNS1_11target_archE908ELNS1_3gpuE7ELNS1_3repE0EEENS1_30default_config_static_selectorELNS0_4arch9wavefront6targetE0EEEvT1_
	.p2align	8
	.type	_ZN7rocprim17ROCPRIM_400000_NS6detail17trampoline_kernelINS0_14default_configENS1_20scan_config_selectorIN3c104HalfEEEZZNS1_9scan_implILNS1_25lookback_scan_determinismE0ELb0ELb0ES3_PKS6_PS6_S6_ZZZN2at6native31launch_logcumsumexp_cuda_kernelERKNSD_10TensorBaseESH_lENKUlvE_clEvENKUlvE3_clEvEUlS6_S6_E_S6_EEDaPvRmT3_T4_T5_mT6_P12ihipStream_tbENKUlT_T0_E_clISt17integral_constantIbLb1EESX_IbLb0EEEEDaST_SU_EUlST_E0_NS1_11comp_targetILNS1_3genE3ELNS1_11target_archE908ELNS1_3gpuE7ELNS1_3repE0EEENS1_30default_config_static_selectorELNS0_4arch9wavefront6targetE0EEEvT1_,@function
_ZN7rocprim17ROCPRIM_400000_NS6detail17trampoline_kernelINS0_14default_configENS1_20scan_config_selectorIN3c104HalfEEEZZNS1_9scan_implILNS1_25lookback_scan_determinismE0ELb0ELb0ES3_PKS6_PS6_S6_ZZZN2at6native31launch_logcumsumexp_cuda_kernelERKNSD_10TensorBaseESH_lENKUlvE_clEvENKUlvE3_clEvEUlS6_S6_E_S6_EEDaPvRmT3_T4_T5_mT6_P12ihipStream_tbENKUlT_T0_E_clISt17integral_constantIbLb1EESX_IbLb0EEEEDaST_SU_EUlST_E0_NS1_11comp_targetILNS1_3genE3ELNS1_11target_archE908ELNS1_3gpuE7ELNS1_3repE0EEENS1_30default_config_static_selectorELNS0_4arch9wavefront6targetE0EEEvT1_: ; @_ZN7rocprim17ROCPRIM_400000_NS6detail17trampoline_kernelINS0_14default_configENS1_20scan_config_selectorIN3c104HalfEEEZZNS1_9scan_implILNS1_25lookback_scan_determinismE0ELb0ELb0ES3_PKS6_PS6_S6_ZZZN2at6native31launch_logcumsumexp_cuda_kernelERKNSD_10TensorBaseESH_lENKUlvE_clEvENKUlvE3_clEvEUlS6_S6_E_S6_EEDaPvRmT3_T4_T5_mT6_P12ihipStream_tbENKUlT_T0_E_clISt17integral_constantIbLb1EESX_IbLb0EEEEDaST_SU_EUlST_E0_NS1_11comp_targetILNS1_3genE3ELNS1_11target_archE908ELNS1_3gpuE7ELNS1_3repE0EEENS1_30default_config_static_selectorELNS0_4arch9wavefront6targetE0EEEvT1_
; %bb.0:
	.section	.rodata,"a",@progbits
	.p2align	6, 0x0
	.amdhsa_kernel _ZN7rocprim17ROCPRIM_400000_NS6detail17trampoline_kernelINS0_14default_configENS1_20scan_config_selectorIN3c104HalfEEEZZNS1_9scan_implILNS1_25lookback_scan_determinismE0ELb0ELb0ES3_PKS6_PS6_S6_ZZZN2at6native31launch_logcumsumexp_cuda_kernelERKNSD_10TensorBaseESH_lENKUlvE_clEvENKUlvE3_clEvEUlS6_S6_E_S6_EEDaPvRmT3_T4_T5_mT6_P12ihipStream_tbENKUlT_T0_E_clISt17integral_constantIbLb1EESX_IbLb0EEEEDaST_SU_EUlST_E0_NS1_11comp_targetILNS1_3genE3ELNS1_11target_archE908ELNS1_3gpuE7ELNS1_3repE0EEENS1_30default_config_static_selectorELNS0_4arch9wavefront6targetE0EEEvT1_
		.amdhsa_group_segment_fixed_size 0
		.amdhsa_private_segment_fixed_size 0
		.amdhsa_kernarg_size 32
		.amdhsa_user_sgpr_count 6
		.amdhsa_user_sgpr_private_segment_buffer 1
		.amdhsa_user_sgpr_dispatch_ptr 0
		.amdhsa_user_sgpr_queue_ptr 0
		.amdhsa_user_sgpr_kernarg_segment_ptr 1
		.amdhsa_user_sgpr_dispatch_id 0
		.amdhsa_user_sgpr_flat_scratch_init 0
		.amdhsa_user_sgpr_private_segment_size 0
		.amdhsa_wavefront_size32 1
		.amdhsa_uses_dynamic_stack 0
		.amdhsa_system_sgpr_private_segment_wavefront_offset 0
		.amdhsa_system_sgpr_workgroup_id_x 1
		.amdhsa_system_sgpr_workgroup_id_y 0
		.amdhsa_system_sgpr_workgroup_id_z 0
		.amdhsa_system_sgpr_workgroup_info 0
		.amdhsa_system_vgpr_workitem_id 0
		.amdhsa_next_free_vgpr 1
		.amdhsa_next_free_sgpr 1
		.amdhsa_reserve_vcc 0
		.amdhsa_reserve_flat_scratch 0
		.amdhsa_float_round_mode_32 0
		.amdhsa_float_round_mode_16_64 0
		.amdhsa_float_denorm_mode_32 3
		.amdhsa_float_denorm_mode_16_64 3
		.amdhsa_dx10_clamp 1
		.amdhsa_ieee_mode 1
		.amdhsa_fp16_overflow 0
		.amdhsa_workgroup_processor_mode 1
		.amdhsa_memory_ordered 1
		.amdhsa_forward_progress 1
		.amdhsa_shared_vgpr_count 0
		.amdhsa_exception_fp_ieee_invalid_op 0
		.amdhsa_exception_fp_denorm_src 0
		.amdhsa_exception_fp_ieee_div_zero 0
		.amdhsa_exception_fp_ieee_overflow 0
		.amdhsa_exception_fp_ieee_underflow 0
		.amdhsa_exception_fp_ieee_inexact 0
		.amdhsa_exception_int_div_zero 0
	.end_amdhsa_kernel
	.section	.text._ZN7rocprim17ROCPRIM_400000_NS6detail17trampoline_kernelINS0_14default_configENS1_20scan_config_selectorIN3c104HalfEEEZZNS1_9scan_implILNS1_25lookback_scan_determinismE0ELb0ELb0ES3_PKS6_PS6_S6_ZZZN2at6native31launch_logcumsumexp_cuda_kernelERKNSD_10TensorBaseESH_lENKUlvE_clEvENKUlvE3_clEvEUlS6_S6_E_S6_EEDaPvRmT3_T4_T5_mT6_P12ihipStream_tbENKUlT_T0_E_clISt17integral_constantIbLb1EESX_IbLb0EEEEDaST_SU_EUlST_E0_NS1_11comp_targetILNS1_3genE3ELNS1_11target_archE908ELNS1_3gpuE7ELNS1_3repE0EEENS1_30default_config_static_selectorELNS0_4arch9wavefront6targetE0EEEvT1_,"axG",@progbits,_ZN7rocprim17ROCPRIM_400000_NS6detail17trampoline_kernelINS0_14default_configENS1_20scan_config_selectorIN3c104HalfEEEZZNS1_9scan_implILNS1_25lookback_scan_determinismE0ELb0ELb0ES3_PKS6_PS6_S6_ZZZN2at6native31launch_logcumsumexp_cuda_kernelERKNSD_10TensorBaseESH_lENKUlvE_clEvENKUlvE3_clEvEUlS6_S6_E_S6_EEDaPvRmT3_T4_T5_mT6_P12ihipStream_tbENKUlT_T0_E_clISt17integral_constantIbLb1EESX_IbLb0EEEEDaST_SU_EUlST_E0_NS1_11comp_targetILNS1_3genE3ELNS1_11target_archE908ELNS1_3gpuE7ELNS1_3repE0EEENS1_30default_config_static_selectorELNS0_4arch9wavefront6targetE0EEEvT1_,comdat
.Lfunc_end409:
	.size	_ZN7rocprim17ROCPRIM_400000_NS6detail17trampoline_kernelINS0_14default_configENS1_20scan_config_selectorIN3c104HalfEEEZZNS1_9scan_implILNS1_25lookback_scan_determinismE0ELb0ELb0ES3_PKS6_PS6_S6_ZZZN2at6native31launch_logcumsumexp_cuda_kernelERKNSD_10TensorBaseESH_lENKUlvE_clEvENKUlvE3_clEvEUlS6_S6_E_S6_EEDaPvRmT3_T4_T5_mT6_P12ihipStream_tbENKUlT_T0_E_clISt17integral_constantIbLb1EESX_IbLb0EEEEDaST_SU_EUlST_E0_NS1_11comp_targetILNS1_3genE3ELNS1_11target_archE908ELNS1_3gpuE7ELNS1_3repE0EEENS1_30default_config_static_selectorELNS0_4arch9wavefront6targetE0EEEvT1_, .Lfunc_end409-_ZN7rocprim17ROCPRIM_400000_NS6detail17trampoline_kernelINS0_14default_configENS1_20scan_config_selectorIN3c104HalfEEEZZNS1_9scan_implILNS1_25lookback_scan_determinismE0ELb0ELb0ES3_PKS6_PS6_S6_ZZZN2at6native31launch_logcumsumexp_cuda_kernelERKNSD_10TensorBaseESH_lENKUlvE_clEvENKUlvE3_clEvEUlS6_S6_E_S6_EEDaPvRmT3_T4_T5_mT6_P12ihipStream_tbENKUlT_T0_E_clISt17integral_constantIbLb1EESX_IbLb0EEEEDaST_SU_EUlST_E0_NS1_11comp_targetILNS1_3genE3ELNS1_11target_archE908ELNS1_3gpuE7ELNS1_3repE0EEENS1_30default_config_static_selectorELNS0_4arch9wavefront6targetE0EEEvT1_
                                        ; -- End function
	.set _ZN7rocprim17ROCPRIM_400000_NS6detail17trampoline_kernelINS0_14default_configENS1_20scan_config_selectorIN3c104HalfEEEZZNS1_9scan_implILNS1_25lookback_scan_determinismE0ELb0ELb0ES3_PKS6_PS6_S6_ZZZN2at6native31launch_logcumsumexp_cuda_kernelERKNSD_10TensorBaseESH_lENKUlvE_clEvENKUlvE3_clEvEUlS6_S6_E_S6_EEDaPvRmT3_T4_T5_mT6_P12ihipStream_tbENKUlT_T0_E_clISt17integral_constantIbLb1EESX_IbLb0EEEEDaST_SU_EUlST_E0_NS1_11comp_targetILNS1_3genE3ELNS1_11target_archE908ELNS1_3gpuE7ELNS1_3repE0EEENS1_30default_config_static_selectorELNS0_4arch9wavefront6targetE0EEEvT1_.num_vgpr, 0
	.set _ZN7rocprim17ROCPRIM_400000_NS6detail17trampoline_kernelINS0_14default_configENS1_20scan_config_selectorIN3c104HalfEEEZZNS1_9scan_implILNS1_25lookback_scan_determinismE0ELb0ELb0ES3_PKS6_PS6_S6_ZZZN2at6native31launch_logcumsumexp_cuda_kernelERKNSD_10TensorBaseESH_lENKUlvE_clEvENKUlvE3_clEvEUlS6_S6_E_S6_EEDaPvRmT3_T4_T5_mT6_P12ihipStream_tbENKUlT_T0_E_clISt17integral_constantIbLb1EESX_IbLb0EEEEDaST_SU_EUlST_E0_NS1_11comp_targetILNS1_3genE3ELNS1_11target_archE908ELNS1_3gpuE7ELNS1_3repE0EEENS1_30default_config_static_selectorELNS0_4arch9wavefront6targetE0EEEvT1_.num_agpr, 0
	.set _ZN7rocprim17ROCPRIM_400000_NS6detail17trampoline_kernelINS0_14default_configENS1_20scan_config_selectorIN3c104HalfEEEZZNS1_9scan_implILNS1_25lookback_scan_determinismE0ELb0ELb0ES3_PKS6_PS6_S6_ZZZN2at6native31launch_logcumsumexp_cuda_kernelERKNSD_10TensorBaseESH_lENKUlvE_clEvENKUlvE3_clEvEUlS6_S6_E_S6_EEDaPvRmT3_T4_T5_mT6_P12ihipStream_tbENKUlT_T0_E_clISt17integral_constantIbLb1EESX_IbLb0EEEEDaST_SU_EUlST_E0_NS1_11comp_targetILNS1_3genE3ELNS1_11target_archE908ELNS1_3gpuE7ELNS1_3repE0EEENS1_30default_config_static_selectorELNS0_4arch9wavefront6targetE0EEEvT1_.numbered_sgpr, 0
	.set _ZN7rocprim17ROCPRIM_400000_NS6detail17trampoline_kernelINS0_14default_configENS1_20scan_config_selectorIN3c104HalfEEEZZNS1_9scan_implILNS1_25lookback_scan_determinismE0ELb0ELb0ES3_PKS6_PS6_S6_ZZZN2at6native31launch_logcumsumexp_cuda_kernelERKNSD_10TensorBaseESH_lENKUlvE_clEvENKUlvE3_clEvEUlS6_S6_E_S6_EEDaPvRmT3_T4_T5_mT6_P12ihipStream_tbENKUlT_T0_E_clISt17integral_constantIbLb1EESX_IbLb0EEEEDaST_SU_EUlST_E0_NS1_11comp_targetILNS1_3genE3ELNS1_11target_archE908ELNS1_3gpuE7ELNS1_3repE0EEENS1_30default_config_static_selectorELNS0_4arch9wavefront6targetE0EEEvT1_.num_named_barrier, 0
	.set _ZN7rocprim17ROCPRIM_400000_NS6detail17trampoline_kernelINS0_14default_configENS1_20scan_config_selectorIN3c104HalfEEEZZNS1_9scan_implILNS1_25lookback_scan_determinismE0ELb0ELb0ES3_PKS6_PS6_S6_ZZZN2at6native31launch_logcumsumexp_cuda_kernelERKNSD_10TensorBaseESH_lENKUlvE_clEvENKUlvE3_clEvEUlS6_S6_E_S6_EEDaPvRmT3_T4_T5_mT6_P12ihipStream_tbENKUlT_T0_E_clISt17integral_constantIbLb1EESX_IbLb0EEEEDaST_SU_EUlST_E0_NS1_11comp_targetILNS1_3genE3ELNS1_11target_archE908ELNS1_3gpuE7ELNS1_3repE0EEENS1_30default_config_static_selectorELNS0_4arch9wavefront6targetE0EEEvT1_.private_seg_size, 0
	.set _ZN7rocprim17ROCPRIM_400000_NS6detail17trampoline_kernelINS0_14default_configENS1_20scan_config_selectorIN3c104HalfEEEZZNS1_9scan_implILNS1_25lookback_scan_determinismE0ELb0ELb0ES3_PKS6_PS6_S6_ZZZN2at6native31launch_logcumsumexp_cuda_kernelERKNSD_10TensorBaseESH_lENKUlvE_clEvENKUlvE3_clEvEUlS6_S6_E_S6_EEDaPvRmT3_T4_T5_mT6_P12ihipStream_tbENKUlT_T0_E_clISt17integral_constantIbLb1EESX_IbLb0EEEEDaST_SU_EUlST_E0_NS1_11comp_targetILNS1_3genE3ELNS1_11target_archE908ELNS1_3gpuE7ELNS1_3repE0EEENS1_30default_config_static_selectorELNS0_4arch9wavefront6targetE0EEEvT1_.uses_vcc, 0
	.set _ZN7rocprim17ROCPRIM_400000_NS6detail17trampoline_kernelINS0_14default_configENS1_20scan_config_selectorIN3c104HalfEEEZZNS1_9scan_implILNS1_25lookback_scan_determinismE0ELb0ELb0ES3_PKS6_PS6_S6_ZZZN2at6native31launch_logcumsumexp_cuda_kernelERKNSD_10TensorBaseESH_lENKUlvE_clEvENKUlvE3_clEvEUlS6_S6_E_S6_EEDaPvRmT3_T4_T5_mT6_P12ihipStream_tbENKUlT_T0_E_clISt17integral_constantIbLb1EESX_IbLb0EEEEDaST_SU_EUlST_E0_NS1_11comp_targetILNS1_3genE3ELNS1_11target_archE908ELNS1_3gpuE7ELNS1_3repE0EEENS1_30default_config_static_selectorELNS0_4arch9wavefront6targetE0EEEvT1_.uses_flat_scratch, 0
	.set _ZN7rocprim17ROCPRIM_400000_NS6detail17trampoline_kernelINS0_14default_configENS1_20scan_config_selectorIN3c104HalfEEEZZNS1_9scan_implILNS1_25lookback_scan_determinismE0ELb0ELb0ES3_PKS6_PS6_S6_ZZZN2at6native31launch_logcumsumexp_cuda_kernelERKNSD_10TensorBaseESH_lENKUlvE_clEvENKUlvE3_clEvEUlS6_S6_E_S6_EEDaPvRmT3_T4_T5_mT6_P12ihipStream_tbENKUlT_T0_E_clISt17integral_constantIbLb1EESX_IbLb0EEEEDaST_SU_EUlST_E0_NS1_11comp_targetILNS1_3genE3ELNS1_11target_archE908ELNS1_3gpuE7ELNS1_3repE0EEENS1_30default_config_static_selectorELNS0_4arch9wavefront6targetE0EEEvT1_.has_dyn_sized_stack, 0
	.set _ZN7rocprim17ROCPRIM_400000_NS6detail17trampoline_kernelINS0_14default_configENS1_20scan_config_selectorIN3c104HalfEEEZZNS1_9scan_implILNS1_25lookback_scan_determinismE0ELb0ELb0ES3_PKS6_PS6_S6_ZZZN2at6native31launch_logcumsumexp_cuda_kernelERKNSD_10TensorBaseESH_lENKUlvE_clEvENKUlvE3_clEvEUlS6_S6_E_S6_EEDaPvRmT3_T4_T5_mT6_P12ihipStream_tbENKUlT_T0_E_clISt17integral_constantIbLb1EESX_IbLb0EEEEDaST_SU_EUlST_E0_NS1_11comp_targetILNS1_3genE3ELNS1_11target_archE908ELNS1_3gpuE7ELNS1_3repE0EEENS1_30default_config_static_selectorELNS0_4arch9wavefront6targetE0EEEvT1_.has_recursion, 0
	.set _ZN7rocprim17ROCPRIM_400000_NS6detail17trampoline_kernelINS0_14default_configENS1_20scan_config_selectorIN3c104HalfEEEZZNS1_9scan_implILNS1_25lookback_scan_determinismE0ELb0ELb0ES3_PKS6_PS6_S6_ZZZN2at6native31launch_logcumsumexp_cuda_kernelERKNSD_10TensorBaseESH_lENKUlvE_clEvENKUlvE3_clEvEUlS6_S6_E_S6_EEDaPvRmT3_T4_T5_mT6_P12ihipStream_tbENKUlT_T0_E_clISt17integral_constantIbLb1EESX_IbLb0EEEEDaST_SU_EUlST_E0_NS1_11comp_targetILNS1_3genE3ELNS1_11target_archE908ELNS1_3gpuE7ELNS1_3repE0EEENS1_30default_config_static_selectorELNS0_4arch9wavefront6targetE0EEEvT1_.has_indirect_call, 0
	.section	.AMDGPU.csdata,"",@progbits
; Kernel info:
; codeLenInByte = 0
; TotalNumSgprs: 0
; NumVgprs: 0
; ScratchSize: 0
; MemoryBound: 0
; FloatMode: 240
; IeeeMode: 1
; LDSByteSize: 0 bytes/workgroup (compile time only)
; SGPRBlocks: 0
; VGPRBlocks: 0
; NumSGPRsForWavesPerEU: 1
; NumVGPRsForWavesPerEU: 1
; Occupancy: 16
; WaveLimiterHint : 0
; COMPUTE_PGM_RSRC2:SCRATCH_EN: 0
; COMPUTE_PGM_RSRC2:USER_SGPR: 6
; COMPUTE_PGM_RSRC2:TRAP_HANDLER: 0
; COMPUTE_PGM_RSRC2:TGID_X_EN: 1
; COMPUTE_PGM_RSRC2:TGID_Y_EN: 0
; COMPUTE_PGM_RSRC2:TGID_Z_EN: 0
; COMPUTE_PGM_RSRC2:TIDIG_COMP_CNT: 0
	.section	.text._ZN7rocprim17ROCPRIM_400000_NS6detail17trampoline_kernelINS0_14default_configENS1_20scan_config_selectorIN3c104HalfEEEZZNS1_9scan_implILNS1_25lookback_scan_determinismE0ELb0ELb0ES3_PKS6_PS6_S6_ZZZN2at6native31launch_logcumsumexp_cuda_kernelERKNSD_10TensorBaseESH_lENKUlvE_clEvENKUlvE3_clEvEUlS6_S6_E_S6_EEDaPvRmT3_T4_T5_mT6_P12ihipStream_tbENKUlT_T0_E_clISt17integral_constantIbLb1EESX_IbLb0EEEEDaST_SU_EUlST_E0_NS1_11comp_targetILNS1_3genE2ELNS1_11target_archE906ELNS1_3gpuE6ELNS1_3repE0EEENS1_30default_config_static_selectorELNS0_4arch9wavefront6targetE0EEEvT1_,"axG",@progbits,_ZN7rocprim17ROCPRIM_400000_NS6detail17trampoline_kernelINS0_14default_configENS1_20scan_config_selectorIN3c104HalfEEEZZNS1_9scan_implILNS1_25lookback_scan_determinismE0ELb0ELb0ES3_PKS6_PS6_S6_ZZZN2at6native31launch_logcumsumexp_cuda_kernelERKNSD_10TensorBaseESH_lENKUlvE_clEvENKUlvE3_clEvEUlS6_S6_E_S6_EEDaPvRmT3_T4_T5_mT6_P12ihipStream_tbENKUlT_T0_E_clISt17integral_constantIbLb1EESX_IbLb0EEEEDaST_SU_EUlST_E0_NS1_11comp_targetILNS1_3genE2ELNS1_11target_archE906ELNS1_3gpuE6ELNS1_3repE0EEENS1_30default_config_static_selectorELNS0_4arch9wavefront6targetE0EEEvT1_,comdat
	.globl	_ZN7rocprim17ROCPRIM_400000_NS6detail17trampoline_kernelINS0_14default_configENS1_20scan_config_selectorIN3c104HalfEEEZZNS1_9scan_implILNS1_25lookback_scan_determinismE0ELb0ELb0ES3_PKS6_PS6_S6_ZZZN2at6native31launch_logcumsumexp_cuda_kernelERKNSD_10TensorBaseESH_lENKUlvE_clEvENKUlvE3_clEvEUlS6_S6_E_S6_EEDaPvRmT3_T4_T5_mT6_P12ihipStream_tbENKUlT_T0_E_clISt17integral_constantIbLb1EESX_IbLb0EEEEDaST_SU_EUlST_E0_NS1_11comp_targetILNS1_3genE2ELNS1_11target_archE906ELNS1_3gpuE6ELNS1_3repE0EEENS1_30default_config_static_selectorELNS0_4arch9wavefront6targetE0EEEvT1_ ; -- Begin function _ZN7rocprim17ROCPRIM_400000_NS6detail17trampoline_kernelINS0_14default_configENS1_20scan_config_selectorIN3c104HalfEEEZZNS1_9scan_implILNS1_25lookback_scan_determinismE0ELb0ELb0ES3_PKS6_PS6_S6_ZZZN2at6native31launch_logcumsumexp_cuda_kernelERKNSD_10TensorBaseESH_lENKUlvE_clEvENKUlvE3_clEvEUlS6_S6_E_S6_EEDaPvRmT3_T4_T5_mT6_P12ihipStream_tbENKUlT_T0_E_clISt17integral_constantIbLb1EESX_IbLb0EEEEDaST_SU_EUlST_E0_NS1_11comp_targetILNS1_3genE2ELNS1_11target_archE906ELNS1_3gpuE6ELNS1_3repE0EEENS1_30default_config_static_selectorELNS0_4arch9wavefront6targetE0EEEvT1_
	.p2align	8
	.type	_ZN7rocprim17ROCPRIM_400000_NS6detail17trampoline_kernelINS0_14default_configENS1_20scan_config_selectorIN3c104HalfEEEZZNS1_9scan_implILNS1_25lookback_scan_determinismE0ELb0ELb0ES3_PKS6_PS6_S6_ZZZN2at6native31launch_logcumsumexp_cuda_kernelERKNSD_10TensorBaseESH_lENKUlvE_clEvENKUlvE3_clEvEUlS6_S6_E_S6_EEDaPvRmT3_T4_T5_mT6_P12ihipStream_tbENKUlT_T0_E_clISt17integral_constantIbLb1EESX_IbLb0EEEEDaST_SU_EUlST_E0_NS1_11comp_targetILNS1_3genE2ELNS1_11target_archE906ELNS1_3gpuE6ELNS1_3repE0EEENS1_30default_config_static_selectorELNS0_4arch9wavefront6targetE0EEEvT1_,@function
_ZN7rocprim17ROCPRIM_400000_NS6detail17trampoline_kernelINS0_14default_configENS1_20scan_config_selectorIN3c104HalfEEEZZNS1_9scan_implILNS1_25lookback_scan_determinismE0ELb0ELb0ES3_PKS6_PS6_S6_ZZZN2at6native31launch_logcumsumexp_cuda_kernelERKNSD_10TensorBaseESH_lENKUlvE_clEvENKUlvE3_clEvEUlS6_S6_E_S6_EEDaPvRmT3_T4_T5_mT6_P12ihipStream_tbENKUlT_T0_E_clISt17integral_constantIbLb1EESX_IbLb0EEEEDaST_SU_EUlST_E0_NS1_11comp_targetILNS1_3genE2ELNS1_11target_archE906ELNS1_3gpuE6ELNS1_3repE0EEENS1_30default_config_static_selectorELNS0_4arch9wavefront6targetE0EEEvT1_: ; @_ZN7rocprim17ROCPRIM_400000_NS6detail17trampoline_kernelINS0_14default_configENS1_20scan_config_selectorIN3c104HalfEEEZZNS1_9scan_implILNS1_25lookback_scan_determinismE0ELb0ELb0ES3_PKS6_PS6_S6_ZZZN2at6native31launch_logcumsumexp_cuda_kernelERKNSD_10TensorBaseESH_lENKUlvE_clEvENKUlvE3_clEvEUlS6_S6_E_S6_EEDaPvRmT3_T4_T5_mT6_P12ihipStream_tbENKUlT_T0_E_clISt17integral_constantIbLb1EESX_IbLb0EEEEDaST_SU_EUlST_E0_NS1_11comp_targetILNS1_3genE2ELNS1_11target_archE906ELNS1_3gpuE6ELNS1_3repE0EEENS1_30default_config_static_selectorELNS0_4arch9wavefront6targetE0EEEvT1_
; %bb.0:
	.section	.rodata,"a",@progbits
	.p2align	6, 0x0
	.amdhsa_kernel _ZN7rocprim17ROCPRIM_400000_NS6detail17trampoline_kernelINS0_14default_configENS1_20scan_config_selectorIN3c104HalfEEEZZNS1_9scan_implILNS1_25lookback_scan_determinismE0ELb0ELb0ES3_PKS6_PS6_S6_ZZZN2at6native31launch_logcumsumexp_cuda_kernelERKNSD_10TensorBaseESH_lENKUlvE_clEvENKUlvE3_clEvEUlS6_S6_E_S6_EEDaPvRmT3_T4_T5_mT6_P12ihipStream_tbENKUlT_T0_E_clISt17integral_constantIbLb1EESX_IbLb0EEEEDaST_SU_EUlST_E0_NS1_11comp_targetILNS1_3genE2ELNS1_11target_archE906ELNS1_3gpuE6ELNS1_3repE0EEENS1_30default_config_static_selectorELNS0_4arch9wavefront6targetE0EEEvT1_
		.amdhsa_group_segment_fixed_size 0
		.amdhsa_private_segment_fixed_size 0
		.amdhsa_kernarg_size 32
		.amdhsa_user_sgpr_count 6
		.amdhsa_user_sgpr_private_segment_buffer 1
		.amdhsa_user_sgpr_dispatch_ptr 0
		.amdhsa_user_sgpr_queue_ptr 0
		.amdhsa_user_sgpr_kernarg_segment_ptr 1
		.amdhsa_user_sgpr_dispatch_id 0
		.amdhsa_user_sgpr_flat_scratch_init 0
		.amdhsa_user_sgpr_private_segment_size 0
		.amdhsa_wavefront_size32 1
		.amdhsa_uses_dynamic_stack 0
		.amdhsa_system_sgpr_private_segment_wavefront_offset 0
		.amdhsa_system_sgpr_workgroup_id_x 1
		.amdhsa_system_sgpr_workgroup_id_y 0
		.amdhsa_system_sgpr_workgroup_id_z 0
		.amdhsa_system_sgpr_workgroup_info 0
		.amdhsa_system_vgpr_workitem_id 0
		.amdhsa_next_free_vgpr 1
		.amdhsa_next_free_sgpr 1
		.amdhsa_reserve_vcc 0
		.amdhsa_reserve_flat_scratch 0
		.amdhsa_float_round_mode_32 0
		.amdhsa_float_round_mode_16_64 0
		.amdhsa_float_denorm_mode_32 3
		.amdhsa_float_denorm_mode_16_64 3
		.amdhsa_dx10_clamp 1
		.amdhsa_ieee_mode 1
		.amdhsa_fp16_overflow 0
		.amdhsa_workgroup_processor_mode 1
		.amdhsa_memory_ordered 1
		.amdhsa_forward_progress 1
		.amdhsa_shared_vgpr_count 0
		.amdhsa_exception_fp_ieee_invalid_op 0
		.amdhsa_exception_fp_denorm_src 0
		.amdhsa_exception_fp_ieee_div_zero 0
		.amdhsa_exception_fp_ieee_overflow 0
		.amdhsa_exception_fp_ieee_underflow 0
		.amdhsa_exception_fp_ieee_inexact 0
		.amdhsa_exception_int_div_zero 0
	.end_amdhsa_kernel
	.section	.text._ZN7rocprim17ROCPRIM_400000_NS6detail17trampoline_kernelINS0_14default_configENS1_20scan_config_selectorIN3c104HalfEEEZZNS1_9scan_implILNS1_25lookback_scan_determinismE0ELb0ELb0ES3_PKS6_PS6_S6_ZZZN2at6native31launch_logcumsumexp_cuda_kernelERKNSD_10TensorBaseESH_lENKUlvE_clEvENKUlvE3_clEvEUlS6_S6_E_S6_EEDaPvRmT3_T4_T5_mT6_P12ihipStream_tbENKUlT_T0_E_clISt17integral_constantIbLb1EESX_IbLb0EEEEDaST_SU_EUlST_E0_NS1_11comp_targetILNS1_3genE2ELNS1_11target_archE906ELNS1_3gpuE6ELNS1_3repE0EEENS1_30default_config_static_selectorELNS0_4arch9wavefront6targetE0EEEvT1_,"axG",@progbits,_ZN7rocprim17ROCPRIM_400000_NS6detail17trampoline_kernelINS0_14default_configENS1_20scan_config_selectorIN3c104HalfEEEZZNS1_9scan_implILNS1_25lookback_scan_determinismE0ELb0ELb0ES3_PKS6_PS6_S6_ZZZN2at6native31launch_logcumsumexp_cuda_kernelERKNSD_10TensorBaseESH_lENKUlvE_clEvENKUlvE3_clEvEUlS6_S6_E_S6_EEDaPvRmT3_T4_T5_mT6_P12ihipStream_tbENKUlT_T0_E_clISt17integral_constantIbLb1EESX_IbLb0EEEEDaST_SU_EUlST_E0_NS1_11comp_targetILNS1_3genE2ELNS1_11target_archE906ELNS1_3gpuE6ELNS1_3repE0EEENS1_30default_config_static_selectorELNS0_4arch9wavefront6targetE0EEEvT1_,comdat
.Lfunc_end410:
	.size	_ZN7rocprim17ROCPRIM_400000_NS6detail17trampoline_kernelINS0_14default_configENS1_20scan_config_selectorIN3c104HalfEEEZZNS1_9scan_implILNS1_25lookback_scan_determinismE0ELb0ELb0ES3_PKS6_PS6_S6_ZZZN2at6native31launch_logcumsumexp_cuda_kernelERKNSD_10TensorBaseESH_lENKUlvE_clEvENKUlvE3_clEvEUlS6_S6_E_S6_EEDaPvRmT3_T4_T5_mT6_P12ihipStream_tbENKUlT_T0_E_clISt17integral_constantIbLb1EESX_IbLb0EEEEDaST_SU_EUlST_E0_NS1_11comp_targetILNS1_3genE2ELNS1_11target_archE906ELNS1_3gpuE6ELNS1_3repE0EEENS1_30default_config_static_selectorELNS0_4arch9wavefront6targetE0EEEvT1_, .Lfunc_end410-_ZN7rocprim17ROCPRIM_400000_NS6detail17trampoline_kernelINS0_14default_configENS1_20scan_config_selectorIN3c104HalfEEEZZNS1_9scan_implILNS1_25lookback_scan_determinismE0ELb0ELb0ES3_PKS6_PS6_S6_ZZZN2at6native31launch_logcumsumexp_cuda_kernelERKNSD_10TensorBaseESH_lENKUlvE_clEvENKUlvE3_clEvEUlS6_S6_E_S6_EEDaPvRmT3_T4_T5_mT6_P12ihipStream_tbENKUlT_T0_E_clISt17integral_constantIbLb1EESX_IbLb0EEEEDaST_SU_EUlST_E0_NS1_11comp_targetILNS1_3genE2ELNS1_11target_archE906ELNS1_3gpuE6ELNS1_3repE0EEENS1_30default_config_static_selectorELNS0_4arch9wavefront6targetE0EEEvT1_
                                        ; -- End function
	.set _ZN7rocprim17ROCPRIM_400000_NS6detail17trampoline_kernelINS0_14default_configENS1_20scan_config_selectorIN3c104HalfEEEZZNS1_9scan_implILNS1_25lookback_scan_determinismE0ELb0ELb0ES3_PKS6_PS6_S6_ZZZN2at6native31launch_logcumsumexp_cuda_kernelERKNSD_10TensorBaseESH_lENKUlvE_clEvENKUlvE3_clEvEUlS6_S6_E_S6_EEDaPvRmT3_T4_T5_mT6_P12ihipStream_tbENKUlT_T0_E_clISt17integral_constantIbLb1EESX_IbLb0EEEEDaST_SU_EUlST_E0_NS1_11comp_targetILNS1_3genE2ELNS1_11target_archE906ELNS1_3gpuE6ELNS1_3repE0EEENS1_30default_config_static_selectorELNS0_4arch9wavefront6targetE0EEEvT1_.num_vgpr, 0
	.set _ZN7rocprim17ROCPRIM_400000_NS6detail17trampoline_kernelINS0_14default_configENS1_20scan_config_selectorIN3c104HalfEEEZZNS1_9scan_implILNS1_25lookback_scan_determinismE0ELb0ELb0ES3_PKS6_PS6_S6_ZZZN2at6native31launch_logcumsumexp_cuda_kernelERKNSD_10TensorBaseESH_lENKUlvE_clEvENKUlvE3_clEvEUlS6_S6_E_S6_EEDaPvRmT3_T4_T5_mT6_P12ihipStream_tbENKUlT_T0_E_clISt17integral_constantIbLb1EESX_IbLb0EEEEDaST_SU_EUlST_E0_NS1_11comp_targetILNS1_3genE2ELNS1_11target_archE906ELNS1_3gpuE6ELNS1_3repE0EEENS1_30default_config_static_selectorELNS0_4arch9wavefront6targetE0EEEvT1_.num_agpr, 0
	.set _ZN7rocprim17ROCPRIM_400000_NS6detail17trampoline_kernelINS0_14default_configENS1_20scan_config_selectorIN3c104HalfEEEZZNS1_9scan_implILNS1_25lookback_scan_determinismE0ELb0ELb0ES3_PKS6_PS6_S6_ZZZN2at6native31launch_logcumsumexp_cuda_kernelERKNSD_10TensorBaseESH_lENKUlvE_clEvENKUlvE3_clEvEUlS6_S6_E_S6_EEDaPvRmT3_T4_T5_mT6_P12ihipStream_tbENKUlT_T0_E_clISt17integral_constantIbLb1EESX_IbLb0EEEEDaST_SU_EUlST_E0_NS1_11comp_targetILNS1_3genE2ELNS1_11target_archE906ELNS1_3gpuE6ELNS1_3repE0EEENS1_30default_config_static_selectorELNS0_4arch9wavefront6targetE0EEEvT1_.numbered_sgpr, 0
	.set _ZN7rocprim17ROCPRIM_400000_NS6detail17trampoline_kernelINS0_14default_configENS1_20scan_config_selectorIN3c104HalfEEEZZNS1_9scan_implILNS1_25lookback_scan_determinismE0ELb0ELb0ES3_PKS6_PS6_S6_ZZZN2at6native31launch_logcumsumexp_cuda_kernelERKNSD_10TensorBaseESH_lENKUlvE_clEvENKUlvE3_clEvEUlS6_S6_E_S6_EEDaPvRmT3_T4_T5_mT6_P12ihipStream_tbENKUlT_T0_E_clISt17integral_constantIbLb1EESX_IbLb0EEEEDaST_SU_EUlST_E0_NS1_11comp_targetILNS1_3genE2ELNS1_11target_archE906ELNS1_3gpuE6ELNS1_3repE0EEENS1_30default_config_static_selectorELNS0_4arch9wavefront6targetE0EEEvT1_.num_named_barrier, 0
	.set _ZN7rocprim17ROCPRIM_400000_NS6detail17trampoline_kernelINS0_14default_configENS1_20scan_config_selectorIN3c104HalfEEEZZNS1_9scan_implILNS1_25lookback_scan_determinismE0ELb0ELb0ES3_PKS6_PS6_S6_ZZZN2at6native31launch_logcumsumexp_cuda_kernelERKNSD_10TensorBaseESH_lENKUlvE_clEvENKUlvE3_clEvEUlS6_S6_E_S6_EEDaPvRmT3_T4_T5_mT6_P12ihipStream_tbENKUlT_T0_E_clISt17integral_constantIbLb1EESX_IbLb0EEEEDaST_SU_EUlST_E0_NS1_11comp_targetILNS1_3genE2ELNS1_11target_archE906ELNS1_3gpuE6ELNS1_3repE0EEENS1_30default_config_static_selectorELNS0_4arch9wavefront6targetE0EEEvT1_.private_seg_size, 0
	.set _ZN7rocprim17ROCPRIM_400000_NS6detail17trampoline_kernelINS0_14default_configENS1_20scan_config_selectorIN3c104HalfEEEZZNS1_9scan_implILNS1_25lookback_scan_determinismE0ELb0ELb0ES3_PKS6_PS6_S6_ZZZN2at6native31launch_logcumsumexp_cuda_kernelERKNSD_10TensorBaseESH_lENKUlvE_clEvENKUlvE3_clEvEUlS6_S6_E_S6_EEDaPvRmT3_T4_T5_mT6_P12ihipStream_tbENKUlT_T0_E_clISt17integral_constantIbLb1EESX_IbLb0EEEEDaST_SU_EUlST_E0_NS1_11comp_targetILNS1_3genE2ELNS1_11target_archE906ELNS1_3gpuE6ELNS1_3repE0EEENS1_30default_config_static_selectorELNS0_4arch9wavefront6targetE0EEEvT1_.uses_vcc, 0
	.set _ZN7rocprim17ROCPRIM_400000_NS6detail17trampoline_kernelINS0_14default_configENS1_20scan_config_selectorIN3c104HalfEEEZZNS1_9scan_implILNS1_25lookback_scan_determinismE0ELb0ELb0ES3_PKS6_PS6_S6_ZZZN2at6native31launch_logcumsumexp_cuda_kernelERKNSD_10TensorBaseESH_lENKUlvE_clEvENKUlvE3_clEvEUlS6_S6_E_S6_EEDaPvRmT3_T4_T5_mT6_P12ihipStream_tbENKUlT_T0_E_clISt17integral_constantIbLb1EESX_IbLb0EEEEDaST_SU_EUlST_E0_NS1_11comp_targetILNS1_3genE2ELNS1_11target_archE906ELNS1_3gpuE6ELNS1_3repE0EEENS1_30default_config_static_selectorELNS0_4arch9wavefront6targetE0EEEvT1_.uses_flat_scratch, 0
	.set _ZN7rocprim17ROCPRIM_400000_NS6detail17trampoline_kernelINS0_14default_configENS1_20scan_config_selectorIN3c104HalfEEEZZNS1_9scan_implILNS1_25lookback_scan_determinismE0ELb0ELb0ES3_PKS6_PS6_S6_ZZZN2at6native31launch_logcumsumexp_cuda_kernelERKNSD_10TensorBaseESH_lENKUlvE_clEvENKUlvE3_clEvEUlS6_S6_E_S6_EEDaPvRmT3_T4_T5_mT6_P12ihipStream_tbENKUlT_T0_E_clISt17integral_constantIbLb1EESX_IbLb0EEEEDaST_SU_EUlST_E0_NS1_11comp_targetILNS1_3genE2ELNS1_11target_archE906ELNS1_3gpuE6ELNS1_3repE0EEENS1_30default_config_static_selectorELNS0_4arch9wavefront6targetE0EEEvT1_.has_dyn_sized_stack, 0
	.set _ZN7rocprim17ROCPRIM_400000_NS6detail17trampoline_kernelINS0_14default_configENS1_20scan_config_selectorIN3c104HalfEEEZZNS1_9scan_implILNS1_25lookback_scan_determinismE0ELb0ELb0ES3_PKS6_PS6_S6_ZZZN2at6native31launch_logcumsumexp_cuda_kernelERKNSD_10TensorBaseESH_lENKUlvE_clEvENKUlvE3_clEvEUlS6_S6_E_S6_EEDaPvRmT3_T4_T5_mT6_P12ihipStream_tbENKUlT_T0_E_clISt17integral_constantIbLb1EESX_IbLb0EEEEDaST_SU_EUlST_E0_NS1_11comp_targetILNS1_3genE2ELNS1_11target_archE906ELNS1_3gpuE6ELNS1_3repE0EEENS1_30default_config_static_selectorELNS0_4arch9wavefront6targetE0EEEvT1_.has_recursion, 0
	.set _ZN7rocprim17ROCPRIM_400000_NS6detail17trampoline_kernelINS0_14default_configENS1_20scan_config_selectorIN3c104HalfEEEZZNS1_9scan_implILNS1_25lookback_scan_determinismE0ELb0ELb0ES3_PKS6_PS6_S6_ZZZN2at6native31launch_logcumsumexp_cuda_kernelERKNSD_10TensorBaseESH_lENKUlvE_clEvENKUlvE3_clEvEUlS6_S6_E_S6_EEDaPvRmT3_T4_T5_mT6_P12ihipStream_tbENKUlT_T0_E_clISt17integral_constantIbLb1EESX_IbLb0EEEEDaST_SU_EUlST_E0_NS1_11comp_targetILNS1_3genE2ELNS1_11target_archE906ELNS1_3gpuE6ELNS1_3repE0EEENS1_30default_config_static_selectorELNS0_4arch9wavefront6targetE0EEEvT1_.has_indirect_call, 0
	.section	.AMDGPU.csdata,"",@progbits
; Kernel info:
; codeLenInByte = 0
; TotalNumSgprs: 0
; NumVgprs: 0
; ScratchSize: 0
; MemoryBound: 0
; FloatMode: 240
; IeeeMode: 1
; LDSByteSize: 0 bytes/workgroup (compile time only)
; SGPRBlocks: 0
; VGPRBlocks: 0
; NumSGPRsForWavesPerEU: 1
; NumVGPRsForWavesPerEU: 1
; Occupancy: 16
; WaveLimiterHint : 0
; COMPUTE_PGM_RSRC2:SCRATCH_EN: 0
; COMPUTE_PGM_RSRC2:USER_SGPR: 6
; COMPUTE_PGM_RSRC2:TRAP_HANDLER: 0
; COMPUTE_PGM_RSRC2:TGID_X_EN: 1
; COMPUTE_PGM_RSRC2:TGID_Y_EN: 0
; COMPUTE_PGM_RSRC2:TGID_Z_EN: 0
; COMPUTE_PGM_RSRC2:TIDIG_COMP_CNT: 0
	.section	.text._ZN7rocprim17ROCPRIM_400000_NS6detail17trampoline_kernelINS0_14default_configENS1_20scan_config_selectorIN3c104HalfEEEZZNS1_9scan_implILNS1_25lookback_scan_determinismE0ELb0ELb0ES3_PKS6_PS6_S6_ZZZN2at6native31launch_logcumsumexp_cuda_kernelERKNSD_10TensorBaseESH_lENKUlvE_clEvENKUlvE3_clEvEUlS6_S6_E_S6_EEDaPvRmT3_T4_T5_mT6_P12ihipStream_tbENKUlT_T0_E_clISt17integral_constantIbLb1EESX_IbLb0EEEEDaST_SU_EUlST_E0_NS1_11comp_targetILNS1_3genE10ELNS1_11target_archE1201ELNS1_3gpuE5ELNS1_3repE0EEENS1_30default_config_static_selectorELNS0_4arch9wavefront6targetE0EEEvT1_,"axG",@progbits,_ZN7rocprim17ROCPRIM_400000_NS6detail17trampoline_kernelINS0_14default_configENS1_20scan_config_selectorIN3c104HalfEEEZZNS1_9scan_implILNS1_25lookback_scan_determinismE0ELb0ELb0ES3_PKS6_PS6_S6_ZZZN2at6native31launch_logcumsumexp_cuda_kernelERKNSD_10TensorBaseESH_lENKUlvE_clEvENKUlvE3_clEvEUlS6_S6_E_S6_EEDaPvRmT3_T4_T5_mT6_P12ihipStream_tbENKUlT_T0_E_clISt17integral_constantIbLb1EESX_IbLb0EEEEDaST_SU_EUlST_E0_NS1_11comp_targetILNS1_3genE10ELNS1_11target_archE1201ELNS1_3gpuE5ELNS1_3repE0EEENS1_30default_config_static_selectorELNS0_4arch9wavefront6targetE0EEEvT1_,comdat
	.globl	_ZN7rocprim17ROCPRIM_400000_NS6detail17trampoline_kernelINS0_14default_configENS1_20scan_config_selectorIN3c104HalfEEEZZNS1_9scan_implILNS1_25lookback_scan_determinismE0ELb0ELb0ES3_PKS6_PS6_S6_ZZZN2at6native31launch_logcumsumexp_cuda_kernelERKNSD_10TensorBaseESH_lENKUlvE_clEvENKUlvE3_clEvEUlS6_S6_E_S6_EEDaPvRmT3_T4_T5_mT6_P12ihipStream_tbENKUlT_T0_E_clISt17integral_constantIbLb1EESX_IbLb0EEEEDaST_SU_EUlST_E0_NS1_11comp_targetILNS1_3genE10ELNS1_11target_archE1201ELNS1_3gpuE5ELNS1_3repE0EEENS1_30default_config_static_selectorELNS0_4arch9wavefront6targetE0EEEvT1_ ; -- Begin function _ZN7rocprim17ROCPRIM_400000_NS6detail17trampoline_kernelINS0_14default_configENS1_20scan_config_selectorIN3c104HalfEEEZZNS1_9scan_implILNS1_25lookback_scan_determinismE0ELb0ELb0ES3_PKS6_PS6_S6_ZZZN2at6native31launch_logcumsumexp_cuda_kernelERKNSD_10TensorBaseESH_lENKUlvE_clEvENKUlvE3_clEvEUlS6_S6_E_S6_EEDaPvRmT3_T4_T5_mT6_P12ihipStream_tbENKUlT_T0_E_clISt17integral_constantIbLb1EESX_IbLb0EEEEDaST_SU_EUlST_E0_NS1_11comp_targetILNS1_3genE10ELNS1_11target_archE1201ELNS1_3gpuE5ELNS1_3repE0EEENS1_30default_config_static_selectorELNS0_4arch9wavefront6targetE0EEEvT1_
	.p2align	8
	.type	_ZN7rocprim17ROCPRIM_400000_NS6detail17trampoline_kernelINS0_14default_configENS1_20scan_config_selectorIN3c104HalfEEEZZNS1_9scan_implILNS1_25lookback_scan_determinismE0ELb0ELb0ES3_PKS6_PS6_S6_ZZZN2at6native31launch_logcumsumexp_cuda_kernelERKNSD_10TensorBaseESH_lENKUlvE_clEvENKUlvE3_clEvEUlS6_S6_E_S6_EEDaPvRmT3_T4_T5_mT6_P12ihipStream_tbENKUlT_T0_E_clISt17integral_constantIbLb1EESX_IbLb0EEEEDaST_SU_EUlST_E0_NS1_11comp_targetILNS1_3genE10ELNS1_11target_archE1201ELNS1_3gpuE5ELNS1_3repE0EEENS1_30default_config_static_selectorELNS0_4arch9wavefront6targetE0EEEvT1_,@function
_ZN7rocprim17ROCPRIM_400000_NS6detail17trampoline_kernelINS0_14default_configENS1_20scan_config_selectorIN3c104HalfEEEZZNS1_9scan_implILNS1_25lookback_scan_determinismE0ELb0ELb0ES3_PKS6_PS6_S6_ZZZN2at6native31launch_logcumsumexp_cuda_kernelERKNSD_10TensorBaseESH_lENKUlvE_clEvENKUlvE3_clEvEUlS6_S6_E_S6_EEDaPvRmT3_T4_T5_mT6_P12ihipStream_tbENKUlT_T0_E_clISt17integral_constantIbLb1EESX_IbLb0EEEEDaST_SU_EUlST_E0_NS1_11comp_targetILNS1_3genE10ELNS1_11target_archE1201ELNS1_3gpuE5ELNS1_3repE0EEENS1_30default_config_static_selectorELNS0_4arch9wavefront6targetE0EEEvT1_: ; @_ZN7rocprim17ROCPRIM_400000_NS6detail17trampoline_kernelINS0_14default_configENS1_20scan_config_selectorIN3c104HalfEEEZZNS1_9scan_implILNS1_25lookback_scan_determinismE0ELb0ELb0ES3_PKS6_PS6_S6_ZZZN2at6native31launch_logcumsumexp_cuda_kernelERKNSD_10TensorBaseESH_lENKUlvE_clEvENKUlvE3_clEvEUlS6_S6_E_S6_EEDaPvRmT3_T4_T5_mT6_P12ihipStream_tbENKUlT_T0_E_clISt17integral_constantIbLb1EESX_IbLb0EEEEDaST_SU_EUlST_E0_NS1_11comp_targetILNS1_3genE10ELNS1_11target_archE1201ELNS1_3gpuE5ELNS1_3repE0EEENS1_30default_config_static_selectorELNS0_4arch9wavefront6targetE0EEEvT1_
; %bb.0:
	.section	.rodata,"a",@progbits
	.p2align	6, 0x0
	.amdhsa_kernel _ZN7rocprim17ROCPRIM_400000_NS6detail17trampoline_kernelINS0_14default_configENS1_20scan_config_selectorIN3c104HalfEEEZZNS1_9scan_implILNS1_25lookback_scan_determinismE0ELb0ELb0ES3_PKS6_PS6_S6_ZZZN2at6native31launch_logcumsumexp_cuda_kernelERKNSD_10TensorBaseESH_lENKUlvE_clEvENKUlvE3_clEvEUlS6_S6_E_S6_EEDaPvRmT3_T4_T5_mT6_P12ihipStream_tbENKUlT_T0_E_clISt17integral_constantIbLb1EESX_IbLb0EEEEDaST_SU_EUlST_E0_NS1_11comp_targetILNS1_3genE10ELNS1_11target_archE1201ELNS1_3gpuE5ELNS1_3repE0EEENS1_30default_config_static_selectorELNS0_4arch9wavefront6targetE0EEEvT1_
		.amdhsa_group_segment_fixed_size 0
		.amdhsa_private_segment_fixed_size 0
		.amdhsa_kernarg_size 32
		.amdhsa_user_sgpr_count 6
		.amdhsa_user_sgpr_private_segment_buffer 1
		.amdhsa_user_sgpr_dispatch_ptr 0
		.amdhsa_user_sgpr_queue_ptr 0
		.amdhsa_user_sgpr_kernarg_segment_ptr 1
		.amdhsa_user_sgpr_dispatch_id 0
		.amdhsa_user_sgpr_flat_scratch_init 0
		.amdhsa_user_sgpr_private_segment_size 0
		.amdhsa_wavefront_size32 1
		.amdhsa_uses_dynamic_stack 0
		.amdhsa_system_sgpr_private_segment_wavefront_offset 0
		.amdhsa_system_sgpr_workgroup_id_x 1
		.amdhsa_system_sgpr_workgroup_id_y 0
		.amdhsa_system_sgpr_workgroup_id_z 0
		.amdhsa_system_sgpr_workgroup_info 0
		.amdhsa_system_vgpr_workitem_id 0
		.amdhsa_next_free_vgpr 1
		.amdhsa_next_free_sgpr 1
		.amdhsa_reserve_vcc 0
		.amdhsa_reserve_flat_scratch 0
		.amdhsa_float_round_mode_32 0
		.amdhsa_float_round_mode_16_64 0
		.amdhsa_float_denorm_mode_32 3
		.amdhsa_float_denorm_mode_16_64 3
		.amdhsa_dx10_clamp 1
		.amdhsa_ieee_mode 1
		.amdhsa_fp16_overflow 0
		.amdhsa_workgroup_processor_mode 1
		.amdhsa_memory_ordered 1
		.amdhsa_forward_progress 1
		.amdhsa_shared_vgpr_count 0
		.amdhsa_exception_fp_ieee_invalid_op 0
		.amdhsa_exception_fp_denorm_src 0
		.amdhsa_exception_fp_ieee_div_zero 0
		.amdhsa_exception_fp_ieee_overflow 0
		.amdhsa_exception_fp_ieee_underflow 0
		.amdhsa_exception_fp_ieee_inexact 0
		.amdhsa_exception_int_div_zero 0
	.end_amdhsa_kernel
	.section	.text._ZN7rocprim17ROCPRIM_400000_NS6detail17trampoline_kernelINS0_14default_configENS1_20scan_config_selectorIN3c104HalfEEEZZNS1_9scan_implILNS1_25lookback_scan_determinismE0ELb0ELb0ES3_PKS6_PS6_S6_ZZZN2at6native31launch_logcumsumexp_cuda_kernelERKNSD_10TensorBaseESH_lENKUlvE_clEvENKUlvE3_clEvEUlS6_S6_E_S6_EEDaPvRmT3_T4_T5_mT6_P12ihipStream_tbENKUlT_T0_E_clISt17integral_constantIbLb1EESX_IbLb0EEEEDaST_SU_EUlST_E0_NS1_11comp_targetILNS1_3genE10ELNS1_11target_archE1201ELNS1_3gpuE5ELNS1_3repE0EEENS1_30default_config_static_selectorELNS0_4arch9wavefront6targetE0EEEvT1_,"axG",@progbits,_ZN7rocprim17ROCPRIM_400000_NS6detail17trampoline_kernelINS0_14default_configENS1_20scan_config_selectorIN3c104HalfEEEZZNS1_9scan_implILNS1_25lookback_scan_determinismE0ELb0ELb0ES3_PKS6_PS6_S6_ZZZN2at6native31launch_logcumsumexp_cuda_kernelERKNSD_10TensorBaseESH_lENKUlvE_clEvENKUlvE3_clEvEUlS6_S6_E_S6_EEDaPvRmT3_T4_T5_mT6_P12ihipStream_tbENKUlT_T0_E_clISt17integral_constantIbLb1EESX_IbLb0EEEEDaST_SU_EUlST_E0_NS1_11comp_targetILNS1_3genE10ELNS1_11target_archE1201ELNS1_3gpuE5ELNS1_3repE0EEENS1_30default_config_static_selectorELNS0_4arch9wavefront6targetE0EEEvT1_,comdat
.Lfunc_end411:
	.size	_ZN7rocprim17ROCPRIM_400000_NS6detail17trampoline_kernelINS0_14default_configENS1_20scan_config_selectorIN3c104HalfEEEZZNS1_9scan_implILNS1_25lookback_scan_determinismE0ELb0ELb0ES3_PKS6_PS6_S6_ZZZN2at6native31launch_logcumsumexp_cuda_kernelERKNSD_10TensorBaseESH_lENKUlvE_clEvENKUlvE3_clEvEUlS6_S6_E_S6_EEDaPvRmT3_T4_T5_mT6_P12ihipStream_tbENKUlT_T0_E_clISt17integral_constantIbLb1EESX_IbLb0EEEEDaST_SU_EUlST_E0_NS1_11comp_targetILNS1_3genE10ELNS1_11target_archE1201ELNS1_3gpuE5ELNS1_3repE0EEENS1_30default_config_static_selectorELNS0_4arch9wavefront6targetE0EEEvT1_, .Lfunc_end411-_ZN7rocprim17ROCPRIM_400000_NS6detail17trampoline_kernelINS0_14default_configENS1_20scan_config_selectorIN3c104HalfEEEZZNS1_9scan_implILNS1_25lookback_scan_determinismE0ELb0ELb0ES3_PKS6_PS6_S6_ZZZN2at6native31launch_logcumsumexp_cuda_kernelERKNSD_10TensorBaseESH_lENKUlvE_clEvENKUlvE3_clEvEUlS6_S6_E_S6_EEDaPvRmT3_T4_T5_mT6_P12ihipStream_tbENKUlT_T0_E_clISt17integral_constantIbLb1EESX_IbLb0EEEEDaST_SU_EUlST_E0_NS1_11comp_targetILNS1_3genE10ELNS1_11target_archE1201ELNS1_3gpuE5ELNS1_3repE0EEENS1_30default_config_static_selectorELNS0_4arch9wavefront6targetE0EEEvT1_
                                        ; -- End function
	.set _ZN7rocprim17ROCPRIM_400000_NS6detail17trampoline_kernelINS0_14default_configENS1_20scan_config_selectorIN3c104HalfEEEZZNS1_9scan_implILNS1_25lookback_scan_determinismE0ELb0ELb0ES3_PKS6_PS6_S6_ZZZN2at6native31launch_logcumsumexp_cuda_kernelERKNSD_10TensorBaseESH_lENKUlvE_clEvENKUlvE3_clEvEUlS6_S6_E_S6_EEDaPvRmT3_T4_T5_mT6_P12ihipStream_tbENKUlT_T0_E_clISt17integral_constantIbLb1EESX_IbLb0EEEEDaST_SU_EUlST_E0_NS1_11comp_targetILNS1_3genE10ELNS1_11target_archE1201ELNS1_3gpuE5ELNS1_3repE0EEENS1_30default_config_static_selectorELNS0_4arch9wavefront6targetE0EEEvT1_.num_vgpr, 0
	.set _ZN7rocprim17ROCPRIM_400000_NS6detail17trampoline_kernelINS0_14default_configENS1_20scan_config_selectorIN3c104HalfEEEZZNS1_9scan_implILNS1_25lookback_scan_determinismE0ELb0ELb0ES3_PKS6_PS6_S6_ZZZN2at6native31launch_logcumsumexp_cuda_kernelERKNSD_10TensorBaseESH_lENKUlvE_clEvENKUlvE3_clEvEUlS6_S6_E_S6_EEDaPvRmT3_T4_T5_mT6_P12ihipStream_tbENKUlT_T0_E_clISt17integral_constantIbLb1EESX_IbLb0EEEEDaST_SU_EUlST_E0_NS1_11comp_targetILNS1_3genE10ELNS1_11target_archE1201ELNS1_3gpuE5ELNS1_3repE0EEENS1_30default_config_static_selectorELNS0_4arch9wavefront6targetE0EEEvT1_.num_agpr, 0
	.set _ZN7rocprim17ROCPRIM_400000_NS6detail17trampoline_kernelINS0_14default_configENS1_20scan_config_selectorIN3c104HalfEEEZZNS1_9scan_implILNS1_25lookback_scan_determinismE0ELb0ELb0ES3_PKS6_PS6_S6_ZZZN2at6native31launch_logcumsumexp_cuda_kernelERKNSD_10TensorBaseESH_lENKUlvE_clEvENKUlvE3_clEvEUlS6_S6_E_S6_EEDaPvRmT3_T4_T5_mT6_P12ihipStream_tbENKUlT_T0_E_clISt17integral_constantIbLb1EESX_IbLb0EEEEDaST_SU_EUlST_E0_NS1_11comp_targetILNS1_3genE10ELNS1_11target_archE1201ELNS1_3gpuE5ELNS1_3repE0EEENS1_30default_config_static_selectorELNS0_4arch9wavefront6targetE0EEEvT1_.numbered_sgpr, 0
	.set _ZN7rocprim17ROCPRIM_400000_NS6detail17trampoline_kernelINS0_14default_configENS1_20scan_config_selectorIN3c104HalfEEEZZNS1_9scan_implILNS1_25lookback_scan_determinismE0ELb0ELb0ES3_PKS6_PS6_S6_ZZZN2at6native31launch_logcumsumexp_cuda_kernelERKNSD_10TensorBaseESH_lENKUlvE_clEvENKUlvE3_clEvEUlS6_S6_E_S6_EEDaPvRmT3_T4_T5_mT6_P12ihipStream_tbENKUlT_T0_E_clISt17integral_constantIbLb1EESX_IbLb0EEEEDaST_SU_EUlST_E0_NS1_11comp_targetILNS1_3genE10ELNS1_11target_archE1201ELNS1_3gpuE5ELNS1_3repE0EEENS1_30default_config_static_selectorELNS0_4arch9wavefront6targetE0EEEvT1_.num_named_barrier, 0
	.set _ZN7rocprim17ROCPRIM_400000_NS6detail17trampoline_kernelINS0_14default_configENS1_20scan_config_selectorIN3c104HalfEEEZZNS1_9scan_implILNS1_25lookback_scan_determinismE0ELb0ELb0ES3_PKS6_PS6_S6_ZZZN2at6native31launch_logcumsumexp_cuda_kernelERKNSD_10TensorBaseESH_lENKUlvE_clEvENKUlvE3_clEvEUlS6_S6_E_S6_EEDaPvRmT3_T4_T5_mT6_P12ihipStream_tbENKUlT_T0_E_clISt17integral_constantIbLb1EESX_IbLb0EEEEDaST_SU_EUlST_E0_NS1_11comp_targetILNS1_3genE10ELNS1_11target_archE1201ELNS1_3gpuE5ELNS1_3repE0EEENS1_30default_config_static_selectorELNS0_4arch9wavefront6targetE0EEEvT1_.private_seg_size, 0
	.set _ZN7rocprim17ROCPRIM_400000_NS6detail17trampoline_kernelINS0_14default_configENS1_20scan_config_selectorIN3c104HalfEEEZZNS1_9scan_implILNS1_25lookback_scan_determinismE0ELb0ELb0ES3_PKS6_PS6_S6_ZZZN2at6native31launch_logcumsumexp_cuda_kernelERKNSD_10TensorBaseESH_lENKUlvE_clEvENKUlvE3_clEvEUlS6_S6_E_S6_EEDaPvRmT3_T4_T5_mT6_P12ihipStream_tbENKUlT_T0_E_clISt17integral_constantIbLb1EESX_IbLb0EEEEDaST_SU_EUlST_E0_NS1_11comp_targetILNS1_3genE10ELNS1_11target_archE1201ELNS1_3gpuE5ELNS1_3repE0EEENS1_30default_config_static_selectorELNS0_4arch9wavefront6targetE0EEEvT1_.uses_vcc, 0
	.set _ZN7rocprim17ROCPRIM_400000_NS6detail17trampoline_kernelINS0_14default_configENS1_20scan_config_selectorIN3c104HalfEEEZZNS1_9scan_implILNS1_25lookback_scan_determinismE0ELb0ELb0ES3_PKS6_PS6_S6_ZZZN2at6native31launch_logcumsumexp_cuda_kernelERKNSD_10TensorBaseESH_lENKUlvE_clEvENKUlvE3_clEvEUlS6_S6_E_S6_EEDaPvRmT3_T4_T5_mT6_P12ihipStream_tbENKUlT_T0_E_clISt17integral_constantIbLb1EESX_IbLb0EEEEDaST_SU_EUlST_E0_NS1_11comp_targetILNS1_3genE10ELNS1_11target_archE1201ELNS1_3gpuE5ELNS1_3repE0EEENS1_30default_config_static_selectorELNS0_4arch9wavefront6targetE0EEEvT1_.uses_flat_scratch, 0
	.set _ZN7rocprim17ROCPRIM_400000_NS6detail17trampoline_kernelINS0_14default_configENS1_20scan_config_selectorIN3c104HalfEEEZZNS1_9scan_implILNS1_25lookback_scan_determinismE0ELb0ELb0ES3_PKS6_PS6_S6_ZZZN2at6native31launch_logcumsumexp_cuda_kernelERKNSD_10TensorBaseESH_lENKUlvE_clEvENKUlvE3_clEvEUlS6_S6_E_S6_EEDaPvRmT3_T4_T5_mT6_P12ihipStream_tbENKUlT_T0_E_clISt17integral_constantIbLb1EESX_IbLb0EEEEDaST_SU_EUlST_E0_NS1_11comp_targetILNS1_3genE10ELNS1_11target_archE1201ELNS1_3gpuE5ELNS1_3repE0EEENS1_30default_config_static_selectorELNS0_4arch9wavefront6targetE0EEEvT1_.has_dyn_sized_stack, 0
	.set _ZN7rocprim17ROCPRIM_400000_NS6detail17trampoline_kernelINS0_14default_configENS1_20scan_config_selectorIN3c104HalfEEEZZNS1_9scan_implILNS1_25lookback_scan_determinismE0ELb0ELb0ES3_PKS6_PS6_S6_ZZZN2at6native31launch_logcumsumexp_cuda_kernelERKNSD_10TensorBaseESH_lENKUlvE_clEvENKUlvE3_clEvEUlS6_S6_E_S6_EEDaPvRmT3_T4_T5_mT6_P12ihipStream_tbENKUlT_T0_E_clISt17integral_constantIbLb1EESX_IbLb0EEEEDaST_SU_EUlST_E0_NS1_11comp_targetILNS1_3genE10ELNS1_11target_archE1201ELNS1_3gpuE5ELNS1_3repE0EEENS1_30default_config_static_selectorELNS0_4arch9wavefront6targetE0EEEvT1_.has_recursion, 0
	.set _ZN7rocprim17ROCPRIM_400000_NS6detail17trampoline_kernelINS0_14default_configENS1_20scan_config_selectorIN3c104HalfEEEZZNS1_9scan_implILNS1_25lookback_scan_determinismE0ELb0ELb0ES3_PKS6_PS6_S6_ZZZN2at6native31launch_logcumsumexp_cuda_kernelERKNSD_10TensorBaseESH_lENKUlvE_clEvENKUlvE3_clEvEUlS6_S6_E_S6_EEDaPvRmT3_T4_T5_mT6_P12ihipStream_tbENKUlT_T0_E_clISt17integral_constantIbLb1EESX_IbLb0EEEEDaST_SU_EUlST_E0_NS1_11comp_targetILNS1_3genE10ELNS1_11target_archE1201ELNS1_3gpuE5ELNS1_3repE0EEENS1_30default_config_static_selectorELNS0_4arch9wavefront6targetE0EEEvT1_.has_indirect_call, 0
	.section	.AMDGPU.csdata,"",@progbits
; Kernel info:
; codeLenInByte = 0
; TotalNumSgprs: 0
; NumVgprs: 0
; ScratchSize: 0
; MemoryBound: 0
; FloatMode: 240
; IeeeMode: 1
; LDSByteSize: 0 bytes/workgroup (compile time only)
; SGPRBlocks: 0
; VGPRBlocks: 0
; NumSGPRsForWavesPerEU: 1
; NumVGPRsForWavesPerEU: 1
; Occupancy: 16
; WaveLimiterHint : 0
; COMPUTE_PGM_RSRC2:SCRATCH_EN: 0
; COMPUTE_PGM_RSRC2:USER_SGPR: 6
; COMPUTE_PGM_RSRC2:TRAP_HANDLER: 0
; COMPUTE_PGM_RSRC2:TGID_X_EN: 1
; COMPUTE_PGM_RSRC2:TGID_Y_EN: 0
; COMPUTE_PGM_RSRC2:TGID_Z_EN: 0
; COMPUTE_PGM_RSRC2:TIDIG_COMP_CNT: 0
	.section	.text._ZN7rocprim17ROCPRIM_400000_NS6detail17trampoline_kernelINS0_14default_configENS1_20scan_config_selectorIN3c104HalfEEEZZNS1_9scan_implILNS1_25lookback_scan_determinismE0ELb0ELb0ES3_PKS6_PS6_S6_ZZZN2at6native31launch_logcumsumexp_cuda_kernelERKNSD_10TensorBaseESH_lENKUlvE_clEvENKUlvE3_clEvEUlS6_S6_E_S6_EEDaPvRmT3_T4_T5_mT6_P12ihipStream_tbENKUlT_T0_E_clISt17integral_constantIbLb1EESX_IbLb0EEEEDaST_SU_EUlST_E0_NS1_11comp_targetILNS1_3genE10ELNS1_11target_archE1200ELNS1_3gpuE4ELNS1_3repE0EEENS1_30default_config_static_selectorELNS0_4arch9wavefront6targetE0EEEvT1_,"axG",@progbits,_ZN7rocprim17ROCPRIM_400000_NS6detail17trampoline_kernelINS0_14default_configENS1_20scan_config_selectorIN3c104HalfEEEZZNS1_9scan_implILNS1_25lookback_scan_determinismE0ELb0ELb0ES3_PKS6_PS6_S6_ZZZN2at6native31launch_logcumsumexp_cuda_kernelERKNSD_10TensorBaseESH_lENKUlvE_clEvENKUlvE3_clEvEUlS6_S6_E_S6_EEDaPvRmT3_T4_T5_mT6_P12ihipStream_tbENKUlT_T0_E_clISt17integral_constantIbLb1EESX_IbLb0EEEEDaST_SU_EUlST_E0_NS1_11comp_targetILNS1_3genE10ELNS1_11target_archE1200ELNS1_3gpuE4ELNS1_3repE0EEENS1_30default_config_static_selectorELNS0_4arch9wavefront6targetE0EEEvT1_,comdat
	.globl	_ZN7rocprim17ROCPRIM_400000_NS6detail17trampoline_kernelINS0_14default_configENS1_20scan_config_selectorIN3c104HalfEEEZZNS1_9scan_implILNS1_25lookback_scan_determinismE0ELb0ELb0ES3_PKS6_PS6_S6_ZZZN2at6native31launch_logcumsumexp_cuda_kernelERKNSD_10TensorBaseESH_lENKUlvE_clEvENKUlvE3_clEvEUlS6_S6_E_S6_EEDaPvRmT3_T4_T5_mT6_P12ihipStream_tbENKUlT_T0_E_clISt17integral_constantIbLb1EESX_IbLb0EEEEDaST_SU_EUlST_E0_NS1_11comp_targetILNS1_3genE10ELNS1_11target_archE1200ELNS1_3gpuE4ELNS1_3repE0EEENS1_30default_config_static_selectorELNS0_4arch9wavefront6targetE0EEEvT1_ ; -- Begin function _ZN7rocprim17ROCPRIM_400000_NS6detail17trampoline_kernelINS0_14default_configENS1_20scan_config_selectorIN3c104HalfEEEZZNS1_9scan_implILNS1_25lookback_scan_determinismE0ELb0ELb0ES3_PKS6_PS6_S6_ZZZN2at6native31launch_logcumsumexp_cuda_kernelERKNSD_10TensorBaseESH_lENKUlvE_clEvENKUlvE3_clEvEUlS6_S6_E_S6_EEDaPvRmT3_T4_T5_mT6_P12ihipStream_tbENKUlT_T0_E_clISt17integral_constantIbLb1EESX_IbLb0EEEEDaST_SU_EUlST_E0_NS1_11comp_targetILNS1_3genE10ELNS1_11target_archE1200ELNS1_3gpuE4ELNS1_3repE0EEENS1_30default_config_static_selectorELNS0_4arch9wavefront6targetE0EEEvT1_
	.p2align	8
	.type	_ZN7rocprim17ROCPRIM_400000_NS6detail17trampoline_kernelINS0_14default_configENS1_20scan_config_selectorIN3c104HalfEEEZZNS1_9scan_implILNS1_25lookback_scan_determinismE0ELb0ELb0ES3_PKS6_PS6_S6_ZZZN2at6native31launch_logcumsumexp_cuda_kernelERKNSD_10TensorBaseESH_lENKUlvE_clEvENKUlvE3_clEvEUlS6_S6_E_S6_EEDaPvRmT3_T4_T5_mT6_P12ihipStream_tbENKUlT_T0_E_clISt17integral_constantIbLb1EESX_IbLb0EEEEDaST_SU_EUlST_E0_NS1_11comp_targetILNS1_3genE10ELNS1_11target_archE1200ELNS1_3gpuE4ELNS1_3repE0EEENS1_30default_config_static_selectorELNS0_4arch9wavefront6targetE0EEEvT1_,@function
_ZN7rocprim17ROCPRIM_400000_NS6detail17trampoline_kernelINS0_14default_configENS1_20scan_config_selectorIN3c104HalfEEEZZNS1_9scan_implILNS1_25lookback_scan_determinismE0ELb0ELb0ES3_PKS6_PS6_S6_ZZZN2at6native31launch_logcumsumexp_cuda_kernelERKNSD_10TensorBaseESH_lENKUlvE_clEvENKUlvE3_clEvEUlS6_S6_E_S6_EEDaPvRmT3_T4_T5_mT6_P12ihipStream_tbENKUlT_T0_E_clISt17integral_constantIbLb1EESX_IbLb0EEEEDaST_SU_EUlST_E0_NS1_11comp_targetILNS1_3genE10ELNS1_11target_archE1200ELNS1_3gpuE4ELNS1_3repE0EEENS1_30default_config_static_selectorELNS0_4arch9wavefront6targetE0EEEvT1_: ; @_ZN7rocprim17ROCPRIM_400000_NS6detail17trampoline_kernelINS0_14default_configENS1_20scan_config_selectorIN3c104HalfEEEZZNS1_9scan_implILNS1_25lookback_scan_determinismE0ELb0ELb0ES3_PKS6_PS6_S6_ZZZN2at6native31launch_logcumsumexp_cuda_kernelERKNSD_10TensorBaseESH_lENKUlvE_clEvENKUlvE3_clEvEUlS6_S6_E_S6_EEDaPvRmT3_T4_T5_mT6_P12ihipStream_tbENKUlT_T0_E_clISt17integral_constantIbLb1EESX_IbLb0EEEEDaST_SU_EUlST_E0_NS1_11comp_targetILNS1_3genE10ELNS1_11target_archE1200ELNS1_3gpuE4ELNS1_3repE0EEENS1_30default_config_static_selectorELNS0_4arch9wavefront6targetE0EEEvT1_
; %bb.0:
	.section	.rodata,"a",@progbits
	.p2align	6, 0x0
	.amdhsa_kernel _ZN7rocprim17ROCPRIM_400000_NS6detail17trampoline_kernelINS0_14default_configENS1_20scan_config_selectorIN3c104HalfEEEZZNS1_9scan_implILNS1_25lookback_scan_determinismE0ELb0ELb0ES3_PKS6_PS6_S6_ZZZN2at6native31launch_logcumsumexp_cuda_kernelERKNSD_10TensorBaseESH_lENKUlvE_clEvENKUlvE3_clEvEUlS6_S6_E_S6_EEDaPvRmT3_T4_T5_mT6_P12ihipStream_tbENKUlT_T0_E_clISt17integral_constantIbLb1EESX_IbLb0EEEEDaST_SU_EUlST_E0_NS1_11comp_targetILNS1_3genE10ELNS1_11target_archE1200ELNS1_3gpuE4ELNS1_3repE0EEENS1_30default_config_static_selectorELNS0_4arch9wavefront6targetE0EEEvT1_
		.amdhsa_group_segment_fixed_size 0
		.amdhsa_private_segment_fixed_size 0
		.amdhsa_kernarg_size 32
		.amdhsa_user_sgpr_count 6
		.amdhsa_user_sgpr_private_segment_buffer 1
		.amdhsa_user_sgpr_dispatch_ptr 0
		.amdhsa_user_sgpr_queue_ptr 0
		.amdhsa_user_sgpr_kernarg_segment_ptr 1
		.amdhsa_user_sgpr_dispatch_id 0
		.amdhsa_user_sgpr_flat_scratch_init 0
		.amdhsa_user_sgpr_private_segment_size 0
		.amdhsa_wavefront_size32 1
		.amdhsa_uses_dynamic_stack 0
		.amdhsa_system_sgpr_private_segment_wavefront_offset 0
		.amdhsa_system_sgpr_workgroup_id_x 1
		.amdhsa_system_sgpr_workgroup_id_y 0
		.amdhsa_system_sgpr_workgroup_id_z 0
		.amdhsa_system_sgpr_workgroup_info 0
		.amdhsa_system_vgpr_workitem_id 0
		.amdhsa_next_free_vgpr 1
		.amdhsa_next_free_sgpr 1
		.amdhsa_reserve_vcc 0
		.amdhsa_reserve_flat_scratch 0
		.amdhsa_float_round_mode_32 0
		.amdhsa_float_round_mode_16_64 0
		.amdhsa_float_denorm_mode_32 3
		.amdhsa_float_denorm_mode_16_64 3
		.amdhsa_dx10_clamp 1
		.amdhsa_ieee_mode 1
		.amdhsa_fp16_overflow 0
		.amdhsa_workgroup_processor_mode 1
		.amdhsa_memory_ordered 1
		.amdhsa_forward_progress 1
		.amdhsa_shared_vgpr_count 0
		.amdhsa_exception_fp_ieee_invalid_op 0
		.amdhsa_exception_fp_denorm_src 0
		.amdhsa_exception_fp_ieee_div_zero 0
		.amdhsa_exception_fp_ieee_overflow 0
		.amdhsa_exception_fp_ieee_underflow 0
		.amdhsa_exception_fp_ieee_inexact 0
		.amdhsa_exception_int_div_zero 0
	.end_amdhsa_kernel
	.section	.text._ZN7rocprim17ROCPRIM_400000_NS6detail17trampoline_kernelINS0_14default_configENS1_20scan_config_selectorIN3c104HalfEEEZZNS1_9scan_implILNS1_25lookback_scan_determinismE0ELb0ELb0ES3_PKS6_PS6_S6_ZZZN2at6native31launch_logcumsumexp_cuda_kernelERKNSD_10TensorBaseESH_lENKUlvE_clEvENKUlvE3_clEvEUlS6_S6_E_S6_EEDaPvRmT3_T4_T5_mT6_P12ihipStream_tbENKUlT_T0_E_clISt17integral_constantIbLb1EESX_IbLb0EEEEDaST_SU_EUlST_E0_NS1_11comp_targetILNS1_3genE10ELNS1_11target_archE1200ELNS1_3gpuE4ELNS1_3repE0EEENS1_30default_config_static_selectorELNS0_4arch9wavefront6targetE0EEEvT1_,"axG",@progbits,_ZN7rocprim17ROCPRIM_400000_NS6detail17trampoline_kernelINS0_14default_configENS1_20scan_config_selectorIN3c104HalfEEEZZNS1_9scan_implILNS1_25lookback_scan_determinismE0ELb0ELb0ES3_PKS6_PS6_S6_ZZZN2at6native31launch_logcumsumexp_cuda_kernelERKNSD_10TensorBaseESH_lENKUlvE_clEvENKUlvE3_clEvEUlS6_S6_E_S6_EEDaPvRmT3_T4_T5_mT6_P12ihipStream_tbENKUlT_T0_E_clISt17integral_constantIbLb1EESX_IbLb0EEEEDaST_SU_EUlST_E0_NS1_11comp_targetILNS1_3genE10ELNS1_11target_archE1200ELNS1_3gpuE4ELNS1_3repE0EEENS1_30default_config_static_selectorELNS0_4arch9wavefront6targetE0EEEvT1_,comdat
.Lfunc_end412:
	.size	_ZN7rocprim17ROCPRIM_400000_NS6detail17trampoline_kernelINS0_14default_configENS1_20scan_config_selectorIN3c104HalfEEEZZNS1_9scan_implILNS1_25lookback_scan_determinismE0ELb0ELb0ES3_PKS6_PS6_S6_ZZZN2at6native31launch_logcumsumexp_cuda_kernelERKNSD_10TensorBaseESH_lENKUlvE_clEvENKUlvE3_clEvEUlS6_S6_E_S6_EEDaPvRmT3_T4_T5_mT6_P12ihipStream_tbENKUlT_T0_E_clISt17integral_constantIbLb1EESX_IbLb0EEEEDaST_SU_EUlST_E0_NS1_11comp_targetILNS1_3genE10ELNS1_11target_archE1200ELNS1_3gpuE4ELNS1_3repE0EEENS1_30default_config_static_selectorELNS0_4arch9wavefront6targetE0EEEvT1_, .Lfunc_end412-_ZN7rocprim17ROCPRIM_400000_NS6detail17trampoline_kernelINS0_14default_configENS1_20scan_config_selectorIN3c104HalfEEEZZNS1_9scan_implILNS1_25lookback_scan_determinismE0ELb0ELb0ES3_PKS6_PS6_S6_ZZZN2at6native31launch_logcumsumexp_cuda_kernelERKNSD_10TensorBaseESH_lENKUlvE_clEvENKUlvE3_clEvEUlS6_S6_E_S6_EEDaPvRmT3_T4_T5_mT6_P12ihipStream_tbENKUlT_T0_E_clISt17integral_constantIbLb1EESX_IbLb0EEEEDaST_SU_EUlST_E0_NS1_11comp_targetILNS1_3genE10ELNS1_11target_archE1200ELNS1_3gpuE4ELNS1_3repE0EEENS1_30default_config_static_selectorELNS0_4arch9wavefront6targetE0EEEvT1_
                                        ; -- End function
	.set _ZN7rocprim17ROCPRIM_400000_NS6detail17trampoline_kernelINS0_14default_configENS1_20scan_config_selectorIN3c104HalfEEEZZNS1_9scan_implILNS1_25lookback_scan_determinismE0ELb0ELb0ES3_PKS6_PS6_S6_ZZZN2at6native31launch_logcumsumexp_cuda_kernelERKNSD_10TensorBaseESH_lENKUlvE_clEvENKUlvE3_clEvEUlS6_S6_E_S6_EEDaPvRmT3_T4_T5_mT6_P12ihipStream_tbENKUlT_T0_E_clISt17integral_constantIbLb1EESX_IbLb0EEEEDaST_SU_EUlST_E0_NS1_11comp_targetILNS1_3genE10ELNS1_11target_archE1200ELNS1_3gpuE4ELNS1_3repE0EEENS1_30default_config_static_selectorELNS0_4arch9wavefront6targetE0EEEvT1_.num_vgpr, 0
	.set _ZN7rocprim17ROCPRIM_400000_NS6detail17trampoline_kernelINS0_14default_configENS1_20scan_config_selectorIN3c104HalfEEEZZNS1_9scan_implILNS1_25lookback_scan_determinismE0ELb0ELb0ES3_PKS6_PS6_S6_ZZZN2at6native31launch_logcumsumexp_cuda_kernelERKNSD_10TensorBaseESH_lENKUlvE_clEvENKUlvE3_clEvEUlS6_S6_E_S6_EEDaPvRmT3_T4_T5_mT6_P12ihipStream_tbENKUlT_T0_E_clISt17integral_constantIbLb1EESX_IbLb0EEEEDaST_SU_EUlST_E0_NS1_11comp_targetILNS1_3genE10ELNS1_11target_archE1200ELNS1_3gpuE4ELNS1_3repE0EEENS1_30default_config_static_selectorELNS0_4arch9wavefront6targetE0EEEvT1_.num_agpr, 0
	.set _ZN7rocprim17ROCPRIM_400000_NS6detail17trampoline_kernelINS0_14default_configENS1_20scan_config_selectorIN3c104HalfEEEZZNS1_9scan_implILNS1_25lookback_scan_determinismE0ELb0ELb0ES3_PKS6_PS6_S6_ZZZN2at6native31launch_logcumsumexp_cuda_kernelERKNSD_10TensorBaseESH_lENKUlvE_clEvENKUlvE3_clEvEUlS6_S6_E_S6_EEDaPvRmT3_T4_T5_mT6_P12ihipStream_tbENKUlT_T0_E_clISt17integral_constantIbLb1EESX_IbLb0EEEEDaST_SU_EUlST_E0_NS1_11comp_targetILNS1_3genE10ELNS1_11target_archE1200ELNS1_3gpuE4ELNS1_3repE0EEENS1_30default_config_static_selectorELNS0_4arch9wavefront6targetE0EEEvT1_.numbered_sgpr, 0
	.set _ZN7rocprim17ROCPRIM_400000_NS6detail17trampoline_kernelINS0_14default_configENS1_20scan_config_selectorIN3c104HalfEEEZZNS1_9scan_implILNS1_25lookback_scan_determinismE0ELb0ELb0ES3_PKS6_PS6_S6_ZZZN2at6native31launch_logcumsumexp_cuda_kernelERKNSD_10TensorBaseESH_lENKUlvE_clEvENKUlvE3_clEvEUlS6_S6_E_S6_EEDaPvRmT3_T4_T5_mT6_P12ihipStream_tbENKUlT_T0_E_clISt17integral_constantIbLb1EESX_IbLb0EEEEDaST_SU_EUlST_E0_NS1_11comp_targetILNS1_3genE10ELNS1_11target_archE1200ELNS1_3gpuE4ELNS1_3repE0EEENS1_30default_config_static_selectorELNS0_4arch9wavefront6targetE0EEEvT1_.num_named_barrier, 0
	.set _ZN7rocprim17ROCPRIM_400000_NS6detail17trampoline_kernelINS0_14default_configENS1_20scan_config_selectorIN3c104HalfEEEZZNS1_9scan_implILNS1_25lookback_scan_determinismE0ELb0ELb0ES3_PKS6_PS6_S6_ZZZN2at6native31launch_logcumsumexp_cuda_kernelERKNSD_10TensorBaseESH_lENKUlvE_clEvENKUlvE3_clEvEUlS6_S6_E_S6_EEDaPvRmT3_T4_T5_mT6_P12ihipStream_tbENKUlT_T0_E_clISt17integral_constantIbLb1EESX_IbLb0EEEEDaST_SU_EUlST_E0_NS1_11comp_targetILNS1_3genE10ELNS1_11target_archE1200ELNS1_3gpuE4ELNS1_3repE0EEENS1_30default_config_static_selectorELNS0_4arch9wavefront6targetE0EEEvT1_.private_seg_size, 0
	.set _ZN7rocprim17ROCPRIM_400000_NS6detail17trampoline_kernelINS0_14default_configENS1_20scan_config_selectorIN3c104HalfEEEZZNS1_9scan_implILNS1_25lookback_scan_determinismE0ELb0ELb0ES3_PKS6_PS6_S6_ZZZN2at6native31launch_logcumsumexp_cuda_kernelERKNSD_10TensorBaseESH_lENKUlvE_clEvENKUlvE3_clEvEUlS6_S6_E_S6_EEDaPvRmT3_T4_T5_mT6_P12ihipStream_tbENKUlT_T0_E_clISt17integral_constantIbLb1EESX_IbLb0EEEEDaST_SU_EUlST_E0_NS1_11comp_targetILNS1_3genE10ELNS1_11target_archE1200ELNS1_3gpuE4ELNS1_3repE0EEENS1_30default_config_static_selectorELNS0_4arch9wavefront6targetE0EEEvT1_.uses_vcc, 0
	.set _ZN7rocprim17ROCPRIM_400000_NS6detail17trampoline_kernelINS0_14default_configENS1_20scan_config_selectorIN3c104HalfEEEZZNS1_9scan_implILNS1_25lookback_scan_determinismE0ELb0ELb0ES3_PKS6_PS6_S6_ZZZN2at6native31launch_logcumsumexp_cuda_kernelERKNSD_10TensorBaseESH_lENKUlvE_clEvENKUlvE3_clEvEUlS6_S6_E_S6_EEDaPvRmT3_T4_T5_mT6_P12ihipStream_tbENKUlT_T0_E_clISt17integral_constantIbLb1EESX_IbLb0EEEEDaST_SU_EUlST_E0_NS1_11comp_targetILNS1_3genE10ELNS1_11target_archE1200ELNS1_3gpuE4ELNS1_3repE0EEENS1_30default_config_static_selectorELNS0_4arch9wavefront6targetE0EEEvT1_.uses_flat_scratch, 0
	.set _ZN7rocprim17ROCPRIM_400000_NS6detail17trampoline_kernelINS0_14default_configENS1_20scan_config_selectorIN3c104HalfEEEZZNS1_9scan_implILNS1_25lookback_scan_determinismE0ELb0ELb0ES3_PKS6_PS6_S6_ZZZN2at6native31launch_logcumsumexp_cuda_kernelERKNSD_10TensorBaseESH_lENKUlvE_clEvENKUlvE3_clEvEUlS6_S6_E_S6_EEDaPvRmT3_T4_T5_mT6_P12ihipStream_tbENKUlT_T0_E_clISt17integral_constantIbLb1EESX_IbLb0EEEEDaST_SU_EUlST_E0_NS1_11comp_targetILNS1_3genE10ELNS1_11target_archE1200ELNS1_3gpuE4ELNS1_3repE0EEENS1_30default_config_static_selectorELNS0_4arch9wavefront6targetE0EEEvT1_.has_dyn_sized_stack, 0
	.set _ZN7rocprim17ROCPRIM_400000_NS6detail17trampoline_kernelINS0_14default_configENS1_20scan_config_selectorIN3c104HalfEEEZZNS1_9scan_implILNS1_25lookback_scan_determinismE0ELb0ELb0ES3_PKS6_PS6_S6_ZZZN2at6native31launch_logcumsumexp_cuda_kernelERKNSD_10TensorBaseESH_lENKUlvE_clEvENKUlvE3_clEvEUlS6_S6_E_S6_EEDaPvRmT3_T4_T5_mT6_P12ihipStream_tbENKUlT_T0_E_clISt17integral_constantIbLb1EESX_IbLb0EEEEDaST_SU_EUlST_E0_NS1_11comp_targetILNS1_3genE10ELNS1_11target_archE1200ELNS1_3gpuE4ELNS1_3repE0EEENS1_30default_config_static_selectorELNS0_4arch9wavefront6targetE0EEEvT1_.has_recursion, 0
	.set _ZN7rocprim17ROCPRIM_400000_NS6detail17trampoline_kernelINS0_14default_configENS1_20scan_config_selectorIN3c104HalfEEEZZNS1_9scan_implILNS1_25lookback_scan_determinismE0ELb0ELb0ES3_PKS6_PS6_S6_ZZZN2at6native31launch_logcumsumexp_cuda_kernelERKNSD_10TensorBaseESH_lENKUlvE_clEvENKUlvE3_clEvEUlS6_S6_E_S6_EEDaPvRmT3_T4_T5_mT6_P12ihipStream_tbENKUlT_T0_E_clISt17integral_constantIbLb1EESX_IbLb0EEEEDaST_SU_EUlST_E0_NS1_11comp_targetILNS1_3genE10ELNS1_11target_archE1200ELNS1_3gpuE4ELNS1_3repE0EEENS1_30default_config_static_selectorELNS0_4arch9wavefront6targetE0EEEvT1_.has_indirect_call, 0
	.section	.AMDGPU.csdata,"",@progbits
; Kernel info:
; codeLenInByte = 0
; TotalNumSgprs: 0
; NumVgprs: 0
; ScratchSize: 0
; MemoryBound: 0
; FloatMode: 240
; IeeeMode: 1
; LDSByteSize: 0 bytes/workgroup (compile time only)
; SGPRBlocks: 0
; VGPRBlocks: 0
; NumSGPRsForWavesPerEU: 1
; NumVGPRsForWavesPerEU: 1
; Occupancy: 16
; WaveLimiterHint : 0
; COMPUTE_PGM_RSRC2:SCRATCH_EN: 0
; COMPUTE_PGM_RSRC2:USER_SGPR: 6
; COMPUTE_PGM_RSRC2:TRAP_HANDLER: 0
; COMPUTE_PGM_RSRC2:TGID_X_EN: 1
; COMPUTE_PGM_RSRC2:TGID_Y_EN: 0
; COMPUTE_PGM_RSRC2:TGID_Z_EN: 0
; COMPUTE_PGM_RSRC2:TIDIG_COMP_CNT: 0
	.section	.text._ZN7rocprim17ROCPRIM_400000_NS6detail17trampoline_kernelINS0_14default_configENS1_20scan_config_selectorIN3c104HalfEEEZZNS1_9scan_implILNS1_25lookback_scan_determinismE0ELb0ELb0ES3_PKS6_PS6_S6_ZZZN2at6native31launch_logcumsumexp_cuda_kernelERKNSD_10TensorBaseESH_lENKUlvE_clEvENKUlvE3_clEvEUlS6_S6_E_S6_EEDaPvRmT3_T4_T5_mT6_P12ihipStream_tbENKUlT_T0_E_clISt17integral_constantIbLb1EESX_IbLb0EEEEDaST_SU_EUlST_E0_NS1_11comp_targetILNS1_3genE9ELNS1_11target_archE1100ELNS1_3gpuE3ELNS1_3repE0EEENS1_30default_config_static_selectorELNS0_4arch9wavefront6targetE0EEEvT1_,"axG",@progbits,_ZN7rocprim17ROCPRIM_400000_NS6detail17trampoline_kernelINS0_14default_configENS1_20scan_config_selectorIN3c104HalfEEEZZNS1_9scan_implILNS1_25lookback_scan_determinismE0ELb0ELb0ES3_PKS6_PS6_S6_ZZZN2at6native31launch_logcumsumexp_cuda_kernelERKNSD_10TensorBaseESH_lENKUlvE_clEvENKUlvE3_clEvEUlS6_S6_E_S6_EEDaPvRmT3_T4_T5_mT6_P12ihipStream_tbENKUlT_T0_E_clISt17integral_constantIbLb1EESX_IbLb0EEEEDaST_SU_EUlST_E0_NS1_11comp_targetILNS1_3genE9ELNS1_11target_archE1100ELNS1_3gpuE3ELNS1_3repE0EEENS1_30default_config_static_selectorELNS0_4arch9wavefront6targetE0EEEvT1_,comdat
	.globl	_ZN7rocprim17ROCPRIM_400000_NS6detail17trampoline_kernelINS0_14default_configENS1_20scan_config_selectorIN3c104HalfEEEZZNS1_9scan_implILNS1_25lookback_scan_determinismE0ELb0ELb0ES3_PKS6_PS6_S6_ZZZN2at6native31launch_logcumsumexp_cuda_kernelERKNSD_10TensorBaseESH_lENKUlvE_clEvENKUlvE3_clEvEUlS6_S6_E_S6_EEDaPvRmT3_T4_T5_mT6_P12ihipStream_tbENKUlT_T0_E_clISt17integral_constantIbLb1EESX_IbLb0EEEEDaST_SU_EUlST_E0_NS1_11comp_targetILNS1_3genE9ELNS1_11target_archE1100ELNS1_3gpuE3ELNS1_3repE0EEENS1_30default_config_static_selectorELNS0_4arch9wavefront6targetE0EEEvT1_ ; -- Begin function _ZN7rocprim17ROCPRIM_400000_NS6detail17trampoline_kernelINS0_14default_configENS1_20scan_config_selectorIN3c104HalfEEEZZNS1_9scan_implILNS1_25lookback_scan_determinismE0ELb0ELb0ES3_PKS6_PS6_S6_ZZZN2at6native31launch_logcumsumexp_cuda_kernelERKNSD_10TensorBaseESH_lENKUlvE_clEvENKUlvE3_clEvEUlS6_S6_E_S6_EEDaPvRmT3_T4_T5_mT6_P12ihipStream_tbENKUlT_T0_E_clISt17integral_constantIbLb1EESX_IbLb0EEEEDaST_SU_EUlST_E0_NS1_11comp_targetILNS1_3genE9ELNS1_11target_archE1100ELNS1_3gpuE3ELNS1_3repE0EEENS1_30default_config_static_selectorELNS0_4arch9wavefront6targetE0EEEvT1_
	.p2align	8
	.type	_ZN7rocprim17ROCPRIM_400000_NS6detail17trampoline_kernelINS0_14default_configENS1_20scan_config_selectorIN3c104HalfEEEZZNS1_9scan_implILNS1_25lookback_scan_determinismE0ELb0ELb0ES3_PKS6_PS6_S6_ZZZN2at6native31launch_logcumsumexp_cuda_kernelERKNSD_10TensorBaseESH_lENKUlvE_clEvENKUlvE3_clEvEUlS6_S6_E_S6_EEDaPvRmT3_T4_T5_mT6_P12ihipStream_tbENKUlT_T0_E_clISt17integral_constantIbLb1EESX_IbLb0EEEEDaST_SU_EUlST_E0_NS1_11comp_targetILNS1_3genE9ELNS1_11target_archE1100ELNS1_3gpuE3ELNS1_3repE0EEENS1_30default_config_static_selectorELNS0_4arch9wavefront6targetE0EEEvT1_,@function
_ZN7rocprim17ROCPRIM_400000_NS6detail17trampoline_kernelINS0_14default_configENS1_20scan_config_selectorIN3c104HalfEEEZZNS1_9scan_implILNS1_25lookback_scan_determinismE0ELb0ELb0ES3_PKS6_PS6_S6_ZZZN2at6native31launch_logcumsumexp_cuda_kernelERKNSD_10TensorBaseESH_lENKUlvE_clEvENKUlvE3_clEvEUlS6_S6_E_S6_EEDaPvRmT3_T4_T5_mT6_P12ihipStream_tbENKUlT_T0_E_clISt17integral_constantIbLb1EESX_IbLb0EEEEDaST_SU_EUlST_E0_NS1_11comp_targetILNS1_3genE9ELNS1_11target_archE1100ELNS1_3gpuE3ELNS1_3repE0EEENS1_30default_config_static_selectorELNS0_4arch9wavefront6targetE0EEEvT1_: ; @_ZN7rocprim17ROCPRIM_400000_NS6detail17trampoline_kernelINS0_14default_configENS1_20scan_config_selectorIN3c104HalfEEEZZNS1_9scan_implILNS1_25lookback_scan_determinismE0ELb0ELb0ES3_PKS6_PS6_S6_ZZZN2at6native31launch_logcumsumexp_cuda_kernelERKNSD_10TensorBaseESH_lENKUlvE_clEvENKUlvE3_clEvEUlS6_S6_E_S6_EEDaPvRmT3_T4_T5_mT6_P12ihipStream_tbENKUlT_T0_E_clISt17integral_constantIbLb1EESX_IbLb0EEEEDaST_SU_EUlST_E0_NS1_11comp_targetILNS1_3genE9ELNS1_11target_archE1100ELNS1_3gpuE3ELNS1_3repE0EEENS1_30default_config_static_selectorELNS0_4arch9wavefront6targetE0EEEvT1_
; %bb.0:
	.section	.rodata,"a",@progbits
	.p2align	6, 0x0
	.amdhsa_kernel _ZN7rocprim17ROCPRIM_400000_NS6detail17trampoline_kernelINS0_14default_configENS1_20scan_config_selectorIN3c104HalfEEEZZNS1_9scan_implILNS1_25lookback_scan_determinismE0ELb0ELb0ES3_PKS6_PS6_S6_ZZZN2at6native31launch_logcumsumexp_cuda_kernelERKNSD_10TensorBaseESH_lENKUlvE_clEvENKUlvE3_clEvEUlS6_S6_E_S6_EEDaPvRmT3_T4_T5_mT6_P12ihipStream_tbENKUlT_T0_E_clISt17integral_constantIbLb1EESX_IbLb0EEEEDaST_SU_EUlST_E0_NS1_11comp_targetILNS1_3genE9ELNS1_11target_archE1100ELNS1_3gpuE3ELNS1_3repE0EEENS1_30default_config_static_selectorELNS0_4arch9wavefront6targetE0EEEvT1_
		.amdhsa_group_segment_fixed_size 0
		.amdhsa_private_segment_fixed_size 0
		.amdhsa_kernarg_size 32
		.amdhsa_user_sgpr_count 6
		.amdhsa_user_sgpr_private_segment_buffer 1
		.amdhsa_user_sgpr_dispatch_ptr 0
		.amdhsa_user_sgpr_queue_ptr 0
		.amdhsa_user_sgpr_kernarg_segment_ptr 1
		.amdhsa_user_sgpr_dispatch_id 0
		.amdhsa_user_sgpr_flat_scratch_init 0
		.amdhsa_user_sgpr_private_segment_size 0
		.amdhsa_wavefront_size32 1
		.amdhsa_uses_dynamic_stack 0
		.amdhsa_system_sgpr_private_segment_wavefront_offset 0
		.amdhsa_system_sgpr_workgroup_id_x 1
		.amdhsa_system_sgpr_workgroup_id_y 0
		.amdhsa_system_sgpr_workgroup_id_z 0
		.amdhsa_system_sgpr_workgroup_info 0
		.amdhsa_system_vgpr_workitem_id 0
		.amdhsa_next_free_vgpr 1
		.amdhsa_next_free_sgpr 1
		.amdhsa_reserve_vcc 0
		.amdhsa_reserve_flat_scratch 0
		.amdhsa_float_round_mode_32 0
		.amdhsa_float_round_mode_16_64 0
		.amdhsa_float_denorm_mode_32 3
		.amdhsa_float_denorm_mode_16_64 3
		.amdhsa_dx10_clamp 1
		.amdhsa_ieee_mode 1
		.amdhsa_fp16_overflow 0
		.amdhsa_workgroup_processor_mode 1
		.amdhsa_memory_ordered 1
		.amdhsa_forward_progress 1
		.amdhsa_shared_vgpr_count 0
		.amdhsa_exception_fp_ieee_invalid_op 0
		.amdhsa_exception_fp_denorm_src 0
		.amdhsa_exception_fp_ieee_div_zero 0
		.amdhsa_exception_fp_ieee_overflow 0
		.amdhsa_exception_fp_ieee_underflow 0
		.amdhsa_exception_fp_ieee_inexact 0
		.amdhsa_exception_int_div_zero 0
	.end_amdhsa_kernel
	.section	.text._ZN7rocprim17ROCPRIM_400000_NS6detail17trampoline_kernelINS0_14default_configENS1_20scan_config_selectorIN3c104HalfEEEZZNS1_9scan_implILNS1_25lookback_scan_determinismE0ELb0ELb0ES3_PKS6_PS6_S6_ZZZN2at6native31launch_logcumsumexp_cuda_kernelERKNSD_10TensorBaseESH_lENKUlvE_clEvENKUlvE3_clEvEUlS6_S6_E_S6_EEDaPvRmT3_T4_T5_mT6_P12ihipStream_tbENKUlT_T0_E_clISt17integral_constantIbLb1EESX_IbLb0EEEEDaST_SU_EUlST_E0_NS1_11comp_targetILNS1_3genE9ELNS1_11target_archE1100ELNS1_3gpuE3ELNS1_3repE0EEENS1_30default_config_static_selectorELNS0_4arch9wavefront6targetE0EEEvT1_,"axG",@progbits,_ZN7rocprim17ROCPRIM_400000_NS6detail17trampoline_kernelINS0_14default_configENS1_20scan_config_selectorIN3c104HalfEEEZZNS1_9scan_implILNS1_25lookback_scan_determinismE0ELb0ELb0ES3_PKS6_PS6_S6_ZZZN2at6native31launch_logcumsumexp_cuda_kernelERKNSD_10TensorBaseESH_lENKUlvE_clEvENKUlvE3_clEvEUlS6_S6_E_S6_EEDaPvRmT3_T4_T5_mT6_P12ihipStream_tbENKUlT_T0_E_clISt17integral_constantIbLb1EESX_IbLb0EEEEDaST_SU_EUlST_E0_NS1_11comp_targetILNS1_3genE9ELNS1_11target_archE1100ELNS1_3gpuE3ELNS1_3repE0EEENS1_30default_config_static_selectorELNS0_4arch9wavefront6targetE0EEEvT1_,comdat
.Lfunc_end413:
	.size	_ZN7rocprim17ROCPRIM_400000_NS6detail17trampoline_kernelINS0_14default_configENS1_20scan_config_selectorIN3c104HalfEEEZZNS1_9scan_implILNS1_25lookback_scan_determinismE0ELb0ELb0ES3_PKS6_PS6_S6_ZZZN2at6native31launch_logcumsumexp_cuda_kernelERKNSD_10TensorBaseESH_lENKUlvE_clEvENKUlvE3_clEvEUlS6_S6_E_S6_EEDaPvRmT3_T4_T5_mT6_P12ihipStream_tbENKUlT_T0_E_clISt17integral_constantIbLb1EESX_IbLb0EEEEDaST_SU_EUlST_E0_NS1_11comp_targetILNS1_3genE9ELNS1_11target_archE1100ELNS1_3gpuE3ELNS1_3repE0EEENS1_30default_config_static_selectorELNS0_4arch9wavefront6targetE0EEEvT1_, .Lfunc_end413-_ZN7rocprim17ROCPRIM_400000_NS6detail17trampoline_kernelINS0_14default_configENS1_20scan_config_selectorIN3c104HalfEEEZZNS1_9scan_implILNS1_25lookback_scan_determinismE0ELb0ELb0ES3_PKS6_PS6_S6_ZZZN2at6native31launch_logcumsumexp_cuda_kernelERKNSD_10TensorBaseESH_lENKUlvE_clEvENKUlvE3_clEvEUlS6_S6_E_S6_EEDaPvRmT3_T4_T5_mT6_P12ihipStream_tbENKUlT_T0_E_clISt17integral_constantIbLb1EESX_IbLb0EEEEDaST_SU_EUlST_E0_NS1_11comp_targetILNS1_3genE9ELNS1_11target_archE1100ELNS1_3gpuE3ELNS1_3repE0EEENS1_30default_config_static_selectorELNS0_4arch9wavefront6targetE0EEEvT1_
                                        ; -- End function
	.set _ZN7rocprim17ROCPRIM_400000_NS6detail17trampoline_kernelINS0_14default_configENS1_20scan_config_selectorIN3c104HalfEEEZZNS1_9scan_implILNS1_25lookback_scan_determinismE0ELb0ELb0ES3_PKS6_PS6_S6_ZZZN2at6native31launch_logcumsumexp_cuda_kernelERKNSD_10TensorBaseESH_lENKUlvE_clEvENKUlvE3_clEvEUlS6_S6_E_S6_EEDaPvRmT3_T4_T5_mT6_P12ihipStream_tbENKUlT_T0_E_clISt17integral_constantIbLb1EESX_IbLb0EEEEDaST_SU_EUlST_E0_NS1_11comp_targetILNS1_3genE9ELNS1_11target_archE1100ELNS1_3gpuE3ELNS1_3repE0EEENS1_30default_config_static_selectorELNS0_4arch9wavefront6targetE0EEEvT1_.num_vgpr, 0
	.set _ZN7rocprim17ROCPRIM_400000_NS6detail17trampoline_kernelINS0_14default_configENS1_20scan_config_selectorIN3c104HalfEEEZZNS1_9scan_implILNS1_25lookback_scan_determinismE0ELb0ELb0ES3_PKS6_PS6_S6_ZZZN2at6native31launch_logcumsumexp_cuda_kernelERKNSD_10TensorBaseESH_lENKUlvE_clEvENKUlvE3_clEvEUlS6_S6_E_S6_EEDaPvRmT3_T4_T5_mT6_P12ihipStream_tbENKUlT_T0_E_clISt17integral_constantIbLb1EESX_IbLb0EEEEDaST_SU_EUlST_E0_NS1_11comp_targetILNS1_3genE9ELNS1_11target_archE1100ELNS1_3gpuE3ELNS1_3repE0EEENS1_30default_config_static_selectorELNS0_4arch9wavefront6targetE0EEEvT1_.num_agpr, 0
	.set _ZN7rocprim17ROCPRIM_400000_NS6detail17trampoline_kernelINS0_14default_configENS1_20scan_config_selectorIN3c104HalfEEEZZNS1_9scan_implILNS1_25lookback_scan_determinismE0ELb0ELb0ES3_PKS6_PS6_S6_ZZZN2at6native31launch_logcumsumexp_cuda_kernelERKNSD_10TensorBaseESH_lENKUlvE_clEvENKUlvE3_clEvEUlS6_S6_E_S6_EEDaPvRmT3_T4_T5_mT6_P12ihipStream_tbENKUlT_T0_E_clISt17integral_constantIbLb1EESX_IbLb0EEEEDaST_SU_EUlST_E0_NS1_11comp_targetILNS1_3genE9ELNS1_11target_archE1100ELNS1_3gpuE3ELNS1_3repE0EEENS1_30default_config_static_selectorELNS0_4arch9wavefront6targetE0EEEvT1_.numbered_sgpr, 0
	.set _ZN7rocprim17ROCPRIM_400000_NS6detail17trampoline_kernelINS0_14default_configENS1_20scan_config_selectorIN3c104HalfEEEZZNS1_9scan_implILNS1_25lookback_scan_determinismE0ELb0ELb0ES3_PKS6_PS6_S6_ZZZN2at6native31launch_logcumsumexp_cuda_kernelERKNSD_10TensorBaseESH_lENKUlvE_clEvENKUlvE3_clEvEUlS6_S6_E_S6_EEDaPvRmT3_T4_T5_mT6_P12ihipStream_tbENKUlT_T0_E_clISt17integral_constantIbLb1EESX_IbLb0EEEEDaST_SU_EUlST_E0_NS1_11comp_targetILNS1_3genE9ELNS1_11target_archE1100ELNS1_3gpuE3ELNS1_3repE0EEENS1_30default_config_static_selectorELNS0_4arch9wavefront6targetE0EEEvT1_.num_named_barrier, 0
	.set _ZN7rocprim17ROCPRIM_400000_NS6detail17trampoline_kernelINS0_14default_configENS1_20scan_config_selectorIN3c104HalfEEEZZNS1_9scan_implILNS1_25lookback_scan_determinismE0ELb0ELb0ES3_PKS6_PS6_S6_ZZZN2at6native31launch_logcumsumexp_cuda_kernelERKNSD_10TensorBaseESH_lENKUlvE_clEvENKUlvE3_clEvEUlS6_S6_E_S6_EEDaPvRmT3_T4_T5_mT6_P12ihipStream_tbENKUlT_T0_E_clISt17integral_constantIbLb1EESX_IbLb0EEEEDaST_SU_EUlST_E0_NS1_11comp_targetILNS1_3genE9ELNS1_11target_archE1100ELNS1_3gpuE3ELNS1_3repE0EEENS1_30default_config_static_selectorELNS0_4arch9wavefront6targetE0EEEvT1_.private_seg_size, 0
	.set _ZN7rocprim17ROCPRIM_400000_NS6detail17trampoline_kernelINS0_14default_configENS1_20scan_config_selectorIN3c104HalfEEEZZNS1_9scan_implILNS1_25lookback_scan_determinismE0ELb0ELb0ES3_PKS6_PS6_S6_ZZZN2at6native31launch_logcumsumexp_cuda_kernelERKNSD_10TensorBaseESH_lENKUlvE_clEvENKUlvE3_clEvEUlS6_S6_E_S6_EEDaPvRmT3_T4_T5_mT6_P12ihipStream_tbENKUlT_T0_E_clISt17integral_constantIbLb1EESX_IbLb0EEEEDaST_SU_EUlST_E0_NS1_11comp_targetILNS1_3genE9ELNS1_11target_archE1100ELNS1_3gpuE3ELNS1_3repE0EEENS1_30default_config_static_selectorELNS0_4arch9wavefront6targetE0EEEvT1_.uses_vcc, 0
	.set _ZN7rocprim17ROCPRIM_400000_NS6detail17trampoline_kernelINS0_14default_configENS1_20scan_config_selectorIN3c104HalfEEEZZNS1_9scan_implILNS1_25lookback_scan_determinismE0ELb0ELb0ES3_PKS6_PS6_S6_ZZZN2at6native31launch_logcumsumexp_cuda_kernelERKNSD_10TensorBaseESH_lENKUlvE_clEvENKUlvE3_clEvEUlS6_S6_E_S6_EEDaPvRmT3_T4_T5_mT6_P12ihipStream_tbENKUlT_T0_E_clISt17integral_constantIbLb1EESX_IbLb0EEEEDaST_SU_EUlST_E0_NS1_11comp_targetILNS1_3genE9ELNS1_11target_archE1100ELNS1_3gpuE3ELNS1_3repE0EEENS1_30default_config_static_selectorELNS0_4arch9wavefront6targetE0EEEvT1_.uses_flat_scratch, 0
	.set _ZN7rocprim17ROCPRIM_400000_NS6detail17trampoline_kernelINS0_14default_configENS1_20scan_config_selectorIN3c104HalfEEEZZNS1_9scan_implILNS1_25lookback_scan_determinismE0ELb0ELb0ES3_PKS6_PS6_S6_ZZZN2at6native31launch_logcumsumexp_cuda_kernelERKNSD_10TensorBaseESH_lENKUlvE_clEvENKUlvE3_clEvEUlS6_S6_E_S6_EEDaPvRmT3_T4_T5_mT6_P12ihipStream_tbENKUlT_T0_E_clISt17integral_constantIbLb1EESX_IbLb0EEEEDaST_SU_EUlST_E0_NS1_11comp_targetILNS1_3genE9ELNS1_11target_archE1100ELNS1_3gpuE3ELNS1_3repE0EEENS1_30default_config_static_selectorELNS0_4arch9wavefront6targetE0EEEvT1_.has_dyn_sized_stack, 0
	.set _ZN7rocprim17ROCPRIM_400000_NS6detail17trampoline_kernelINS0_14default_configENS1_20scan_config_selectorIN3c104HalfEEEZZNS1_9scan_implILNS1_25lookback_scan_determinismE0ELb0ELb0ES3_PKS6_PS6_S6_ZZZN2at6native31launch_logcumsumexp_cuda_kernelERKNSD_10TensorBaseESH_lENKUlvE_clEvENKUlvE3_clEvEUlS6_S6_E_S6_EEDaPvRmT3_T4_T5_mT6_P12ihipStream_tbENKUlT_T0_E_clISt17integral_constantIbLb1EESX_IbLb0EEEEDaST_SU_EUlST_E0_NS1_11comp_targetILNS1_3genE9ELNS1_11target_archE1100ELNS1_3gpuE3ELNS1_3repE0EEENS1_30default_config_static_selectorELNS0_4arch9wavefront6targetE0EEEvT1_.has_recursion, 0
	.set _ZN7rocprim17ROCPRIM_400000_NS6detail17trampoline_kernelINS0_14default_configENS1_20scan_config_selectorIN3c104HalfEEEZZNS1_9scan_implILNS1_25lookback_scan_determinismE0ELb0ELb0ES3_PKS6_PS6_S6_ZZZN2at6native31launch_logcumsumexp_cuda_kernelERKNSD_10TensorBaseESH_lENKUlvE_clEvENKUlvE3_clEvEUlS6_S6_E_S6_EEDaPvRmT3_T4_T5_mT6_P12ihipStream_tbENKUlT_T0_E_clISt17integral_constantIbLb1EESX_IbLb0EEEEDaST_SU_EUlST_E0_NS1_11comp_targetILNS1_3genE9ELNS1_11target_archE1100ELNS1_3gpuE3ELNS1_3repE0EEENS1_30default_config_static_selectorELNS0_4arch9wavefront6targetE0EEEvT1_.has_indirect_call, 0
	.section	.AMDGPU.csdata,"",@progbits
; Kernel info:
; codeLenInByte = 0
; TotalNumSgprs: 0
; NumVgprs: 0
; ScratchSize: 0
; MemoryBound: 0
; FloatMode: 240
; IeeeMode: 1
; LDSByteSize: 0 bytes/workgroup (compile time only)
; SGPRBlocks: 0
; VGPRBlocks: 0
; NumSGPRsForWavesPerEU: 1
; NumVGPRsForWavesPerEU: 1
; Occupancy: 16
; WaveLimiterHint : 0
; COMPUTE_PGM_RSRC2:SCRATCH_EN: 0
; COMPUTE_PGM_RSRC2:USER_SGPR: 6
; COMPUTE_PGM_RSRC2:TRAP_HANDLER: 0
; COMPUTE_PGM_RSRC2:TGID_X_EN: 1
; COMPUTE_PGM_RSRC2:TGID_Y_EN: 0
; COMPUTE_PGM_RSRC2:TGID_Z_EN: 0
; COMPUTE_PGM_RSRC2:TIDIG_COMP_CNT: 0
	.section	.text._ZN7rocprim17ROCPRIM_400000_NS6detail17trampoline_kernelINS0_14default_configENS1_20scan_config_selectorIN3c104HalfEEEZZNS1_9scan_implILNS1_25lookback_scan_determinismE0ELb0ELb0ES3_PKS6_PS6_S6_ZZZN2at6native31launch_logcumsumexp_cuda_kernelERKNSD_10TensorBaseESH_lENKUlvE_clEvENKUlvE3_clEvEUlS6_S6_E_S6_EEDaPvRmT3_T4_T5_mT6_P12ihipStream_tbENKUlT_T0_E_clISt17integral_constantIbLb1EESX_IbLb0EEEEDaST_SU_EUlST_E0_NS1_11comp_targetILNS1_3genE8ELNS1_11target_archE1030ELNS1_3gpuE2ELNS1_3repE0EEENS1_30default_config_static_selectorELNS0_4arch9wavefront6targetE0EEEvT1_,"axG",@progbits,_ZN7rocprim17ROCPRIM_400000_NS6detail17trampoline_kernelINS0_14default_configENS1_20scan_config_selectorIN3c104HalfEEEZZNS1_9scan_implILNS1_25lookback_scan_determinismE0ELb0ELb0ES3_PKS6_PS6_S6_ZZZN2at6native31launch_logcumsumexp_cuda_kernelERKNSD_10TensorBaseESH_lENKUlvE_clEvENKUlvE3_clEvEUlS6_S6_E_S6_EEDaPvRmT3_T4_T5_mT6_P12ihipStream_tbENKUlT_T0_E_clISt17integral_constantIbLb1EESX_IbLb0EEEEDaST_SU_EUlST_E0_NS1_11comp_targetILNS1_3genE8ELNS1_11target_archE1030ELNS1_3gpuE2ELNS1_3repE0EEENS1_30default_config_static_selectorELNS0_4arch9wavefront6targetE0EEEvT1_,comdat
	.globl	_ZN7rocprim17ROCPRIM_400000_NS6detail17trampoline_kernelINS0_14default_configENS1_20scan_config_selectorIN3c104HalfEEEZZNS1_9scan_implILNS1_25lookback_scan_determinismE0ELb0ELb0ES3_PKS6_PS6_S6_ZZZN2at6native31launch_logcumsumexp_cuda_kernelERKNSD_10TensorBaseESH_lENKUlvE_clEvENKUlvE3_clEvEUlS6_S6_E_S6_EEDaPvRmT3_T4_T5_mT6_P12ihipStream_tbENKUlT_T0_E_clISt17integral_constantIbLb1EESX_IbLb0EEEEDaST_SU_EUlST_E0_NS1_11comp_targetILNS1_3genE8ELNS1_11target_archE1030ELNS1_3gpuE2ELNS1_3repE0EEENS1_30default_config_static_selectorELNS0_4arch9wavefront6targetE0EEEvT1_ ; -- Begin function _ZN7rocprim17ROCPRIM_400000_NS6detail17trampoline_kernelINS0_14default_configENS1_20scan_config_selectorIN3c104HalfEEEZZNS1_9scan_implILNS1_25lookback_scan_determinismE0ELb0ELb0ES3_PKS6_PS6_S6_ZZZN2at6native31launch_logcumsumexp_cuda_kernelERKNSD_10TensorBaseESH_lENKUlvE_clEvENKUlvE3_clEvEUlS6_S6_E_S6_EEDaPvRmT3_T4_T5_mT6_P12ihipStream_tbENKUlT_T0_E_clISt17integral_constantIbLb1EESX_IbLb0EEEEDaST_SU_EUlST_E0_NS1_11comp_targetILNS1_3genE8ELNS1_11target_archE1030ELNS1_3gpuE2ELNS1_3repE0EEENS1_30default_config_static_selectorELNS0_4arch9wavefront6targetE0EEEvT1_
	.p2align	8
	.type	_ZN7rocprim17ROCPRIM_400000_NS6detail17trampoline_kernelINS0_14default_configENS1_20scan_config_selectorIN3c104HalfEEEZZNS1_9scan_implILNS1_25lookback_scan_determinismE0ELb0ELb0ES3_PKS6_PS6_S6_ZZZN2at6native31launch_logcumsumexp_cuda_kernelERKNSD_10TensorBaseESH_lENKUlvE_clEvENKUlvE3_clEvEUlS6_S6_E_S6_EEDaPvRmT3_T4_T5_mT6_P12ihipStream_tbENKUlT_T0_E_clISt17integral_constantIbLb1EESX_IbLb0EEEEDaST_SU_EUlST_E0_NS1_11comp_targetILNS1_3genE8ELNS1_11target_archE1030ELNS1_3gpuE2ELNS1_3repE0EEENS1_30default_config_static_selectorELNS0_4arch9wavefront6targetE0EEEvT1_,@function
_ZN7rocprim17ROCPRIM_400000_NS6detail17trampoline_kernelINS0_14default_configENS1_20scan_config_selectorIN3c104HalfEEEZZNS1_9scan_implILNS1_25lookback_scan_determinismE0ELb0ELb0ES3_PKS6_PS6_S6_ZZZN2at6native31launch_logcumsumexp_cuda_kernelERKNSD_10TensorBaseESH_lENKUlvE_clEvENKUlvE3_clEvEUlS6_S6_E_S6_EEDaPvRmT3_T4_T5_mT6_P12ihipStream_tbENKUlT_T0_E_clISt17integral_constantIbLb1EESX_IbLb0EEEEDaST_SU_EUlST_E0_NS1_11comp_targetILNS1_3genE8ELNS1_11target_archE1030ELNS1_3gpuE2ELNS1_3repE0EEENS1_30default_config_static_selectorELNS0_4arch9wavefront6targetE0EEEvT1_: ; @_ZN7rocprim17ROCPRIM_400000_NS6detail17trampoline_kernelINS0_14default_configENS1_20scan_config_selectorIN3c104HalfEEEZZNS1_9scan_implILNS1_25lookback_scan_determinismE0ELb0ELb0ES3_PKS6_PS6_S6_ZZZN2at6native31launch_logcumsumexp_cuda_kernelERKNSD_10TensorBaseESH_lENKUlvE_clEvENKUlvE3_clEvEUlS6_S6_E_S6_EEDaPvRmT3_T4_T5_mT6_P12ihipStream_tbENKUlT_T0_E_clISt17integral_constantIbLb1EESX_IbLb0EEEEDaST_SU_EUlST_E0_NS1_11comp_targetILNS1_3genE8ELNS1_11target_archE1030ELNS1_3gpuE2ELNS1_3repE0EEENS1_30default_config_static_selectorELNS0_4arch9wavefront6targetE0EEEvT1_
; %bb.0:
	s_load_dwordx4 s[16:19], s[4:5], 0x0
	v_mov_b32_e32 v1, 0
	v_lshlrev_b32_e32 v7, 1, v0
	s_waitcnt lgkmcnt(0)
	global_load_ushort v1, v1, s[16:17]
	v_cmp_gt_u32_e32 vcc_lo, s18, v0
	s_waitcnt vmcnt(0)
	v_mov_b32_e32 v2, v1
	s_and_saveexec_b32 s0, vcc_lo
	s_cbranch_execz .LBB414_2
; %bb.1:
	global_load_ushort v2, v7, s[16:17]
.LBB414_2:
	s_or_b32 exec_lo, exec_lo, s0
	v_or_b32_e32 v3, 64, v0
	v_cmp_gt_u32_e64 s0, s18, v3
	v_mov_b32_e32 v3, v1
	s_and_saveexec_b32 s1, s0
	s_cbranch_execz .LBB414_4
; %bb.3:
	global_load_ushort v3, v7, s[16:17] offset:128
.LBB414_4:
	s_or_b32 exec_lo, exec_lo, s1
	v_or_b32_e32 v4, 0x80, v0
	v_cmp_gt_u32_e64 s1, s18, v4
	v_mov_b32_e32 v4, v1
	s_and_saveexec_b32 s2, s1
	s_cbranch_execz .LBB414_6
; %bb.5:
	global_load_ushort v4, v7, s[16:17] offset:256
.LBB414_6:
	;; [unrolled: 9-line block ×10, first 2 shown]
	s_or_b32 exec_lo, exec_lo, s12
	v_or_b32_e32 v14, 0x2c0, v0
	v_cmp_gt_u32_e64 s12, s18, v14
	v_cmp_le_u32_e64 s13, s18, v14
	s_and_saveexec_b32 s14, s13
	s_xor_b32 s13, exec_lo, s14
	s_andn2_saveexec_b32 s13, s13
	s_cbranch_execz .LBB414_24
; %bb.23:
	v_lshlrev_b32_e32 v1, 1, v0
	global_load_ushort v1, v1, s[16:17] offset:1408
.LBB414_24:
	s_or_b32 exec_lo, exec_lo, s13
	s_waitcnt vmcnt(0)
	ds_write_b16 v7, v2
	ds_write_b16 v7, v3 offset:128
	ds_write_b16 v7, v4 offset:256
	;; [unrolled: 1-line block ×10, first 2 shown]
	v_mad_u32_u24 v5, v0, 22, v7
	ds_write_b16 v7, v1 offset:1408
	s_waitcnt lgkmcnt(0)
	s_barrier
	buffer_gl0_inv
	ds_read2_b64 v[1:4], v5 offset1:1
	ds_read_b64 v[5:6], v5 offset:16
	s_waitcnt lgkmcnt(0)
	s_barrier
	buffer_gl0_inv
	v_cvt_f32_f16_e32 v8, v1
	v_cvt_f32_f16_sdwa v9, v1 dst_sel:DWORD dst_unused:UNUSED_PAD src0_sel:WORD_1
	v_cmp_u_f16_e64 s24, v1, v1
	v_cmp_u_f16_sdwa s13, v1, v1 src0_sel:WORD_1 src1_sel:WORD_1
	v_mov_b32_e32 v19, v1
	v_mov_b32_e32 v20, v8
	v_min_f32_e32 v16, v8, v9
	v_max_f32_e32 v17, v8, v9
	v_mov_b32_e32 v18, v1
	v_cndmask_b32_e64 v10, v16, v8, s24
	v_cndmask_b32_e64 v12, v17, v8, s24
	v_cndmask_b32_e64 v11, v10, v9, s13
	v_cndmask_b32_e64 v10, v12, v9, s13
	v_cmp_class_f32_e64 s15, v11, 0x1f8
	v_cmp_neq_f32_e64 s14, v11, v10
	s_or_b32 s14, s14, s15
	s_and_saveexec_b32 s15, s14
	s_cbranch_execz .LBB414_26
; %bb.25:
	v_sub_f32_e32 v11, v11, v10
	v_mul_f32_e32 v12, 0x3fb8aa3b, v11
	v_cmp_ngt_f32_e64 s14, 0xc2ce8ed0, v11
	v_fma_f32 v13, 0x3fb8aa3b, v11, -v12
	v_rndne_f32_e32 v14, v12
	v_fmamk_f32 v13, v11, 0x32a5705f, v13
	v_sub_f32_e32 v12, v12, v14
	v_add_f32_e32 v12, v12, v13
	v_cvt_i32_f32_e32 v13, v14
	v_exp_f32_e32 v12, v12
	v_ldexp_f32 v12, v12, v13
	v_cndmask_b32_e64 v12, 0, v12, s14
	v_cmp_nlt_f32_e64 s14, 0x42b17218, v11
	v_cndmask_b32_e64 v13, 0x7f800000, v12, s14
	v_add_f32_e32 v14, 1.0, v13
	v_cvt_f64_f32_e32 v[11:12], v14
	v_frexp_exp_i32_f64_e32 v11, v[11:12]
	v_frexp_mant_f32_e32 v12, v14
	v_cmp_gt_f32_e64 s14, 0x3f2aaaab, v12
	v_add_f32_e32 v12, -1.0, v14
	v_sub_f32_e32 v18, v12, v14
	v_sub_f32_e32 v12, v13, v12
	v_add_f32_e32 v18, 1.0, v18
	v_add_f32_e32 v12, v12, v18
	v_subrev_co_ci_u32_e64 v11, null, 0, v11, s14
	s_mov_b32 s14, 0x3e9b6dac
	v_sub_nc_u32_e32 v15, 0, v11
	v_cvt_f32_i32_e32 v11, v11
	v_ldexp_f32 v14, v14, v15
	v_ldexp_f32 v12, v12, v15
	v_add_f32_e32 v19, 1.0, v14
	v_add_f32_e32 v15, -1.0, v14
	v_add_f32_e32 v18, -1.0, v19
	v_add_f32_e32 v20, 1.0, v15
	v_sub_f32_e32 v18, v14, v18
	v_sub_f32_e32 v14, v14, v20
	v_add_f32_e32 v18, v12, v18
	v_add_f32_e32 v12, v12, v14
	;; [unrolled: 1-line block ×4, first 2 shown]
	v_rcp_f32_e32 v14, v20
	v_sub_f32_e32 v19, v19, v20
	v_sub_f32_e32 v15, v15, v21
	v_add_f32_e32 v18, v18, v19
	v_add_f32_e32 v12, v12, v15
	v_mul_f32_e32 v22, v21, v14
	v_mul_f32_e32 v23, v20, v22
	v_fma_f32 v19, v22, v20, -v23
	v_fmac_f32_e32 v19, v22, v18
	v_add_f32_e32 v24, v23, v19
	v_sub_f32_e32 v25, v21, v24
	v_sub_f32_e32 v15, v24, v23
	;; [unrolled: 1-line block ×5, first 2 shown]
	v_add_f32_e32 v12, v12, v21
	v_add_f32_e32 v12, v15, v12
	;; [unrolled: 1-line block ×3, first 2 shown]
	v_mul_f32_e32 v19, v14, v15
	v_sub_f32_e32 v24, v25, v15
	v_mul_f32_e32 v21, v20, v19
	v_add_f32_e32 v12, v12, v24
	v_fma_f32 v20, v19, v20, -v21
	v_fmac_f32_e32 v20, v19, v18
	v_add_f32_e32 v18, v21, v20
	v_sub_f32_e32 v23, v15, v18
	v_sub_f32_e32 v21, v18, v21
	;; [unrolled: 1-line block ×5, first 2 shown]
	v_add_f32_e32 v12, v12, v15
	v_add_f32_e32 v15, v22, v19
	;; [unrolled: 1-line block ×3, first 2 shown]
	v_sub_f32_e32 v18, v15, v22
	v_add_f32_e32 v12, v23, v12
	v_sub_f32_e32 v18, v19, v18
	v_mul_f32_e32 v12, v14, v12
	v_add_f32_e32 v12, v18, v12
	v_add_f32_e32 v14, v15, v12
	v_mul_f32_e32 v18, v14, v14
	v_fmaak_f32 v19, s14, v18, 0x3ecc95a3
	v_mul_f32_e32 v20, v14, v18
	v_cmp_neq_f32_e64 s14, 0x7f800000, v13
	v_fmaak_f32 v18, v18, v19, 0x3f2aaada
	v_ldexp_f32 v19, v14, 1
	v_sub_f32_e32 v14, v14, v15
	v_mul_f32_e32 v18, v20, v18
	v_mul_f32_e32 v20, 0x3f317218, v11
	v_sub_f32_e32 v12, v12, v14
	v_add_f32_e32 v15, v19, v18
	v_ldexp_f32 v12, v12, 1
	v_sub_f32_e32 v14, v15, v19
	v_fma_f32 v19, 0x3f317218, v11, -v20
	v_sub_f32_e32 v14, v18, v14
	v_fmamk_f32 v11, v11, 0xb102e308, v19
	v_add_f32_e32 v12, v12, v14
	v_add_f32_e32 v14, v20, v11
	;; [unrolled: 1-line block ×3, first 2 shown]
	v_sub_f32_e32 v20, v14, v20
	v_add_f32_e32 v19, v14, v18
	v_sub_f32_e32 v15, v18, v15
	v_sub_f32_e32 v11, v11, v20
	;; [unrolled: 1-line block ×6, first 2 shown]
	v_add_f32_e32 v18, v11, v12
	v_sub_f32_e32 v14, v14, v22
	v_add_f32_e32 v14, v15, v14
	v_sub_f32_e32 v15, v18, v11
	;; [unrolled: 2-line block ×3, first 2 shown]
	v_sub_f32_e32 v12, v12, v15
	v_add_f32_e32 v20, v19, v14
	v_sub_f32_e32 v11, v11, v18
	v_sub_f32_e32 v15, v20, v19
	v_add_f32_e32 v11, v12, v11
	v_sub_f32_e32 v12, v14, v15
	v_add_f32_e32 v11, v11, v12
	v_add_f32_e32 v11, v20, v11
	v_cndmask_b32_e64 v11, 0x7f800000, v11, s14
	v_cmp_gt_f32_e64 s14, 0x33800000, |v13|
	v_cndmask_b32_e64 v11, v11, v13, s14
	v_add_f32_e32 v10, v10, v11
	v_cvt_f16_f32_e32 v19, v10
	v_cvt_f32_f16_e32 v20, v19
	v_mov_b32_e32 v18, v19
.LBB414_26:
	s_or_b32 exec_lo, exec_lo, s15
	v_cvt_f32_f16_e32 v10, v2
	v_max_f32_e32 v11, v20, v20
	v_cmp_u_f16_e64 s14, v19, v19
	v_min_f32_e32 v12, v11, v10
	v_max_f32_e32 v11, v11, v10
	v_cndmask_b32_e64 v12, v12, v20, s14
	v_cndmask_b32_e64 v11, v11, v20, s14
	v_cmp_u_f16_e64 s14, v2, v2
	v_cndmask_b32_e64 v12, v12, v10, s14
	v_cndmask_b32_e64 v11, v11, v10, s14
	v_cmp_class_f32_e64 s16, v12, 0x1f8
	v_cmp_neq_f32_e64 s15, v12, v11
	s_or_b32 s15, s15, s16
	s_and_saveexec_b32 s16, s15
	s_cbranch_execz .LBB414_28
; %bb.27:
	v_sub_f32_e32 v12, v12, v11
	v_mul_f32_e32 v13, 0x3fb8aa3b, v12
	v_cmp_ngt_f32_e64 s15, 0xc2ce8ed0, v12
	v_fma_f32 v14, 0x3fb8aa3b, v12, -v13
	v_rndne_f32_e32 v15, v13
	v_fmamk_f32 v14, v12, 0x32a5705f, v14
	v_sub_f32_e32 v13, v13, v15
	v_add_f32_e32 v13, v13, v14
	v_cvt_i32_f32_e32 v14, v15
	v_exp_f32_e32 v13, v13
	v_ldexp_f32 v13, v13, v14
	v_cndmask_b32_e64 v13, 0, v13, s15
	v_cmp_nlt_f32_e64 s15, 0x42b17218, v12
	v_cndmask_b32_e64 v14, 0x7f800000, v13, s15
	v_add_f32_e32 v15, 1.0, v14
	v_cvt_f64_f32_e32 v[12:13], v15
	v_frexp_exp_i32_f64_e32 v12, v[12:13]
	v_frexp_mant_f32_e32 v13, v15
	v_cmp_gt_f32_e64 s15, 0x3f2aaaab, v13
	v_add_f32_e32 v13, -1.0, v15
	v_sub_f32_e32 v19, v13, v15
	v_sub_f32_e32 v13, v14, v13
	v_add_f32_e32 v19, 1.0, v19
	v_add_f32_e32 v13, v13, v19
	v_subrev_co_ci_u32_e64 v12, null, 0, v12, s15
	s_mov_b32 s15, 0x3e9b6dac
	v_sub_nc_u32_e32 v18, 0, v12
	v_cvt_f32_i32_e32 v12, v12
	v_ldexp_f32 v15, v15, v18
	v_ldexp_f32 v13, v13, v18
	v_add_f32_e32 v20, 1.0, v15
	v_add_f32_e32 v18, -1.0, v15
	v_add_f32_e32 v19, -1.0, v20
	v_add_f32_e32 v21, 1.0, v18
	v_sub_f32_e32 v19, v15, v19
	v_sub_f32_e32 v15, v15, v21
	v_add_f32_e32 v19, v13, v19
	v_add_f32_e32 v13, v13, v15
	;; [unrolled: 1-line block ×4, first 2 shown]
	v_rcp_f32_e32 v15, v21
	v_sub_f32_e32 v20, v20, v21
	v_sub_f32_e32 v18, v18, v22
	v_add_f32_e32 v19, v19, v20
	v_add_f32_e32 v13, v13, v18
	v_mul_f32_e32 v23, v22, v15
	v_mul_f32_e32 v24, v21, v23
	v_fma_f32 v20, v23, v21, -v24
	v_fmac_f32_e32 v20, v23, v19
	v_add_f32_e32 v25, v24, v20
	v_sub_f32_e32 v26, v22, v25
	v_sub_f32_e32 v18, v25, v24
	;; [unrolled: 1-line block ×5, first 2 shown]
	v_add_f32_e32 v13, v13, v22
	v_add_f32_e32 v13, v18, v13
	;; [unrolled: 1-line block ×3, first 2 shown]
	v_mul_f32_e32 v20, v15, v18
	v_sub_f32_e32 v25, v26, v18
	v_mul_f32_e32 v22, v21, v20
	v_add_f32_e32 v13, v13, v25
	v_fma_f32 v21, v20, v21, -v22
	v_fmac_f32_e32 v21, v20, v19
	v_add_f32_e32 v19, v22, v21
	v_sub_f32_e32 v24, v18, v19
	v_sub_f32_e32 v22, v19, v22
	;; [unrolled: 1-line block ×5, first 2 shown]
	v_add_f32_e32 v13, v13, v18
	v_add_f32_e32 v18, v23, v20
	;; [unrolled: 1-line block ×3, first 2 shown]
	v_sub_f32_e32 v19, v18, v23
	v_add_f32_e32 v13, v24, v13
	v_sub_f32_e32 v19, v20, v19
	v_mul_f32_e32 v13, v15, v13
	v_add_f32_e32 v13, v19, v13
	v_add_f32_e32 v15, v18, v13
	v_mul_f32_e32 v19, v15, v15
	v_fmaak_f32 v20, s15, v19, 0x3ecc95a3
	v_mul_f32_e32 v21, v15, v19
	v_cmp_neq_f32_e64 s15, 0x7f800000, v14
	v_fmaak_f32 v19, v19, v20, 0x3f2aaada
	v_ldexp_f32 v20, v15, 1
	v_sub_f32_e32 v15, v15, v18
	v_mul_f32_e32 v19, v21, v19
	v_mul_f32_e32 v21, 0x3f317218, v12
	v_sub_f32_e32 v13, v13, v15
	v_add_f32_e32 v18, v20, v19
	v_ldexp_f32 v13, v13, 1
	v_sub_f32_e32 v15, v18, v20
	v_fma_f32 v20, 0x3f317218, v12, -v21
	v_sub_f32_e32 v15, v19, v15
	v_fmamk_f32 v12, v12, 0xb102e308, v20
	v_add_f32_e32 v13, v13, v15
	v_add_f32_e32 v15, v21, v12
	;; [unrolled: 1-line block ×3, first 2 shown]
	v_sub_f32_e32 v21, v15, v21
	v_add_f32_e32 v20, v15, v19
	v_sub_f32_e32 v18, v19, v18
	v_sub_f32_e32 v12, v12, v21
	;; [unrolled: 1-line block ×6, first 2 shown]
	v_add_f32_e32 v19, v12, v13
	v_sub_f32_e32 v15, v15, v23
	v_add_f32_e32 v15, v18, v15
	v_sub_f32_e32 v18, v19, v12
	;; [unrolled: 2-line block ×3, first 2 shown]
	v_sub_f32_e32 v13, v13, v18
	v_add_f32_e32 v21, v20, v15
	v_sub_f32_e32 v12, v12, v19
	v_sub_f32_e32 v18, v21, v20
	v_add_f32_e32 v12, v13, v12
	v_sub_f32_e32 v13, v15, v18
	v_add_f32_e32 v12, v12, v13
	v_add_f32_e32 v12, v21, v12
	v_cndmask_b32_e64 v12, 0x7f800000, v12, s15
	v_cmp_gt_f32_e64 s15, 0x33800000, |v14|
	v_cndmask_b32_e64 v12, v12, v14, s15
	v_add_f32_e32 v11, v11, v12
	v_cvt_f16_f32_e32 v19, v11
	v_cvt_f32_f16_e32 v20, v19
	v_mov_b32_e32 v18, v19
.LBB414_28:
	s_or_b32 exec_lo, exec_lo, s16
	v_cvt_f32_f16_sdwa v11, v2 dst_sel:DWORD dst_unused:UNUSED_PAD src0_sel:WORD_1
	v_max_f32_e32 v12, v20, v20
	v_cmp_u_f16_e64 s15, v19, v19
	v_min_f32_e32 v13, v12, v11
	v_max_f32_e32 v12, v12, v11
	v_cndmask_b32_e64 v13, v13, v20, s15
	v_cndmask_b32_e64 v14, v12, v20, s15
	v_cmp_u_f16_sdwa s15, v2, v2 src0_sel:WORD_1 src1_sel:WORD_1
	v_cndmask_b32_e64 v12, v13, v11, s15
	v_cndmask_b32_e64 v2, v14, v11, s15
	v_cmp_class_f32_e64 s17, v12, 0x1f8
	v_cmp_neq_f32_e64 s16, v12, v2
	s_or_b32 s16, s16, s17
	s_and_saveexec_b32 s17, s16
	s_cbranch_execz .LBB414_30
; %bb.29:
	v_sub_f32_e32 v12, v12, v2
	v_mul_f32_e32 v13, 0x3fb8aa3b, v12
	v_cmp_ngt_f32_e64 s16, 0xc2ce8ed0, v12
	v_fma_f32 v14, 0x3fb8aa3b, v12, -v13
	v_rndne_f32_e32 v15, v13
	v_fmamk_f32 v14, v12, 0x32a5705f, v14
	v_sub_f32_e32 v13, v13, v15
	v_add_f32_e32 v13, v13, v14
	v_cvt_i32_f32_e32 v14, v15
	v_exp_f32_e32 v13, v13
	v_ldexp_f32 v13, v13, v14
	v_cndmask_b32_e64 v13, 0, v13, s16
	v_cmp_nlt_f32_e64 s16, 0x42b17218, v12
	v_cndmask_b32_e64 v14, 0x7f800000, v13, s16
	v_add_f32_e32 v15, 1.0, v14
	v_cvt_f64_f32_e32 v[12:13], v15
	v_frexp_exp_i32_f64_e32 v12, v[12:13]
	v_frexp_mant_f32_e32 v13, v15
	v_cmp_gt_f32_e64 s16, 0x3f2aaaab, v13
	v_add_f32_e32 v13, -1.0, v15
	v_sub_f32_e32 v19, v13, v15
	v_sub_f32_e32 v13, v14, v13
	v_add_f32_e32 v19, 1.0, v19
	v_add_f32_e32 v13, v13, v19
	v_subrev_co_ci_u32_e64 v12, null, 0, v12, s16
	s_mov_b32 s16, 0x3e9b6dac
	v_sub_nc_u32_e32 v18, 0, v12
	v_cvt_f32_i32_e32 v12, v12
	v_ldexp_f32 v15, v15, v18
	v_ldexp_f32 v13, v13, v18
	v_add_f32_e32 v20, 1.0, v15
	v_add_f32_e32 v18, -1.0, v15
	v_add_f32_e32 v19, -1.0, v20
	v_add_f32_e32 v21, 1.0, v18
	v_sub_f32_e32 v19, v15, v19
	v_sub_f32_e32 v15, v15, v21
	v_add_f32_e32 v19, v13, v19
	v_add_f32_e32 v13, v13, v15
	;; [unrolled: 1-line block ×4, first 2 shown]
	v_rcp_f32_e32 v15, v21
	v_sub_f32_e32 v20, v20, v21
	v_sub_f32_e32 v18, v18, v22
	v_add_f32_e32 v19, v19, v20
	v_add_f32_e32 v13, v13, v18
	v_mul_f32_e32 v23, v22, v15
	v_mul_f32_e32 v24, v21, v23
	v_fma_f32 v20, v23, v21, -v24
	v_fmac_f32_e32 v20, v23, v19
	v_add_f32_e32 v25, v24, v20
	v_sub_f32_e32 v26, v22, v25
	v_sub_f32_e32 v18, v25, v24
	;; [unrolled: 1-line block ×5, first 2 shown]
	v_add_f32_e32 v13, v13, v22
	v_add_f32_e32 v13, v18, v13
	;; [unrolled: 1-line block ×3, first 2 shown]
	v_mul_f32_e32 v20, v15, v18
	v_sub_f32_e32 v25, v26, v18
	v_mul_f32_e32 v22, v21, v20
	v_add_f32_e32 v13, v13, v25
	v_fma_f32 v21, v20, v21, -v22
	v_fmac_f32_e32 v21, v20, v19
	v_add_f32_e32 v19, v22, v21
	v_sub_f32_e32 v24, v18, v19
	v_sub_f32_e32 v22, v19, v22
	;; [unrolled: 1-line block ×5, first 2 shown]
	v_add_f32_e32 v13, v13, v18
	v_add_f32_e32 v18, v23, v20
	;; [unrolled: 1-line block ×3, first 2 shown]
	v_sub_f32_e32 v19, v18, v23
	v_add_f32_e32 v13, v24, v13
	v_sub_f32_e32 v19, v20, v19
	v_mul_f32_e32 v13, v15, v13
	v_add_f32_e32 v13, v19, v13
	v_add_f32_e32 v15, v18, v13
	v_mul_f32_e32 v19, v15, v15
	v_fmaak_f32 v20, s16, v19, 0x3ecc95a3
	v_mul_f32_e32 v21, v15, v19
	v_cmp_neq_f32_e64 s16, 0x7f800000, v14
	v_fmaak_f32 v19, v19, v20, 0x3f2aaada
	v_ldexp_f32 v20, v15, 1
	v_sub_f32_e32 v15, v15, v18
	v_mul_f32_e32 v19, v21, v19
	v_mul_f32_e32 v21, 0x3f317218, v12
	v_sub_f32_e32 v13, v13, v15
	v_add_f32_e32 v18, v20, v19
	v_ldexp_f32 v13, v13, 1
	v_sub_f32_e32 v15, v18, v20
	v_fma_f32 v20, 0x3f317218, v12, -v21
	v_sub_f32_e32 v15, v19, v15
	v_fmamk_f32 v12, v12, 0xb102e308, v20
	v_add_f32_e32 v13, v13, v15
	v_add_f32_e32 v15, v21, v12
	;; [unrolled: 1-line block ×3, first 2 shown]
	v_sub_f32_e32 v21, v15, v21
	v_add_f32_e32 v20, v15, v19
	v_sub_f32_e32 v18, v19, v18
	v_sub_f32_e32 v12, v12, v21
	;; [unrolled: 1-line block ×6, first 2 shown]
	v_add_f32_e32 v19, v12, v13
	v_sub_f32_e32 v15, v15, v23
	v_add_f32_e32 v15, v18, v15
	v_sub_f32_e32 v18, v19, v12
	;; [unrolled: 2-line block ×3, first 2 shown]
	v_sub_f32_e32 v13, v13, v18
	v_add_f32_e32 v21, v20, v15
	v_sub_f32_e32 v12, v12, v19
	v_sub_f32_e32 v18, v21, v20
	v_add_f32_e32 v12, v13, v12
	v_sub_f32_e32 v13, v15, v18
	v_add_f32_e32 v12, v12, v13
	v_add_f32_e32 v12, v21, v12
	v_cndmask_b32_e64 v12, 0x7f800000, v12, s16
	v_cmp_gt_f32_e64 s16, 0x33800000, |v14|
	v_cndmask_b32_e64 v12, v12, v14, s16
	v_add_f32_e32 v2, v2, v12
	v_cvt_f16_f32_e32 v19, v2
	v_cvt_f32_f16_e32 v20, v19
	v_mov_b32_e32 v18, v19
.LBB414_30:
	s_or_b32 exec_lo, exec_lo, s17
	v_cvt_f32_f16_e32 v2, v3
	v_max_f32_e32 v12, v20, v20
	v_cmp_u_f16_e64 s16, v19, v19
	v_min_f32_e32 v13, v12, v2
	v_max_f32_e32 v12, v12, v2
	v_cndmask_b32_e64 v13, v13, v20, s16
	v_cndmask_b32_e64 v12, v12, v20, s16
	v_cmp_u_f16_e64 s16, v3, v3
	v_cndmask_b32_e64 v13, v13, v2, s16
	v_cndmask_b32_e64 v12, v12, v2, s16
	v_cmp_class_f32_e64 s18, v13, 0x1f8
	v_cmp_neq_f32_e64 s17, v13, v12
	s_or_b32 s17, s17, s18
	s_and_saveexec_b32 s18, s17
	s_cbranch_execz .LBB414_32
; %bb.31:
	v_sub_f32_e32 v13, v13, v12
	v_mul_f32_e32 v14, 0x3fb8aa3b, v13
	v_cmp_ngt_f32_e64 s17, 0xc2ce8ed0, v13
	v_fma_f32 v15, 0x3fb8aa3b, v13, -v14
	v_rndne_f32_e32 v18, v14
	v_fmamk_f32 v15, v13, 0x32a5705f, v15
	v_sub_f32_e32 v14, v14, v18
	v_add_f32_e32 v14, v14, v15
	v_cvt_i32_f32_e32 v15, v18
	v_exp_f32_e32 v14, v14
	v_ldexp_f32 v14, v14, v15
	v_cndmask_b32_e64 v14, 0, v14, s17
	v_cmp_nlt_f32_e64 s17, 0x42b17218, v13
	v_cndmask_b32_e64 v15, 0x7f800000, v14, s17
	v_add_f32_e32 v18, 1.0, v15
	v_cvt_f64_f32_e32 v[13:14], v18
	v_frexp_exp_i32_f64_e32 v13, v[13:14]
	v_frexp_mant_f32_e32 v14, v18
	v_cmp_gt_f32_e64 s17, 0x3f2aaaab, v14
	v_add_f32_e32 v14, -1.0, v18
	v_sub_f32_e32 v20, v14, v18
	v_sub_f32_e32 v14, v15, v14
	v_add_f32_e32 v20, 1.0, v20
	v_add_f32_e32 v14, v14, v20
	v_subrev_co_ci_u32_e64 v13, null, 0, v13, s17
	s_mov_b32 s17, 0x3e9b6dac
	v_sub_nc_u32_e32 v19, 0, v13
	v_cvt_f32_i32_e32 v13, v13
	v_ldexp_f32 v18, v18, v19
	v_ldexp_f32 v14, v14, v19
	v_add_f32_e32 v21, 1.0, v18
	v_add_f32_e32 v19, -1.0, v18
	v_add_f32_e32 v20, -1.0, v21
	v_add_f32_e32 v22, 1.0, v19
	v_sub_f32_e32 v20, v18, v20
	v_sub_f32_e32 v18, v18, v22
	v_add_f32_e32 v20, v14, v20
	v_add_f32_e32 v14, v14, v18
	;; [unrolled: 1-line block ×4, first 2 shown]
	v_rcp_f32_e32 v18, v22
	v_sub_f32_e32 v21, v21, v22
	v_sub_f32_e32 v19, v19, v23
	v_add_f32_e32 v20, v20, v21
	v_add_f32_e32 v14, v14, v19
	v_mul_f32_e32 v24, v23, v18
	v_mul_f32_e32 v25, v22, v24
	v_fma_f32 v21, v24, v22, -v25
	v_fmac_f32_e32 v21, v24, v20
	v_add_f32_e32 v26, v25, v21
	v_sub_f32_e32 v27, v23, v26
	v_sub_f32_e32 v19, v26, v25
	;; [unrolled: 1-line block ×5, first 2 shown]
	v_add_f32_e32 v14, v14, v23
	v_add_f32_e32 v14, v19, v14
	;; [unrolled: 1-line block ×3, first 2 shown]
	v_mul_f32_e32 v21, v18, v19
	v_sub_f32_e32 v26, v27, v19
	v_mul_f32_e32 v23, v22, v21
	v_add_f32_e32 v14, v14, v26
	v_fma_f32 v22, v21, v22, -v23
	v_fmac_f32_e32 v22, v21, v20
	v_add_f32_e32 v20, v23, v22
	v_sub_f32_e32 v25, v19, v20
	v_sub_f32_e32 v23, v20, v23
	;; [unrolled: 1-line block ×5, first 2 shown]
	v_add_f32_e32 v14, v14, v19
	v_add_f32_e32 v19, v24, v21
	;; [unrolled: 1-line block ×3, first 2 shown]
	v_sub_f32_e32 v20, v19, v24
	v_add_f32_e32 v14, v25, v14
	v_sub_f32_e32 v20, v21, v20
	v_mul_f32_e32 v14, v18, v14
	v_add_f32_e32 v14, v20, v14
	v_add_f32_e32 v18, v19, v14
	v_mul_f32_e32 v20, v18, v18
	v_fmaak_f32 v21, s17, v20, 0x3ecc95a3
	v_mul_f32_e32 v22, v18, v20
	v_cmp_neq_f32_e64 s17, 0x7f800000, v15
	v_fmaak_f32 v20, v20, v21, 0x3f2aaada
	v_ldexp_f32 v21, v18, 1
	v_sub_f32_e32 v18, v18, v19
	v_mul_f32_e32 v20, v22, v20
	v_mul_f32_e32 v22, 0x3f317218, v13
	v_sub_f32_e32 v14, v14, v18
	v_add_f32_e32 v19, v21, v20
	v_ldexp_f32 v14, v14, 1
	v_sub_f32_e32 v18, v19, v21
	v_fma_f32 v21, 0x3f317218, v13, -v22
	v_sub_f32_e32 v18, v20, v18
	v_fmamk_f32 v13, v13, 0xb102e308, v21
	v_add_f32_e32 v14, v14, v18
	v_add_f32_e32 v18, v22, v13
	;; [unrolled: 1-line block ×3, first 2 shown]
	v_sub_f32_e32 v22, v18, v22
	v_add_f32_e32 v21, v18, v20
	v_sub_f32_e32 v19, v20, v19
	v_sub_f32_e32 v13, v13, v22
	;; [unrolled: 1-line block ×6, first 2 shown]
	v_add_f32_e32 v20, v13, v14
	v_sub_f32_e32 v18, v18, v24
	v_add_f32_e32 v18, v19, v18
	v_sub_f32_e32 v19, v20, v13
	;; [unrolled: 2-line block ×3, first 2 shown]
	v_sub_f32_e32 v14, v14, v19
	v_add_f32_e32 v22, v21, v18
	v_sub_f32_e32 v13, v13, v20
	v_sub_f32_e32 v19, v22, v21
	v_add_f32_e32 v13, v14, v13
	v_sub_f32_e32 v14, v18, v19
	v_add_f32_e32 v13, v13, v14
	v_add_f32_e32 v13, v22, v13
	v_cndmask_b32_e64 v13, 0x7f800000, v13, s17
	v_cmp_gt_f32_e64 s17, 0x33800000, |v15|
	v_cndmask_b32_e64 v13, v13, v15, s17
	v_add_f32_e32 v12, v12, v13
	v_cvt_f16_f32_e32 v19, v12
	v_cvt_f32_f16_e32 v20, v19
	v_mov_b32_e32 v18, v19
.LBB414_32:
	s_or_b32 exec_lo, exec_lo, s18
	v_cvt_f32_f16_sdwa v12, v3 dst_sel:DWORD dst_unused:UNUSED_PAD src0_sel:WORD_1
	v_max_f32_e32 v13, v20, v20
	v_cmp_u_f16_e64 s17, v19, v19
	v_min_f32_e32 v14, v13, v12
	v_max_f32_e32 v13, v13, v12
	v_cndmask_b32_e64 v14, v14, v20, s17
	v_cndmask_b32_e64 v15, v13, v20, s17
	v_cmp_u_f16_sdwa s17, v3, v3 src0_sel:WORD_1 src1_sel:WORD_1
	v_cndmask_b32_e64 v13, v14, v12, s17
	v_cndmask_b32_e64 v3, v15, v12, s17
	v_cmp_class_f32_e64 s19, v13, 0x1f8
	v_cmp_neq_f32_e64 s18, v13, v3
	s_or_b32 s18, s18, s19
	s_and_saveexec_b32 s19, s18
	s_cbranch_execz .LBB414_34
; %bb.33:
	v_sub_f32_e32 v13, v13, v3
	v_mul_f32_e32 v14, 0x3fb8aa3b, v13
	v_cmp_ngt_f32_e64 s18, 0xc2ce8ed0, v13
	v_fma_f32 v15, 0x3fb8aa3b, v13, -v14
	v_rndne_f32_e32 v18, v14
	v_fmamk_f32 v15, v13, 0x32a5705f, v15
	v_sub_f32_e32 v14, v14, v18
	v_add_f32_e32 v14, v14, v15
	v_cvt_i32_f32_e32 v15, v18
	v_exp_f32_e32 v14, v14
	v_ldexp_f32 v14, v14, v15
	v_cndmask_b32_e64 v14, 0, v14, s18
	v_cmp_nlt_f32_e64 s18, 0x42b17218, v13
	v_cndmask_b32_e64 v15, 0x7f800000, v14, s18
	v_add_f32_e32 v18, 1.0, v15
	v_cvt_f64_f32_e32 v[13:14], v18
	v_frexp_exp_i32_f64_e32 v13, v[13:14]
	v_frexp_mant_f32_e32 v14, v18
	v_cmp_gt_f32_e64 s18, 0x3f2aaaab, v14
	v_add_f32_e32 v14, -1.0, v18
	v_sub_f32_e32 v20, v14, v18
	v_sub_f32_e32 v14, v15, v14
	v_add_f32_e32 v20, 1.0, v20
	v_add_f32_e32 v14, v14, v20
	v_subrev_co_ci_u32_e64 v13, null, 0, v13, s18
	s_mov_b32 s18, 0x3e9b6dac
	v_sub_nc_u32_e32 v19, 0, v13
	v_cvt_f32_i32_e32 v13, v13
	v_ldexp_f32 v18, v18, v19
	v_ldexp_f32 v14, v14, v19
	v_add_f32_e32 v21, 1.0, v18
	v_add_f32_e32 v19, -1.0, v18
	v_add_f32_e32 v20, -1.0, v21
	v_add_f32_e32 v22, 1.0, v19
	v_sub_f32_e32 v20, v18, v20
	v_sub_f32_e32 v18, v18, v22
	v_add_f32_e32 v20, v14, v20
	v_add_f32_e32 v14, v14, v18
	;; [unrolled: 1-line block ×4, first 2 shown]
	v_rcp_f32_e32 v18, v22
	v_sub_f32_e32 v21, v21, v22
	v_sub_f32_e32 v19, v19, v23
	v_add_f32_e32 v20, v20, v21
	v_add_f32_e32 v14, v14, v19
	v_mul_f32_e32 v24, v23, v18
	v_mul_f32_e32 v25, v22, v24
	v_fma_f32 v21, v24, v22, -v25
	v_fmac_f32_e32 v21, v24, v20
	v_add_f32_e32 v26, v25, v21
	v_sub_f32_e32 v27, v23, v26
	v_sub_f32_e32 v19, v26, v25
	;; [unrolled: 1-line block ×5, first 2 shown]
	v_add_f32_e32 v14, v14, v23
	v_add_f32_e32 v14, v19, v14
	;; [unrolled: 1-line block ×3, first 2 shown]
	v_mul_f32_e32 v21, v18, v19
	v_sub_f32_e32 v26, v27, v19
	v_mul_f32_e32 v23, v22, v21
	v_add_f32_e32 v14, v14, v26
	v_fma_f32 v22, v21, v22, -v23
	v_fmac_f32_e32 v22, v21, v20
	v_add_f32_e32 v20, v23, v22
	v_sub_f32_e32 v25, v19, v20
	v_sub_f32_e32 v23, v20, v23
	;; [unrolled: 1-line block ×5, first 2 shown]
	v_add_f32_e32 v14, v14, v19
	v_add_f32_e32 v19, v24, v21
	;; [unrolled: 1-line block ×3, first 2 shown]
	v_sub_f32_e32 v20, v19, v24
	v_add_f32_e32 v14, v25, v14
	v_sub_f32_e32 v20, v21, v20
	v_mul_f32_e32 v14, v18, v14
	v_add_f32_e32 v14, v20, v14
	v_add_f32_e32 v18, v19, v14
	v_mul_f32_e32 v20, v18, v18
	v_fmaak_f32 v21, s18, v20, 0x3ecc95a3
	v_mul_f32_e32 v22, v18, v20
	v_cmp_neq_f32_e64 s18, 0x7f800000, v15
	v_fmaak_f32 v20, v20, v21, 0x3f2aaada
	v_ldexp_f32 v21, v18, 1
	v_sub_f32_e32 v18, v18, v19
	v_mul_f32_e32 v20, v22, v20
	v_mul_f32_e32 v22, 0x3f317218, v13
	v_sub_f32_e32 v14, v14, v18
	v_add_f32_e32 v19, v21, v20
	v_ldexp_f32 v14, v14, 1
	v_sub_f32_e32 v18, v19, v21
	v_fma_f32 v21, 0x3f317218, v13, -v22
	v_sub_f32_e32 v18, v20, v18
	v_fmamk_f32 v13, v13, 0xb102e308, v21
	v_add_f32_e32 v14, v14, v18
	v_add_f32_e32 v18, v22, v13
	;; [unrolled: 1-line block ×3, first 2 shown]
	v_sub_f32_e32 v22, v18, v22
	v_add_f32_e32 v21, v18, v20
	v_sub_f32_e32 v19, v20, v19
	v_sub_f32_e32 v13, v13, v22
	;; [unrolled: 1-line block ×6, first 2 shown]
	v_add_f32_e32 v20, v13, v14
	v_sub_f32_e32 v18, v18, v24
	v_add_f32_e32 v18, v19, v18
	v_sub_f32_e32 v19, v20, v13
	;; [unrolled: 2-line block ×3, first 2 shown]
	v_sub_f32_e32 v14, v14, v19
	v_add_f32_e32 v22, v21, v18
	v_sub_f32_e32 v13, v13, v20
	v_sub_f32_e32 v19, v22, v21
	v_add_f32_e32 v13, v14, v13
	v_sub_f32_e32 v14, v18, v19
	v_add_f32_e32 v13, v13, v14
	v_add_f32_e32 v13, v22, v13
	v_cndmask_b32_e64 v13, 0x7f800000, v13, s18
	v_cmp_gt_f32_e64 s18, 0x33800000, |v15|
	v_cndmask_b32_e64 v13, v13, v15, s18
	v_add_f32_e32 v3, v3, v13
	v_cvt_f16_f32_e32 v19, v3
	v_cvt_f32_f16_e32 v20, v19
	v_mov_b32_e32 v18, v19
.LBB414_34:
	s_or_b32 exec_lo, exec_lo, s19
	v_cvt_f32_f16_e32 v3, v4
	v_max_f32_e32 v13, v20, v20
	v_cmp_u_f16_e64 s18, v19, v19
	v_min_f32_e32 v14, v13, v3
	v_max_f32_e32 v13, v13, v3
	v_cndmask_b32_e64 v14, v14, v20, s18
	v_cndmask_b32_e64 v13, v13, v20, s18
	v_cmp_u_f16_e64 s18, v4, v4
	v_cndmask_b32_e64 v14, v14, v3, s18
	v_cndmask_b32_e64 v13, v13, v3, s18
	v_cmp_class_f32_e64 s20, v14, 0x1f8
	v_cmp_neq_f32_e64 s19, v14, v13
	s_or_b32 s19, s19, s20
	s_and_saveexec_b32 s20, s19
	s_cbranch_execz .LBB414_36
; %bb.35:
	v_sub_f32_e32 v14, v14, v13
	v_mul_f32_e32 v15, 0x3fb8aa3b, v14
	v_cmp_ngt_f32_e64 s19, 0xc2ce8ed0, v14
	v_fma_f32 v18, 0x3fb8aa3b, v14, -v15
	v_rndne_f32_e32 v19, v15
	v_fmamk_f32 v18, v14, 0x32a5705f, v18
	v_sub_f32_e32 v15, v15, v19
	v_add_f32_e32 v15, v15, v18
	v_cvt_i32_f32_e32 v18, v19
	v_exp_f32_e32 v15, v15
	v_ldexp_f32 v15, v15, v18
	v_cndmask_b32_e64 v15, 0, v15, s19
	v_cmp_nlt_f32_e64 s19, 0x42b17218, v14
	v_cndmask_b32_e64 v18, 0x7f800000, v15, s19
	v_add_f32_e32 v19, 1.0, v18
	v_cvt_f64_f32_e32 v[14:15], v19
	v_frexp_exp_i32_f64_e32 v14, v[14:15]
	v_frexp_mant_f32_e32 v15, v19
	v_cmp_gt_f32_e64 s19, 0x3f2aaaab, v15
	v_add_f32_e32 v15, -1.0, v19
	v_sub_f32_e32 v21, v15, v19
	v_sub_f32_e32 v15, v18, v15
	v_add_f32_e32 v21, 1.0, v21
	v_add_f32_e32 v15, v15, v21
	v_subrev_co_ci_u32_e64 v14, null, 0, v14, s19
	s_mov_b32 s19, 0x3e9b6dac
	v_sub_nc_u32_e32 v20, 0, v14
	v_cvt_f32_i32_e32 v14, v14
	v_ldexp_f32 v19, v19, v20
	v_ldexp_f32 v15, v15, v20
	v_add_f32_e32 v22, 1.0, v19
	v_add_f32_e32 v20, -1.0, v19
	v_add_f32_e32 v21, -1.0, v22
	v_add_f32_e32 v23, 1.0, v20
	v_sub_f32_e32 v21, v19, v21
	v_sub_f32_e32 v19, v19, v23
	v_add_f32_e32 v21, v15, v21
	v_add_f32_e32 v15, v15, v19
	;; [unrolled: 1-line block ×4, first 2 shown]
	v_rcp_f32_e32 v19, v23
	v_sub_f32_e32 v22, v22, v23
	v_sub_f32_e32 v20, v20, v24
	v_add_f32_e32 v21, v21, v22
	v_add_f32_e32 v15, v15, v20
	v_mul_f32_e32 v25, v24, v19
	v_mul_f32_e32 v26, v23, v25
	v_fma_f32 v22, v25, v23, -v26
	v_fmac_f32_e32 v22, v25, v21
	v_add_f32_e32 v27, v26, v22
	v_sub_f32_e32 v28, v24, v27
	v_sub_f32_e32 v20, v27, v26
	;; [unrolled: 1-line block ×5, first 2 shown]
	v_add_f32_e32 v15, v15, v24
	v_add_f32_e32 v15, v20, v15
	;; [unrolled: 1-line block ×3, first 2 shown]
	v_mul_f32_e32 v22, v19, v20
	v_sub_f32_e32 v27, v28, v20
	v_mul_f32_e32 v24, v23, v22
	v_add_f32_e32 v15, v15, v27
	v_fma_f32 v23, v22, v23, -v24
	v_fmac_f32_e32 v23, v22, v21
	v_add_f32_e32 v21, v24, v23
	v_sub_f32_e32 v26, v20, v21
	v_sub_f32_e32 v24, v21, v24
	;; [unrolled: 1-line block ×5, first 2 shown]
	v_add_f32_e32 v15, v15, v20
	v_add_f32_e32 v20, v25, v22
	v_add_f32_e32 v15, v21, v15
	v_sub_f32_e32 v21, v20, v25
	v_add_f32_e32 v15, v26, v15
	v_sub_f32_e32 v21, v22, v21
	v_mul_f32_e32 v15, v19, v15
	v_add_f32_e32 v15, v21, v15
	v_add_f32_e32 v19, v20, v15
	v_mul_f32_e32 v21, v19, v19
	v_fmaak_f32 v22, s19, v21, 0x3ecc95a3
	v_mul_f32_e32 v23, v19, v21
	v_cmp_neq_f32_e64 s19, 0x7f800000, v18
	v_fmaak_f32 v21, v21, v22, 0x3f2aaada
	v_ldexp_f32 v22, v19, 1
	v_sub_f32_e32 v19, v19, v20
	v_mul_f32_e32 v21, v23, v21
	v_mul_f32_e32 v23, 0x3f317218, v14
	v_sub_f32_e32 v15, v15, v19
	v_add_f32_e32 v20, v22, v21
	v_ldexp_f32 v15, v15, 1
	v_sub_f32_e32 v19, v20, v22
	v_fma_f32 v22, 0x3f317218, v14, -v23
	v_sub_f32_e32 v19, v21, v19
	v_fmamk_f32 v14, v14, 0xb102e308, v22
	v_add_f32_e32 v15, v15, v19
	v_add_f32_e32 v19, v23, v14
	;; [unrolled: 1-line block ×3, first 2 shown]
	v_sub_f32_e32 v23, v19, v23
	v_add_f32_e32 v22, v19, v21
	v_sub_f32_e32 v20, v21, v20
	v_sub_f32_e32 v14, v14, v23
	;; [unrolled: 1-line block ×6, first 2 shown]
	v_add_f32_e32 v21, v14, v15
	v_sub_f32_e32 v19, v19, v25
	v_add_f32_e32 v19, v20, v19
	v_sub_f32_e32 v20, v21, v14
	;; [unrolled: 2-line block ×3, first 2 shown]
	v_sub_f32_e32 v15, v15, v20
	v_add_f32_e32 v23, v22, v19
	v_sub_f32_e32 v14, v14, v21
	v_sub_f32_e32 v20, v23, v22
	v_add_f32_e32 v14, v15, v14
	v_sub_f32_e32 v15, v19, v20
	v_add_f32_e32 v14, v14, v15
	v_add_f32_e32 v14, v23, v14
	v_cndmask_b32_e64 v14, 0x7f800000, v14, s19
	v_cmp_gt_f32_e64 s19, 0x33800000, |v18|
	v_cndmask_b32_e64 v14, v14, v18, s19
	v_add_f32_e32 v13, v13, v14
	v_cvt_f16_f32_e32 v19, v13
	v_cvt_f32_f16_e32 v20, v19
	v_mov_b32_e32 v18, v19
.LBB414_36:
	s_or_b32 exec_lo, exec_lo, s20
	v_cvt_f32_f16_sdwa v13, v4 dst_sel:DWORD dst_unused:UNUSED_PAD src0_sel:WORD_1
	v_max_f32_e32 v14, v20, v20
	v_cmp_u_f16_e64 s19, v19, v19
	v_min_f32_e32 v15, v14, v13
	v_max_f32_e32 v14, v14, v13
	v_cndmask_b32_e64 v15, v15, v20, s19
	v_cndmask_b32_e64 v21, v14, v20, s19
	v_cmp_u_f16_sdwa s19, v4, v4 src0_sel:WORD_1 src1_sel:WORD_1
	v_cndmask_b32_e64 v14, v15, v13, s19
	v_cndmask_b32_e64 v4, v21, v13, s19
	v_cmp_class_f32_e64 s21, v14, 0x1f8
	v_cmp_neq_f32_e64 s20, v14, v4
	s_or_b32 s20, s20, s21
	s_and_saveexec_b32 s21, s20
	s_cbranch_execz .LBB414_38
; %bb.37:
	v_sub_f32_e32 v14, v14, v4
	v_mul_f32_e32 v15, 0x3fb8aa3b, v14
	v_cmp_ngt_f32_e64 s20, 0xc2ce8ed0, v14
	v_fma_f32 v18, 0x3fb8aa3b, v14, -v15
	v_rndne_f32_e32 v19, v15
	v_fmamk_f32 v18, v14, 0x32a5705f, v18
	v_sub_f32_e32 v15, v15, v19
	v_add_f32_e32 v15, v15, v18
	v_cvt_i32_f32_e32 v18, v19
	v_exp_f32_e32 v15, v15
	v_ldexp_f32 v15, v15, v18
	v_cndmask_b32_e64 v15, 0, v15, s20
	v_cmp_nlt_f32_e64 s20, 0x42b17218, v14
	v_cndmask_b32_e64 v18, 0x7f800000, v15, s20
	v_add_f32_e32 v19, 1.0, v18
	v_cvt_f64_f32_e32 v[14:15], v19
	v_frexp_exp_i32_f64_e32 v14, v[14:15]
	v_frexp_mant_f32_e32 v15, v19
	v_cmp_gt_f32_e64 s20, 0x3f2aaaab, v15
	v_add_f32_e32 v15, -1.0, v19
	v_sub_f32_e32 v21, v15, v19
	v_sub_f32_e32 v15, v18, v15
	v_add_f32_e32 v21, 1.0, v21
	v_add_f32_e32 v15, v15, v21
	v_subrev_co_ci_u32_e64 v14, null, 0, v14, s20
	s_mov_b32 s20, 0x3e9b6dac
	v_sub_nc_u32_e32 v20, 0, v14
	v_cvt_f32_i32_e32 v14, v14
	v_ldexp_f32 v19, v19, v20
	v_ldexp_f32 v15, v15, v20
	v_add_f32_e32 v22, 1.0, v19
	v_add_f32_e32 v20, -1.0, v19
	v_add_f32_e32 v21, -1.0, v22
	v_add_f32_e32 v23, 1.0, v20
	v_sub_f32_e32 v21, v19, v21
	v_sub_f32_e32 v19, v19, v23
	v_add_f32_e32 v21, v15, v21
	v_add_f32_e32 v15, v15, v19
	;; [unrolled: 1-line block ×4, first 2 shown]
	v_rcp_f32_e32 v19, v23
	v_sub_f32_e32 v22, v22, v23
	v_sub_f32_e32 v20, v20, v24
	v_add_f32_e32 v21, v21, v22
	v_add_f32_e32 v15, v15, v20
	v_mul_f32_e32 v25, v24, v19
	v_mul_f32_e32 v26, v23, v25
	v_fma_f32 v22, v25, v23, -v26
	v_fmac_f32_e32 v22, v25, v21
	v_add_f32_e32 v27, v26, v22
	v_sub_f32_e32 v28, v24, v27
	v_sub_f32_e32 v20, v27, v26
	;; [unrolled: 1-line block ×5, first 2 shown]
	v_add_f32_e32 v15, v15, v24
	v_add_f32_e32 v15, v20, v15
	;; [unrolled: 1-line block ×3, first 2 shown]
	v_mul_f32_e32 v22, v19, v20
	v_sub_f32_e32 v27, v28, v20
	v_mul_f32_e32 v24, v23, v22
	v_add_f32_e32 v15, v15, v27
	v_fma_f32 v23, v22, v23, -v24
	v_fmac_f32_e32 v23, v22, v21
	v_add_f32_e32 v21, v24, v23
	v_sub_f32_e32 v26, v20, v21
	v_sub_f32_e32 v24, v21, v24
	;; [unrolled: 1-line block ×5, first 2 shown]
	v_add_f32_e32 v15, v15, v20
	v_add_f32_e32 v20, v25, v22
	;; [unrolled: 1-line block ×3, first 2 shown]
	v_sub_f32_e32 v21, v20, v25
	v_add_f32_e32 v15, v26, v15
	v_sub_f32_e32 v21, v22, v21
	v_mul_f32_e32 v15, v19, v15
	v_add_f32_e32 v15, v21, v15
	v_add_f32_e32 v19, v20, v15
	v_mul_f32_e32 v21, v19, v19
	v_fmaak_f32 v22, s20, v21, 0x3ecc95a3
	v_mul_f32_e32 v23, v19, v21
	v_cmp_neq_f32_e64 s20, 0x7f800000, v18
	v_fmaak_f32 v21, v21, v22, 0x3f2aaada
	v_ldexp_f32 v22, v19, 1
	v_sub_f32_e32 v19, v19, v20
	v_mul_f32_e32 v21, v23, v21
	v_mul_f32_e32 v23, 0x3f317218, v14
	v_sub_f32_e32 v15, v15, v19
	v_add_f32_e32 v20, v22, v21
	v_ldexp_f32 v15, v15, 1
	v_sub_f32_e32 v19, v20, v22
	v_fma_f32 v22, 0x3f317218, v14, -v23
	v_sub_f32_e32 v19, v21, v19
	v_fmamk_f32 v14, v14, 0xb102e308, v22
	v_add_f32_e32 v15, v15, v19
	v_add_f32_e32 v19, v23, v14
	;; [unrolled: 1-line block ×3, first 2 shown]
	v_sub_f32_e32 v23, v19, v23
	v_add_f32_e32 v22, v19, v21
	v_sub_f32_e32 v20, v21, v20
	v_sub_f32_e32 v14, v14, v23
	v_sub_f32_e32 v24, v22, v19
	v_sub_f32_e32 v15, v15, v20
	v_sub_f32_e32 v25, v22, v24
	v_sub_f32_e32 v20, v21, v24
	v_add_f32_e32 v21, v14, v15
	v_sub_f32_e32 v19, v19, v25
	v_add_f32_e32 v19, v20, v19
	v_sub_f32_e32 v20, v21, v14
	v_add_f32_e32 v19, v21, v19
	v_sub_f32_e32 v21, v21, v20
	v_sub_f32_e32 v15, v15, v20
	v_add_f32_e32 v23, v22, v19
	v_sub_f32_e32 v14, v14, v21
	v_sub_f32_e32 v20, v23, v22
	v_add_f32_e32 v14, v15, v14
	v_sub_f32_e32 v15, v19, v20
	v_add_f32_e32 v14, v14, v15
	v_add_f32_e32 v14, v23, v14
	v_cndmask_b32_e64 v14, 0x7f800000, v14, s20
	v_cmp_gt_f32_e64 s20, 0x33800000, |v18|
	v_cndmask_b32_e64 v14, v14, v18, s20
	v_add_f32_e32 v4, v4, v14
	v_cvt_f16_f32_e32 v19, v4
	v_cvt_f32_f16_e32 v20, v19
	v_mov_b32_e32 v18, v19
.LBB414_38:
	s_or_b32 exec_lo, exec_lo, s21
	v_cvt_f32_f16_e32 v4, v5
	v_max_f32_e32 v14, v20, v20
	v_cmp_u_f16_e64 s20, v19, v19
	v_min_f32_e32 v15, v14, v4
	v_max_f32_e32 v14, v14, v4
	v_cndmask_b32_e64 v15, v15, v20, s20
	v_cndmask_b32_e64 v14, v14, v20, s20
	v_cmp_u_f16_e64 s20, v5, v5
	v_cndmask_b32_e64 v15, v15, v4, s20
	v_cndmask_b32_e64 v14, v14, v4, s20
	v_cmp_class_f32_e64 s22, v15, 0x1f8
	v_cmp_neq_f32_e64 s21, v15, v14
	s_or_b32 s21, s21, s22
	s_and_saveexec_b32 s22, s21
	s_cbranch_execz .LBB414_40
; %bb.39:
	v_sub_f32_e32 v15, v15, v14
	v_mul_f32_e32 v18, 0x3fb8aa3b, v15
	v_cmp_ngt_f32_e64 s21, 0xc2ce8ed0, v15
	v_fma_f32 v19, 0x3fb8aa3b, v15, -v18
	v_rndne_f32_e32 v20, v18
	v_fmamk_f32 v19, v15, 0x32a5705f, v19
	v_sub_f32_e32 v18, v18, v20
	v_add_f32_e32 v18, v18, v19
	v_cvt_i32_f32_e32 v19, v20
	v_exp_f32_e32 v18, v18
	v_ldexp_f32 v18, v18, v19
	v_cndmask_b32_e64 v18, 0, v18, s21
	v_cmp_nlt_f32_e64 s21, 0x42b17218, v15
	v_cndmask_b32_e64 v15, 0x7f800000, v18, s21
	v_add_f32_e32 v20, 1.0, v15
	v_cvt_f64_f32_e32 v[18:19], v20
	v_frexp_exp_i32_f64_e32 v18, v[18:19]
	v_frexp_mant_f32_e32 v19, v20
	v_cmp_gt_f32_e64 s21, 0x3f2aaaab, v19
	v_add_f32_e32 v19, -1.0, v20
	v_sub_f32_e32 v22, v19, v20
	v_sub_f32_e32 v19, v15, v19
	v_add_f32_e32 v22, 1.0, v22
	v_add_f32_e32 v19, v19, v22
	v_subrev_co_ci_u32_e64 v18, null, 0, v18, s21
	s_mov_b32 s21, 0x3e9b6dac
	v_sub_nc_u32_e32 v21, 0, v18
	v_cvt_f32_i32_e32 v18, v18
	v_ldexp_f32 v20, v20, v21
	v_ldexp_f32 v19, v19, v21
	v_add_f32_e32 v23, 1.0, v20
	v_add_f32_e32 v21, -1.0, v20
	v_add_f32_e32 v22, -1.0, v23
	v_add_f32_e32 v24, 1.0, v21
	v_sub_f32_e32 v22, v20, v22
	v_sub_f32_e32 v20, v20, v24
	v_add_f32_e32 v22, v19, v22
	v_add_f32_e32 v19, v19, v20
	;; [unrolled: 1-line block ×4, first 2 shown]
	v_rcp_f32_e32 v20, v24
	v_sub_f32_e32 v23, v23, v24
	v_sub_f32_e32 v21, v21, v25
	v_add_f32_e32 v22, v22, v23
	v_add_f32_e32 v19, v19, v21
	v_mul_f32_e32 v26, v25, v20
	v_mul_f32_e32 v27, v24, v26
	v_fma_f32 v23, v26, v24, -v27
	v_fmac_f32_e32 v23, v26, v22
	v_add_f32_e32 v28, v27, v23
	v_sub_f32_e32 v29, v25, v28
	v_sub_f32_e32 v21, v28, v27
	v_sub_f32_e32 v25, v25, v29
	v_sub_f32_e32 v21, v21, v23
	v_sub_f32_e32 v25, v25, v28
	v_add_f32_e32 v19, v19, v25
	v_add_f32_e32 v19, v21, v19
	;; [unrolled: 1-line block ×3, first 2 shown]
	v_mul_f32_e32 v23, v20, v21
	v_sub_f32_e32 v28, v29, v21
	v_mul_f32_e32 v25, v24, v23
	v_add_f32_e32 v19, v19, v28
	v_fma_f32 v24, v23, v24, -v25
	v_fmac_f32_e32 v24, v23, v22
	v_add_f32_e32 v22, v25, v24
	v_sub_f32_e32 v27, v21, v22
	v_sub_f32_e32 v25, v22, v25
	;; [unrolled: 1-line block ×5, first 2 shown]
	v_add_f32_e32 v19, v19, v21
	v_add_f32_e32 v21, v26, v23
	;; [unrolled: 1-line block ×3, first 2 shown]
	v_sub_f32_e32 v22, v21, v26
	v_add_f32_e32 v19, v27, v19
	v_sub_f32_e32 v22, v23, v22
	v_mul_f32_e32 v19, v20, v19
	v_add_f32_e32 v19, v22, v19
	v_add_f32_e32 v20, v21, v19
	v_mul_f32_e32 v22, v20, v20
	v_fmaak_f32 v23, s21, v22, 0x3ecc95a3
	v_mul_f32_e32 v24, v20, v22
	v_cmp_neq_f32_e64 s21, 0x7f800000, v15
	v_fmaak_f32 v22, v22, v23, 0x3f2aaada
	v_ldexp_f32 v23, v20, 1
	v_sub_f32_e32 v20, v20, v21
	v_mul_f32_e32 v22, v24, v22
	v_mul_f32_e32 v24, 0x3f317218, v18
	v_sub_f32_e32 v19, v19, v20
	v_add_f32_e32 v21, v23, v22
	v_ldexp_f32 v19, v19, 1
	v_sub_f32_e32 v20, v21, v23
	v_fma_f32 v23, 0x3f317218, v18, -v24
	v_sub_f32_e32 v20, v22, v20
	v_fmamk_f32 v18, v18, 0xb102e308, v23
	v_add_f32_e32 v19, v19, v20
	v_add_f32_e32 v20, v24, v18
	;; [unrolled: 1-line block ×3, first 2 shown]
	v_sub_f32_e32 v24, v20, v24
	v_add_f32_e32 v23, v20, v22
	v_sub_f32_e32 v21, v22, v21
	v_sub_f32_e32 v18, v18, v24
	;; [unrolled: 1-line block ×6, first 2 shown]
	v_add_f32_e32 v22, v18, v19
	v_sub_f32_e32 v20, v20, v26
	v_add_f32_e32 v20, v21, v20
	v_sub_f32_e32 v21, v22, v18
	;; [unrolled: 2-line block ×3, first 2 shown]
	v_sub_f32_e32 v19, v19, v21
	v_add_f32_e32 v24, v23, v20
	v_sub_f32_e32 v18, v18, v22
	v_sub_f32_e32 v21, v24, v23
	v_add_f32_e32 v18, v19, v18
	v_sub_f32_e32 v19, v20, v21
	v_add_f32_e32 v18, v18, v19
	v_add_f32_e32 v18, v24, v18
	v_cndmask_b32_e64 v18, 0x7f800000, v18, s21
	v_cmp_gt_f32_e64 s21, 0x33800000, |v15|
	v_cndmask_b32_e64 v15, v18, v15, s21
	v_add_f32_e32 v14, v14, v15
	v_cvt_f16_f32_e32 v19, v14
	v_cvt_f32_f16_e32 v20, v19
	v_mov_b32_e32 v18, v19
.LBB414_40:
	s_or_b32 exec_lo, exec_lo, s22
	v_cvt_f32_f16_sdwa v14, v5 dst_sel:DWORD dst_unused:UNUSED_PAD src0_sel:WORD_1
	v_max_f32_e32 v15, v20, v20
	v_cmp_u_f16_e64 s21, v19, v19
	v_min_f32_e32 v21, v15, v14
	v_max_f32_e32 v15, v15, v14
	v_cndmask_b32_e64 v21, v21, v20, s21
	v_cndmask_b32_e64 v22, v15, v20, s21
	v_cmp_u_f16_sdwa s21, v5, v5 src0_sel:WORD_1 src1_sel:WORD_1
	v_cndmask_b32_e64 v15, v21, v14, s21
	v_cndmask_b32_e64 v5, v22, v14, s21
	v_cmp_class_f32_e64 s23, v15, 0x1f8
	v_cmp_neq_f32_e64 s22, v15, v5
	s_or_b32 s22, s22, s23
	s_and_saveexec_b32 s23, s22
	s_cbranch_execz .LBB414_42
; %bb.41:
	v_sub_f32_e32 v15, v15, v5
	v_mul_f32_e32 v18, 0x3fb8aa3b, v15
	v_cmp_ngt_f32_e64 s22, 0xc2ce8ed0, v15
	v_fma_f32 v19, 0x3fb8aa3b, v15, -v18
	v_rndne_f32_e32 v20, v18
	v_fmamk_f32 v19, v15, 0x32a5705f, v19
	v_sub_f32_e32 v18, v18, v20
	v_add_f32_e32 v18, v18, v19
	v_cvt_i32_f32_e32 v19, v20
	v_exp_f32_e32 v18, v18
	v_ldexp_f32 v18, v18, v19
	v_cndmask_b32_e64 v18, 0, v18, s22
	v_cmp_nlt_f32_e64 s22, 0x42b17218, v15
	v_cndmask_b32_e64 v15, 0x7f800000, v18, s22
	v_add_f32_e32 v20, 1.0, v15
	v_cvt_f64_f32_e32 v[18:19], v20
	v_frexp_exp_i32_f64_e32 v18, v[18:19]
	v_frexp_mant_f32_e32 v19, v20
	v_cmp_gt_f32_e64 s22, 0x3f2aaaab, v19
	v_add_f32_e32 v19, -1.0, v20
	v_sub_f32_e32 v22, v19, v20
	v_sub_f32_e32 v19, v15, v19
	v_add_f32_e32 v22, 1.0, v22
	v_add_f32_e32 v19, v19, v22
	v_subrev_co_ci_u32_e64 v18, null, 0, v18, s22
	s_mov_b32 s22, 0x3e9b6dac
	v_sub_nc_u32_e32 v21, 0, v18
	v_cvt_f32_i32_e32 v18, v18
	v_ldexp_f32 v20, v20, v21
	v_ldexp_f32 v19, v19, v21
	v_add_f32_e32 v23, 1.0, v20
	v_add_f32_e32 v21, -1.0, v20
	v_add_f32_e32 v22, -1.0, v23
	v_add_f32_e32 v24, 1.0, v21
	v_sub_f32_e32 v22, v20, v22
	v_sub_f32_e32 v20, v20, v24
	v_add_f32_e32 v22, v19, v22
	v_add_f32_e32 v19, v19, v20
	;; [unrolled: 1-line block ×4, first 2 shown]
	v_rcp_f32_e32 v20, v24
	v_sub_f32_e32 v23, v23, v24
	v_sub_f32_e32 v21, v21, v25
	v_add_f32_e32 v22, v22, v23
	v_add_f32_e32 v19, v19, v21
	v_mul_f32_e32 v26, v25, v20
	v_mul_f32_e32 v27, v24, v26
	v_fma_f32 v23, v26, v24, -v27
	v_fmac_f32_e32 v23, v26, v22
	v_add_f32_e32 v28, v27, v23
	v_sub_f32_e32 v29, v25, v28
	v_sub_f32_e32 v21, v28, v27
	;; [unrolled: 1-line block ×5, first 2 shown]
	v_add_f32_e32 v19, v19, v25
	v_add_f32_e32 v19, v21, v19
	;; [unrolled: 1-line block ×3, first 2 shown]
	v_mul_f32_e32 v23, v20, v21
	v_sub_f32_e32 v28, v29, v21
	v_mul_f32_e32 v25, v24, v23
	v_add_f32_e32 v19, v19, v28
	v_fma_f32 v24, v23, v24, -v25
	v_fmac_f32_e32 v24, v23, v22
	v_add_f32_e32 v22, v25, v24
	v_sub_f32_e32 v27, v21, v22
	v_sub_f32_e32 v25, v22, v25
	;; [unrolled: 1-line block ×5, first 2 shown]
	v_add_f32_e32 v19, v19, v21
	v_add_f32_e32 v21, v26, v23
	;; [unrolled: 1-line block ×3, first 2 shown]
	v_sub_f32_e32 v22, v21, v26
	v_add_f32_e32 v19, v27, v19
	v_sub_f32_e32 v22, v23, v22
	v_mul_f32_e32 v19, v20, v19
	v_add_f32_e32 v19, v22, v19
	v_add_f32_e32 v20, v21, v19
	v_mul_f32_e32 v22, v20, v20
	v_fmaak_f32 v23, s22, v22, 0x3ecc95a3
	v_mul_f32_e32 v24, v20, v22
	v_cmp_neq_f32_e64 s22, 0x7f800000, v15
	v_fmaak_f32 v22, v22, v23, 0x3f2aaada
	v_ldexp_f32 v23, v20, 1
	v_sub_f32_e32 v20, v20, v21
	v_mul_f32_e32 v22, v24, v22
	v_mul_f32_e32 v24, 0x3f317218, v18
	v_sub_f32_e32 v19, v19, v20
	v_add_f32_e32 v21, v23, v22
	v_ldexp_f32 v19, v19, 1
	v_sub_f32_e32 v20, v21, v23
	v_fma_f32 v23, 0x3f317218, v18, -v24
	v_sub_f32_e32 v20, v22, v20
	v_fmamk_f32 v18, v18, 0xb102e308, v23
	v_add_f32_e32 v19, v19, v20
	v_add_f32_e32 v20, v24, v18
	;; [unrolled: 1-line block ×3, first 2 shown]
	v_sub_f32_e32 v24, v20, v24
	v_add_f32_e32 v23, v20, v22
	v_sub_f32_e32 v21, v22, v21
	v_sub_f32_e32 v18, v18, v24
	;; [unrolled: 1-line block ×6, first 2 shown]
	v_add_f32_e32 v22, v18, v19
	v_sub_f32_e32 v20, v20, v26
	v_add_f32_e32 v20, v21, v20
	v_sub_f32_e32 v21, v22, v18
	;; [unrolled: 2-line block ×3, first 2 shown]
	v_sub_f32_e32 v19, v19, v21
	v_add_f32_e32 v24, v23, v20
	v_sub_f32_e32 v18, v18, v22
	v_sub_f32_e32 v21, v24, v23
	v_add_f32_e32 v18, v19, v18
	v_sub_f32_e32 v19, v20, v21
	v_add_f32_e32 v18, v18, v19
	v_add_f32_e32 v18, v24, v18
	v_cndmask_b32_e64 v18, 0x7f800000, v18, s22
	v_cmp_gt_f32_e64 s22, 0x33800000, |v15|
	v_cndmask_b32_e64 v15, v18, v15, s22
	v_add_f32_e32 v5, v5, v15
	v_cvt_f16_f32_e32 v19, v5
	v_cvt_f32_f16_e32 v20, v19
	v_mov_b32_e32 v18, v19
.LBB414_42:
	s_or_b32 exec_lo, exec_lo, s23
	v_cvt_f32_f16_e32 v5, v6
	v_max_f32_e32 v15, v20, v20
	v_cmp_u_f16_e64 s22, v19, v19
	v_min_f32_e32 v21, v15, v5
	v_max_f32_e32 v15, v15, v5
	v_cndmask_b32_e64 v21, v21, v20, s22
	v_cndmask_b32_e64 v15, v15, v20, s22
	v_cmp_u_f16_e64 s22, v6, v6
	v_cndmask_b32_e64 v21, v21, v5, s22
	v_cndmask_b32_e64 v15, v15, v5, s22
	v_cmp_class_f32_e64 s25, v21, 0x1f8
	v_cmp_neq_f32_e64 s23, v21, v15
	s_or_b32 s23, s23, s25
	s_and_saveexec_b32 s25, s23
	s_cbranch_execz .LBB414_44
; %bb.43:
	v_sub_f32_e32 v18, v21, v15
	v_mul_f32_e32 v19, 0x3fb8aa3b, v18
	v_cmp_ngt_f32_e64 s23, 0xc2ce8ed0, v18
	v_fma_f32 v20, 0x3fb8aa3b, v18, -v19
	v_rndne_f32_e32 v21, v19
	v_fmamk_f32 v20, v18, 0x32a5705f, v20
	v_sub_f32_e32 v19, v19, v21
	v_add_f32_e32 v19, v19, v20
	v_cvt_i32_f32_e32 v20, v21
	v_exp_f32_e32 v19, v19
	v_ldexp_f32 v19, v19, v20
	v_cndmask_b32_e64 v19, 0, v19, s23
	v_cmp_nlt_f32_e64 s23, 0x42b17218, v18
	v_cndmask_b32_e64 v20, 0x7f800000, v19, s23
	v_add_f32_e32 v21, 1.0, v20
	v_cvt_f64_f32_e32 v[18:19], v21
	v_frexp_exp_i32_f64_e32 v18, v[18:19]
	v_frexp_mant_f32_e32 v19, v21
	v_cmp_gt_f32_e64 s23, 0x3f2aaaab, v19
	v_add_f32_e32 v19, -1.0, v21
	v_sub_f32_e32 v23, v19, v21
	v_sub_f32_e32 v19, v20, v19
	v_add_f32_e32 v23, 1.0, v23
	v_add_f32_e32 v19, v19, v23
	v_subrev_co_ci_u32_e64 v18, null, 0, v18, s23
	s_mov_b32 s23, 0x3e9b6dac
	v_sub_nc_u32_e32 v22, 0, v18
	v_cvt_f32_i32_e32 v18, v18
	v_ldexp_f32 v21, v21, v22
	v_ldexp_f32 v19, v19, v22
	v_add_f32_e32 v24, 1.0, v21
	v_add_f32_e32 v22, -1.0, v21
	v_add_f32_e32 v23, -1.0, v24
	v_add_f32_e32 v25, 1.0, v22
	v_sub_f32_e32 v23, v21, v23
	v_sub_f32_e32 v21, v21, v25
	v_add_f32_e32 v23, v19, v23
	v_add_f32_e32 v19, v19, v21
	;; [unrolled: 1-line block ×4, first 2 shown]
	v_rcp_f32_e32 v21, v25
	v_sub_f32_e32 v24, v24, v25
	v_sub_f32_e32 v22, v22, v26
	v_add_f32_e32 v23, v23, v24
	v_add_f32_e32 v19, v19, v22
	v_mul_f32_e32 v27, v26, v21
	v_mul_f32_e32 v28, v25, v27
	v_fma_f32 v24, v27, v25, -v28
	v_fmac_f32_e32 v24, v27, v23
	v_add_f32_e32 v29, v28, v24
	v_sub_f32_e32 v30, v26, v29
	v_sub_f32_e32 v22, v29, v28
	;; [unrolled: 1-line block ×5, first 2 shown]
	v_add_f32_e32 v19, v19, v26
	v_add_f32_e32 v19, v22, v19
	v_add_f32_e32 v22, v30, v19
	v_mul_f32_e32 v24, v21, v22
	v_sub_f32_e32 v29, v30, v22
	v_mul_f32_e32 v26, v25, v24
	v_add_f32_e32 v19, v19, v29
	v_fma_f32 v25, v24, v25, -v26
	v_fmac_f32_e32 v25, v24, v23
	v_add_f32_e32 v23, v26, v25
	v_sub_f32_e32 v28, v22, v23
	v_sub_f32_e32 v26, v23, v26
	;; [unrolled: 1-line block ×5, first 2 shown]
	v_add_f32_e32 v19, v19, v22
	v_add_f32_e32 v22, v27, v24
	;; [unrolled: 1-line block ×3, first 2 shown]
	v_sub_f32_e32 v23, v22, v27
	v_add_f32_e32 v19, v28, v19
	v_sub_f32_e32 v23, v24, v23
	v_mul_f32_e32 v19, v21, v19
	v_add_f32_e32 v19, v23, v19
	v_add_f32_e32 v21, v22, v19
	v_mul_f32_e32 v23, v21, v21
	v_fmaak_f32 v24, s23, v23, 0x3ecc95a3
	v_mul_f32_e32 v25, v21, v23
	v_cmp_neq_f32_e64 s23, 0x7f800000, v20
	v_fmaak_f32 v23, v23, v24, 0x3f2aaada
	v_ldexp_f32 v24, v21, 1
	v_sub_f32_e32 v21, v21, v22
	v_mul_f32_e32 v23, v25, v23
	v_mul_f32_e32 v25, 0x3f317218, v18
	v_sub_f32_e32 v19, v19, v21
	v_add_f32_e32 v22, v24, v23
	v_ldexp_f32 v19, v19, 1
	v_sub_f32_e32 v21, v22, v24
	v_fma_f32 v24, 0x3f317218, v18, -v25
	v_sub_f32_e32 v21, v23, v21
	v_fmamk_f32 v18, v18, 0xb102e308, v24
	v_add_f32_e32 v19, v19, v21
	v_add_f32_e32 v21, v25, v18
	v_add_f32_e32 v23, v22, v19
	v_sub_f32_e32 v25, v21, v25
	v_add_f32_e32 v24, v21, v23
	v_sub_f32_e32 v22, v23, v22
	v_sub_f32_e32 v18, v18, v25
	;; [unrolled: 1-line block ×6, first 2 shown]
	v_add_f32_e32 v23, v18, v19
	v_sub_f32_e32 v21, v21, v27
	v_add_f32_e32 v21, v22, v21
	v_sub_f32_e32 v22, v23, v18
	;; [unrolled: 2-line block ×3, first 2 shown]
	v_sub_f32_e32 v19, v19, v22
	v_add_f32_e32 v25, v24, v21
	v_sub_f32_e32 v18, v18, v23
	v_sub_f32_e32 v22, v25, v24
	v_add_f32_e32 v18, v19, v18
	v_sub_f32_e32 v19, v21, v22
	v_add_f32_e32 v18, v18, v19
	v_add_f32_e32 v18, v25, v18
	v_cndmask_b32_e64 v18, 0x7f800000, v18, s23
	v_cmp_gt_f32_e64 s23, 0x33800000, |v20|
	v_cndmask_b32_e64 v18, v18, v20, s23
	v_add_f32_e32 v15, v15, v18
	v_cvt_f16_f32_e32 v19, v15
	v_cvt_f32_f16_e32 v20, v19
	v_mov_b32_e32 v18, v19
.LBB414_44:
	s_or_b32 exec_lo, exec_lo, s25
	v_cvt_f32_f16_sdwa v15, v6 dst_sel:DWORD dst_unused:UNUSED_PAD src0_sel:WORD_1
	v_max_f32_e32 v21, v20, v20
	v_cmp_u_f16_e64 s23, v19, v19
	v_min_f32_e32 v22, v21, v15
	v_max_f32_e32 v21, v21, v15
	v_cndmask_b32_e64 v19, v22, v20, s23
	v_cndmask_b32_e64 v20, v21, v20, s23
	v_cmp_u_f16_sdwa s23, v6, v6 src0_sel:WORD_1 src1_sel:WORD_1
	v_cndmask_b32_e64 v19, v19, v15, s23
	v_cndmask_b32_e64 v6, v20, v15, s23
	v_cmp_class_f32_e64 s26, v19, 0x1f8
	v_cmp_neq_f32_e64 s25, v19, v6
	s_or_b32 s25, s25, s26
	s_and_saveexec_b32 s26, s25
	s_cbranch_execz .LBB414_46
; %bb.45:
	v_sub_f32_e32 v18, v19, v6
	v_mul_f32_e32 v19, 0x3fb8aa3b, v18
	v_cmp_ngt_f32_e64 s25, 0xc2ce8ed0, v18
	v_fma_f32 v20, 0x3fb8aa3b, v18, -v19
	v_rndne_f32_e32 v21, v19
	v_fmamk_f32 v20, v18, 0x32a5705f, v20
	v_sub_f32_e32 v19, v19, v21
	v_add_f32_e32 v19, v19, v20
	v_cvt_i32_f32_e32 v20, v21
	v_exp_f32_e32 v19, v19
	v_ldexp_f32 v19, v19, v20
	v_cndmask_b32_e64 v19, 0, v19, s25
	v_cmp_nlt_f32_e64 s25, 0x42b17218, v18
	v_cndmask_b32_e64 v20, 0x7f800000, v19, s25
	v_add_f32_e32 v21, 1.0, v20
	v_cvt_f64_f32_e32 v[18:19], v21
	v_frexp_exp_i32_f64_e32 v18, v[18:19]
	v_frexp_mant_f32_e32 v19, v21
	v_cmp_gt_f32_e64 s25, 0x3f2aaaab, v19
	v_add_f32_e32 v19, -1.0, v21
	v_sub_f32_e32 v23, v19, v21
	v_sub_f32_e32 v19, v20, v19
	v_add_f32_e32 v23, 1.0, v23
	v_add_f32_e32 v19, v19, v23
	v_subrev_co_ci_u32_e64 v18, null, 0, v18, s25
	s_mov_b32 s25, 0x3e9b6dac
	v_sub_nc_u32_e32 v22, 0, v18
	v_cvt_f32_i32_e32 v18, v18
	v_ldexp_f32 v21, v21, v22
	v_ldexp_f32 v19, v19, v22
	v_add_f32_e32 v24, 1.0, v21
	v_add_f32_e32 v22, -1.0, v21
	v_add_f32_e32 v23, -1.0, v24
	v_add_f32_e32 v25, 1.0, v22
	v_sub_f32_e32 v23, v21, v23
	v_sub_f32_e32 v21, v21, v25
	v_add_f32_e32 v23, v19, v23
	v_add_f32_e32 v19, v19, v21
	;; [unrolled: 1-line block ×4, first 2 shown]
	v_rcp_f32_e32 v21, v25
	v_sub_f32_e32 v24, v24, v25
	v_sub_f32_e32 v22, v22, v26
	v_add_f32_e32 v23, v23, v24
	v_add_f32_e32 v19, v19, v22
	v_mul_f32_e32 v27, v26, v21
	v_mul_f32_e32 v28, v25, v27
	v_fma_f32 v24, v27, v25, -v28
	v_fmac_f32_e32 v24, v27, v23
	v_add_f32_e32 v29, v28, v24
	v_sub_f32_e32 v30, v26, v29
	v_sub_f32_e32 v22, v29, v28
	v_sub_f32_e32 v26, v26, v30
	v_sub_f32_e32 v22, v22, v24
	v_sub_f32_e32 v26, v26, v29
	v_add_f32_e32 v19, v19, v26
	v_add_f32_e32 v19, v22, v19
	;; [unrolled: 1-line block ×3, first 2 shown]
	v_mul_f32_e32 v24, v21, v22
	v_sub_f32_e32 v29, v30, v22
	v_mul_f32_e32 v26, v25, v24
	v_add_f32_e32 v19, v19, v29
	v_fma_f32 v25, v24, v25, -v26
	v_fmac_f32_e32 v25, v24, v23
	v_add_f32_e32 v23, v26, v25
	v_sub_f32_e32 v28, v22, v23
	v_sub_f32_e32 v26, v23, v26
	;; [unrolled: 1-line block ×5, first 2 shown]
	v_add_f32_e32 v19, v19, v22
	v_add_f32_e32 v22, v27, v24
	;; [unrolled: 1-line block ×3, first 2 shown]
	v_sub_f32_e32 v23, v22, v27
	v_add_f32_e32 v19, v28, v19
	v_sub_f32_e32 v23, v24, v23
	v_mul_f32_e32 v19, v21, v19
	v_add_f32_e32 v19, v23, v19
	v_add_f32_e32 v21, v22, v19
	v_mul_f32_e32 v23, v21, v21
	v_fmaak_f32 v24, s25, v23, 0x3ecc95a3
	v_mul_f32_e32 v25, v21, v23
	v_cmp_neq_f32_e64 s25, 0x7f800000, v20
	v_fmaak_f32 v23, v23, v24, 0x3f2aaada
	v_ldexp_f32 v24, v21, 1
	v_sub_f32_e32 v21, v21, v22
	v_mul_f32_e32 v23, v25, v23
	v_mul_f32_e32 v25, 0x3f317218, v18
	v_sub_f32_e32 v19, v19, v21
	v_add_f32_e32 v22, v24, v23
	v_ldexp_f32 v19, v19, 1
	v_sub_f32_e32 v21, v22, v24
	v_fma_f32 v24, 0x3f317218, v18, -v25
	v_sub_f32_e32 v21, v23, v21
	v_fmamk_f32 v18, v18, 0xb102e308, v24
	v_add_f32_e32 v19, v19, v21
	v_add_f32_e32 v21, v25, v18
	;; [unrolled: 1-line block ×3, first 2 shown]
	v_sub_f32_e32 v25, v21, v25
	v_add_f32_e32 v24, v21, v23
	v_sub_f32_e32 v22, v23, v22
	v_sub_f32_e32 v18, v18, v25
	;; [unrolled: 1-line block ×6, first 2 shown]
	v_add_f32_e32 v23, v18, v19
	v_sub_f32_e32 v21, v21, v27
	v_add_f32_e32 v21, v22, v21
	v_sub_f32_e32 v22, v23, v18
	;; [unrolled: 2-line block ×3, first 2 shown]
	v_sub_f32_e32 v19, v19, v22
	v_add_f32_e32 v25, v24, v21
	v_sub_f32_e32 v18, v18, v23
	v_sub_f32_e32 v22, v25, v24
	v_add_f32_e32 v18, v19, v18
	v_sub_f32_e32 v19, v21, v22
	v_add_f32_e32 v18, v18, v19
	v_add_f32_e32 v18, v25, v18
	v_cndmask_b32_e64 v18, 0x7f800000, v18, s25
	v_cmp_gt_f32_e64 s25, 0x33800000, |v20|
	v_cndmask_b32_e64 v18, v18, v20, s25
	v_add_f32_e32 v6, v6, v18
	v_cvt_f16_f32_e32 v18, v6
.LBB414_46:
	s_or_b32 exec_lo, exec_lo, s26
	s_load_dwordx2 s[26:27], s[4:5], 0x18
	v_lshrrev_b32_e32 v6, 4, v0
	s_mov_b32 s25, exec_lo
	v_and_b32_e32 v6, 2, v6
	v_lshl_add_u32 v6, v0, 1, v6
	ds_write_b16 v6, v18
	s_waitcnt lgkmcnt(0)
	s_barrier
	buffer_gl0_inv
	v_cmpx_gt_u32_e32 32, v0
	s_cbranch_execz .LBB414_74
; %bb.47:
	v_lshrrev_b32_e32 v6, 3, v0
	v_lshlrev_b32_e32 v19, 2, v0
	v_and_b32_e32 v6, 6, v6
	v_add_nc_u32_e32 v6, v6, v19
	ds_read_u16 v20, v6 offset:2
	ds_read_u16 v22, v6
	s_waitcnt lgkmcnt(1)
	v_cvt_f32_f16_e32 v23, v20
	s_waitcnt lgkmcnt(0)
	v_cvt_f32_f16_e32 v19, v22
	v_cmp_u_f16_e64 s4, v22, v22
	v_cmp_u_f16_e64 s5, v20, v20
	v_min_f32_e32 v21, v19, v23
	v_max_f32_e32 v24, v19, v23
	v_cndmask_b32_e64 v21, v21, v19, s4
	v_cndmask_b32_e64 v24, v24, v19, s4
	;; [unrolled: 1-line block ×4, first 2 shown]
	v_cmp_class_f32_e64 s28, v21, 0x1f8
	v_cmp_neq_f32_e64 s5, v21, v20
	s_or_b32 s5, s5, s28
	s_and_saveexec_b32 s28, s5
	s_cbranch_execz .LBB414_49
; %bb.48:
	v_sub_f32_e32 v21, v21, v20
	v_mul_f32_e32 v22, 0x3fb8aa3b, v21
	v_cmp_ngt_f32_e64 s5, 0xc2ce8ed0, v21
	v_fma_f32 v23, 0x3fb8aa3b, v21, -v22
	v_rndne_f32_e32 v24, v22
	v_fmamk_f32 v23, v21, 0x32a5705f, v23
	v_sub_f32_e32 v22, v22, v24
	v_add_f32_e32 v22, v22, v23
	v_cvt_i32_f32_e32 v23, v24
	v_exp_f32_e32 v22, v22
	v_ldexp_f32 v22, v22, v23
	v_cndmask_b32_e64 v22, 0, v22, s5
	v_cmp_nlt_f32_e64 s5, 0x42b17218, v21
	v_cndmask_b32_e64 v23, 0x7f800000, v22, s5
	v_add_f32_e32 v24, 1.0, v23
	v_cvt_f64_f32_e32 v[21:22], v24
	v_frexp_exp_i32_f64_e32 v21, v[21:22]
	v_frexp_mant_f32_e32 v22, v24
	v_cmp_gt_f32_e64 s5, 0x3f2aaaab, v22
	v_add_f32_e32 v22, -1.0, v24
	v_sub_f32_e32 v26, v22, v24
	v_sub_f32_e32 v22, v23, v22
	v_add_f32_e32 v26, 1.0, v26
	v_add_f32_e32 v22, v22, v26
	v_subrev_co_ci_u32_e64 v21, null, 0, v21, s5
	s_mov_b32 s5, 0x3e9b6dac
	v_sub_nc_u32_e32 v25, 0, v21
	v_cvt_f32_i32_e32 v21, v21
	v_ldexp_f32 v24, v24, v25
	v_ldexp_f32 v22, v22, v25
	v_add_f32_e32 v27, 1.0, v24
	v_add_f32_e32 v25, -1.0, v24
	v_add_f32_e32 v26, -1.0, v27
	v_add_f32_e32 v28, 1.0, v25
	v_sub_f32_e32 v26, v24, v26
	v_sub_f32_e32 v24, v24, v28
	v_add_f32_e32 v26, v22, v26
	v_add_f32_e32 v22, v22, v24
	;; [unrolled: 1-line block ×4, first 2 shown]
	v_rcp_f32_e32 v24, v28
	v_sub_f32_e32 v27, v27, v28
	v_sub_f32_e32 v25, v25, v29
	v_add_f32_e32 v26, v26, v27
	v_add_f32_e32 v22, v22, v25
	v_mul_f32_e32 v30, v29, v24
	v_mul_f32_e32 v31, v28, v30
	v_fma_f32 v27, v30, v28, -v31
	v_fmac_f32_e32 v27, v30, v26
	v_add_f32_e32 v32, v31, v27
	v_sub_f32_e32 v33, v29, v32
	v_sub_f32_e32 v25, v32, v31
	;; [unrolled: 1-line block ×5, first 2 shown]
	v_add_f32_e32 v22, v22, v29
	v_add_f32_e32 v22, v25, v22
	;; [unrolled: 1-line block ×3, first 2 shown]
	v_mul_f32_e32 v27, v24, v25
	v_sub_f32_e32 v32, v33, v25
	v_mul_f32_e32 v29, v28, v27
	v_add_f32_e32 v22, v22, v32
	v_fma_f32 v28, v27, v28, -v29
	v_fmac_f32_e32 v28, v27, v26
	v_add_f32_e32 v26, v29, v28
	v_sub_f32_e32 v31, v25, v26
	v_sub_f32_e32 v29, v26, v29
	;; [unrolled: 1-line block ×5, first 2 shown]
	v_add_f32_e32 v22, v22, v25
	v_add_f32_e32 v25, v30, v27
	;; [unrolled: 1-line block ×3, first 2 shown]
	v_sub_f32_e32 v26, v25, v30
	v_add_f32_e32 v22, v31, v22
	v_sub_f32_e32 v26, v27, v26
	v_mul_f32_e32 v22, v24, v22
	v_add_f32_e32 v22, v26, v22
	v_add_f32_e32 v24, v25, v22
	v_mul_f32_e32 v26, v24, v24
	v_fmaak_f32 v27, s5, v26, 0x3ecc95a3
	v_mul_f32_e32 v28, v24, v26
	v_cmp_neq_f32_e64 s5, 0x7f800000, v23
	v_fmaak_f32 v26, v26, v27, 0x3f2aaada
	v_ldexp_f32 v27, v24, 1
	v_sub_f32_e32 v24, v24, v25
	v_mul_f32_e32 v26, v28, v26
	v_mul_f32_e32 v28, 0x3f317218, v21
	v_sub_f32_e32 v22, v22, v24
	v_add_f32_e32 v25, v27, v26
	v_ldexp_f32 v22, v22, 1
	v_sub_f32_e32 v24, v25, v27
	v_fma_f32 v27, 0x3f317218, v21, -v28
	v_sub_f32_e32 v24, v26, v24
	v_fmamk_f32 v21, v21, 0xb102e308, v27
	v_add_f32_e32 v22, v22, v24
	v_add_f32_e32 v24, v28, v21
	;; [unrolled: 1-line block ×3, first 2 shown]
	v_sub_f32_e32 v28, v24, v28
	v_add_f32_e32 v27, v24, v26
	v_sub_f32_e32 v25, v26, v25
	v_sub_f32_e32 v21, v21, v28
	;; [unrolled: 1-line block ×6, first 2 shown]
	v_add_f32_e32 v26, v21, v22
	v_sub_f32_e32 v24, v24, v30
	v_add_f32_e32 v24, v25, v24
	v_sub_f32_e32 v25, v26, v21
	;; [unrolled: 2-line block ×3, first 2 shown]
	v_sub_f32_e32 v22, v22, v25
	v_add_f32_e32 v28, v27, v24
	v_sub_f32_e32 v21, v21, v26
	v_sub_f32_e32 v25, v28, v27
	v_add_f32_e32 v21, v22, v21
	v_sub_f32_e32 v22, v24, v25
	v_add_f32_e32 v21, v21, v22
	v_add_f32_e32 v21, v28, v21
	v_cndmask_b32_e64 v21, 0x7f800000, v21, s5
	v_cmp_gt_f32_e64 s5, 0x33800000, |v23|
	v_cndmask_b32_e64 v21, v21, v23, s5
	v_add_f32_e32 v20, v20, v21
	v_cvt_f16_f32_e32 v22, v20
.LBB414_49:
	s_or_b32 exec_lo, exec_lo, s28
	v_mbcnt_lo_u32_b32 v20, -1, 0
	v_and_b32_e32 v23, 0xffff, v22
	s_mov_b32 s28, exec_lo
	v_and_b32_e32 v21, 15, v20
	v_mov_b32_dpp v24, v23 row_shr:1 row_mask:0xf bank_mask:0xf
	v_cmpx_ne_u32_e32 0, v21
	s_xor_b32 s28, exec_lo, s28
	s_cbranch_execz .LBB414_53
; %bb.50:
	v_cvt_f32_f16_e32 v23, v24
	v_cvt_f32_f16_e32 v25, v22
	v_cmp_u_f16_e64 s5, v24, v24
	v_min_f32_e32 v26, v23, v25
	v_max_f32_e32 v27, v23, v25
	v_cndmask_b32_e64 v26, v26, v23, s5
	v_cndmask_b32_e64 v27, v27, v23, s5
	v_cmp_u_f16_e64 s5, v22, v22
	v_cndmask_b32_e64 v23, v26, v25, s5
	v_cndmask_b32_e64 v22, v27, v25, s5
	v_cmp_class_f32_e64 s29, v23, 0x1f8
	v_cmp_neq_f32_e64 s5, v23, v22
	s_or_b32 s5, s5, s29
	s_and_saveexec_b32 s29, s5
	s_cbranch_execz .LBB414_52
; %bb.51:
	v_sub_f32_e32 v23, v23, v22
	v_mul_f32_e32 v24, 0x3fb8aa3b, v23
	v_cmp_ngt_f32_e64 s5, 0xc2ce8ed0, v23
	v_fma_f32 v25, 0x3fb8aa3b, v23, -v24
	v_rndne_f32_e32 v26, v24
	v_fmamk_f32 v25, v23, 0x32a5705f, v25
	v_sub_f32_e32 v24, v24, v26
	v_add_f32_e32 v24, v24, v25
	v_cvt_i32_f32_e32 v25, v26
	v_exp_f32_e32 v24, v24
	v_ldexp_f32 v24, v24, v25
	v_cndmask_b32_e64 v24, 0, v24, s5
	v_cmp_nlt_f32_e64 s5, 0x42b17218, v23
	v_cndmask_b32_e64 v25, 0x7f800000, v24, s5
	v_add_f32_e32 v26, 1.0, v25
	v_cvt_f64_f32_e32 v[23:24], v26
	v_frexp_exp_i32_f64_e32 v23, v[23:24]
	v_frexp_mant_f32_e32 v24, v26
	v_cmp_gt_f32_e64 s5, 0x3f2aaaab, v24
	v_add_f32_e32 v24, -1.0, v26
	v_sub_f32_e32 v28, v24, v26
	v_sub_f32_e32 v24, v25, v24
	v_add_f32_e32 v28, 1.0, v28
	v_add_f32_e32 v24, v24, v28
	v_subrev_co_ci_u32_e64 v23, null, 0, v23, s5
	s_mov_b32 s5, 0x3e9b6dac
	v_sub_nc_u32_e32 v27, 0, v23
	v_cvt_f32_i32_e32 v23, v23
	v_ldexp_f32 v26, v26, v27
	v_ldexp_f32 v24, v24, v27
	v_add_f32_e32 v29, 1.0, v26
	v_add_f32_e32 v27, -1.0, v26
	v_add_f32_e32 v28, -1.0, v29
	v_add_f32_e32 v30, 1.0, v27
	v_sub_f32_e32 v28, v26, v28
	v_sub_f32_e32 v26, v26, v30
	v_add_f32_e32 v28, v24, v28
	v_add_f32_e32 v24, v24, v26
	;; [unrolled: 1-line block ×4, first 2 shown]
	v_rcp_f32_e32 v26, v30
	v_sub_f32_e32 v29, v29, v30
	v_sub_f32_e32 v27, v27, v31
	v_add_f32_e32 v28, v28, v29
	v_add_f32_e32 v24, v24, v27
	v_mul_f32_e32 v32, v31, v26
	v_mul_f32_e32 v33, v30, v32
	v_fma_f32 v29, v32, v30, -v33
	v_fmac_f32_e32 v29, v32, v28
	v_add_f32_e32 v34, v33, v29
	v_sub_f32_e32 v35, v31, v34
	v_sub_f32_e32 v27, v34, v33
	;; [unrolled: 1-line block ×5, first 2 shown]
	v_add_f32_e32 v24, v24, v31
	v_add_f32_e32 v24, v27, v24
	;; [unrolled: 1-line block ×3, first 2 shown]
	v_mul_f32_e32 v29, v26, v27
	v_sub_f32_e32 v34, v35, v27
	v_mul_f32_e32 v31, v30, v29
	v_add_f32_e32 v24, v24, v34
	v_fma_f32 v30, v29, v30, -v31
	v_fmac_f32_e32 v30, v29, v28
	v_add_f32_e32 v28, v31, v30
	v_sub_f32_e32 v33, v27, v28
	v_sub_f32_e32 v31, v28, v31
	;; [unrolled: 1-line block ×5, first 2 shown]
	v_add_f32_e32 v24, v24, v27
	v_add_f32_e32 v27, v32, v29
	;; [unrolled: 1-line block ×3, first 2 shown]
	v_sub_f32_e32 v28, v27, v32
	v_add_f32_e32 v24, v33, v24
	v_sub_f32_e32 v28, v29, v28
	v_mul_f32_e32 v24, v26, v24
	v_add_f32_e32 v24, v28, v24
	v_add_f32_e32 v26, v27, v24
	v_mul_f32_e32 v28, v26, v26
	v_fmaak_f32 v29, s5, v28, 0x3ecc95a3
	v_mul_f32_e32 v30, v26, v28
	v_cmp_neq_f32_e64 s5, 0x7f800000, v25
	v_fmaak_f32 v28, v28, v29, 0x3f2aaada
	v_ldexp_f32 v29, v26, 1
	v_sub_f32_e32 v26, v26, v27
	v_mul_f32_e32 v28, v30, v28
	v_mul_f32_e32 v30, 0x3f317218, v23
	v_sub_f32_e32 v24, v24, v26
	v_add_f32_e32 v27, v29, v28
	v_ldexp_f32 v24, v24, 1
	v_sub_f32_e32 v26, v27, v29
	v_fma_f32 v29, 0x3f317218, v23, -v30
	v_sub_f32_e32 v26, v28, v26
	v_fmamk_f32 v23, v23, 0xb102e308, v29
	v_add_f32_e32 v24, v24, v26
	v_add_f32_e32 v26, v30, v23
	;; [unrolled: 1-line block ×3, first 2 shown]
	v_sub_f32_e32 v30, v26, v30
	v_add_f32_e32 v29, v26, v28
	v_sub_f32_e32 v27, v28, v27
	v_sub_f32_e32 v23, v23, v30
	;; [unrolled: 1-line block ×6, first 2 shown]
	v_add_f32_e32 v28, v23, v24
	v_sub_f32_e32 v26, v26, v32
	v_add_f32_e32 v26, v27, v26
	v_sub_f32_e32 v27, v28, v23
	v_add_f32_e32 v26, v28, v26
	v_sub_f32_e32 v28, v28, v27
	v_sub_f32_e32 v24, v24, v27
	v_add_f32_e32 v30, v29, v26
	v_sub_f32_e32 v23, v23, v28
	v_sub_f32_e32 v27, v30, v29
	v_add_f32_e32 v23, v24, v23
	v_sub_f32_e32 v24, v26, v27
	v_add_f32_e32 v23, v23, v24
	v_add_f32_e32 v23, v30, v23
	v_cndmask_b32_e64 v23, 0x7f800000, v23, s5
	v_cmp_gt_f32_e64 s5, 0x33800000, |v25|
	v_cndmask_b32_e64 v23, v23, v25, s5
	v_add_f32_e32 v22, v22, v23
	v_cvt_f16_f32_e32 v24, v22
.LBB414_52:
	s_or_b32 exec_lo, exec_lo, s29
	v_and_b32_e32 v23, 0xffff, v24
	v_mov_b32_e32 v22, v24
.LBB414_53:
	s_or_b32 exec_lo, exec_lo, s28
	v_mov_b32_dpp v24, v23 row_shr:2 row_mask:0xf bank_mask:0xf
	s_mov_b32 s28, exec_lo
	v_cmpx_lt_u32_e32 1, v21
	s_cbranch_execz .LBB414_57
; %bb.54:
	v_cvt_f32_f16_e32 v23, v24
	v_cvt_f32_f16_e32 v25, v22
	v_cmp_u_f16_e64 s5, v24, v24
	v_min_f32_e32 v26, v23, v25
	v_max_f32_e32 v27, v23, v25
	v_cndmask_b32_e64 v26, v26, v23, s5
	v_cndmask_b32_e64 v27, v27, v23, s5
	v_cmp_u_f16_e64 s5, v22, v22
	v_cndmask_b32_e64 v23, v26, v25, s5
	v_cndmask_b32_e64 v22, v27, v25, s5
	v_cmp_class_f32_e64 s29, v23, 0x1f8
	v_cmp_neq_f32_e64 s5, v23, v22
	s_or_b32 s5, s5, s29
	s_and_saveexec_b32 s29, s5
	s_cbranch_execz .LBB414_56
; %bb.55:
	v_sub_f32_e32 v23, v23, v22
	v_mul_f32_e32 v24, 0x3fb8aa3b, v23
	v_cmp_ngt_f32_e64 s5, 0xc2ce8ed0, v23
	v_fma_f32 v25, 0x3fb8aa3b, v23, -v24
	v_rndne_f32_e32 v26, v24
	v_fmamk_f32 v25, v23, 0x32a5705f, v25
	v_sub_f32_e32 v24, v24, v26
	v_add_f32_e32 v24, v24, v25
	v_cvt_i32_f32_e32 v25, v26
	v_exp_f32_e32 v24, v24
	v_ldexp_f32 v24, v24, v25
	v_cndmask_b32_e64 v24, 0, v24, s5
	v_cmp_nlt_f32_e64 s5, 0x42b17218, v23
	v_cndmask_b32_e64 v25, 0x7f800000, v24, s5
	v_add_f32_e32 v26, 1.0, v25
	v_cvt_f64_f32_e32 v[23:24], v26
	v_frexp_exp_i32_f64_e32 v23, v[23:24]
	v_frexp_mant_f32_e32 v24, v26
	v_cmp_gt_f32_e64 s5, 0x3f2aaaab, v24
	v_add_f32_e32 v24, -1.0, v26
	v_sub_f32_e32 v28, v24, v26
	v_sub_f32_e32 v24, v25, v24
	v_add_f32_e32 v28, 1.0, v28
	v_add_f32_e32 v24, v24, v28
	v_subrev_co_ci_u32_e64 v23, null, 0, v23, s5
	s_mov_b32 s5, 0x3e9b6dac
	v_sub_nc_u32_e32 v27, 0, v23
	v_cvt_f32_i32_e32 v23, v23
	v_ldexp_f32 v26, v26, v27
	v_ldexp_f32 v24, v24, v27
	v_add_f32_e32 v29, 1.0, v26
	v_add_f32_e32 v27, -1.0, v26
	v_add_f32_e32 v28, -1.0, v29
	v_add_f32_e32 v30, 1.0, v27
	v_sub_f32_e32 v28, v26, v28
	v_sub_f32_e32 v26, v26, v30
	v_add_f32_e32 v28, v24, v28
	v_add_f32_e32 v24, v24, v26
	;; [unrolled: 1-line block ×4, first 2 shown]
	v_rcp_f32_e32 v26, v30
	v_sub_f32_e32 v29, v29, v30
	v_sub_f32_e32 v27, v27, v31
	v_add_f32_e32 v28, v28, v29
	v_add_f32_e32 v24, v24, v27
	v_mul_f32_e32 v32, v31, v26
	v_mul_f32_e32 v33, v30, v32
	v_fma_f32 v29, v32, v30, -v33
	v_fmac_f32_e32 v29, v32, v28
	v_add_f32_e32 v34, v33, v29
	v_sub_f32_e32 v35, v31, v34
	v_sub_f32_e32 v27, v34, v33
	v_sub_f32_e32 v31, v31, v35
	v_sub_f32_e32 v27, v27, v29
	v_sub_f32_e32 v31, v31, v34
	v_add_f32_e32 v24, v24, v31
	v_add_f32_e32 v24, v27, v24
	;; [unrolled: 1-line block ×3, first 2 shown]
	v_mul_f32_e32 v29, v26, v27
	v_sub_f32_e32 v34, v35, v27
	v_mul_f32_e32 v31, v30, v29
	v_add_f32_e32 v24, v24, v34
	v_fma_f32 v30, v29, v30, -v31
	v_fmac_f32_e32 v30, v29, v28
	v_add_f32_e32 v28, v31, v30
	v_sub_f32_e32 v33, v27, v28
	v_sub_f32_e32 v31, v28, v31
	;; [unrolled: 1-line block ×5, first 2 shown]
	v_add_f32_e32 v24, v24, v27
	v_add_f32_e32 v27, v32, v29
	v_add_f32_e32 v24, v28, v24
	v_sub_f32_e32 v28, v27, v32
	v_add_f32_e32 v24, v33, v24
	v_sub_f32_e32 v28, v29, v28
	v_mul_f32_e32 v24, v26, v24
	v_add_f32_e32 v24, v28, v24
	v_add_f32_e32 v26, v27, v24
	v_mul_f32_e32 v28, v26, v26
	v_fmaak_f32 v29, s5, v28, 0x3ecc95a3
	v_mul_f32_e32 v30, v26, v28
	v_cmp_neq_f32_e64 s5, 0x7f800000, v25
	v_fmaak_f32 v28, v28, v29, 0x3f2aaada
	v_ldexp_f32 v29, v26, 1
	v_sub_f32_e32 v26, v26, v27
	v_mul_f32_e32 v28, v30, v28
	v_mul_f32_e32 v30, 0x3f317218, v23
	v_sub_f32_e32 v24, v24, v26
	v_add_f32_e32 v27, v29, v28
	v_ldexp_f32 v24, v24, 1
	v_sub_f32_e32 v26, v27, v29
	v_fma_f32 v29, 0x3f317218, v23, -v30
	v_sub_f32_e32 v26, v28, v26
	v_fmamk_f32 v23, v23, 0xb102e308, v29
	v_add_f32_e32 v24, v24, v26
	v_add_f32_e32 v26, v30, v23
	;; [unrolled: 1-line block ×3, first 2 shown]
	v_sub_f32_e32 v30, v26, v30
	v_add_f32_e32 v29, v26, v28
	v_sub_f32_e32 v27, v28, v27
	v_sub_f32_e32 v23, v23, v30
	v_sub_f32_e32 v31, v29, v26
	v_sub_f32_e32 v24, v24, v27
	v_sub_f32_e32 v32, v29, v31
	v_sub_f32_e32 v27, v28, v31
	v_add_f32_e32 v28, v23, v24
	v_sub_f32_e32 v26, v26, v32
	v_add_f32_e32 v26, v27, v26
	v_sub_f32_e32 v27, v28, v23
	;; [unrolled: 2-line block ×3, first 2 shown]
	v_sub_f32_e32 v24, v24, v27
	v_add_f32_e32 v30, v29, v26
	v_sub_f32_e32 v23, v23, v28
	v_sub_f32_e32 v27, v30, v29
	v_add_f32_e32 v23, v24, v23
	v_sub_f32_e32 v24, v26, v27
	v_add_f32_e32 v23, v23, v24
	v_add_f32_e32 v23, v30, v23
	v_cndmask_b32_e64 v23, 0x7f800000, v23, s5
	v_cmp_gt_f32_e64 s5, 0x33800000, |v25|
	v_cndmask_b32_e64 v23, v23, v25, s5
	v_add_f32_e32 v22, v22, v23
	v_cvt_f16_f32_e32 v24, v22
.LBB414_56:
	s_or_b32 exec_lo, exec_lo, s29
	v_and_b32_e32 v23, 0xffff, v24
	v_mov_b32_e32 v22, v24
.LBB414_57:
	s_or_b32 exec_lo, exec_lo, s28
	v_mov_b32_dpp v24, v23 row_shr:4 row_mask:0xf bank_mask:0xf
	s_mov_b32 s28, exec_lo
	v_cmpx_lt_u32_e32 3, v21
	s_cbranch_execz .LBB414_61
; %bb.58:
	v_cvt_f32_f16_e32 v23, v24
	v_cvt_f32_f16_e32 v25, v22
	v_cmp_u_f16_e64 s5, v24, v24
	v_min_f32_e32 v26, v23, v25
	v_max_f32_e32 v27, v23, v25
	v_cndmask_b32_e64 v26, v26, v23, s5
	v_cndmask_b32_e64 v27, v27, v23, s5
	v_cmp_u_f16_e64 s5, v22, v22
	v_cndmask_b32_e64 v23, v26, v25, s5
	v_cndmask_b32_e64 v22, v27, v25, s5
	v_cmp_class_f32_e64 s29, v23, 0x1f8
	v_cmp_neq_f32_e64 s5, v23, v22
	s_or_b32 s5, s5, s29
	s_and_saveexec_b32 s29, s5
	s_cbranch_execz .LBB414_60
; %bb.59:
	v_sub_f32_e32 v23, v23, v22
	v_mul_f32_e32 v24, 0x3fb8aa3b, v23
	v_cmp_ngt_f32_e64 s5, 0xc2ce8ed0, v23
	v_fma_f32 v25, 0x3fb8aa3b, v23, -v24
	v_rndne_f32_e32 v26, v24
	v_fmamk_f32 v25, v23, 0x32a5705f, v25
	v_sub_f32_e32 v24, v24, v26
	v_add_f32_e32 v24, v24, v25
	v_cvt_i32_f32_e32 v25, v26
	v_exp_f32_e32 v24, v24
	v_ldexp_f32 v24, v24, v25
	v_cndmask_b32_e64 v24, 0, v24, s5
	v_cmp_nlt_f32_e64 s5, 0x42b17218, v23
	v_cndmask_b32_e64 v25, 0x7f800000, v24, s5
	v_add_f32_e32 v26, 1.0, v25
	v_cvt_f64_f32_e32 v[23:24], v26
	v_frexp_exp_i32_f64_e32 v23, v[23:24]
	v_frexp_mant_f32_e32 v24, v26
	v_cmp_gt_f32_e64 s5, 0x3f2aaaab, v24
	v_add_f32_e32 v24, -1.0, v26
	v_sub_f32_e32 v28, v24, v26
	v_sub_f32_e32 v24, v25, v24
	v_add_f32_e32 v28, 1.0, v28
	v_add_f32_e32 v24, v24, v28
	v_subrev_co_ci_u32_e64 v23, null, 0, v23, s5
	s_mov_b32 s5, 0x3e9b6dac
	v_sub_nc_u32_e32 v27, 0, v23
	v_cvt_f32_i32_e32 v23, v23
	v_ldexp_f32 v26, v26, v27
	v_ldexp_f32 v24, v24, v27
	v_add_f32_e32 v29, 1.0, v26
	v_add_f32_e32 v27, -1.0, v26
	v_add_f32_e32 v28, -1.0, v29
	v_add_f32_e32 v30, 1.0, v27
	v_sub_f32_e32 v28, v26, v28
	v_sub_f32_e32 v26, v26, v30
	v_add_f32_e32 v28, v24, v28
	v_add_f32_e32 v24, v24, v26
	;; [unrolled: 1-line block ×4, first 2 shown]
	v_rcp_f32_e32 v26, v30
	v_sub_f32_e32 v29, v29, v30
	v_sub_f32_e32 v27, v27, v31
	v_add_f32_e32 v28, v28, v29
	v_add_f32_e32 v24, v24, v27
	v_mul_f32_e32 v32, v31, v26
	v_mul_f32_e32 v33, v30, v32
	v_fma_f32 v29, v32, v30, -v33
	v_fmac_f32_e32 v29, v32, v28
	v_add_f32_e32 v34, v33, v29
	v_sub_f32_e32 v35, v31, v34
	v_sub_f32_e32 v27, v34, v33
	;; [unrolled: 1-line block ×5, first 2 shown]
	v_add_f32_e32 v24, v24, v31
	v_add_f32_e32 v24, v27, v24
	;; [unrolled: 1-line block ×3, first 2 shown]
	v_mul_f32_e32 v29, v26, v27
	v_sub_f32_e32 v34, v35, v27
	v_mul_f32_e32 v31, v30, v29
	v_add_f32_e32 v24, v24, v34
	v_fma_f32 v30, v29, v30, -v31
	v_fmac_f32_e32 v30, v29, v28
	v_add_f32_e32 v28, v31, v30
	v_sub_f32_e32 v33, v27, v28
	v_sub_f32_e32 v31, v28, v31
	;; [unrolled: 1-line block ×5, first 2 shown]
	v_add_f32_e32 v24, v24, v27
	v_add_f32_e32 v27, v32, v29
	;; [unrolled: 1-line block ×3, first 2 shown]
	v_sub_f32_e32 v28, v27, v32
	v_add_f32_e32 v24, v33, v24
	v_sub_f32_e32 v28, v29, v28
	v_mul_f32_e32 v24, v26, v24
	v_add_f32_e32 v24, v28, v24
	v_add_f32_e32 v26, v27, v24
	v_mul_f32_e32 v28, v26, v26
	v_fmaak_f32 v29, s5, v28, 0x3ecc95a3
	v_mul_f32_e32 v30, v26, v28
	v_cmp_neq_f32_e64 s5, 0x7f800000, v25
	v_fmaak_f32 v28, v28, v29, 0x3f2aaada
	v_ldexp_f32 v29, v26, 1
	v_sub_f32_e32 v26, v26, v27
	v_mul_f32_e32 v28, v30, v28
	v_mul_f32_e32 v30, 0x3f317218, v23
	v_sub_f32_e32 v24, v24, v26
	v_add_f32_e32 v27, v29, v28
	v_ldexp_f32 v24, v24, 1
	v_sub_f32_e32 v26, v27, v29
	v_fma_f32 v29, 0x3f317218, v23, -v30
	v_sub_f32_e32 v26, v28, v26
	v_fmamk_f32 v23, v23, 0xb102e308, v29
	v_add_f32_e32 v24, v24, v26
	v_add_f32_e32 v26, v30, v23
	;; [unrolled: 1-line block ×3, first 2 shown]
	v_sub_f32_e32 v30, v26, v30
	v_add_f32_e32 v29, v26, v28
	v_sub_f32_e32 v27, v28, v27
	v_sub_f32_e32 v23, v23, v30
	;; [unrolled: 1-line block ×6, first 2 shown]
	v_add_f32_e32 v28, v23, v24
	v_sub_f32_e32 v26, v26, v32
	v_add_f32_e32 v26, v27, v26
	v_sub_f32_e32 v27, v28, v23
	;; [unrolled: 2-line block ×3, first 2 shown]
	v_sub_f32_e32 v24, v24, v27
	v_add_f32_e32 v30, v29, v26
	v_sub_f32_e32 v23, v23, v28
	v_sub_f32_e32 v27, v30, v29
	v_add_f32_e32 v23, v24, v23
	v_sub_f32_e32 v24, v26, v27
	v_add_f32_e32 v23, v23, v24
	v_add_f32_e32 v23, v30, v23
	v_cndmask_b32_e64 v23, 0x7f800000, v23, s5
	v_cmp_gt_f32_e64 s5, 0x33800000, |v25|
	v_cndmask_b32_e64 v23, v23, v25, s5
	v_add_f32_e32 v22, v22, v23
	v_cvt_f16_f32_e32 v24, v22
.LBB414_60:
	s_or_b32 exec_lo, exec_lo, s29
	v_and_b32_e32 v23, 0xffff, v24
	v_mov_b32_e32 v22, v24
.LBB414_61:
	s_or_b32 exec_lo, exec_lo, s28
	v_mov_b32_dpp v24, v23 row_shr:8 row_mask:0xf bank_mask:0xf
	s_mov_b32 s28, exec_lo
	v_cmpx_lt_u32_e32 7, v21
	s_cbranch_execz .LBB414_65
; %bb.62:
	v_cvt_f32_f16_e32 v21, v24
	v_cvt_f32_f16_e32 v23, v22
	v_cmp_u_f16_e64 s5, v24, v24
	v_min_f32_e32 v25, v21, v23
	v_max_f32_e32 v26, v21, v23
	v_cndmask_b32_e64 v25, v25, v21, s5
	v_cndmask_b32_e64 v21, v26, v21, s5
	v_cmp_u_f16_e64 s5, v22, v22
	v_cndmask_b32_e64 v22, v25, v23, s5
	v_cndmask_b32_e64 v21, v21, v23, s5
	v_cmp_class_f32_e64 s29, v22, 0x1f8
	v_cmp_neq_f32_e64 s5, v22, v21
	s_or_b32 s5, s5, s29
	s_and_saveexec_b32 s29, s5
	s_cbranch_execz .LBB414_64
; %bb.63:
	v_sub_f32_e32 v22, v22, v21
	v_mul_f32_e32 v23, 0x3fb8aa3b, v22
	v_cmp_ngt_f32_e64 s5, 0xc2ce8ed0, v22
	v_fma_f32 v24, 0x3fb8aa3b, v22, -v23
	v_rndne_f32_e32 v25, v23
	v_fmamk_f32 v24, v22, 0x32a5705f, v24
	v_sub_f32_e32 v23, v23, v25
	v_add_f32_e32 v23, v23, v24
	v_cvt_i32_f32_e32 v24, v25
	v_exp_f32_e32 v23, v23
	v_ldexp_f32 v23, v23, v24
	v_cndmask_b32_e64 v23, 0, v23, s5
	v_cmp_nlt_f32_e64 s5, 0x42b17218, v22
	v_cndmask_b32_e64 v24, 0x7f800000, v23, s5
	v_add_f32_e32 v25, 1.0, v24
	v_cvt_f64_f32_e32 v[22:23], v25
	v_frexp_exp_i32_f64_e32 v22, v[22:23]
	v_frexp_mant_f32_e32 v23, v25
	v_cmp_gt_f32_e64 s5, 0x3f2aaaab, v23
	v_add_f32_e32 v23, -1.0, v25
	v_sub_f32_e32 v27, v23, v25
	v_sub_f32_e32 v23, v24, v23
	v_add_f32_e32 v27, 1.0, v27
	v_add_f32_e32 v23, v23, v27
	v_subrev_co_ci_u32_e64 v22, null, 0, v22, s5
	s_mov_b32 s5, 0x3e9b6dac
	v_sub_nc_u32_e32 v26, 0, v22
	v_cvt_f32_i32_e32 v22, v22
	v_ldexp_f32 v25, v25, v26
	v_ldexp_f32 v23, v23, v26
	v_add_f32_e32 v28, 1.0, v25
	v_add_f32_e32 v26, -1.0, v25
	v_add_f32_e32 v27, -1.0, v28
	v_add_f32_e32 v29, 1.0, v26
	v_sub_f32_e32 v27, v25, v27
	v_sub_f32_e32 v25, v25, v29
	v_add_f32_e32 v27, v23, v27
	v_add_f32_e32 v23, v23, v25
	;; [unrolled: 1-line block ×4, first 2 shown]
	v_rcp_f32_e32 v25, v29
	v_sub_f32_e32 v28, v28, v29
	v_sub_f32_e32 v26, v26, v30
	v_add_f32_e32 v27, v27, v28
	v_add_f32_e32 v23, v23, v26
	v_mul_f32_e32 v31, v30, v25
	v_mul_f32_e32 v32, v29, v31
	v_fma_f32 v28, v31, v29, -v32
	v_fmac_f32_e32 v28, v31, v27
	v_add_f32_e32 v33, v32, v28
	v_sub_f32_e32 v34, v30, v33
	v_sub_f32_e32 v26, v33, v32
	;; [unrolled: 1-line block ×5, first 2 shown]
	v_add_f32_e32 v23, v23, v30
	v_add_f32_e32 v23, v26, v23
	;; [unrolled: 1-line block ×3, first 2 shown]
	v_mul_f32_e32 v28, v25, v26
	v_sub_f32_e32 v33, v34, v26
	v_mul_f32_e32 v30, v29, v28
	v_add_f32_e32 v23, v23, v33
	v_fma_f32 v29, v28, v29, -v30
	v_fmac_f32_e32 v29, v28, v27
	v_add_f32_e32 v27, v30, v29
	v_sub_f32_e32 v32, v26, v27
	v_sub_f32_e32 v30, v27, v30
	v_sub_f32_e32 v26, v26, v32
	v_sub_f32_e32 v26, v26, v27
	v_sub_f32_e32 v27, v30, v29
	v_add_f32_e32 v23, v23, v26
	v_add_f32_e32 v26, v31, v28
	;; [unrolled: 1-line block ×3, first 2 shown]
	v_sub_f32_e32 v27, v26, v31
	v_add_f32_e32 v23, v32, v23
	v_sub_f32_e32 v27, v28, v27
	v_mul_f32_e32 v23, v25, v23
	v_add_f32_e32 v23, v27, v23
	v_add_f32_e32 v25, v26, v23
	v_mul_f32_e32 v27, v25, v25
	v_fmaak_f32 v28, s5, v27, 0x3ecc95a3
	v_mul_f32_e32 v29, v25, v27
	v_cmp_neq_f32_e64 s5, 0x7f800000, v24
	v_fmaak_f32 v27, v27, v28, 0x3f2aaada
	v_ldexp_f32 v28, v25, 1
	v_sub_f32_e32 v25, v25, v26
	v_mul_f32_e32 v27, v29, v27
	v_mul_f32_e32 v29, 0x3f317218, v22
	v_sub_f32_e32 v23, v23, v25
	v_add_f32_e32 v26, v28, v27
	v_ldexp_f32 v23, v23, 1
	v_sub_f32_e32 v25, v26, v28
	v_fma_f32 v28, 0x3f317218, v22, -v29
	v_sub_f32_e32 v25, v27, v25
	v_fmamk_f32 v22, v22, 0xb102e308, v28
	v_add_f32_e32 v23, v23, v25
	v_add_f32_e32 v25, v29, v22
	;; [unrolled: 1-line block ×3, first 2 shown]
	v_sub_f32_e32 v29, v25, v29
	v_add_f32_e32 v28, v25, v27
	v_sub_f32_e32 v26, v27, v26
	v_sub_f32_e32 v22, v22, v29
	;; [unrolled: 1-line block ×6, first 2 shown]
	v_add_f32_e32 v27, v22, v23
	v_sub_f32_e32 v25, v25, v31
	v_add_f32_e32 v25, v26, v25
	v_sub_f32_e32 v26, v27, v22
	;; [unrolled: 2-line block ×3, first 2 shown]
	v_sub_f32_e32 v23, v23, v26
	v_add_f32_e32 v29, v28, v25
	v_sub_f32_e32 v22, v22, v27
	v_sub_f32_e32 v26, v29, v28
	v_add_f32_e32 v22, v23, v22
	v_sub_f32_e32 v23, v25, v26
	v_add_f32_e32 v22, v22, v23
	v_add_f32_e32 v22, v29, v22
	v_cndmask_b32_e64 v22, 0x7f800000, v22, s5
	v_cmp_gt_f32_e64 s5, 0x33800000, |v24|
	v_cndmask_b32_e64 v22, v22, v24, s5
	v_add_f32_e32 v21, v21, v22
	v_cvt_f16_f32_e32 v24, v21
.LBB414_64:
	s_or_b32 exec_lo, exec_lo, s29
	v_and_b32_e32 v23, 0xffff, v24
	v_mov_b32_e32 v22, v24
.LBB414_65:
	s_or_b32 exec_lo, exec_lo, s28
	ds_swizzle_b32 v23, v23 offset:swizzle(BROADCAST,32,15)
	v_and_b32_e32 v21, 16, v20
	s_mov_b32 s28, exec_lo
	v_cmpx_ne_u32_e32 0, v21
	s_cbranch_execz .LBB414_69
; %bb.66:
	s_waitcnt lgkmcnt(0)
	v_cvt_f32_f16_e32 v21, v23
	v_cvt_f32_f16_e32 v24, v22
	v_cmp_u_f16_e64 s5, v23, v23
	v_min_f32_e32 v25, v21, v24
	v_max_f32_e32 v26, v21, v24
	v_cndmask_b32_e64 v25, v25, v21, s5
	v_cndmask_b32_e64 v21, v26, v21, s5
	v_cmp_u_f16_e64 s5, v22, v22
	v_cndmask_b32_e64 v22, v25, v24, s5
	v_cndmask_b32_e64 v21, v21, v24, s5
	v_cmp_class_f32_e64 s29, v22, 0x1f8
	v_cmp_neq_f32_e64 s5, v22, v21
	s_or_b32 s5, s5, s29
	s_and_saveexec_b32 s29, s5
	s_cbranch_execz .LBB414_68
; %bb.67:
	v_sub_f32_e32 v22, v22, v21
	v_mul_f32_e32 v23, 0x3fb8aa3b, v22
	v_cmp_ngt_f32_e64 s5, 0xc2ce8ed0, v22
	v_fma_f32 v24, 0x3fb8aa3b, v22, -v23
	v_rndne_f32_e32 v25, v23
	v_fmamk_f32 v24, v22, 0x32a5705f, v24
	v_sub_f32_e32 v23, v23, v25
	v_add_f32_e32 v23, v23, v24
	v_cvt_i32_f32_e32 v24, v25
	v_exp_f32_e32 v23, v23
	v_ldexp_f32 v23, v23, v24
	v_cndmask_b32_e64 v23, 0, v23, s5
	v_cmp_nlt_f32_e64 s5, 0x42b17218, v22
	v_cndmask_b32_e64 v24, 0x7f800000, v23, s5
	v_add_f32_e32 v25, 1.0, v24
	v_cvt_f64_f32_e32 v[22:23], v25
	v_frexp_exp_i32_f64_e32 v22, v[22:23]
	v_frexp_mant_f32_e32 v23, v25
	v_cmp_gt_f32_e64 s5, 0x3f2aaaab, v23
	v_add_f32_e32 v23, -1.0, v25
	v_sub_f32_e32 v27, v23, v25
	v_sub_f32_e32 v23, v24, v23
	v_add_f32_e32 v27, 1.0, v27
	v_add_f32_e32 v23, v23, v27
	v_subrev_co_ci_u32_e64 v22, null, 0, v22, s5
	s_mov_b32 s5, 0x3e9b6dac
	v_sub_nc_u32_e32 v26, 0, v22
	v_cvt_f32_i32_e32 v22, v22
	v_ldexp_f32 v25, v25, v26
	v_ldexp_f32 v23, v23, v26
	v_add_f32_e32 v28, 1.0, v25
	v_add_f32_e32 v26, -1.0, v25
	v_add_f32_e32 v27, -1.0, v28
	v_add_f32_e32 v29, 1.0, v26
	v_sub_f32_e32 v27, v25, v27
	v_sub_f32_e32 v25, v25, v29
	v_add_f32_e32 v27, v23, v27
	v_add_f32_e32 v23, v23, v25
	;; [unrolled: 1-line block ×4, first 2 shown]
	v_rcp_f32_e32 v25, v29
	v_sub_f32_e32 v28, v28, v29
	v_sub_f32_e32 v26, v26, v30
	v_add_f32_e32 v27, v27, v28
	v_add_f32_e32 v23, v23, v26
	v_mul_f32_e32 v31, v30, v25
	v_mul_f32_e32 v32, v29, v31
	v_fma_f32 v28, v31, v29, -v32
	v_fmac_f32_e32 v28, v31, v27
	v_add_f32_e32 v33, v32, v28
	v_sub_f32_e32 v34, v30, v33
	v_sub_f32_e32 v26, v33, v32
	;; [unrolled: 1-line block ×5, first 2 shown]
	v_add_f32_e32 v23, v23, v30
	v_add_f32_e32 v23, v26, v23
	;; [unrolled: 1-line block ×3, first 2 shown]
	v_mul_f32_e32 v28, v25, v26
	v_sub_f32_e32 v33, v34, v26
	v_mul_f32_e32 v30, v29, v28
	v_add_f32_e32 v23, v23, v33
	v_fma_f32 v29, v28, v29, -v30
	v_fmac_f32_e32 v29, v28, v27
	v_add_f32_e32 v27, v30, v29
	v_sub_f32_e32 v32, v26, v27
	v_sub_f32_e32 v30, v27, v30
	;; [unrolled: 1-line block ×5, first 2 shown]
	v_add_f32_e32 v23, v23, v26
	v_add_f32_e32 v26, v31, v28
	;; [unrolled: 1-line block ×3, first 2 shown]
	v_sub_f32_e32 v27, v26, v31
	v_add_f32_e32 v23, v32, v23
	v_sub_f32_e32 v27, v28, v27
	v_mul_f32_e32 v23, v25, v23
	v_add_f32_e32 v23, v27, v23
	v_add_f32_e32 v25, v26, v23
	v_mul_f32_e32 v27, v25, v25
	v_fmaak_f32 v28, s5, v27, 0x3ecc95a3
	v_mul_f32_e32 v29, v25, v27
	v_cmp_neq_f32_e64 s5, 0x7f800000, v24
	v_fmaak_f32 v27, v27, v28, 0x3f2aaada
	v_ldexp_f32 v28, v25, 1
	v_sub_f32_e32 v25, v25, v26
	v_mul_f32_e32 v27, v29, v27
	v_mul_f32_e32 v29, 0x3f317218, v22
	v_sub_f32_e32 v23, v23, v25
	v_add_f32_e32 v26, v28, v27
	v_ldexp_f32 v23, v23, 1
	v_sub_f32_e32 v25, v26, v28
	v_fma_f32 v28, 0x3f317218, v22, -v29
	v_sub_f32_e32 v25, v27, v25
	v_fmamk_f32 v22, v22, 0xb102e308, v28
	v_add_f32_e32 v23, v23, v25
	v_add_f32_e32 v25, v29, v22
	v_add_f32_e32 v27, v26, v23
	v_sub_f32_e32 v29, v25, v29
	v_add_f32_e32 v28, v25, v27
	v_sub_f32_e32 v26, v27, v26
	v_sub_f32_e32 v22, v22, v29
	;; [unrolled: 1-line block ×6, first 2 shown]
	v_add_f32_e32 v27, v22, v23
	v_sub_f32_e32 v25, v25, v31
	v_add_f32_e32 v25, v26, v25
	v_sub_f32_e32 v26, v27, v22
	;; [unrolled: 2-line block ×3, first 2 shown]
	v_sub_f32_e32 v23, v23, v26
	v_add_f32_e32 v29, v28, v25
	v_sub_f32_e32 v22, v22, v27
	v_sub_f32_e32 v26, v29, v28
	v_add_f32_e32 v22, v23, v22
	v_sub_f32_e32 v23, v25, v26
	v_add_f32_e32 v22, v22, v23
	v_add_f32_e32 v22, v29, v22
	v_cndmask_b32_e64 v22, 0x7f800000, v22, s5
	v_cmp_gt_f32_e64 s5, 0x33800000, |v24|
	v_cndmask_b32_e64 v22, v22, v24, s5
	v_add_f32_e32 v21, v21, v22
	v_cvt_f16_f32_e32 v23, v21
.LBB414_68:
	s_or_b32 exec_lo, exec_lo, s29
	v_mov_b32_e32 v22, v23
.LBB414_69:
	s_or_b32 exec_lo, exec_lo, s28
	v_add_nc_u32_e32 v21, -1, v20
	v_cmp_gt_i32_e64 s5, 0, v21
	v_cndmask_b32_e64 v20, v21, v20, s5
	v_and_b32_e32 v21, 0xffff, v22
	v_lshlrev_b32_e32 v20, 2, v20
	ds_bpermute_b32 v20, v20, v21
	v_max_f32_e32 v21, v19, v19
	s_waitcnt lgkmcnt(0)
	v_cvt_f32_f16_e32 v22, v20
	v_cmp_u_f16_e64 s5, v20, v20
	v_min_f32_e32 v23, v22, v21
	v_max_f32_e32 v21, v22, v21
	v_cndmask_b32_e64 v23, v23, v22, s5
	v_cndmask_b32_e64 v22, v21, v22, s5
	v_cndmask_b32_e64 v21, v23, v19, s4
	v_cndmask_b32_e64 v19, v22, v19, s4
	v_cmp_class_f32_e64 s5, v21, 0x1f8
	v_cmp_neq_f32_e64 s4, v21, v19
	s_or_b32 s4, s4, s5
	s_and_saveexec_b32 s5, s4
	s_cbranch_execz .LBB414_71
; %bb.70:
	v_sub_f32_e32 v20, v21, v19
	v_mul_f32_e32 v21, 0x3fb8aa3b, v20
	v_cmp_ngt_f32_e64 s4, 0xc2ce8ed0, v20
	v_fma_f32 v22, 0x3fb8aa3b, v20, -v21
	v_rndne_f32_e32 v23, v21
	v_fmamk_f32 v22, v20, 0x32a5705f, v22
	v_sub_f32_e32 v21, v21, v23
	v_add_f32_e32 v21, v21, v22
	v_cvt_i32_f32_e32 v22, v23
	v_exp_f32_e32 v21, v21
	v_ldexp_f32 v21, v21, v22
	v_cndmask_b32_e64 v21, 0, v21, s4
	v_cmp_nlt_f32_e64 s4, 0x42b17218, v20
	v_cndmask_b32_e64 v22, 0x7f800000, v21, s4
	v_add_f32_e32 v23, 1.0, v22
	v_cvt_f64_f32_e32 v[20:21], v23
	v_frexp_exp_i32_f64_e32 v20, v[20:21]
	v_frexp_mant_f32_e32 v21, v23
	v_cmp_gt_f32_e64 s4, 0x3f2aaaab, v21
	v_add_f32_e32 v21, -1.0, v23
	v_sub_f32_e32 v25, v21, v23
	v_sub_f32_e32 v21, v22, v21
	v_add_f32_e32 v25, 1.0, v25
	v_add_f32_e32 v21, v21, v25
	v_subrev_co_ci_u32_e64 v20, null, 0, v20, s4
	s_mov_b32 s4, 0x3e9b6dac
	v_sub_nc_u32_e32 v24, 0, v20
	v_cvt_f32_i32_e32 v20, v20
	v_ldexp_f32 v23, v23, v24
	v_ldexp_f32 v21, v21, v24
	v_add_f32_e32 v26, 1.0, v23
	v_add_f32_e32 v24, -1.0, v23
	v_add_f32_e32 v25, -1.0, v26
	v_add_f32_e32 v27, 1.0, v24
	v_sub_f32_e32 v25, v23, v25
	v_sub_f32_e32 v23, v23, v27
	v_add_f32_e32 v25, v21, v25
	v_add_f32_e32 v21, v21, v23
	;; [unrolled: 1-line block ×4, first 2 shown]
	v_rcp_f32_e32 v23, v27
	v_sub_f32_e32 v26, v26, v27
	v_sub_f32_e32 v24, v24, v28
	v_add_f32_e32 v25, v25, v26
	v_add_f32_e32 v21, v21, v24
	v_mul_f32_e32 v29, v28, v23
	v_mul_f32_e32 v30, v27, v29
	v_fma_f32 v26, v29, v27, -v30
	v_fmac_f32_e32 v26, v29, v25
	v_add_f32_e32 v31, v30, v26
	v_sub_f32_e32 v32, v28, v31
	v_sub_f32_e32 v24, v31, v30
	;; [unrolled: 1-line block ×5, first 2 shown]
	v_add_f32_e32 v21, v21, v28
	v_add_f32_e32 v21, v24, v21
	;; [unrolled: 1-line block ×3, first 2 shown]
	v_mul_f32_e32 v26, v23, v24
	v_sub_f32_e32 v31, v32, v24
	v_mul_f32_e32 v28, v27, v26
	v_add_f32_e32 v21, v21, v31
	v_fma_f32 v27, v26, v27, -v28
	v_fmac_f32_e32 v27, v26, v25
	v_add_f32_e32 v25, v28, v27
	v_sub_f32_e32 v30, v24, v25
	v_sub_f32_e32 v28, v25, v28
	;; [unrolled: 1-line block ×5, first 2 shown]
	v_add_f32_e32 v21, v21, v24
	v_add_f32_e32 v24, v29, v26
	v_add_f32_e32 v21, v25, v21
	v_sub_f32_e32 v25, v24, v29
	v_add_f32_e32 v21, v30, v21
	v_sub_f32_e32 v25, v26, v25
	v_mul_f32_e32 v21, v23, v21
	v_add_f32_e32 v21, v25, v21
	v_add_f32_e32 v23, v24, v21
	v_mul_f32_e32 v25, v23, v23
	v_fmaak_f32 v26, s4, v25, 0x3ecc95a3
	v_mul_f32_e32 v27, v23, v25
	v_cmp_neq_f32_e64 s4, 0x7f800000, v22
	v_fmaak_f32 v25, v25, v26, 0x3f2aaada
	v_ldexp_f32 v26, v23, 1
	v_sub_f32_e32 v23, v23, v24
	v_mul_f32_e32 v25, v27, v25
	v_mul_f32_e32 v27, 0x3f317218, v20
	v_sub_f32_e32 v21, v21, v23
	v_add_f32_e32 v24, v26, v25
	v_ldexp_f32 v21, v21, 1
	v_sub_f32_e32 v23, v24, v26
	v_fma_f32 v26, 0x3f317218, v20, -v27
	v_sub_f32_e32 v23, v25, v23
	v_fmamk_f32 v20, v20, 0xb102e308, v26
	v_add_f32_e32 v21, v21, v23
	v_add_f32_e32 v23, v27, v20
	;; [unrolled: 1-line block ×3, first 2 shown]
	v_sub_f32_e32 v27, v23, v27
	v_add_f32_e32 v26, v23, v25
	v_sub_f32_e32 v24, v25, v24
	v_sub_f32_e32 v20, v20, v27
	;; [unrolled: 1-line block ×6, first 2 shown]
	v_add_f32_e32 v25, v20, v21
	v_sub_f32_e32 v23, v23, v29
	v_add_f32_e32 v23, v24, v23
	v_sub_f32_e32 v24, v25, v20
	;; [unrolled: 2-line block ×3, first 2 shown]
	v_sub_f32_e32 v21, v21, v24
	v_add_f32_e32 v27, v26, v23
	v_sub_f32_e32 v20, v20, v25
	v_sub_f32_e32 v24, v27, v26
	v_add_f32_e32 v20, v21, v20
	v_sub_f32_e32 v21, v23, v24
	v_add_f32_e32 v20, v20, v21
	v_add_f32_e32 v20, v27, v20
	v_cndmask_b32_e64 v20, 0x7f800000, v20, s4
	v_cmp_gt_f32_e64 s4, 0x33800000, |v22|
	v_cndmask_b32_e64 v20, v20, v22, s4
	v_add_f32_e32 v19, v19, v20
	v_cvt_f16_f32_e32 v20, v19
.LBB414_71:
	s_or_b32 exec_lo, exec_lo, s5
	v_cmp_eq_u32_e64 s4, 0, v0
	; wave barrier
	v_cndmask_b32_e64 v19, v20, v18, s4
	ds_write_b16 v6, v19
	; wave barrier
	ds_read_u16 v18, v6 offset:2
	v_cvt_f32_f16_e32 v20, v19
	v_cmp_u_f16_e64 s4, v19, v19
	s_waitcnt lgkmcnt(0)
	v_cvt_f32_f16_e32 v21, v18
	v_min_f32_e32 v22, v20, v21
	v_max_f32_e32 v23, v20, v21
	v_cndmask_b32_e64 v22, v22, v20, s4
	v_cndmask_b32_e64 v23, v23, v20, s4
	v_cmp_u_f16_e64 s4, v18, v18
	v_cndmask_b32_e64 v20, v22, v21, s4
	v_cndmask_b32_e64 v18, v23, v21, s4
	v_cmp_class_f32_e64 s5, v20, 0x1f8
	v_cmp_neq_f32_e64 s4, v20, v18
	s_or_b32 s4, s4, s5
	s_and_saveexec_b32 s5, s4
	s_cbranch_execz .LBB414_73
; %bb.72:
	v_sub_f32_e32 v19, v20, v18
	v_mul_f32_e32 v20, 0x3fb8aa3b, v19
	v_cmp_ngt_f32_e64 s4, 0xc2ce8ed0, v19
	v_fma_f32 v21, 0x3fb8aa3b, v19, -v20
	v_rndne_f32_e32 v22, v20
	v_fmamk_f32 v21, v19, 0x32a5705f, v21
	v_sub_f32_e32 v20, v20, v22
	v_add_f32_e32 v20, v20, v21
	v_cvt_i32_f32_e32 v21, v22
	v_exp_f32_e32 v20, v20
	v_ldexp_f32 v20, v20, v21
	v_cndmask_b32_e64 v20, 0, v20, s4
	v_cmp_nlt_f32_e64 s4, 0x42b17218, v19
	v_cndmask_b32_e64 v21, 0x7f800000, v20, s4
	v_add_f32_e32 v22, 1.0, v21
	v_cvt_f64_f32_e32 v[19:20], v22
	v_frexp_exp_i32_f64_e32 v19, v[19:20]
	v_frexp_mant_f32_e32 v20, v22
	v_cmp_gt_f32_e64 s4, 0x3f2aaaab, v20
	v_add_f32_e32 v20, -1.0, v22
	v_sub_f32_e32 v24, v20, v22
	v_sub_f32_e32 v20, v21, v20
	v_add_f32_e32 v24, 1.0, v24
	v_add_f32_e32 v20, v20, v24
	v_subrev_co_ci_u32_e64 v19, null, 0, v19, s4
	s_mov_b32 s4, 0x3e9b6dac
	v_sub_nc_u32_e32 v23, 0, v19
	v_cvt_f32_i32_e32 v19, v19
	v_ldexp_f32 v22, v22, v23
	v_ldexp_f32 v20, v20, v23
	v_add_f32_e32 v25, 1.0, v22
	v_add_f32_e32 v23, -1.0, v22
	v_add_f32_e32 v24, -1.0, v25
	v_add_f32_e32 v26, 1.0, v23
	v_sub_f32_e32 v24, v22, v24
	v_sub_f32_e32 v22, v22, v26
	v_add_f32_e32 v24, v20, v24
	v_add_f32_e32 v20, v20, v22
	;; [unrolled: 1-line block ×4, first 2 shown]
	v_rcp_f32_e32 v22, v26
	v_sub_f32_e32 v25, v25, v26
	v_sub_f32_e32 v23, v23, v27
	v_add_f32_e32 v24, v24, v25
	v_add_f32_e32 v20, v20, v23
	v_mul_f32_e32 v28, v27, v22
	v_mul_f32_e32 v29, v26, v28
	v_fma_f32 v25, v28, v26, -v29
	v_fmac_f32_e32 v25, v28, v24
	v_add_f32_e32 v30, v29, v25
	v_sub_f32_e32 v31, v27, v30
	v_sub_f32_e32 v23, v30, v29
	;; [unrolled: 1-line block ×5, first 2 shown]
	v_add_f32_e32 v20, v20, v27
	v_add_f32_e32 v20, v23, v20
	;; [unrolled: 1-line block ×3, first 2 shown]
	v_mul_f32_e32 v25, v22, v23
	v_sub_f32_e32 v30, v31, v23
	v_mul_f32_e32 v27, v26, v25
	v_add_f32_e32 v20, v20, v30
	v_fma_f32 v26, v25, v26, -v27
	v_fmac_f32_e32 v26, v25, v24
	v_add_f32_e32 v24, v27, v26
	v_sub_f32_e32 v29, v23, v24
	v_sub_f32_e32 v27, v24, v27
	;; [unrolled: 1-line block ×5, first 2 shown]
	v_add_f32_e32 v20, v20, v23
	v_add_f32_e32 v23, v28, v25
	;; [unrolled: 1-line block ×3, first 2 shown]
	v_sub_f32_e32 v24, v23, v28
	v_add_f32_e32 v20, v29, v20
	v_sub_f32_e32 v24, v25, v24
	v_mul_f32_e32 v20, v22, v20
	v_add_f32_e32 v20, v24, v20
	v_add_f32_e32 v22, v23, v20
	v_mul_f32_e32 v24, v22, v22
	v_fmaak_f32 v25, s4, v24, 0x3ecc95a3
	v_mul_f32_e32 v26, v22, v24
	v_cmp_neq_f32_e64 s4, 0x7f800000, v21
	v_fmaak_f32 v24, v24, v25, 0x3f2aaada
	v_ldexp_f32 v25, v22, 1
	v_sub_f32_e32 v22, v22, v23
	v_mul_f32_e32 v24, v26, v24
	v_mul_f32_e32 v26, 0x3f317218, v19
	v_sub_f32_e32 v20, v20, v22
	v_add_f32_e32 v23, v25, v24
	v_ldexp_f32 v20, v20, 1
	v_sub_f32_e32 v22, v23, v25
	v_fma_f32 v25, 0x3f317218, v19, -v26
	v_sub_f32_e32 v22, v24, v22
	v_fmamk_f32 v19, v19, 0xb102e308, v25
	v_add_f32_e32 v20, v20, v22
	v_add_f32_e32 v22, v26, v19
	v_add_f32_e32 v24, v23, v20
	v_sub_f32_e32 v26, v22, v26
	v_add_f32_e32 v25, v22, v24
	v_sub_f32_e32 v23, v24, v23
	v_sub_f32_e32 v19, v19, v26
	;; [unrolled: 1-line block ×6, first 2 shown]
	v_add_f32_e32 v24, v19, v20
	v_sub_f32_e32 v22, v22, v28
	v_add_f32_e32 v22, v23, v22
	v_sub_f32_e32 v23, v24, v19
	;; [unrolled: 2-line block ×3, first 2 shown]
	v_sub_f32_e32 v20, v20, v23
	v_add_f32_e32 v26, v25, v22
	v_sub_f32_e32 v19, v19, v24
	v_sub_f32_e32 v23, v26, v25
	v_add_f32_e32 v19, v20, v19
	v_sub_f32_e32 v20, v22, v23
	v_add_f32_e32 v19, v19, v20
	v_add_f32_e32 v19, v26, v19
	v_cndmask_b32_e64 v19, 0x7f800000, v19, s4
	v_cmp_gt_f32_e64 s4, 0x33800000, |v21|
	v_cndmask_b32_e64 v19, v19, v21, s4
	v_add_f32_e32 v18, v18, v19
	v_cvt_f16_f32_e32 v19, v18
.LBB414_73:
	s_or_b32 exec_lo, exec_lo, s5
	ds_write_b16 v6, v19 offset:2
.LBB414_74:
	s_or_b32 exec_lo, exec_lo, s25
	v_mul_u32_u24_e32 v6, 22, v0
	v_mov_b32_e32 v18, v1
	s_mov_b32 s5, exec_lo
	s_waitcnt lgkmcnt(0)
	s_barrier
	buffer_gl0_inv
	v_cmpx_ne_u32_e32 0, v0
	s_cbranch_execz .LBB414_78
; %bb.75:
	v_add_nc_u32_e32 v1, -1, v0
	v_lshrrev_b32_e32 v16, 4, v1
	v_and_b32_e32 v16, 0xffffffe, v16
	v_lshl_add_u32 v1, v1, 1, v16
	v_max_f32_e32 v16, v8, v8
	ds_read_u16 v1, v1
	s_waitcnt lgkmcnt(0)
	v_cvt_f32_f16_e32 v19, v1
	v_cmp_u_f16_e64 s4, v1, v1
	v_min_f32_e32 v17, v19, v16
	v_max_f32_e32 v16, v19, v16
	v_cndmask_b32_e64 v17, v17, v19, s4
	v_cndmask_b32_e64 v18, v16, v19, s4
	;; [unrolled: 1-line block ×4, first 2 shown]
	v_cmp_class_f32_e64 s24, v16, 0x1f8
	v_cmp_neq_f32_e64 s4, v16, v8
	s_or_b32 s4, s4, s24
	s_and_saveexec_b32 s24, s4
	s_cbranch_execz .LBB414_77
; %bb.76:
	v_sub_f32_e32 v1, v16, v8
	v_mul_f32_e32 v16, 0x3fb8aa3b, v1
	v_cmp_ngt_f32_e64 s4, 0xc2ce8ed0, v1
	v_fma_f32 v17, 0x3fb8aa3b, v1, -v16
	v_rndne_f32_e32 v18, v16
	v_fmamk_f32 v17, v1, 0x32a5705f, v17
	v_sub_f32_e32 v16, v16, v18
	v_add_f32_e32 v16, v16, v17
	v_cvt_i32_f32_e32 v17, v18
	v_exp_f32_e32 v16, v16
	v_ldexp_f32 v16, v16, v17
	v_cndmask_b32_e64 v16, 0, v16, s4
	v_cmp_nlt_f32_e64 s4, 0x42b17218, v1
	v_cndmask_b32_e64 v1, 0x7f800000, v16, s4
	v_add_f32_e32 v18, 1.0, v1
	v_cvt_f64_f32_e32 v[16:17], v18
	v_frexp_exp_i32_f64_e32 v16, v[16:17]
	v_frexp_mant_f32_e32 v17, v18
	v_cmp_gt_f32_e64 s4, 0x3f2aaaab, v17
	v_add_f32_e32 v17, -1.0, v18
	v_sub_f32_e32 v20, v17, v18
	v_sub_f32_e32 v17, v1, v17
	v_add_f32_e32 v20, 1.0, v20
	v_add_f32_e32 v17, v17, v20
	v_subrev_co_ci_u32_e64 v16, null, 0, v16, s4
	s_mov_b32 s4, 0x3e9b6dac
	v_sub_nc_u32_e32 v19, 0, v16
	v_cvt_f32_i32_e32 v16, v16
	v_ldexp_f32 v18, v18, v19
	v_ldexp_f32 v17, v17, v19
	v_add_f32_e32 v21, 1.0, v18
	v_add_f32_e32 v19, -1.0, v18
	v_add_f32_e32 v20, -1.0, v21
	v_add_f32_e32 v22, 1.0, v19
	v_sub_f32_e32 v20, v18, v20
	v_sub_f32_e32 v18, v18, v22
	v_add_f32_e32 v20, v17, v20
	v_add_f32_e32 v17, v17, v18
	;; [unrolled: 1-line block ×4, first 2 shown]
	v_rcp_f32_e32 v18, v22
	v_sub_f32_e32 v21, v21, v22
	v_sub_f32_e32 v19, v19, v23
	v_add_f32_e32 v20, v20, v21
	v_add_f32_e32 v17, v17, v19
	v_mul_f32_e32 v24, v23, v18
	v_mul_f32_e32 v25, v22, v24
	v_fma_f32 v21, v24, v22, -v25
	v_fmac_f32_e32 v21, v24, v20
	v_add_f32_e32 v26, v25, v21
	v_sub_f32_e32 v27, v23, v26
	v_sub_f32_e32 v19, v26, v25
	;; [unrolled: 1-line block ×5, first 2 shown]
	v_add_f32_e32 v17, v17, v23
	v_add_f32_e32 v17, v19, v17
	;; [unrolled: 1-line block ×3, first 2 shown]
	v_mul_f32_e32 v21, v18, v19
	v_sub_f32_e32 v26, v27, v19
	v_mul_f32_e32 v23, v22, v21
	v_add_f32_e32 v17, v17, v26
	v_fma_f32 v22, v21, v22, -v23
	v_fmac_f32_e32 v22, v21, v20
	v_add_f32_e32 v20, v23, v22
	v_sub_f32_e32 v25, v19, v20
	v_sub_f32_e32 v23, v20, v23
	;; [unrolled: 1-line block ×5, first 2 shown]
	v_add_f32_e32 v17, v17, v19
	v_add_f32_e32 v19, v24, v21
	;; [unrolled: 1-line block ×3, first 2 shown]
	v_sub_f32_e32 v20, v19, v24
	v_add_f32_e32 v17, v25, v17
	v_sub_f32_e32 v20, v21, v20
	v_mul_f32_e32 v17, v18, v17
	v_add_f32_e32 v17, v20, v17
	v_add_f32_e32 v18, v19, v17
	v_mul_f32_e32 v20, v18, v18
	v_fmaak_f32 v21, s4, v20, 0x3ecc95a3
	v_mul_f32_e32 v22, v18, v20
	v_cmp_neq_f32_e64 s4, 0x7f800000, v1
	v_fmaak_f32 v20, v20, v21, 0x3f2aaada
	v_ldexp_f32 v21, v18, 1
	v_sub_f32_e32 v18, v18, v19
	v_mul_f32_e32 v20, v22, v20
	v_mul_f32_e32 v22, 0x3f317218, v16
	v_sub_f32_e32 v17, v17, v18
	v_add_f32_e32 v19, v21, v20
	v_ldexp_f32 v17, v17, 1
	v_sub_f32_e32 v18, v19, v21
	v_fma_f32 v21, 0x3f317218, v16, -v22
	v_sub_f32_e32 v18, v20, v18
	v_fmamk_f32 v16, v16, 0xb102e308, v21
	v_add_f32_e32 v17, v17, v18
	v_add_f32_e32 v18, v22, v16
	;; [unrolled: 1-line block ×3, first 2 shown]
	v_sub_f32_e32 v22, v18, v22
	v_add_f32_e32 v21, v18, v20
	v_sub_f32_e32 v19, v20, v19
	v_sub_f32_e32 v16, v16, v22
	;; [unrolled: 1-line block ×6, first 2 shown]
	v_add_f32_e32 v20, v16, v17
	v_sub_f32_e32 v18, v18, v24
	v_add_f32_e32 v18, v19, v18
	v_sub_f32_e32 v19, v20, v16
	;; [unrolled: 2-line block ×3, first 2 shown]
	v_sub_f32_e32 v17, v17, v19
	v_add_f32_e32 v22, v21, v18
	v_sub_f32_e32 v16, v16, v20
	v_sub_f32_e32 v19, v22, v21
	v_add_f32_e32 v16, v17, v16
	v_sub_f32_e32 v17, v18, v19
	v_add_f32_e32 v16, v16, v17
	v_add_f32_e32 v16, v22, v16
	v_cndmask_b32_e64 v16, 0x7f800000, v16, s4
	v_cmp_gt_f32_e64 s4, 0x33800000, |v1|
	v_cndmask_b32_e64 v1, v16, v1, s4
	v_add_f32_e32 v1, v8, v1
	v_cvt_f16_f32_e32 v1, v1
	v_cvt_f32_f16_e32 v19, v1
.LBB414_77:
	s_or_b32 exec_lo, exec_lo, s24
	v_max_f32_e32 v8, v9, v9
	v_max_f32_e32 v17, v19, v19
	v_mov_b32_e32 v18, v1
	;;#ASMSTART
	;;#ASMEND
	v_min_f32_e32 v16, v17, v8
	v_max_f32_e32 v17, v17, v8
	v_mov_b32_e32 v8, v19
.LBB414_78:
	s_or_b32 exec_lo, exec_lo, s5
	v_cmp_u_f16_e64 s4, v18, v18
	v_cndmask_b32_e64 v16, v16, v8, s4
	v_cndmask_b32_e64 v19, v17, v8, s4
	v_cndmask_b32_e64 v17, v16, v9, s13
	v_cndmask_b32_e64 v16, v19, v9, s13
	v_mov_b32_e32 v9, v1
	v_cmp_class_f32_e64 s5, v17, 0x1f8
	v_cmp_neq_f32_e64 s4, v17, v16
	s_or_b32 s4, s4, s5
	s_and_saveexec_b32 s5, s4
	s_cbranch_execz .LBB414_80
; %bb.79:
	v_sub_f32_e32 v8, v17, v16
	v_mul_f32_e32 v9, 0x3fb8aa3b, v8
	v_cmp_ngt_f32_e64 s4, 0xc2ce8ed0, v8
	v_fma_f32 v17, 0x3fb8aa3b, v8, -v9
	v_rndne_f32_e32 v18, v9
	v_fmamk_f32 v17, v8, 0x32a5705f, v17
	v_sub_f32_e32 v9, v9, v18
	v_add_f32_e32 v9, v9, v17
	v_cvt_i32_f32_e32 v17, v18
	v_exp_f32_e32 v9, v9
	v_ldexp_f32 v9, v9, v17
	v_cndmask_b32_e64 v9, 0, v9, s4
	v_cmp_nlt_f32_e64 s4, 0x42b17218, v8
	v_cndmask_b32_e64 v17, 0x7f800000, v9, s4
	v_add_f32_e32 v18, 1.0, v17
	v_cvt_f64_f32_e32 v[8:9], v18
	v_frexp_exp_i32_f64_e32 v8, v[8:9]
	v_frexp_mant_f32_e32 v9, v18
	v_cmp_gt_f32_e64 s4, 0x3f2aaaab, v9
	v_add_f32_e32 v9, -1.0, v18
	v_sub_f32_e32 v20, v9, v18
	v_sub_f32_e32 v9, v17, v9
	v_add_f32_e32 v20, 1.0, v20
	v_add_f32_e32 v9, v9, v20
	v_subrev_co_ci_u32_e64 v8, null, 0, v8, s4
	s_mov_b32 s4, 0x3e9b6dac
	v_sub_nc_u32_e32 v19, 0, v8
	v_cvt_f32_i32_e32 v8, v8
	v_ldexp_f32 v18, v18, v19
	v_ldexp_f32 v9, v9, v19
	v_add_f32_e32 v21, 1.0, v18
	v_add_f32_e32 v19, -1.0, v18
	v_add_f32_e32 v20, -1.0, v21
	v_add_f32_e32 v22, 1.0, v19
	v_sub_f32_e32 v20, v18, v20
	v_sub_f32_e32 v18, v18, v22
	v_add_f32_e32 v20, v9, v20
	v_add_f32_e32 v9, v9, v18
	;; [unrolled: 1-line block ×4, first 2 shown]
	v_rcp_f32_e32 v18, v22
	v_sub_f32_e32 v21, v21, v22
	v_sub_f32_e32 v19, v19, v23
	v_add_f32_e32 v20, v20, v21
	v_add_f32_e32 v9, v9, v19
	v_mul_f32_e32 v24, v23, v18
	v_mul_f32_e32 v25, v22, v24
	v_fma_f32 v21, v24, v22, -v25
	v_fmac_f32_e32 v21, v24, v20
	v_add_f32_e32 v26, v25, v21
	v_sub_f32_e32 v27, v23, v26
	v_sub_f32_e32 v19, v26, v25
	;; [unrolled: 1-line block ×5, first 2 shown]
	v_add_f32_e32 v9, v9, v23
	v_add_f32_e32 v9, v19, v9
	;; [unrolled: 1-line block ×3, first 2 shown]
	v_mul_f32_e32 v21, v18, v19
	v_sub_f32_e32 v26, v27, v19
	v_mul_f32_e32 v23, v22, v21
	v_add_f32_e32 v9, v9, v26
	v_fma_f32 v22, v21, v22, -v23
	v_fmac_f32_e32 v22, v21, v20
	v_add_f32_e32 v20, v23, v22
	v_sub_f32_e32 v25, v19, v20
	v_sub_f32_e32 v23, v20, v23
	;; [unrolled: 1-line block ×5, first 2 shown]
	v_add_f32_e32 v9, v9, v19
	v_add_f32_e32 v19, v24, v21
	;; [unrolled: 1-line block ×3, first 2 shown]
	v_sub_f32_e32 v20, v19, v24
	v_add_f32_e32 v9, v25, v9
	v_sub_f32_e32 v20, v21, v20
	v_mul_f32_e32 v9, v18, v9
	v_add_f32_e32 v9, v20, v9
	v_add_f32_e32 v18, v19, v9
	v_mul_f32_e32 v20, v18, v18
	v_fmaak_f32 v21, s4, v20, 0x3ecc95a3
	v_mul_f32_e32 v22, v18, v20
	v_cmp_neq_f32_e64 s4, 0x7f800000, v17
	v_fmaak_f32 v20, v20, v21, 0x3f2aaada
	v_ldexp_f32 v21, v18, 1
	v_sub_f32_e32 v18, v18, v19
	v_mul_f32_e32 v20, v22, v20
	v_mul_f32_e32 v22, 0x3f317218, v8
	v_sub_f32_e32 v9, v9, v18
	v_add_f32_e32 v19, v21, v20
	v_ldexp_f32 v9, v9, 1
	v_sub_f32_e32 v18, v19, v21
	v_fma_f32 v21, 0x3f317218, v8, -v22
	v_sub_f32_e32 v18, v20, v18
	v_fmamk_f32 v8, v8, 0xb102e308, v21
	v_add_f32_e32 v9, v9, v18
	v_add_f32_e32 v18, v22, v8
	;; [unrolled: 1-line block ×3, first 2 shown]
	v_sub_f32_e32 v22, v18, v22
	v_add_f32_e32 v21, v18, v20
	v_sub_f32_e32 v19, v20, v19
	v_sub_f32_e32 v8, v8, v22
	;; [unrolled: 1-line block ×6, first 2 shown]
	v_add_f32_e32 v20, v8, v9
	v_sub_f32_e32 v18, v18, v24
	v_add_f32_e32 v18, v19, v18
	v_sub_f32_e32 v19, v20, v8
	v_add_f32_e32 v18, v20, v18
	v_sub_f32_e32 v20, v20, v19
	v_sub_f32_e32 v9, v9, v19
	v_add_f32_e32 v22, v21, v18
	v_sub_f32_e32 v8, v8, v20
	v_sub_f32_e32 v19, v22, v21
	v_add_f32_e32 v8, v9, v8
	v_sub_f32_e32 v9, v18, v19
	v_add_f32_e32 v8, v8, v9
	v_add_f32_e32 v8, v22, v8
	v_cndmask_b32_e64 v8, 0x7f800000, v8, s4
	v_cmp_gt_f32_e64 s4, 0x33800000, |v17|
	v_cndmask_b32_e64 v8, v8, v17, s4
	v_add_f32_e32 v8, v16, v8
	v_cvt_f16_f32_e32 v18, v8
	v_cvt_f32_f16_e32 v8, v18
	v_mov_b32_e32 v9, v18
.LBB414_80:
	s_or_b32 exec_lo, exec_lo, s5
	v_max_f32_e32 v16, v10, v10
	v_max_f32_e32 v17, v8, v8
	v_cmp_u_f16_e64 s4, v18, v18
	v_min_f32_e32 v19, v17, v16
	v_max_f32_e32 v16, v17, v16
	v_cndmask_b32_e64 v17, v19, v8, s4
	v_cndmask_b32_e64 v16, v16, v8, s4
	v_cndmask_b32_e64 v17, v17, v10, s14
	v_cndmask_b32_e64 v16, v16, v10, s14
	v_mov_b32_e32 v10, v9
	v_cmp_class_f32_e64 s5, v17, 0x1f8
	v_cmp_neq_f32_e64 s4, v17, v16
	s_or_b32 s4, s4, s5
	s_and_saveexec_b32 s5, s4
	s_cbranch_execz .LBB414_82
; %bb.81:
	v_sub_f32_e32 v8, v17, v16
	v_mul_f32_e32 v10, 0x3fb8aa3b, v8
	v_cmp_ngt_f32_e64 s4, 0xc2ce8ed0, v8
	v_fma_f32 v17, 0x3fb8aa3b, v8, -v10
	v_rndne_f32_e32 v18, v10
	v_fmamk_f32 v17, v8, 0x32a5705f, v17
	v_sub_f32_e32 v10, v10, v18
	v_add_f32_e32 v10, v10, v17
	v_cvt_i32_f32_e32 v17, v18
	v_exp_f32_e32 v10, v10
	v_ldexp_f32 v10, v10, v17
	v_cndmask_b32_e64 v10, 0, v10, s4
	v_cmp_nlt_f32_e64 s4, 0x42b17218, v8
	v_cndmask_b32_e64 v8, 0x7f800000, v10, s4
	v_add_f32_e32 v10, 1.0, v8
	v_cvt_f64_f32_e32 v[17:18], v10
	v_frexp_exp_i32_f64_e32 v17, v[17:18]
	v_frexp_mant_f32_e32 v18, v10
	v_cmp_gt_f32_e64 s4, 0x3f2aaaab, v18
	v_add_f32_e32 v18, -1.0, v10
	v_sub_f32_e32 v20, v18, v10
	v_sub_f32_e32 v18, v8, v18
	v_add_f32_e32 v20, 1.0, v20
	v_add_f32_e32 v18, v18, v20
	v_subrev_co_ci_u32_e64 v17, null, 0, v17, s4
	s_mov_b32 s4, 0x3e9b6dac
	v_sub_nc_u32_e32 v19, 0, v17
	v_cvt_f32_i32_e32 v17, v17
	v_ldexp_f32 v10, v10, v19
	v_ldexp_f32 v18, v18, v19
	v_add_f32_e32 v21, 1.0, v10
	v_add_f32_e32 v19, -1.0, v10
	v_add_f32_e32 v20, -1.0, v21
	v_add_f32_e32 v22, 1.0, v19
	v_sub_f32_e32 v20, v10, v20
	v_sub_f32_e32 v10, v10, v22
	v_add_f32_e32 v20, v18, v20
	v_add_f32_e32 v10, v18, v10
	;; [unrolled: 1-line block ×4, first 2 shown]
	v_rcp_f32_e32 v18, v22
	v_sub_f32_e32 v21, v21, v22
	v_sub_f32_e32 v19, v19, v23
	v_add_f32_e32 v20, v20, v21
	v_add_f32_e32 v10, v10, v19
	v_mul_f32_e32 v24, v23, v18
	v_mul_f32_e32 v25, v22, v24
	v_fma_f32 v21, v24, v22, -v25
	v_fmac_f32_e32 v21, v24, v20
	v_add_f32_e32 v26, v25, v21
	v_sub_f32_e32 v27, v23, v26
	v_sub_f32_e32 v19, v26, v25
	;; [unrolled: 1-line block ×5, first 2 shown]
	v_add_f32_e32 v10, v10, v23
	v_add_f32_e32 v10, v19, v10
	;; [unrolled: 1-line block ×3, first 2 shown]
	v_mul_f32_e32 v21, v18, v19
	v_sub_f32_e32 v26, v27, v19
	v_mul_f32_e32 v23, v22, v21
	v_add_f32_e32 v10, v10, v26
	v_fma_f32 v22, v21, v22, -v23
	v_fmac_f32_e32 v22, v21, v20
	v_add_f32_e32 v20, v23, v22
	v_sub_f32_e32 v25, v19, v20
	v_sub_f32_e32 v23, v20, v23
	;; [unrolled: 1-line block ×5, first 2 shown]
	v_add_f32_e32 v10, v10, v19
	v_add_f32_e32 v19, v24, v21
	;; [unrolled: 1-line block ×3, first 2 shown]
	v_sub_f32_e32 v20, v19, v24
	v_add_f32_e32 v10, v25, v10
	v_sub_f32_e32 v20, v21, v20
	v_mul_f32_e32 v10, v18, v10
	v_add_f32_e32 v10, v20, v10
	v_add_f32_e32 v18, v19, v10
	v_mul_f32_e32 v20, v18, v18
	v_fmaak_f32 v21, s4, v20, 0x3ecc95a3
	v_mul_f32_e32 v22, v18, v20
	v_cmp_neq_f32_e64 s4, 0x7f800000, v8
	v_fmaak_f32 v20, v20, v21, 0x3f2aaada
	v_ldexp_f32 v21, v18, 1
	v_sub_f32_e32 v18, v18, v19
	v_mul_f32_e32 v20, v22, v20
	v_mul_f32_e32 v22, 0x3f317218, v17
	v_sub_f32_e32 v10, v10, v18
	v_add_f32_e32 v19, v21, v20
	v_ldexp_f32 v10, v10, 1
	v_sub_f32_e32 v18, v19, v21
	v_fma_f32 v21, 0x3f317218, v17, -v22
	v_sub_f32_e32 v18, v20, v18
	v_fmamk_f32 v17, v17, 0xb102e308, v21
	v_add_f32_e32 v10, v10, v18
	v_add_f32_e32 v18, v22, v17
	;; [unrolled: 1-line block ×3, first 2 shown]
	v_sub_f32_e32 v22, v18, v22
	v_add_f32_e32 v21, v18, v20
	v_sub_f32_e32 v19, v20, v19
	v_sub_f32_e32 v17, v17, v22
	;; [unrolled: 1-line block ×6, first 2 shown]
	v_add_f32_e32 v20, v17, v10
	v_sub_f32_e32 v18, v18, v24
	v_add_f32_e32 v18, v19, v18
	v_sub_f32_e32 v19, v20, v17
	;; [unrolled: 2-line block ×3, first 2 shown]
	v_sub_f32_e32 v10, v10, v19
	v_add_f32_e32 v22, v21, v18
	v_sub_f32_e32 v17, v17, v20
	v_sub_f32_e32 v19, v22, v21
	v_add_f32_e32 v10, v10, v17
	v_sub_f32_e32 v17, v18, v19
	v_add_f32_e32 v10, v10, v17
	v_add_f32_e32 v10, v22, v10
	v_cndmask_b32_e64 v10, 0x7f800000, v10, s4
	v_cmp_gt_f32_e64 s4, 0x33800000, |v8|
	v_cndmask_b32_e64 v8, v10, v8, s4
	v_add_f32_e32 v8, v16, v8
	v_cvt_f16_f32_e32 v18, v8
	v_cvt_f32_f16_e32 v8, v18
	v_mov_b32_e32 v10, v18
.LBB414_82:
	s_or_b32 exec_lo, exec_lo, s5
	v_max_f32_e32 v16, v11, v11
	v_max_f32_e32 v17, v8, v8
	v_cmp_u_f16_e64 s4, v18, v18
	v_min_f32_e32 v19, v17, v16
	v_max_f32_e32 v16, v17, v16
	v_cndmask_b32_e64 v17, v19, v8, s4
	v_cndmask_b32_e64 v16, v16, v8, s4
	;; [unrolled: 1-line block ×4, first 2 shown]
	v_mov_b32_e32 v11, v10
	v_cmp_class_f32_e64 s5, v17, 0x1f8
	v_cmp_neq_f32_e64 s4, v17, v16
	s_or_b32 s4, s4, s5
	s_and_saveexec_b32 s5, s4
	s_cbranch_execz .LBB414_84
; %bb.83:
	v_sub_f32_e32 v8, v17, v16
	v_mul_f32_e32 v11, 0x3fb8aa3b, v8
	v_cmp_ngt_f32_e64 s4, 0xc2ce8ed0, v8
	v_fma_f32 v17, 0x3fb8aa3b, v8, -v11
	v_rndne_f32_e32 v18, v11
	v_fmamk_f32 v17, v8, 0x32a5705f, v17
	v_sub_f32_e32 v11, v11, v18
	v_add_f32_e32 v11, v11, v17
	v_cvt_i32_f32_e32 v17, v18
	v_exp_f32_e32 v11, v11
	v_ldexp_f32 v11, v11, v17
	v_cndmask_b32_e64 v11, 0, v11, s4
	v_cmp_nlt_f32_e64 s4, 0x42b17218, v8
	v_cndmask_b32_e64 v8, 0x7f800000, v11, s4
	v_add_f32_e32 v11, 1.0, v8
	v_cvt_f64_f32_e32 v[17:18], v11
	v_frexp_exp_i32_f64_e32 v17, v[17:18]
	v_frexp_mant_f32_e32 v18, v11
	v_cmp_gt_f32_e64 s4, 0x3f2aaaab, v18
	v_add_f32_e32 v18, -1.0, v11
	v_sub_f32_e32 v20, v18, v11
	v_sub_f32_e32 v18, v8, v18
	v_add_f32_e32 v20, 1.0, v20
	v_add_f32_e32 v18, v18, v20
	v_subrev_co_ci_u32_e64 v17, null, 0, v17, s4
	s_mov_b32 s4, 0x3e9b6dac
	v_sub_nc_u32_e32 v19, 0, v17
	v_cvt_f32_i32_e32 v17, v17
	v_ldexp_f32 v11, v11, v19
	v_ldexp_f32 v18, v18, v19
	v_add_f32_e32 v21, 1.0, v11
	v_add_f32_e32 v19, -1.0, v11
	v_add_f32_e32 v20, -1.0, v21
	v_add_f32_e32 v22, 1.0, v19
	v_sub_f32_e32 v20, v11, v20
	v_sub_f32_e32 v11, v11, v22
	v_add_f32_e32 v20, v18, v20
	v_add_f32_e32 v11, v18, v11
	;; [unrolled: 1-line block ×4, first 2 shown]
	v_rcp_f32_e32 v18, v22
	v_sub_f32_e32 v21, v21, v22
	v_sub_f32_e32 v19, v19, v23
	v_add_f32_e32 v20, v20, v21
	v_add_f32_e32 v11, v11, v19
	v_mul_f32_e32 v24, v23, v18
	v_mul_f32_e32 v25, v22, v24
	v_fma_f32 v21, v24, v22, -v25
	v_fmac_f32_e32 v21, v24, v20
	v_add_f32_e32 v26, v25, v21
	v_sub_f32_e32 v27, v23, v26
	v_sub_f32_e32 v19, v26, v25
	;; [unrolled: 1-line block ×5, first 2 shown]
	v_add_f32_e32 v11, v11, v23
	v_add_f32_e32 v11, v19, v11
	;; [unrolled: 1-line block ×3, first 2 shown]
	v_mul_f32_e32 v21, v18, v19
	v_sub_f32_e32 v26, v27, v19
	v_mul_f32_e32 v23, v22, v21
	v_add_f32_e32 v11, v11, v26
	v_fma_f32 v22, v21, v22, -v23
	v_fmac_f32_e32 v22, v21, v20
	v_add_f32_e32 v20, v23, v22
	v_sub_f32_e32 v25, v19, v20
	v_sub_f32_e32 v23, v20, v23
	;; [unrolled: 1-line block ×5, first 2 shown]
	v_add_f32_e32 v11, v11, v19
	v_add_f32_e32 v19, v24, v21
	v_add_f32_e32 v11, v20, v11
	v_sub_f32_e32 v20, v19, v24
	v_add_f32_e32 v11, v25, v11
	v_sub_f32_e32 v20, v21, v20
	v_mul_f32_e32 v11, v18, v11
	v_add_f32_e32 v11, v20, v11
	v_add_f32_e32 v18, v19, v11
	v_mul_f32_e32 v20, v18, v18
	v_fmaak_f32 v21, s4, v20, 0x3ecc95a3
	v_mul_f32_e32 v22, v18, v20
	v_cmp_neq_f32_e64 s4, 0x7f800000, v8
	v_fmaak_f32 v20, v20, v21, 0x3f2aaada
	v_ldexp_f32 v21, v18, 1
	v_sub_f32_e32 v18, v18, v19
	v_mul_f32_e32 v20, v22, v20
	v_mul_f32_e32 v22, 0x3f317218, v17
	v_sub_f32_e32 v11, v11, v18
	v_add_f32_e32 v19, v21, v20
	v_ldexp_f32 v11, v11, 1
	v_sub_f32_e32 v18, v19, v21
	v_fma_f32 v21, 0x3f317218, v17, -v22
	v_sub_f32_e32 v18, v20, v18
	v_fmamk_f32 v17, v17, 0xb102e308, v21
	v_add_f32_e32 v11, v11, v18
	v_add_f32_e32 v18, v22, v17
	;; [unrolled: 1-line block ×3, first 2 shown]
	v_sub_f32_e32 v22, v18, v22
	v_add_f32_e32 v21, v18, v20
	v_sub_f32_e32 v19, v20, v19
	v_sub_f32_e32 v17, v17, v22
	;; [unrolled: 1-line block ×6, first 2 shown]
	v_add_f32_e32 v20, v17, v11
	v_sub_f32_e32 v18, v18, v24
	v_add_f32_e32 v18, v19, v18
	v_sub_f32_e32 v19, v20, v17
	;; [unrolled: 2-line block ×3, first 2 shown]
	v_sub_f32_e32 v11, v11, v19
	v_add_f32_e32 v22, v21, v18
	v_sub_f32_e32 v17, v17, v20
	v_sub_f32_e32 v19, v22, v21
	v_add_f32_e32 v11, v11, v17
	v_sub_f32_e32 v17, v18, v19
	v_add_f32_e32 v11, v11, v17
	v_add_f32_e32 v11, v22, v11
	v_cndmask_b32_e64 v11, 0x7f800000, v11, s4
	v_cmp_gt_f32_e64 s4, 0x33800000, |v8|
	v_cndmask_b32_e64 v8, v11, v8, s4
	v_add_f32_e32 v8, v16, v8
	v_cvt_f16_f32_e32 v18, v8
	v_cvt_f32_f16_e32 v8, v18
	v_mov_b32_e32 v11, v18
.LBB414_84:
	s_or_b32 exec_lo, exec_lo, s5
	v_max_f32_e32 v16, v2, v2
	v_max_f32_e32 v17, v8, v8
	v_cmp_u_f16_e64 s4, v18, v18
	v_min_f32_e32 v19, v17, v16
	v_max_f32_e32 v16, v17, v16
	v_cndmask_b32_e64 v17, v19, v8, s4
	v_cndmask_b32_e64 v16, v16, v8, s4
	;; [unrolled: 1-line block ×4, first 2 shown]
	v_mov_b32_e32 v2, v11
	v_cmp_class_f32_e64 s5, v17, 0x1f8
	v_cmp_neq_f32_e64 s4, v17, v16
	s_or_b32 s4, s4, s5
	s_and_saveexec_b32 s5, s4
	s_cbranch_execz .LBB414_86
; %bb.85:
	v_sub_f32_e32 v2, v17, v16
	v_mul_f32_e32 v8, 0x3fb8aa3b, v2
	v_cmp_ngt_f32_e64 s4, 0xc2ce8ed0, v2
	v_fma_f32 v17, 0x3fb8aa3b, v2, -v8
	v_rndne_f32_e32 v18, v8
	v_fmamk_f32 v17, v2, 0x32a5705f, v17
	v_sub_f32_e32 v8, v8, v18
	v_add_f32_e32 v8, v8, v17
	v_cvt_i32_f32_e32 v17, v18
	v_exp_f32_e32 v8, v8
	v_ldexp_f32 v8, v8, v17
	v_cndmask_b32_e64 v8, 0, v8, s4
	v_cmp_nlt_f32_e64 s4, 0x42b17218, v2
	v_cndmask_b32_e64 v2, 0x7f800000, v8, s4
	v_add_f32_e32 v8, 1.0, v2
	v_cvt_f64_f32_e32 v[17:18], v8
	v_frexp_exp_i32_f64_e32 v17, v[17:18]
	v_frexp_mant_f32_e32 v18, v8
	v_cmp_gt_f32_e64 s4, 0x3f2aaaab, v18
	v_add_f32_e32 v18, -1.0, v8
	v_sub_f32_e32 v20, v18, v8
	v_sub_f32_e32 v18, v2, v18
	v_add_f32_e32 v20, 1.0, v20
	v_add_f32_e32 v18, v18, v20
	v_subrev_co_ci_u32_e64 v17, null, 0, v17, s4
	s_mov_b32 s4, 0x3e9b6dac
	v_sub_nc_u32_e32 v19, 0, v17
	v_cvt_f32_i32_e32 v17, v17
	v_ldexp_f32 v8, v8, v19
	v_ldexp_f32 v18, v18, v19
	v_add_f32_e32 v21, 1.0, v8
	v_add_f32_e32 v19, -1.0, v8
	v_add_f32_e32 v20, -1.0, v21
	v_add_f32_e32 v22, 1.0, v19
	v_sub_f32_e32 v20, v8, v20
	v_sub_f32_e32 v8, v8, v22
	v_add_f32_e32 v20, v18, v20
	v_add_f32_e32 v8, v18, v8
	;; [unrolled: 1-line block ×4, first 2 shown]
	v_rcp_f32_e32 v18, v22
	v_sub_f32_e32 v21, v21, v22
	v_sub_f32_e32 v19, v19, v23
	v_add_f32_e32 v20, v20, v21
	v_add_f32_e32 v8, v8, v19
	v_mul_f32_e32 v24, v23, v18
	v_mul_f32_e32 v25, v22, v24
	v_fma_f32 v21, v24, v22, -v25
	v_fmac_f32_e32 v21, v24, v20
	v_add_f32_e32 v26, v25, v21
	v_sub_f32_e32 v27, v23, v26
	v_sub_f32_e32 v19, v26, v25
	;; [unrolled: 1-line block ×5, first 2 shown]
	v_add_f32_e32 v8, v8, v23
	v_add_f32_e32 v8, v19, v8
	;; [unrolled: 1-line block ×3, first 2 shown]
	v_mul_f32_e32 v21, v18, v19
	v_sub_f32_e32 v26, v27, v19
	v_mul_f32_e32 v23, v22, v21
	v_add_f32_e32 v8, v8, v26
	v_fma_f32 v22, v21, v22, -v23
	v_fmac_f32_e32 v22, v21, v20
	v_add_f32_e32 v20, v23, v22
	v_sub_f32_e32 v25, v19, v20
	v_sub_f32_e32 v23, v20, v23
	;; [unrolled: 1-line block ×5, first 2 shown]
	v_add_f32_e32 v8, v8, v19
	v_add_f32_e32 v19, v24, v21
	;; [unrolled: 1-line block ×3, first 2 shown]
	v_sub_f32_e32 v20, v19, v24
	v_add_f32_e32 v8, v25, v8
	v_sub_f32_e32 v20, v21, v20
	v_mul_f32_e32 v8, v18, v8
	v_add_f32_e32 v8, v20, v8
	v_add_f32_e32 v18, v19, v8
	v_mul_f32_e32 v20, v18, v18
	v_fmaak_f32 v21, s4, v20, 0x3ecc95a3
	v_mul_f32_e32 v22, v18, v20
	v_cmp_neq_f32_e64 s4, 0x7f800000, v2
	v_fmaak_f32 v20, v20, v21, 0x3f2aaada
	v_ldexp_f32 v21, v18, 1
	v_sub_f32_e32 v18, v18, v19
	v_mul_f32_e32 v20, v22, v20
	v_mul_f32_e32 v22, 0x3f317218, v17
	v_sub_f32_e32 v8, v8, v18
	v_add_f32_e32 v19, v21, v20
	v_ldexp_f32 v8, v8, 1
	v_sub_f32_e32 v18, v19, v21
	v_fma_f32 v21, 0x3f317218, v17, -v22
	v_sub_f32_e32 v18, v20, v18
	v_fmamk_f32 v17, v17, 0xb102e308, v21
	v_add_f32_e32 v8, v8, v18
	v_add_f32_e32 v18, v22, v17
	;; [unrolled: 1-line block ×3, first 2 shown]
	v_sub_f32_e32 v22, v18, v22
	v_add_f32_e32 v21, v18, v20
	v_sub_f32_e32 v19, v20, v19
	v_sub_f32_e32 v17, v17, v22
	;; [unrolled: 1-line block ×6, first 2 shown]
	v_add_f32_e32 v20, v17, v8
	v_sub_f32_e32 v18, v18, v24
	v_add_f32_e32 v18, v19, v18
	v_sub_f32_e32 v19, v20, v17
	;; [unrolled: 2-line block ×3, first 2 shown]
	v_sub_f32_e32 v8, v8, v19
	v_add_f32_e32 v22, v21, v18
	v_sub_f32_e32 v17, v17, v20
	v_sub_f32_e32 v19, v22, v21
	v_add_f32_e32 v8, v8, v17
	v_sub_f32_e32 v17, v18, v19
	v_add_f32_e32 v8, v8, v17
	v_add_f32_e32 v8, v22, v8
	v_cndmask_b32_e64 v8, 0x7f800000, v8, s4
	v_cmp_gt_f32_e64 s4, 0x33800000, |v2|
	v_cndmask_b32_e64 v2, v8, v2, s4
	v_add_f32_e32 v2, v16, v2
	v_cvt_f16_f32_e32 v18, v2
	v_cvt_f32_f16_e32 v8, v18
	v_mov_b32_e32 v2, v18
.LBB414_86:
	s_or_b32 exec_lo, exec_lo, s5
	v_max_f32_e32 v16, v12, v12
	v_max_f32_e32 v17, v8, v8
	v_cmp_u_f16_e64 s4, v18, v18
	v_min_f32_e32 v19, v17, v16
	v_max_f32_e32 v16, v17, v16
	v_cndmask_b32_e64 v17, v19, v8, s4
	v_cndmask_b32_e64 v16, v16, v8, s4
	v_cndmask_b32_e64 v17, v17, v12, s17
	v_cndmask_b32_e64 v16, v16, v12, s17
	v_mov_b32_e32 v12, v2
	v_cmp_class_f32_e64 s5, v17, 0x1f8
	v_cmp_neq_f32_e64 s4, v17, v16
	s_or_b32 s4, s4, s5
	s_and_saveexec_b32 s5, s4
	s_cbranch_execz .LBB414_88
; %bb.87:
	v_sub_f32_e32 v8, v17, v16
	v_mul_f32_e32 v12, 0x3fb8aa3b, v8
	v_cmp_ngt_f32_e64 s4, 0xc2ce8ed0, v8
	v_fma_f32 v17, 0x3fb8aa3b, v8, -v12
	v_rndne_f32_e32 v18, v12
	v_fmamk_f32 v17, v8, 0x32a5705f, v17
	v_sub_f32_e32 v12, v12, v18
	v_add_f32_e32 v12, v12, v17
	v_cvt_i32_f32_e32 v17, v18
	v_exp_f32_e32 v12, v12
	v_ldexp_f32 v12, v12, v17
	v_cndmask_b32_e64 v12, 0, v12, s4
	v_cmp_nlt_f32_e64 s4, 0x42b17218, v8
	v_cndmask_b32_e64 v8, 0x7f800000, v12, s4
	v_add_f32_e32 v12, 1.0, v8
	v_cvt_f64_f32_e32 v[17:18], v12
	v_frexp_exp_i32_f64_e32 v17, v[17:18]
	v_frexp_mant_f32_e32 v18, v12
	v_cmp_gt_f32_e64 s4, 0x3f2aaaab, v18
	v_add_f32_e32 v18, -1.0, v12
	v_sub_f32_e32 v20, v18, v12
	v_sub_f32_e32 v18, v8, v18
	v_add_f32_e32 v20, 1.0, v20
	v_add_f32_e32 v18, v18, v20
	v_subrev_co_ci_u32_e64 v17, null, 0, v17, s4
	s_mov_b32 s4, 0x3e9b6dac
	v_sub_nc_u32_e32 v19, 0, v17
	v_cvt_f32_i32_e32 v17, v17
	v_ldexp_f32 v12, v12, v19
	v_ldexp_f32 v18, v18, v19
	v_add_f32_e32 v21, 1.0, v12
	v_add_f32_e32 v19, -1.0, v12
	v_add_f32_e32 v20, -1.0, v21
	v_add_f32_e32 v22, 1.0, v19
	v_sub_f32_e32 v20, v12, v20
	v_sub_f32_e32 v12, v12, v22
	v_add_f32_e32 v20, v18, v20
	v_add_f32_e32 v12, v18, v12
	;; [unrolled: 1-line block ×4, first 2 shown]
	v_rcp_f32_e32 v18, v22
	v_sub_f32_e32 v21, v21, v22
	v_sub_f32_e32 v19, v19, v23
	v_add_f32_e32 v20, v20, v21
	v_add_f32_e32 v12, v12, v19
	v_mul_f32_e32 v24, v23, v18
	v_mul_f32_e32 v25, v22, v24
	v_fma_f32 v21, v24, v22, -v25
	v_fmac_f32_e32 v21, v24, v20
	v_add_f32_e32 v26, v25, v21
	v_sub_f32_e32 v27, v23, v26
	v_sub_f32_e32 v19, v26, v25
	;; [unrolled: 1-line block ×5, first 2 shown]
	v_add_f32_e32 v12, v12, v23
	v_add_f32_e32 v12, v19, v12
	;; [unrolled: 1-line block ×3, first 2 shown]
	v_mul_f32_e32 v21, v18, v19
	v_sub_f32_e32 v26, v27, v19
	v_mul_f32_e32 v23, v22, v21
	v_add_f32_e32 v12, v12, v26
	v_fma_f32 v22, v21, v22, -v23
	v_fmac_f32_e32 v22, v21, v20
	v_add_f32_e32 v20, v23, v22
	v_sub_f32_e32 v25, v19, v20
	v_sub_f32_e32 v23, v20, v23
	;; [unrolled: 1-line block ×5, first 2 shown]
	v_add_f32_e32 v12, v12, v19
	v_add_f32_e32 v19, v24, v21
	;; [unrolled: 1-line block ×3, first 2 shown]
	v_sub_f32_e32 v20, v19, v24
	v_add_f32_e32 v12, v25, v12
	v_sub_f32_e32 v20, v21, v20
	v_mul_f32_e32 v12, v18, v12
	v_add_f32_e32 v12, v20, v12
	v_add_f32_e32 v18, v19, v12
	v_mul_f32_e32 v20, v18, v18
	v_fmaak_f32 v21, s4, v20, 0x3ecc95a3
	v_mul_f32_e32 v22, v18, v20
	v_cmp_neq_f32_e64 s4, 0x7f800000, v8
	v_fmaak_f32 v20, v20, v21, 0x3f2aaada
	v_ldexp_f32 v21, v18, 1
	v_sub_f32_e32 v18, v18, v19
	v_mul_f32_e32 v20, v22, v20
	v_mul_f32_e32 v22, 0x3f317218, v17
	v_sub_f32_e32 v12, v12, v18
	v_add_f32_e32 v19, v21, v20
	v_ldexp_f32 v12, v12, 1
	v_sub_f32_e32 v18, v19, v21
	v_fma_f32 v21, 0x3f317218, v17, -v22
	v_sub_f32_e32 v18, v20, v18
	v_fmamk_f32 v17, v17, 0xb102e308, v21
	v_add_f32_e32 v12, v12, v18
	v_add_f32_e32 v18, v22, v17
	;; [unrolled: 1-line block ×3, first 2 shown]
	v_sub_f32_e32 v22, v18, v22
	v_add_f32_e32 v21, v18, v20
	v_sub_f32_e32 v19, v20, v19
	v_sub_f32_e32 v17, v17, v22
	;; [unrolled: 1-line block ×6, first 2 shown]
	v_add_f32_e32 v20, v17, v12
	v_sub_f32_e32 v18, v18, v24
	v_add_f32_e32 v18, v19, v18
	v_sub_f32_e32 v19, v20, v17
	;; [unrolled: 2-line block ×3, first 2 shown]
	v_sub_f32_e32 v12, v12, v19
	v_add_f32_e32 v22, v21, v18
	v_sub_f32_e32 v17, v17, v20
	v_sub_f32_e32 v19, v22, v21
	v_add_f32_e32 v12, v12, v17
	v_sub_f32_e32 v17, v18, v19
	v_add_f32_e32 v12, v12, v17
	v_add_f32_e32 v12, v22, v12
	v_cndmask_b32_e64 v12, 0x7f800000, v12, s4
	v_cmp_gt_f32_e64 s4, 0x33800000, |v8|
	v_cndmask_b32_e64 v8, v12, v8, s4
	v_add_f32_e32 v8, v16, v8
	v_cvt_f16_f32_e32 v18, v8
	v_cvt_f32_f16_e32 v8, v18
	v_mov_b32_e32 v12, v18
.LBB414_88:
	s_or_b32 exec_lo, exec_lo, s5
	v_max_f32_e32 v16, v3, v3
	v_max_f32_e32 v17, v8, v8
	v_cmp_u_f16_e64 s4, v18, v18
	v_min_f32_e32 v19, v17, v16
	v_max_f32_e32 v16, v17, v16
	v_cndmask_b32_e64 v17, v19, v8, s4
	v_cndmask_b32_e64 v16, v16, v8, s4
	;; [unrolled: 1-line block ×4, first 2 shown]
	v_mov_b32_e32 v3, v12
	v_cmp_class_f32_e64 s5, v17, 0x1f8
	v_cmp_neq_f32_e64 s4, v17, v16
	s_or_b32 s4, s4, s5
	s_and_saveexec_b32 s5, s4
	s_cbranch_execz .LBB414_90
; %bb.89:
	v_sub_f32_e32 v3, v17, v16
	v_mul_f32_e32 v8, 0x3fb8aa3b, v3
	v_cmp_ngt_f32_e64 s4, 0xc2ce8ed0, v3
	v_fma_f32 v17, 0x3fb8aa3b, v3, -v8
	v_rndne_f32_e32 v18, v8
	v_fmamk_f32 v17, v3, 0x32a5705f, v17
	v_sub_f32_e32 v8, v8, v18
	v_add_f32_e32 v8, v8, v17
	v_cvt_i32_f32_e32 v17, v18
	v_exp_f32_e32 v8, v8
	v_ldexp_f32 v8, v8, v17
	v_cndmask_b32_e64 v8, 0, v8, s4
	v_cmp_nlt_f32_e64 s4, 0x42b17218, v3
	v_cndmask_b32_e64 v3, 0x7f800000, v8, s4
	v_add_f32_e32 v8, 1.0, v3
	v_cvt_f64_f32_e32 v[17:18], v8
	v_frexp_exp_i32_f64_e32 v17, v[17:18]
	v_frexp_mant_f32_e32 v18, v8
	v_cmp_gt_f32_e64 s4, 0x3f2aaaab, v18
	v_add_f32_e32 v18, -1.0, v8
	v_sub_f32_e32 v20, v18, v8
	v_sub_f32_e32 v18, v3, v18
	v_add_f32_e32 v20, 1.0, v20
	v_add_f32_e32 v18, v18, v20
	v_subrev_co_ci_u32_e64 v17, null, 0, v17, s4
	s_mov_b32 s4, 0x3e9b6dac
	v_sub_nc_u32_e32 v19, 0, v17
	v_cvt_f32_i32_e32 v17, v17
	v_ldexp_f32 v8, v8, v19
	v_ldexp_f32 v18, v18, v19
	v_add_f32_e32 v21, 1.0, v8
	v_add_f32_e32 v19, -1.0, v8
	v_add_f32_e32 v20, -1.0, v21
	v_add_f32_e32 v22, 1.0, v19
	v_sub_f32_e32 v20, v8, v20
	v_sub_f32_e32 v8, v8, v22
	v_add_f32_e32 v20, v18, v20
	v_add_f32_e32 v8, v18, v8
	;; [unrolled: 1-line block ×4, first 2 shown]
	v_rcp_f32_e32 v18, v22
	v_sub_f32_e32 v21, v21, v22
	v_sub_f32_e32 v19, v19, v23
	v_add_f32_e32 v20, v20, v21
	v_add_f32_e32 v8, v8, v19
	v_mul_f32_e32 v24, v23, v18
	v_mul_f32_e32 v25, v22, v24
	v_fma_f32 v21, v24, v22, -v25
	v_fmac_f32_e32 v21, v24, v20
	v_add_f32_e32 v26, v25, v21
	v_sub_f32_e32 v27, v23, v26
	v_sub_f32_e32 v19, v26, v25
	;; [unrolled: 1-line block ×5, first 2 shown]
	v_add_f32_e32 v8, v8, v23
	v_add_f32_e32 v8, v19, v8
	;; [unrolled: 1-line block ×3, first 2 shown]
	v_mul_f32_e32 v21, v18, v19
	v_sub_f32_e32 v26, v27, v19
	v_mul_f32_e32 v23, v22, v21
	v_add_f32_e32 v8, v8, v26
	v_fma_f32 v22, v21, v22, -v23
	v_fmac_f32_e32 v22, v21, v20
	v_add_f32_e32 v20, v23, v22
	v_sub_f32_e32 v25, v19, v20
	v_sub_f32_e32 v23, v20, v23
	v_sub_f32_e32 v19, v19, v25
	v_sub_f32_e32 v19, v19, v20
	v_sub_f32_e32 v20, v23, v22
	v_add_f32_e32 v8, v8, v19
	v_add_f32_e32 v19, v24, v21
	;; [unrolled: 1-line block ×3, first 2 shown]
	v_sub_f32_e32 v20, v19, v24
	v_add_f32_e32 v8, v25, v8
	v_sub_f32_e32 v20, v21, v20
	v_mul_f32_e32 v8, v18, v8
	v_add_f32_e32 v8, v20, v8
	v_add_f32_e32 v18, v19, v8
	v_mul_f32_e32 v20, v18, v18
	v_fmaak_f32 v21, s4, v20, 0x3ecc95a3
	v_mul_f32_e32 v22, v18, v20
	v_cmp_neq_f32_e64 s4, 0x7f800000, v3
	v_fmaak_f32 v20, v20, v21, 0x3f2aaada
	v_ldexp_f32 v21, v18, 1
	v_sub_f32_e32 v18, v18, v19
	v_mul_f32_e32 v20, v22, v20
	v_mul_f32_e32 v22, 0x3f317218, v17
	v_sub_f32_e32 v8, v8, v18
	v_add_f32_e32 v19, v21, v20
	v_ldexp_f32 v8, v8, 1
	v_sub_f32_e32 v18, v19, v21
	v_fma_f32 v21, 0x3f317218, v17, -v22
	v_sub_f32_e32 v18, v20, v18
	v_fmamk_f32 v17, v17, 0xb102e308, v21
	v_add_f32_e32 v8, v8, v18
	v_add_f32_e32 v18, v22, v17
	;; [unrolled: 1-line block ×3, first 2 shown]
	v_sub_f32_e32 v22, v18, v22
	v_add_f32_e32 v21, v18, v20
	v_sub_f32_e32 v19, v20, v19
	v_sub_f32_e32 v17, v17, v22
	;; [unrolled: 1-line block ×6, first 2 shown]
	v_add_f32_e32 v20, v17, v8
	v_sub_f32_e32 v18, v18, v24
	v_add_f32_e32 v18, v19, v18
	v_sub_f32_e32 v19, v20, v17
	;; [unrolled: 2-line block ×3, first 2 shown]
	v_sub_f32_e32 v8, v8, v19
	v_add_f32_e32 v22, v21, v18
	v_sub_f32_e32 v17, v17, v20
	v_sub_f32_e32 v19, v22, v21
	v_add_f32_e32 v8, v8, v17
	v_sub_f32_e32 v17, v18, v19
	v_add_f32_e32 v8, v8, v17
	v_add_f32_e32 v8, v22, v8
	v_cndmask_b32_e64 v8, 0x7f800000, v8, s4
	v_cmp_gt_f32_e64 s4, 0x33800000, |v3|
	v_cndmask_b32_e64 v3, v8, v3, s4
	v_add_f32_e32 v3, v16, v3
	v_cvt_f16_f32_e32 v18, v3
	v_cvt_f32_f16_e32 v8, v18
	v_mov_b32_e32 v3, v18
.LBB414_90:
	s_or_b32 exec_lo, exec_lo, s5
	v_max_f32_e32 v16, v13, v13
	v_max_f32_e32 v17, v8, v8
	v_cmp_u_f16_e64 s4, v18, v18
	v_min_f32_e32 v19, v17, v16
	v_max_f32_e32 v16, v17, v16
	v_cndmask_b32_e64 v17, v19, v8, s4
	v_cndmask_b32_e64 v16, v16, v8, s4
	;; [unrolled: 1-line block ×4, first 2 shown]
	v_mov_b32_e32 v13, v3
	v_cmp_class_f32_e64 s5, v17, 0x1f8
	v_cmp_neq_f32_e64 s4, v17, v16
	s_or_b32 s4, s4, s5
	s_and_saveexec_b32 s5, s4
	s_cbranch_execz .LBB414_92
; %bb.91:
	v_sub_f32_e32 v8, v17, v16
	v_mul_f32_e32 v13, 0x3fb8aa3b, v8
	v_cmp_ngt_f32_e64 s4, 0xc2ce8ed0, v8
	v_fma_f32 v17, 0x3fb8aa3b, v8, -v13
	v_rndne_f32_e32 v18, v13
	v_fmamk_f32 v17, v8, 0x32a5705f, v17
	v_sub_f32_e32 v13, v13, v18
	v_add_f32_e32 v13, v13, v17
	v_cvt_i32_f32_e32 v17, v18
	v_exp_f32_e32 v13, v13
	v_ldexp_f32 v13, v13, v17
	v_cndmask_b32_e64 v13, 0, v13, s4
	v_cmp_nlt_f32_e64 s4, 0x42b17218, v8
	v_cndmask_b32_e64 v8, 0x7f800000, v13, s4
	v_add_f32_e32 v13, 1.0, v8
	v_cvt_f64_f32_e32 v[17:18], v13
	v_frexp_exp_i32_f64_e32 v17, v[17:18]
	v_frexp_mant_f32_e32 v18, v13
	v_cmp_gt_f32_e64 s4, 0x3f2aaaab, v18
	v_add_f32_e32 v18, -1.0, v13
	v_sub_f32_e32 v20, v18, v13
	v_sub_f32_e32 v18, v8, v18
	v_add_f32_e32 v20, 1.0, v20
	v_add_f32_e32 v18, v18, v20
	v_subrev_co_ci_u32_e64 v17, null, 0, v17, s4
	s_mov_b32 s4, 0x3e9b6dac
	v_sub_nc_u32_e32 v19, 0, v17
	v_cvt_f32_i32_e32 v17, v17
	v_ldexp_f32 v13, v13, v19
	v_ldexp_f32 v18, v18, v19
	v_add_f32_e32 v21, 1.0, v13
	v_add_f32_e32 v19, -1.0, v13
	v_add_f32_e32 v20, -1.0, v21
	v_add_f32_e32 v22, 1.0, v19
	v_sub_f32_e32 v20, v13, v20
	v_sub_f32_e32 v13, v13, v22
	v_add_f32_e32 v20, v18, v20
	v_add_f32_e32 v13, v18, v13
	;; [unrolled: 1-line block ×4, first 2 shown]
	v_rcp_f32_e32 v18, v22
	v_sub_f32_e32 v21, v21, v22
	v_sub_f32_e32 v19, v19, v23
	v_add_f32_e32 v20, v20, v21
	v_add_f32_e32 v13, v13, v19
	v_mul_f32_e32 v24, v23, v18
	v_mul_f32_e32 v25, v22, v24
	v_fma_f32 v21, v24, v22, -v25
	v_fmac_f32_e32 v21, v24, v20
	v_add_f32_e32 v26, v25, v21
	v_sub_f32_e32 v27, v23, v26
	v_sub_f32_e32 v19, v26, v25
	;; [unrolled: 1-line block ×5, first 2 shown]
	v_add_f32_e32 v13, v13, v23
	v_add_f32_e32 v13, v19, v13
	;; [unrolled: 1-line block ×3, first 2 shown]
	v_mul_f32_e32 v21, v18, v19
	v_sub_f32_e32 v26, v27, v19
	v_mul_f32_e32 v23, v22, v21
	v_add_f32_e32 v13, v13, v26
	v_fma_f32 v22, v21, v22, -v23
	v_fmac_f32_e32 v22, v21, v20
	v_add_f32_e32 v20, v23, v22
	v_sub_f32_e32 v25, v19, v20
	v_sub_f32_e32 v23, v20, v23
	;; [unrolled: 1-line block ×5, first 2 shown]
	v_add_f32_e32 v13, v13, v19
	v_add_f32_e32 v19, v24, v21
	;; [unrolled: 1-line block ×3, first 2 shown]
	v_sub_f32_e32 v20, v19, v24
	v_add_f32_e32 v13, v25, v13
	v_sub_f32_e32 v20, v21, v20
	v_mul_f32_e32 v13, v18, v13
	v_add_f32_e32 v13, v20, v13
	v_add_f32_e32 v18, v19, v13
	v_mul_f32_e32 v20, v18, v18
	v_fmaak_f32 v21, s4, v20, 0x3ecc95a3
	v_mul_f32_e32 v22, v18, v20
	v_cmp_neq_f32_e64 s4, 0x7f800000, v8
	v_fmaak_f32 v20, v20, v21, 0x3f2aaada
	v_ldexp_f32 v21, v18, 1
	v_sub_f32_e32 v18, v18, v19
	v_mul_f32_e32 v20, v22, v20
	v_mul_f32_e32 v22, 0x3f317218, v17
	v_sub_f32_e32 v13, v13, v18
	v_add_f32_e32 v19, v21, v20
	v_ldexp_f32 v13, v13, 1
	v_sub_f32_e32 v18, v19, v21
	v_fma_f32 v21, 0x3f317218, v17, -v22
	v_sub_f32_e32 v18, v20, v18
	v_fmamk_f32 v17, v17, 0xb102e308, v21
	v_add_f32_e32 v13, v13, v18
	v_add_f32_e32 v18, v22, v17
	;; [unrolled: 1-line block ×3, first 2 shown]
	v_sub_f32_e32 v22, v18, v22
	v_add_f32_e32 v21, v18, v20
	v_sub_f32_e32 v19, v20, v19
	v_sub_f32_e32 v17, v17, v22
	v_sub_f32_e32 v23, v21, v18
	v_sub_f32_e32 v13, v13, v19
	v_sub_f32_e32 v24, v21, v23
	v_sub_f32_e32 v19, v20, v23
	v_add_f32_e32 v20, v17, v13
	v_sub_f32_e32 v18, v18, v24
	v_add_f32_e32 v18, v19, v18
	v_sub_f32_e32 v19, v20, v17
	;; [unrolled: 2-line block ×3, first 2 shown]
	v_sub_f32_e32 v13, v13, v19
	v_add_f32_e32 v22, v21, v18
	v_sub_f32_e32 v17, v17, v20
	v_sub_f32_e32 v19, v22, v21
	v_add_f32_e32 v13, v13, v17
	v_sub_f32_e32 v17, v18, v19
	v_add_f32_e32 v13, v13, v17
	v_add_f32_e32 v13, v22, v13
	v_cndmask_b32_e64 v13, 0x7f800000, v13, s4
	v_cmp_gt_f32_e64 s4, 0x33800000, |v8|
	v_cndmask_b32_e64 v8, v13, v8, s4
	v_add_f32_e32 v8, v16, v8
	v_cvt_f16_f32_e32 v18, v8
	v_cvt_f32_f16_e32 v8, v18
	v_mov_b32_e32 v13, v18
.LBB414_92:
	s_or_b32 exec_lo, exec_lo, s5
	v_max_f32_e32 v16, v4, v4
	v_max_f32_e32 v17, v8, v8
	v_cmp_u_f16_e64 s4, v18, v18
	v_min_f32_e32 v19, v17, v16
	v_max_f32_e32 v16, v17, v16
	v_cndmask_b32_e64 v17, v19, v8, s4
	v_cndmask_b32_e64 v16, v16, v8, s4
	;; [unrolled: 1-line block ×4, first 2 shown]
	v_mov_b32_e32 v4, v13
	v_cmp_class_f32_e64 s5, v17, 0x1f8
	v_cmp_neq_f32_e64 s4, v17, v16
	s_or_b32 s4, s4, s5
	s_and_saveexec_b32 s5, s4
	s_cbranch_execz .LBB414_94
; %bb.93:
	v_sub_f32_e32 v4, v17, v16
	v_mul_f32_e32 v8, 0x3fb8aa3b, v4
	v_cmp_ngt_f32_e64 s4, 0xc2ce8ed0, v4
	v_fma_f32 v17, 0x3fb8aa3b, v4, -v8
	v_rndne_f32_e32 v18, v8
	v_fmamk_f32 v17, v4, 0x32a5705f, v17
	v_sub_f32_e32 v8, v8, v18
	v_add_f32_e32 v8, v8, v17
	v_cvt_i32_f32_e32 v17, v18
	v_exp_f32_e32 v8, v8
	v_ldexp_f32 v8, v8, v17
	v_cndmask_b32_e64 v8, 0, v8, s4
	v_cmp_nlt_f32_e64 s4, 0x42b17218, v4
	v_cndmask_b32_e64 v4, 0x7f800000, v8, s4
	v_add_f32_e32 v8, 1.0, v4
	v_cvt_f64_f32_e32 v[17:18], v8
	v_frexp_exp_i32_f64_e32 v17, v[17:18]
	v_frexp_mant_f32_e32 v18, v8
	v_cmp_gt_f32_e64 s4, 0x3f2aaaab, v18
	v_add_f32_e32 v18, -1.0, v8
	v_sub_f32_e32 v20, v18, v8
	v_sub_f32_e32 v18, v4, v18
	v_add_f32_e32 v20, 1.0, v20
	v_add_f32_e32 v18, v18, v20
	v_subrev_co_ci_u32_e64 v17, null, 0, v17, s4
	s_mov_b32 s4, 0x3e9b6dac
	v_sub_nc_u32_e32 v19, 0, v17
	v_cvt_f32_i32_e32 v17, v17
	v_ldexp_f32 v8, v8, v19
	v_ldexp_f32 v18, v18, v19
	v_add_f32_e32 v21, 1.0, v8
	v_add_f32_e32 v19, -1.0, v8
	v_add_f32_e32 v20, -1.0, v21
	v_add_f32_e32 v22, 1.0, v19
	v_sub_f32_e32 v20, v8, v20
	v_sub_f32_e32 v8, v8, v22
	v_add_f32_e32 v20, v18, v20
	v_add_f32_e32 v8, v18, v8
	;; [unrolled: 1-line block ×4, first 2 shown]
	v_rcp_f32_e32 v18, v22
	v_sub_f32_e32 v21, v21, v22
	v_sub_f32_e32 v19, v19, v23
	v_add_f32_e32 v20, v20, v21
	v_add_f32_e32 v8, v8, v19
	v_mul_f32_e32 v24, v23, v18
	v_mul_f32_e32 v25, v22, v24
	v_fma_f32 v21, v24, v22, -v25
	v_fmac_f32_e32 v21, v24, v20
	v_add_f32_e32 v26, v25, v21
	v_sub_f32_e32 v27, v23, v26
	v_sub_f32_e32 v19, v26, v25
	;; [unrolled: 1-line block ×5, first 2 shown]
	v_add_f32_e32 v8, v8, v23
	v_add_f32_e32 v8, v19, v8
	;; [unrolled: 1-line block ×3, first 2 shown]
	v_mul_f32_e32 v21, v18, v19
	v_sub_f32_e32 v26, v27, v19
	v_mul_f32_e32 v23, v22, v21
	v_add_f32_e32 v8, v8, v26
	v_fma_f32 v22, v21, v22, -v23
	v_fmac_f32_e32 v22, v21, v20
	v_add_f32_e32 v20, v23, v22
	v_sub_f32_e32 v25, v19, v20
	v_sub_f32_e32 v23, v20, v23
	;; [unrolled: 1-line block ×5, first 2 shown]
	v_add_f32_e32 v8, v8, v19
	v_add_f32_e32 v19, v24, v21
	;; [unrolled: 1-line block ×3, first 2 shown]
	v_sub_f32_e32 v20, v19, v24
	v_add_f32_e32 v8, v25, v8
	v_sub_f32_e32 v20, v21, v20
	v_mul_f32_e32 v8, v18, v8
	v_add_f32_e32 v8, v20, v8
	v_add_f32_e32 v18, v19, v8
	v_mul_f32_e32 v20, v18, v18
	v_fmaak_f32 v21, s4, v20, 0x3ecc95a3
	v_mul_f32_e32 v22, v18, v20
	v_cmp_neq_f32_e64 s4, 0x7f800000, v4
	v_fmaak_f32 v20, v20, v21, 0x3f2aaada
	v_ldexp_f32 v21, v18, 1
	v_sub_f32_e32 v18, v18, v19
	v_mul_f32_e32 v20, v22, v20
	v_mul_f32_e32 v22, 0x3f317218, v17
	v_sub_f32_e32 v8, v8, v18
	v_add_f32_e32 v19, v21, v20
	v_ldexp_f32 v8, v8, 1
	v_sub_f32_e32 v18, v19, v21
	v_fma_f32 v21, 0x3f317218, v17, -v22
	v_sub_f32_e32 v18, v20, v18
	v_fmamk_f32 v17, v17, 0xb102e308, v21
	v_add_f32_e32 v8, v8, v18
	v_add_f32_e32 v18, v22, v17
	;; [unrolled: 1-line block ×3, first 2 shown]
	v_sub_f32_e32 v22, v18, v22
	v_add_f32_e32 v21, v18, v20
	v_sub_f32_e32 v19, v20, v19
	v_sub_f32_e32 v17, v17, v22
	;; [unrolled: 1-line block ×6, first 2 shown]
	v_add_f32_e32 v20, v17, v8
	v_sub_f32_e32 v18, v18, v24
	v_add_f32_e32 v18, v19, v18
	v_sub_f32_e32 v19, v20, v17
	;; [unrolled: 2-line block ×3, first 2 shown]
	v_sub_f32_e32 v8, v8, v19
	v_add_f32_e32 v22, v21, v18
	v_sub_f32_e32 v17, v17, v20
	v_sub_f32_e32 v19, v22, v21
	v_add_f32_e32 v8, v8, v17
	v_sub_f32_e32 v17, v18, v19
	v_add_f32_e32 v8, v8, v17
	v_add_f32_e32 v8, v22, v8
	v_cndmask_b32_e64 v8, 0x7f800000, v8, s4
	v_cmp_gt_f32_e64 s4, 0x33800000, |v4|
	v_cndmask_b32_e64 v4, v8, v4, s4
	v_add_f32_e32 v4, v16, v4
	v_cvt_f16_f32_e32 v18, v4
	v_cvt_f32_f16_e32 v8, v18
	v_mov_b32_e32 v4, v18
.LBB414_94:
	s_or_b32 exec_lo, exec_lo, s5
	v_max_f32_e32 v16, v14, v14
	v_max_f32_e32 v17, v8, v8
	v_cmp_u_f16_e64 s4, v18, v18
	v_min_f32_e32 v19, v17, v16
	v_max_f32_e32 v16, v17, v16
	v_cndmask_b32_e64 v17, v19, v8, s4
	v_cndmask_b32_e64 v16, v16, v8, s4
	v_cndmask_b32_e64 v17, v17, v14, s21
	v_cndmask_b32_e64 v16, v16, v14, s21
	v_mov_b32_e32 v14, v4
	v_cmp_class_f32_e64 s5, v17, 0x1f8
	v_cmp_neq_f32_e64 s4, v17, v16
	s_or_b32 s4, s4, s5
	s_and_saveexec_b32 s5, s4
	s_cbranch_execz .LBB414_96
; %bb.95:
	v_sub_f32_e32 v8, v17, v16
	v_mul_f32_e32 v14, 0x3fb8aa3b, v8
	v_cmp_ngt_f32_e64 s4, 0xc2ce8ed0, v8
	v_fma_f32 v17, 0x3fb8aa3b, v8, -v14
	v_rndne_f32_e32 v18, v14
	v_fmamk_f32 v17, v8, 0x32a5705f, v17
	v_sub_f32_e32 v14, v14, v18
	v_add_f32_e32 v14, v14, v17
	v_cvt_i32_f32_e32 v17, v18
	v_exp_f32_e32 v14, v14
	v_ldexp_f32 v14, v14, v17
	v_cndmask_b32_e64 v14, 0, v14, s4
	v_cmp_nlt_f32_e64 s4, 0x42b17218, v8
	v_cndmask_b32_e64 v8, 0x7f800000, v14, s4
	v_add_f32_e32 v14, 1.0, v8
	v_cvt_f64_f32_e32 v[17:18], v14
	v_frexp_exp_i32_f64_e32 v17, v[17:18]
	v_frexp_mant_f32_e32 v18, v14
	v_cmp_gt_f32_e64 s4, 0x3f2aaaab, v18
	v_add_f32_e32 v18, -1.0, v14
	v_sub_f32_e32 v20, v18, v14
	v_sub_f32_e32 v18, v8, v18
	v_add_f32_e32 v20, 1.0, v20
	v_add_f32_e32 v18, v18, v20
	v_subrev_co_ci_u32_e64 v17, null, 0, v17, s4
	s_mov_b32 s4, 0x3e9b6dac
	v_sub_nc_u32_e32 v19, 0, v17
	v_cvt_f32_i32_e32 v17, v17
	v_ldexp_f32 v14, v14, v19
	v_ldexp_f32 v18, v18, v19
	v_add_f32_e32 v21, 1.0, v14
	v_add_f32_e32 v19, -1.0, v14
	v_add_f32_e32 v20, -1.0, v21
	v_add_f32_e32 v22, 1.0, v19
	v_sub_f32_e32 v20, v14, v20
	v_sub_f32_e32 v14, v14, v22
	v_add_f32_e32 v20, v18, v20
	v_add_f32_e32 v14, v18, v14
	v_add_f32_e32 v22, v21, v20
	v_add_f32_e32 v23, v19, v14
	v_rcp_f32_e32 v18, v22
	v_sub_f32_e32 v21, v21, v22
	v_sub_f32_e32 v19, v19, v23
	v_add_f32_e32 v20, v20, v21
	v_add_f32_e32 v14, v14, v19
	v_mul_f32_e32 v24, v23, v18
	v_mul_f32_e32 v25, v22, v24
	v_fma_f32 v21, v24, v22, -v25
	v_fmac_f32_e32 v21, v24, v20
	v_add_f32_e32 v26, v25, v21
	v_sub_f32_e32 v27, v23, v26
	v_sub_f32_e32 v19, v26, v25
	;; [unrolled: 1-line block ×5, first 2 shown]
	v_add_f32_e32 v14, v14, v23
	v_add_f32_e32 v14, v19, v14
	;; [unrolled: 1-line block ×3, first 2 shown]
	v_mul_f32_e32 v21, v18, v19
	v_sub_f32_e32 v26, v27, v19
	v_mul_f32_e32 v23, v22, v21
	v_add_f32_e32 v14, v14, v26
	v_fma_f32 v22, v21, v22, -v23
	v_fmac_f32_e32 v22, v21, v20
	v_add_f32_e32 v20, v23, v22
	v_sub_f32_e32 v25, v19, v20
	v_sub_f32_e32 v23, v20, v23
	;; [unrolled: 1-line block ×5, first 2 shown]
	v_add_f32_e32 v14, v14, v19
	v_add_f32_e32 v19, v24, v21
	;; [unrolled: 1-line block ×3, first 2 shown]
	v_sub_f32_e32 v20, v19, v24
	v_add_f32_e32 v14, v25, v14
	v_sub_f32_e32 v20, v21, v20
	v_mul_f32_e32 v14, v18, v14
	v_add_f32_e32 v14, v20, v14
	v_add_f32_e32 v18, v19, v14
	v_mul_f32_e32 v20, v18, v18
	v_fmaak_f32 v21, s4, v20, 0x3ecc95a3
	v_mul_f32_e32 v22, v18, v20
	v_cmp_neq_f32_e64 s4, 0x7f800000, v8
	v_fmaak_f32 v20, v20, v21, 0x3f2aaada
	v_ldexp_f32 v21, v18, 1
	v_sub_f32_e32 v18, v18, v19
	v_mul_f32_e32 v20, v22, v20
	v_mul_f32_e32 v22, 0x3f317218, v17
	v_sub_f32_e32 v14, v14, v18
	v_add_f32_e32 v19, v21, v20
	v_ldexp_f32 v14, v14, 1
	v_sub_f32_e32 v18, v19, v21
	v_fma_f32 v21, 0x3f317218, v17, -v22
	v_sub_f32_e32 v18, v20, v18
	v_fmamk_f32 v17, v17, 0xb102e308, v21
	v_add_f32_e32 v14, v14, v18
	v_add_f32_e32 v18, v22, v17
	;; [unrolled: 1-line block ×3, first 2 shown]
	v_sub_f32_e32 v22, v18, v22
	v_add_f32_e32 v21, v18, v20
	v_sub_f32_e32 v19, v20, v19
	v_sub_f32_e32 v17, v17, v22
	;; [unrolled: 1-line block ×6, first 2 shown]
	v_add_f32_e32 v20, v17, v14
	v_sub_f32_e32 v18, v18, v24
	v_add_f32_e32 v18, v19, v18
	v_sub_f32_e32 v19, v20, v17
	;; [unrolled: 2-line block ×3, first 2 shown]
	v_sub_f32_e32 v14, v14, v19
	v_add_f32_e32 v22, v21, v18
	v_sub_f32_e32 v17, v17, v20
	v_sub_f32_e32 v19, v22, v21
	v_add_f32_e32 v14, v14, v17
	v_sub_f32_e32 v17, v18, v19
	v_add_f32_e32 v14, v14, v17
	v_add_f32_e32 v14, v22, v14
	v_cndmask_b32_e64 v14, 0x7f800000, v14, s4
	v_cmp_gt_f32_e64 s4, 0x33800000, |v8|
	v_cndmask_b32_e64 v8, v14, v8, s4
	v_add_f32_e32 v8, v16, v8
	v_cvt_f16_f32_e32 v18, v8
	v_cvt_f32_f16_e32 v8, v18
	v_mov_b32_e32 v14, v18
.LBB414_96:
	s_or_b32 exec_lo, exec_lo, s5
	v_max_f32_e32 v16, v5, v5
	v_max_f32_e32 v17, v8, v8
	v_cmp_u_f16_e64 s4, v18, v18
	v_min_f32_e32 v19, v17, v16
	v_max_f32_e32 v16, v17, v16
	v_cndmask_b32_e64 v17, v19, v8, s4
	v_cndmask_b32_e64 v16, v16, v8, s4
	;; [unrolled: 1-line block ×4, first 2 shown]
	v_mov_b32_e32 v5, v14
	v_cmp_class_f32_e64 s5, v17, 0x1f8
	v_cmp_neq_f32_e64 s4, v17, v16
	s_or_b32 s4, s4, s5
	s_and_saveexec_b32 s5, s4
	s_cbranch_execz .LBB414_98
; %bb.97:
	v_sub_f32_e32 v5, v17, v16
	v_mul_f32_e32 v8, 0x3fb8aa3b, v5
	v_cmp_ngt_f32_e64 s4, 0xc2ce8ed0, v5
	v_fma_f32 v17, 0x3fb8aa3b, v5, -v8
	v_rndne_f32_e32 v18, v8
	v_fmamk_f32 v17, v5, 0x32a5705f, v17
	v_sub_f32_e32 v8, v8, v18
	v_add_f32_e32 v8, v8, v17
	v_cvt_i32_f32_e32 v17, v18
	v_exp_f32_e32 v8, v8
	v_ldexp_f32 v8, v8, v17
	v_cndmask_b32_e64 v8, 0, v8, s4
	v_cmp_nlt_f32_e64 s4, 0x42b17218, v5
	v_cndmask_b32_e64 v5, 0x7f800000, v8, s4
	v_add_f32_e32 v8, 1.0, v5
	v_cvt_f64_f32_e32 v[17:18], v8
	v_frexp_exp_i32_f64_e32 v17, v[17:18]
	v_frexp_mant_f32_e32 v18, v8
	v_cmp_gt_f32_e64 s4, 0x3f2aaaab, v18
	v_add_f32_e32 v18, -1.0, v8
	v_sub_f32_e32 v20, v18, v8
	v_sub_f32_e32 v18, v5, v18
	v_add_f32_e32 v20, 1.0, v20
	v_add_f32_e32 v18, v18, v20
	v_subrev_co_ci_u32_e64 v17, null, 0, v17, s4
	s_mov_b32 s4, 0x3e9b6dac
	v_sub_nc_u32_e32 v19, 0, v17
	v_cvt_f32_i32_e32 v17, v17
	v_ldexp_f32 v8, v8, v19
	v_ldexp_f32 v18, v18, v19
	v_add_f32_e32 v21, 1.0, v8
	v_add_f32_e32 v19, -1.0, v8
	v_add_f32_e32 v20, -1.0, v21
	v_add_f32_e32 v22, 1.0, v19
	v_sub_f32_e32 v20, v8, v20
	v_sub_f32_e32 v8, v8, v22
	v_add_f32_e32 v20, v18, v20
	v_add_f32_e32 v8, v18, v8
	;; [unrolled: 1-line block ×4, first 2 shown]
	v_rcp_f32_e32 v18, v22
	v_sub_f32_e32 v21, v21, v22
	v_sub_f32_e32 v19, v19, v23
	v_add_f32_e32 v20, v20, v21
	v_add_f32_e32 v8, v8, v19
	v_mul_f32_e32 v24, v23, v18
	v_mul_f32_e32 v25, v22, v24
	v_fma_f32 v21, v24, v22, -v25
	v_fmac_f32_e32 v21, v24, v20
	v_add_f32_e32 v26, v25, v21
	v_sub_f32_e32 v27, v23, v26
	v_sub_f32_e32 v19, v26, v25
	;; [unrolled: 1-line block ×5, first 2 shown]
	v_add_f32_e32 v8, v8, v23
	v_add_f32_e32 v8, v19, v8
	;; [unrolled: 1-line block ×3, first 2 shown]
	v_mul_f32_e32 v21, v18, v19
	v_sub_f32_e32 v26, v27, v19
	v_mul_f32_e32 v23, v22, v21
	v_add_f32_e32 v8, v8, v26
	v_fma_f32 v22, v21, v22, -v23
	v_fmac_f32_e32 v22, v21, v20
	v_add_f32_e32 v20, v23, v22
	v_sub_f32_e32 v25, v19, v20
	v_sub_f32_e32 v23, v20, v23
	;; [unrolled: 1-line block ×5, first 2 shown]
	v_add_f32_e32 v8, v8, v19
	v_add_f32_e32 v19, v24, v21
	;; [unrolled: 1-line block ×3, first 2 shown]
	v_sub_f32_e32 v20, v19, v24
	v_add_f32_e32 v8, v25, v8
	v_sub_f32_e32 v20, v21, v20
	v_mul_f32_e32 v8, v18, v8
	v_add_f32_e32 v8, v20, v8
	v_add_f32_e32 v18, v19, v8
	v_mul_f32_e32 v20, v18, v18
	v_fmaak_f32 v21, s4, v20, 0x3ecc95a3
	v_mul_f32_e32 v22, v18, v20
	v_cmp_neq_f32_e64 s4, 0x7f800000, v5
	v_fmaak_f32 v20, v20, v21, 0x3f2aaada
	v_ldexp_f32 v21, v18, 1
	v_sub_f32_e32 v18, v18, v19
	v_mul_f32_e32 v20, v22, v20
	v_mul_f32_e32 v22, 0x3f317218, v17
	v_sub_f32_e32 v8, v8, v18
	v_add_f32_e32 v19, v21, v20
	v_ldexp_f32 v8, v8, 1
	v_sub_f32_e32 v18, v19, v21
	v_fma_f32 v21, 0x3f317218, v17, -v22
	v_sub_f32_e32 v18, v20, v18
	v_fmamk_f32 v17, v17, 0xb102e308, v21
	v_add_f32_e32 v8, v8, v18
	v_add_f32_e32 v18, v22, v17
	;; [unrolled: 1-line block ×3, first 2 shown]
	v_sub_f32_e32 v22, v18, v22
	v_add_f32_e32 v21, v18, v20
	v_sub_f32_e32 v19, v20, v19
	v_sub_f32_e32 v17, v17, v22
	;; [unrolled: 1-line block ×6, first 2 shown]
	v_add_f32_e32 v20, v17, v8
	v_sub_f32_e32 v18, v18, v24
	v_add_f32_e32 v18, v19, v18
	v_sub_f32_e32 v19, v20, v17
	;; [unrolled: 2-line block ×3, first 2 shown]
	v_sub_f32_e32 v8, v8, v19
	v_add_f32_e32 v22, v21, v18
	v_sub_f32_e32 v17, v17, v20
	v_sub_f32_e32 v19, v22, v21
	v_add_f32_e32 v8, v8, v17
	v_sub_f32_e32 v17, v18, v19
	v_add_f32_e32 v8, v8, v17
	v_add_f32_e32 v8, v22, v8
	v_cndmask_b32_e64 v8, 0x7f800000, v8, s4
	v_cmp_gt_f32_e64 s4, 0x33800000, |v5|
	v_cndmask_b32_e64 v5, v8, v5, s4
	v_add_f32_e32 v5, v16, v5
	v_cvt_f16_f32_e32 v18, v5
	v_cvt_f32_f16_e32 v8, v18
	v_mov_b32_e32 v5, v18
.LBB414_98:
	s_or_b32 exec_lo, exec_lo, s5
	v_max_f32_e32 v16, v15, v15
	v_max_f32_e32 v17, v8, v8
	v_cmp_u_f16_e64 s4, v18, v18
	v_min_f32_e32 v19, v17, v16
	v_max_f32_e32 v16, v17, v16
	v_cndmask_b32_e64 v17, v19, v8, s4
	v_cndmask_b32_e64 v8, v16, v8, s4
	;; [unrolled: 1-line block ×4, first 2 shown]
	v_mov_b32_e32 v15, v5
	v_cmp_class_f32_e64 s5, v16, 0x1f8
	v_cmp_neq_f32_e64 s4, v16, v8
	s_or_b32 s4, s4, s5
	s_and_saveexec_b32 s5, s4
	s_cbranch_execz .LBB414_100
; %bb.99:
	v_sub_f32_e32 v15, v16, v8
	v_mul_f32_e32 v16, 0x3fb8aa3b, v15
	v_cmp_ngt_f32_e64 s4, 0xc2ce8ed0, v15
	v_fma_f32 v17, 0x3fb8aa3b, v15, -v16
	v_rndne_f32_e32 v18, v16
	v_fmamk_f32 v17, v15, 0x32a5705f, v17
	v_sub_f32_e32 v16, v16, v18
	v_add_f32_e32 v16, v16, v17
	v_cvt_i32_f32_e32 v17, v18
	v_exp_f32_e32 v16, v16
	v_ldexp_f32 v16, v16, v17
	v_cndmask_b32_e64 v16, 0, v16, s4
	v_cmp_nlt_f32_e64 s4, 0x42b17218, v15
	v_cndmask_b32_e64 v17, 0x7f800000, v16, s4
	v_add_f32_e32 v18, 1.0, v17
	v_cvt_f64_f32_e32 v[15:16], v18
	v_frexp_exp_i32_f64_e32 v15, v[15:16]
	v_frexp_mant_f32_e32 v16, v18
	v_cmp_gt_f32_e64 s4, 0x3f2aaaab, v16
	v_add_f32_e32 v16, -1.0, v18
	v_sub_f32_e32 v20, v16, v18
	v_sub_f32_e32 v16, v17, v16
	v_add_f32_e32 v20, 1.0, v20
	v_add_f32_e32 v16, v16, v20
	v_subrev_co_ci_u32_e64 v15, null, 0, v15, s4
	s_mov_b32 s4, 0x3e9b6dac
	v_sub_nc_u32_e32 v19, 0, v15
	v_cvt_f32_i32_e32 v15, v15
	v_ldexp_f32 v18, v18, v19
	v_ldexp_f32 v16, v16, v19
	v_add_f32_e32 v21, 1.0, v18
	v_add_f32_e32 v19, -1.0, v18
	v_add_f32_e32 v20, -1.0, v21
	v_add_f32_e32 v22, 1.0, v19
	v_sub_f32_e32 v20, v18, v20
	v_sub_f32_e32 v18, v18, v22
	v_add_f32_e32 v20, v16, v20
	v_add_f32_e32 v16, v16, v18
	;; [unrolled: 1-line block ×4, first 2 shown]
	v_rcp_f32_e32 v18, v22
	v_sub_f32_e32 v21, v21, v22
	v_sub_f32_e32 v19, v19, v23
	v_add_f32_e32 v20, v20, v21
	v_add_f32_e32 v16, v16, v19
	v_mul_f32_e32 v24, v23, v18
	v_mul_f32_e32 v25, v22, v24
	v_fma_f32 v21, v24, v22, -v25
	v_fmac_f32_e32 v21, v24, v20
	v_add_f32_e32 v26, v25, v21
	v_sub_f32_e32 v27, v23, v26
	v_sub_f32_e32 v19, v26, v25
	v_sub_f32_e32 v23, v23, v27
	v_sub_f32_e32 v19, v19, v21
	v_sub_f32_e32 v23, v23, v26
	v_add_f32_e32 v16, v16, v23
	v_add_f32_e32 v16, v19, v16
	;; [unrolled: 1-line block ×3, first 2 shown]
	v_mul_f32_e32 v21, v18, v19
	v_sub_f32_e32 v26, v27, v19
	v_mul_f32_e32 v23, v22, v21
	v_add_f32_e32 v16, v16, v26
	v_fma_f32 v22, v21, v22, -v23
	v_fmac_f32_e32 v22, v21, v20
	v_add_f32_e32 v20, v23, v22
	v_sub_f32_e32 v25, v19, v20
	v_sub_f32_e32 v23, v20, v23
	;; [unrolled: 1-line block ×5, first 2 shown]
	v_add_f32_e32 v16, v16, v19
	v_add_f32_e32 v19, v24, v21
	;; [unrolled: 1-line block ×3, first 2 shown]
	v_sub_f32_e32 v20, v19, v24
	v_add_f32_e32 v16, v25, v16
	v_sub_f32_e32 v20, v21, v20
	v_mul_f32_e32 v16, v18, v16
	v_add_f32_e32 v16, v20, v16
	v_add_f32_e32 v18, v19, v16
	v_mul_f32_e32 v20, v18, v18
	v_fmaak_f32 v21, s4, v20, 0x3ecc95a3
	v_mul_f32_e32 v22, v18, v20
	v_cmp_neq_f32_e64 s4, 0x7f800000, v17
	v_fmaak_f32 v20, v20, v21, 0x3f2aaada
	v_ldexp_f32 v21, v18, 1
	v_sub_f32_e32 v18, v18, v19
	v_mul_f32_e32 v20, v22, v20
	v_mul_f32_e32 v22, 0x3f317218, v15
	v_sub_f32_e32 v16, v16, v18
	v_add_f32_e32 v19, v21, v20
	v_ldexp_f32 v16, v16, 1
	v_sub_f32_e32 v18, v19, v21
	v_fma_f32 v21, 0x3f317218, v15, -v22
	v_sub_f32_e32 v18, v20, v18
	v_fmamk_f32 v15, v15, 0xb102e308, v21
	v_add_f32_e32 v16, v16, v18
	v_add_f32_e32 v18, v22, v15
	;; [unrolled: 1-line block ×3, first 2 shown]
	v_sub_f32_e32 v22, v18, v22
	v_add_f32_e32 v21, v18, v20
	v_sub_f32_e32 v19, v20, v19
	v_sub_f32_e32 v15, v15, v22
	;; [unrolled: 1-line block ×6, first 2 shown]
	v_add_f32_e32 v20, v15, v16
	v_sub_f32_e32 v18, v18, v24
	v_add_f32_e32 v18, v19, v18
	v_sub_f32_e32 v19, v20, v15
	;; [unrolled: 2-line block ×3, first 2 shown]
	v_sub_f32_e32 v16, v16, v19
	v_add_f32_e32 v22, v21, v18
	v_sub_f32_e32 v15, v15, v20
	v_sub_f32_e32 v19, v22, v21
	v_add_f32_e32 v15, v16, v15
	v_sub_f32_e32 v16, v18, v19
	v_add_f32_e32 v15, v15, v16
	v_add_f32_e32 v15, v22, v15
	v_cndmask_b32_e64 v15, 0x7f800000, v15, s4
	v_cmp_gt_f32_e64 s4, 0x33800000, |v17|
	v_cndmask_b32_e64 v15, v15, v17, s4
	v_add_f32_e32 v8, v8, v15
	v_cvt_f16_f32_e32 v15, v8
.LBB414_100:
	s_or_b32 exec_lo, exec_lo, s5
	v_add_nc_u32_e32 v6, v7, v6
	v_perm_b32 v3, v13, v3, 0x5040100
	v_perm_b32 v2, v12, v2, 0x5040100
	;; [unrolled: 1-line block ×6, first 2 shown]
	s_barrier
	buffer_gl0_inv
	ds_write2_b64 v6, v[9:10], v[2:3] offset1:1
	ds_write_b64 v6, v[4:5] offset:16
	s_waitcnt lgkmcnt(0)
	s_barrier
	buffer_gl0_inv
	ds_read_u16 v13, v7 offset:128
	ds_read_u16 v12, v7 offset:256
	;; [unrolled: 1-line block ×11, first 2 shown]
	v_lshlrev_b32_e32 v0, 1, v0
	v_add_co_u32 v0, s4, s26, v0
	v_add_co_ci_u32_e64 v1, null, s27, 0, s4
	s_and_saveexec_b32 s4, vcc_lo
	s_cbranch_execnz .LBB414_113
; %bb.101:
	s_or_b32 exec_lo, exec_lo, s4
	s_and_saveexec_b32 s4, s0
	s_cbranch_execnz .LBB414_114
.LBB414_102:
	s_or_b32 exec_lo, exec_lo, s4
	s_and_saveexec_b32 s0, s1
	s_cbranch_execnz .LBB414_115
.LBB414_103:
	s_or_b32 exec_lo, exec_lo, s0
	s_and_saveexec_b32 s0, s2
	s_cbranch_execnz .LBB414_116
.LBB414_104:
	s_or_b32 exec_lo, exec_lo, s0
	s_and_saveexec_b32 s0, s3
	s_cbranch_execnz .LBB414_117
.LBB414_105:
	s_or_b32 exec_lo, exec_lo, s0
	s_and_saveexec_b32 s0, s6
	s_cbranch_execnz .LBB414_118
.LBB414_106:
	s_or_b32 exec_lo, exec_lo, s0
	s_and_saveexec_b32 s0, s7
	s_cbranch_execnz .LBB414_119
.LBB414_107:
	s_or_b32 exec_lo, exec_lo, s0
	s_and_saveexec_b32 s0, s8
	s_cbranch_execnz .LBB414_120
.LBB414_108:
	s_or_b32 exec_lo, exec_lo, s0
	s_and_saveexec_b32 s0, s9
	s_cbranch_execnz .LBB414_121
.LBB414_109:
	s_or_b32 exec_lo, exec_lo, s0
	s_and_saveexec_b32 s0, s10
	s_cbranch_execnz .LBB414_122
.LBB414_110:
	s_or_b32 exec_lo, exec_lo, s0
	s_and_saveexec_b32 s0, s11
	s_cbranch_execnz .LBB414_123
.LBB414_111:
	s_or_b32 exec_lo, exec_lo, s0
	s_and_saveexec_b32 s0, s12
	s_cbranch_execnz .LBB414_124
.LBB414_112:
	s_endpgm
.LBB414_113:
	ds_read_u16 v7, v7
	s_waitcnt lgkmcnt(0)
	global_store_short v[0:1], v7, off
	s_or_b32 exec_lo, exec_lo, s4
	s_and_saveexec_b32 s4, s0
	s_cbranch_execz .LBB414_102
.LBB414_114:
	s_waitcnt lgkmcnt(10)
	global_store_short v[0:1], v13, off offset:128
	s_or_b32 exec_lo, exec_lo, s4
	s_and_saveexec_b32 s0, s1
	s_cbranch_execz .LBB414_103
.LBB414_115:
	s_waitcnt lgkmcnt(9)
	global_store_short v[0:1], v12, off offset:256
	s_or_b32 exec_lo, exec_lo, s0
	s_and_saveexec_b32 s0, s2
	s_cbranch_execz .LBB414_104
.LBB414_116:
	s_waitcnt lgkmcnt(8)
	global_store_short v[0:1], v11, off offset:384
	s_or_b32 exec_lo, exec_lo, s0
	s_and_saveexec_b32 s0, s3
	s_cbranch_execz .LBB414_105
.LBB414_117:
	s_waitcnt lgkmcnt(7)
	global_store_short v[0:1], v10, off offset:512
	s_or_b32 exec_lo, exec_lo, s0
	s_and_saveexec_b32 s0, s6
	s_cbranch_execz .LBB414_106
.LBB414_118:
	s_waitcnt lgkmcnt(6)
	global_store_short v[0:1], v9, off offset:640
	s_or_b32 exec_lo, exec_lo, s0
	s_and_saveexec_b32 s0, s7
	s_cbranch_execz .LBB414_107
.LBB414_119:
	s_waitcnt lgkmcnt(5)
	global_store_short v[0:1], v8, off offset:768
	s_or_b32 exec_lo, exec_lo, s0
	s_and_saveexec_b32 s0, s8
	s_cbranch_execz .LBB414_108
.LBB414_120:
	s_waitcnt lgkmcnt(4)
	global_store_short v[0:1], v6, off offset:896
	s_or_b32 exec_lo, exec_lo, s0
	s_and_saveexec_b32 s0, s9
	s_cbranch_execz .LBB414_109
.LBB414_121:
	s_waitcnt lgkmcnt(3)
	global_store_short v[0:1], v5, off offset:1024
	s_or_b32 exec_lo, exec_lo, s0
	s_and_saveexec_b32 s0, s10
	s_cbranch_execz .LBB414_110
.LBB414_122:
	s_waitcnt lgkmcnt(2)
	global_store_short v[0:1], v4, off offset:1152
	s_or_b32 exec_lo, exec_lo, s0
	s_and_saveexec_b32 s0, s11
	s_cbranch_execz .LBB414_111
.LBB414_123:
	s_waitcnt lgkmcnt(1)
	global_store_short v[0:1], v3, off offset:1280
	s_or_b32 exec_lo, exec_lo, s0
	s_and_saveexec_b32 s0, s12
	s_cbranch_execz .LBB414_112
.LBB414_124:
	s_waitcnt lgkmcnt(0)
	global_store_short v[0:1], v2, off offset:1408
	s_endpgm
	.section	.rodata,"a",@progbits
	.p2align	6, 0x0
	.amdhsa_kernel _ZN7rocprim17ROCPRIM_400000_NS6detail17trampoline_kernelINS0_14default_configENS1_20scan_config_selectorIN3c104HalfEEEZZNS1_9scan_implILNS1_25lookback_scan_determinismE0ELb0ELb0ES3_PKS6_PS6_S6_ZZZN2at6native31launch_logcumsumexp_cuda_kernelERKNSD_10TensorBaseESH_lENKUlvE_clEvENKUlvE3_clEvEUlS6_S6_E_S6_EEDaPvRmT3_T4_T5_mT6_P12ihipStream_tbENKUlT_T0_E_clISt17integral_constantIbLb1EESX_IbLb0EEEEDaST_SU_EUlST_E0_NS1_11comp_targetILNS1_3genE8ELNS1_11target_archE1030ELNS1_3gpuE2ELNS1_3repE0EEENS1_30default_config_static_selectorELNS0_4arch9wavefront6targetE0EEEvT1_
		.amdhsa_group_segment_fixed_size 1536
		.amdhsa_private_segment_fixed_size 0
		.amdhsa_kernarg_size 32
		.amdhsa_user_sgpr_count 6
		.amdhsa_user_sgpr_private_segment_buffer 1
		.amdhsa_user_sgpr_dispatch_ptr 0
		.amdhsa_user_sgpr_queue_ptr 0
		.amdhsa_user_sgpr_kernarg_segment_ptr 1
		.amdhsa_user_sgpr_dispatch_id 0
		.amdhsa_user_sgpr_flat_scratch_init 0
		.amdhsa_user_sgpr_private_segment_size 0
		.amdhsa_wavefront_size32 1
		.amdhsa_uses_dynamic_stack 0
		.amdhsa_system_sgpr_private_segment_wavefront_offset 0
		.amdhsa_system_sgpr_workgroup_id_x 1
		.amdhsa_system_sgpr_workgroup_id_y 0
		.amdhsa_system_sgpr_workgroup_id_z 0
		.amdhsa_system_sgpr_workgroup_info 0
		.amdhsa_system_vgpr_workitem_id 0
		.amdhsa_next_free_vgpr 36
		.amdhsa_next_free_sgpr 30
		.amdhsa_reserve_vcc 1
		.amdhsa_reserve_flat_scratch 0
		.amdhsa_float_round_mode_32 0
		.amdhsa_float_round_mode_16_64 0
		.amdhsa_float_denorm_mode_32 3
		.amdhsa_float_denorm_mode_16_64 3
		.amdhsa_dx10_clamp 1
		.amdhsa_ieee_mode 1
		.amdhsa_fp16_overflow 0
		.amdhsa_workgroup_processor_mode 1
		.amdhsa_memory_ordered 1
		.amdhsa_forward_progress 1
		.amdhsa_shared_vgpr_count 0
		.amdhsa_exception_fp_ieee_invalid_op 0
		.amdhsa_exception_fp_denorm_src 0
		.amdhsa_exception_fp_ieee_div_zero 0
		.amdhsa_exception_fp_ieee_overflow 0
		.amdhsa_exception_fp_ieee_underflow 0
		.amdhsa_exception_fp_ieee_inexact 0
		.amdhsa_exception_int_div_zero 0
	.end_amdhsa_kernel
	.section	.text._ZN7rocprim17ROCPRIM_400000_NS6detail17trampoline_kernelINS0_14default_configENS1_20scan_config_selectorIN3c104HalfEEEZZNS1_9scan_implILNS1_25lookback_scan_determinismE0ELb0ELb0ES3_PKS6_PS6_S6_ZZZN2at6native31launch_logcumsumexp_cuda_kernelERKNSD_10TensorBaseESH_lENKUlvE_clEvENKUlvE3_clEvEUlS6_S6_E_S6_EEDaPvRmT3_T4_T5_mT6_P12ihipStream_tbENKUlT_T0_E_clISt17integral_constantIbLb1EESX_IbLb0EEEEDaST_SU_EUlST_E0_NS1_11comp_targetILNS1_3genE8ELNS1_11target_archE1030ELNS1_3gpuE2ELNS1_3repE0EEENS1_30default_config_static_selectorELNS0_4arch9wavefront6targetE0EEEvT1_,"axG",@progbits,_ZN7rocprim17ROCPRIM_400000_NS6detail17trampoline_kernelINS0_14default_configENS1_20scan_config_selectorIN3c104HalfEEEZZNS1_9scan_implILNS1_25lookback_scan_determinismE0ELb0ELb0ES3_PKS6_PS6_S6_ZZZN2at6native31launch_logcumsumexp_cuda_kernelERKNSD_10TensorBaseESH_lENKUlvE_clEvENKUlvE3_clEvEUlS6_S6_E_S6_EEDaPvRmT3_T4_T5_mT6_P12ihipStream_tbENKUlT_T0_E_clISt17integral_constantIbLb1EESX_IbLb0EEEEDaST_SU_EUlST_E0_NS1_11comp_targetILNS1_3genE8ELNS1_11target_archE1030ELNS1_3gpuE2ELNS1_3repE0EEENS1_30default_config_static_selectorELNS0_4arch9wavefront6targetE0EEEvT1_,comdat
.Lfunc_end414:
	.size	_ZN7rocprim17ROCPRIM_400000_NS6detail17trampoline_kernelINS0_14default_configENS1_20scan_config_selectorIN3c104HalfEEEZZNS1_9scan_implILNS1_25lookback_scan_determinismE0ELb0ELb0ES3_PKS6_PS6_S6_ZZZN2at6native31launch_logcumsumexp_cuda_kernelERKNSD_10TensorBaseESH_lENKUlvE_clEvENKUlvE3_clEvEUlS6_S6_E_S6_EEDaPvRmT3_T4_T5_mT6_P12ihipStream_tbENKUlT_T0_E_clISt17integral_constantIbLb1EESX_IbLb0EEEEDaST_SU_EUlST_E0_NS1_11comp_targetILNS1_3genE8ELNS1_11target_archE1030ELNS1_3gpuE2ELNS1_3repE0EEENS1_30default_config_static_selectorELNS0_4arch9wavefront6targetE0EEEvT1_, .Lfunc_end414-_ZN7rocprim17ROCPRIM_400000_NS6detail17trampoline_kernelINS0_14default_configENS1_20scan_config_selectorIN3c104HalfEEEZZNS1_9scan_implILNS1_25lookback_scan_determinismE0ELb0ELb0ES3_PKS6_PS6_S6_ZZZN2at6native31launch_logcumsumexp_cuda_kernelERKNSD_10TensorBaseESH_lENKUlvE_clEvENKUlvE3_clEvEUlS6_S6_E_S6_EEDaPvRmT3_T4_T5_mT6_P12ihipStream_tbENKUlT_T0_E_clISt17integral_constantIbLb1EESX_IbLb0EEEEDaST_SU_EUlST_E0_NS1_11comp_targetILNS1_3genE8ELNS1_11target_archE1030ELNS1_3gpuE2ELNS1_3repE0EEENS1_30default_config_static_selectorELNS0_4arch9wavefront6targetE0EEEvT1_
                                        ; -- End function
	.set _ZN7rocprim17ROCPRIM_400000_NS6detail17trampoline_kernelINS0_14default_configENS1_20scan_config_selectorIN3c104HalfEEEZZNS1_9scan_implILNS1_25lookback_scan_determinismE0ELb0ELb0ES3_PKS6_PS6_S6_ZZZN2at6native31launch_logcumsumexp_cuda_kernelERKNSD_10TensorBaseESH_lENKUlvE_clEvENKUlvE3_clEvEUlS6_S6_E_S6_EEDaPvRmT3_T4_T5_mT6_P12ihipStream_tbENKUlT_T0_E_clISt17integral_constantIbLb1EESX_IbLb0EEEEDaST_SU_EUlST_E0_NS1_11comp_targetILNS1_3genE8ELNS1_11target_archE1030ELNS1_3gpuE2ELNS1_3repE0EEENS1_30default_config_static_selectorELNS0_4arch9wavefront6targetE0EEEvT1_.num_vgpr, 36
	.set _ZN7rocprim17ROCPRIM_400000_NS6detail17trampoline_kernelINS0_14default_configENS1_20scan_config_selectorIN3c104HalfEEEZZNS1_9scan_implILNS1_25lookback_scan_determinismE0ELb0ELb0ES3_PKS6_PS6_S6_ZZZN2at6native31launch_logcumsumexp_cuda_kernelERKNSD_10TensorBaseESH_lENKUlvE_clEvENKUlvE3_clEvEUlS6_S6_E_S6_EEDaPvRmT3_T4_T5_mT6_P12ihipStream_tbENKUlT_T0_E_clISt17integral_constantIbLb1EESX_IbLb0EEEEDaST_SU_EUlST_E0_NS1_11comp_targetILNS1_3genE8ELNS1_11target_archE1030ELNS1_3gpuE2ELNS1_3repE0EEENS1_30default_config_static_selectorELNS0_4arch9wavefront6targetE0EEEvT1_.num_agpr, 0
	.set _ZN7rocprim17ROCPRIM_400000_NS6detail17trampoline_kernelINS0_14default_configENS1_20scan_config_selectorIN3c104HalfEEEZZNS1_9scan_implILNS1_25lookback_scan_determinismE0ELb0ELb0ES3_PKS6_PS6_S6_ZZZN2at6native31launch_logcumsumexp_cuda_kernelERKNSD_10TensorBaseESH_lENKUlvE_clEvENKUlvE3_clEvEUlS6_S6_E_S6_EEDaPvRmT3_T4_T5_mT6_P12ihipStream_tbENKUlT_T0_E_clISt17integral_constantIbLb1EESX_IbLb0EEEEDaST_SU_EUlST_E0_NS1_11comp_targetILNS1_3genE8ELNS1_11target_archE1030ELNS1_3gpuE2ELNS1_3repE0EEENS1_30default_config_static_selectorELNS0_4arch9wavefront6targetE0EEEvT1_.numbered_sgpr, 30
	.set _ZN7rocprim17ROCPRIM_400000_NS6detail17trampoline_kernelINS0_14default_configENS1_20scan_config_selectorIN3c104HalfEEEZZNS1_9scan_implILNS1_25lookback_scan_determinismE0ELb0ELb0ES3_PKS6_PS6_S6_ZZZN2at6native31launch_logcumsumexp_cuda_kernelERKNSD_10TensorBaseESH_lENKUlvE_clEvENKUlvE3_clEvEUlS6_S6_E_S6_EEDaPvRmT3_T4_T5_mT6_P12ihipStream_tbENKUlT_T0_E_clISt17integral_constantIbLb1EESX_IbLb0EEEEDaST_SU_EUlST_E0_NS1_11comp_targetILNS1_3genE8ELNS1_11target_archE1030ELNS1_3gpuE2ELNS1_3repE0EEENS1_30default_config_static_selectorELNS0_4arch9wavefront6targetE0EEEvT1_.num_named_barrier, 0
	.set _ZN7rocprim17ROCPRIM_400000_NS6detail17trampoline_kernelINS0_14default_configENS1_20scan_config_selectorIN3c104HalfEEEZZNS1_9scan_implILNS1_25lookback_scan_determinismE0ELb0ELb0ES3_PKS6_PS6_S6_ZZZN2at6native31launch_logcumsumexp_cuda_kernelERKNSD_10TensorBaseESH_lENKUlvE_clEvENKUlvE3_clEvEUlS6_S6_E_S6_EEDaPvRmT3_T4_T5_mT6_P12ihipStream_tbENKUlT_T0_E_clISt17integral_constantIbLb1EESX_IbLb0EEEEDaST_SU_EUlST_E0_NS1_11comp_targetILNS1_3genE8ELNS1_11target_archE1030ELNS1_3gpuE2ELNS1_3repE0EEENS1_30default_config_static_selectorELNS0_4arch9wavefront6targetE0EEEvT1_.private_seg_size, 0
	.set _ZN7rocprim17ROCPRIM_400000_NS6detail17trampoline_kernelINS0_14default_configENS1_20scan_config_selectorIN3c104HalfEEEZZNS1_9scan_implILNS1_25lookback_scan_determinismE0ELb0ELb0ES3_PKS6_PS6_S6_ZZZN2at6native31launch_logcumsumexp_cuda_kernelERKNSD_10TensorBaseESH_lENKUlvE_clEvENKUlvE3_clEvEUlS6_S6_E_S6_EEDaPvRmT3_T4_T5_mT6_P12ihipStream_tbENKUlT_T0_E_clISt17integral_constantIbLb1EESX_IbLb0EEEEDaST_SU_EUlST_E0_NS1_11comp_targetILNS1_3genE8ELNS1_11target_archE1030ELNS1_3gpuE2ELNS1_3repE0EEENS1_30default_config_static_selectorELNS0_4arch9wavefront6targetE0EEEvT1_.uses_vcc, 1
	.set _ZN7rocprim17ROCPRIM_400000_NS6detail17trampoline_kernelINS0_14default_configENS1_20scan_config_selectorIN3c104HalfEEEZZNS1_9scan_implILNS1_25lookback_scan_determinismE0ELb0ELb0ES3_PKS6_PS6_S6_ZZZN2at6native31launch_logcumsumexp_cuda_kernelERKNSD_10TensorBaseESH_lENKUlvE_clEvENKUlvE3_clEvEUlS6_S6_E_S6_EEDaPvRmT3_T4_T5_mT6_P12ihipStream_tbENKUlT_T0_E_clISt17integral_constantIbLb1EESX_IbLb0EEEEDaST_SU_EUlST_E0_NS1_11comp_targetILNS1_3genE8ELNS1_11target_archE1030ELNS1_3gpuE2ELNS1_3repE0EEENS1_30default_config_static_selectorELNS0_4arch9wavefront6targetE0EEEvT1_.uses_flat_scratch, 0
	.set _ZN7rocprim17ROCPRIM_400000_NS6detail17trampoline_kernelINS0_14default_configENS1_20scan_config_selectorIN3c104HalfEEEZZNS1_9scan_implILNS1_25lookback_scan_determinismE0ELb0ELb0ES3_PKS6_PS6_S6_ZZZN2at6native31launch_logcumsumexp_cuda_kernelERKNSD_10TensorBaseESH_lENKUlvE_clEvENKUlvE3_clEvEUlS6_S6_E_S6_EEDaPvRmT3_T4_T5_mT6_P12ihipStream_tbENKUlT_T0_E_clISt17integral_constantIbLb1EESX_IbLb0EEEEDaST_SU_EUlST_E0_NS1_11comp_targetILNS1_3genE8ELNS1_11target_archE1030ELNS1_3gpuE2ELNS1_3repE0EEENS1_30default_config_static_selectorELNS0_4arch9wavefront6targetE0EEEvT1_.has_dyn_sized_stack, 0
	.set _ZN7rocprim17ROCPRIM_400000_NS6detail17trampoline_kernelINS0_14default_configENS1_20scan_config_selectorIN3c104HalfEEEZZNS1_9scan_implILNS1_25lookback_scan_determinismE0ELb0ELb0ES3_PKS6_PS6_S6_ZZZN2at6native31launch_logcumsumexp_cuda_kernelERKNSD_10TensorBaseESH_lENKUlvE_clEvENKUlvE3_clEvEUlS6_S6_E_S6_EEDaPvRmT3_T4_T5_mT6_P12ihipStream_tbENKUlT_T0_E_clISt17integral_constantIbLb1EESX_IbLb0EEEEDaST_SU_EUlST_E0_NS1_11comp_targetILNS1_3genE8ELNS1_11target_archE1030ELNS1_3gpuE2ELNS1_3repE0EEENS1_30default_config_static_selectorELNS0_4arch9wavefront6targetE0EEEvT1_.has_recursion, 0
	.set _ZN7rocprim17ROCPRIM_400000_NS6detail17trampoline_kernelINS0_14default_configENS1_20scan_config_selectorIN3c104HalfEEEZZNS1_9scan_implILNS1_25lookback_scan_determinismE0ELb0ELb0ES3_PKS6_PS6_S6_ZZZN2at6native31launch_logcumsumexp_cuda_kernelERKNSD_10TensorBaseESH_lENKUlvE_clEvENKUlvE3_clEvEUlS6_S6_E_S6_EEDaPvRmT3_T4_T5_mT6_P12ihipStream_tbENKUlT_T0_E_clISt17integral_constantIbLb1EESX_IbLb0EEEEDaST_SU_EUlST_E0_NS1_11comp_targetILNS1_3genE8ELNS1_11target_archE1030ELNS1_3gpuE2ELNS1_3repE0EEENS1_30default_config_static_selectorELNS0_4arch9wavefront6targetE0EEEvT1_.has_indirect_call, 0
	.section	.AMDGPU.csdata,"",@progbits
; Kernel info:
; codeLenInByte = 24888
; TotalNumSgprs: 32
; NumVgprs: 36
; ScratchSize: 0
; MemoryBound: 0
; FloatMode: 240
; IeeeMode: 1
; LDSByteSize: 1536 bytes/workgroup (compile time only)
; SGPRBlocks: 0
; VGPRBlocks: 4
; NumSGPRsForWavesPerEU: 32
; NumVGPRsForWavesPerEU: 36
; Occupancy: 16
; WaveLimiterHint : 0
; COMPUTE_PGM_RSRC2:SCRATCH_EN: 0
; COMPUTE_PGM_RSRC2:USER_SGPR: 6
; COMPUTE_PGM_RSRC2:TRAP_HANDLER: 0
; COMPUTE_PGM_RSRC2:TGID_X_EN: 1
; COMPUTE_PGM_RSRC2:TGID_Y_EN: 0
; COMPUTE_PGM_RSRC2:TGID_Z_EN: 0
; COMPUTE_PGM_RSRC2:TIDIG_COMP_CNT: 0
	.section	.text._ZN7rocprim17ROCPRIM_400000_NS6detail31init_lookback_scan_state_kernelINS1_19lookback_scan_stateIN3c104HalfELb0ELb1EEENS1_16block_id_wrapperIjLb1EEEEEvT_jT0_jPNS9_10value_typeE,"axG",@progbits,_ZN7rocprim17ROCPRIM_400000_NS6detail31init_lookback_scan_state_kernelINS1_19lookback_scan_stateIN3c104HalfELb0ELb1EEENS1_16block_id_wrapperIjLb1EEEEEvT_jT0_jPNS9_10value_typeE,comdat
	.protected	_ZN7rocprim17ROCPRIM_400000_NS6detail31init_lookback_scan_state_kernelINS1_19lookback_scan_stateIN3c104HalfELb0ELb1EEENS1_16block_id_wrapperIjLb1EEEEEvT_jT0_jPNS9_10value_typeE ; -- Begin function _ZN7rocprim17ROCPRIM_400000_NS6detail31init_lookback_scan_state_kernelINS1_19lookback_scan_stateIN3c104HalfELb0ELb1EEENS1_16block_id_wrapperIjLb1EEEEEvT_jT0_jPNS9_10value_typeE
	.globl	_ZN7rocprim17ROCPRIM_400000_NS6detail31init_lookback_scan_state_kernelINS1_19lookback_scan_stateIN3c104HalfELb0ELb1EEENS1_16block_id_wrapperIjLb1EEEEEvT_jT0_jPNS9_10value_typeE
	.p2align	8
	.type	_ZN7rocprim17ROCPRIM_400000_NS6detail31init_lookback_scan_state_kernelINS1_19lookback_scan_stateIN3c104HalfELb0ELb1EEENS1_16block_id_wrapperIjLb1EEEEEvT_jT0_jPNS9_10value_typeE,@function
_ZN7rocprim17ROCPRIM_400000_NS6detail31init_lookback_scan_state_kernelINS1_19lookback_scan_stateIN3c104HalfELb0ELb1EEENS1_16block_id_wrapperIjLb1EEEEEvT_jT0_jPNS9_10value_typeE: ; @_ZN7rocprim17ROCPRIM_400000_NS6detail31init_lookback_scan_state_kernelINS1_19lookback_scan_stateIN3c104HalfELb0ELb1EEENS1_16block_id_wrapperIjLb1EEEEEvT_jT0_jPNS9_10value_typeE
; %bb.0:
	s_clause 0x3
	s_load_dword s7, s[4:5], 0x34
	s_load_dwordx2 s[2:3], s[4:5], 0x20
	s_load_dwordx2 s[0:1], s[4:5], 0x0
	s_load_dword s8, s[4:5], 0x8
	s_waitcnt lgkmcnt(0)
	s_and_b32 s7, s7, 0xffff
	s_cmp_eq_u64 s[2:3], 0
	v_mad_u64_u32 v[0:1], null, s6, s7, v[0:1]
	s_cbranch_scc1 .LBB415_6
; %bb.1:
	s_load_dword s6, s[4:5], 0x18
	s_waitcnt lgkmcnt(0)
	s_cmp_lt_u32 s6, s8
	s_cselect_b32 s7, s6, 0
	v_cmp_eq_u32_e32 vcc_lo, s7, v0
	s_mov_b32 s7, 0
	s_and_saveexec_b32 s9, vcc_lo
	s_cbranch_execz .LBB415_5
; %bb.2:
	s_add_i32 s6, s6, 32
	v_mov_b32_e32 v2, 0
	s_lshl_b64 s[6:7], s[6:7], 2
	s_add_u32 s6, s0, s6
	s_addc_u32 s7, s1, s7
	global_load_dword v1, v2, s[6:7] glc dlc
	s_waitcnt vmcnt(0)
	v_and_b32_e32 v3, 0xff0000, v1
	v_cmp_ne_u32_e32 vcc_lo, 0, v3
	s_cbranch_vccnz .LBB415_4
.LBB415_3:                              ; =>This Inner Loop Header: Depth=1
	global_load_dword v1, v2, s[6:7] glc dlc
	s_waitcnt vmcnt(0)
	v_and_b32_e32 v3, 0xff0000, v1
	v_cmp_eq_u32_e32 vcc_lo, 0, v3
	s_cbranch_vccnz .LBB415_3
.LBB415_4:
	v_mov_b32_e32 v2, 0
	global_store_short v2, v1, s[2:3]
.LBB415_5:
	s_or_b32 exec_lo, exec_lo, s9
.LBB415_6:
	s_mov_b32 s2, exec_lo
	v_cmpx_eq_u32_e32 0, v0
	s_cbranch_execz .LBB415_8
; %bb.7:
	s_load_dwordx2 s[4:5], s[4:5], 0x10
	v_mov_b32_e32 v1, 0
	s_waitcnt lgkmcnt(0)
	global_store_dword v1, v1, s[4:5]
.LBB415_8:
	s_or_b32 exec_lo, exec_lo, s2
	s_mov_b32 s2, exec_lo
	v_cmpx_gt_u32_e64 s8, v0
	s_cbranch_execz .LBB415_10
; %bb.9:
	v_add_nc_u32_e32 v1, 32, v0
	v_mov_b32_e32 v2, 0
	v_lshlrev_b64 v[3:4], 2, v[1:2]
	v_add_co_u32 v3, vcc_lo, s0, v3
	v_add_co_ci_u32_e64 v4, null, s1, v4, vcc_lo
	global_store_dword v[3:4], v2, off
.LBB415_10:
	s_or_b32 exec_lo, exec_lo, s2
	s_mov_b32 s2, exec_lo
	v_cmpx_gt_u32_e32 32, v0
	s_cbranch_execz .LBB415_12
; %bb.11:
	v_mov_b32_e32 v1, 0
	v_mov_b32_e32 v2, 0xff0000
	v_lshlrev_b64 v[0:1], 2, v[0:1]
	v_add_co_u32 v0, vcc_lo, s0, v0
	v_add_co_ci_u32_e64 v1, null, s1, v1, vcc_lo
	global_store_dword v[0:1], v2, off
.LBB415_12:
	s_endpgm
	.section	.rodata,"a",@progbits
	.p2align	6, 0x0
	.amdhsa_kernel _ZN7rocprim17ROCPRIM_400000_NS6detail31init_lookback_scan_state_kernelINS1_19lookback_scan_stateIN3c104HalfELb0ELb1EEENS1_16block_id_wrapperIjLb1EEEEEvT_jT0_jPNS9_10value_typeE
		.amdhsa_group_segment_fixed_size 0
		.amdhsa_private_segment_fixed_size 0
		.amdhsa_kernarg_size 296
		.amdhsa_user_sgpr_count 6
		.amdhsa_user_sgpr_private_segment_buffer 1
		.amdhsa_user_sgpr_dispatch_ptr 0
		.amdhsa_user_sgpr_queue_ptr 0
		.amdhsa_user_sgpr_kernarg_segment_ptr 1
		.amdhsa_user_sgpr_dispatch_id 0
		.amdhsa_user_sgpr_flat_scratch_init 0
		.amdhsa_user_sgpr_private_segment_size 0
		.amdhsa_wavefront_size32 1
		.amdhsa_uses_dynamic_stack 0
		.amdhsa_system_sgpr_private_segment_wavefront_offset 0
		.amdhsa_system_sgpr_workgroup_id_x 1
		.amdhsa_system_sgpr_workgroup_id_y 0
		.amdhsa_system_sgpr_workgroup_id_z 0
		.amdhsa_system_sgpr_workgroup_info 0
		.amdhsa_system_vgpr_workitem_id 0
		.amdhsa_next_free_vgpr 5
		.amdhsa_next_free_sgpr 10
		.amdhsa_reserve_vcc 1
		.amdhsa_reserve_flat_scratch 0
		.amdhsa_float_round_mode_32 0
		.amdhsa_float_round_mode_16_64 0
		.amdhsa_float_denorm_mode_32 3
		.amdhsa_float_denorm_mode_16_64 3
		.amdhsa_dx10_clamp 1
		.amdhsa_ieee_mode 1
		.amdhsa_fp16_overflow 0
		.amdhsa_workgroup_processor_mode 1
		.amdhsa_memory_ordered 1
		.amdhsa_forward_progress 1
		.amdhsa_shared_vgpr_count 0
		.amdhsa_exception_fp_ieee_invalid_op 0
		.amdhsa_exception_fp_denorm_src 0
		.amdhsa_exception_fp_ieee_div_zero 0
		.amdhsa_exception_fp_ieee_overflow 0
		.amdhsa_exception_fp_ieee_underflow 0
		.amdhsa_exception_fp_ieee_inexact 0
		.amdhsa_exception_int_div_zero 0
	.end_amdhsa_kernel
	.section	.text._ZN7rocprim17ROCPRIM_400000_NS6detail31init_lookback_scan_state_kernelINS1_19lookback_scan_stateIN3c104HalfELb0ELb1EEENS1_16block_id_wrapperIjLb1EEEEEvT_jT0_jPNS9_10value_typeE,"axG",@progbits,_ZN7rocprim17ROCPRIM_400000_NS6detail31init_lookback_scan_state_kernelINS1_19lookback_scan_stateIN3c104HalfELb0ELb1EEENS1_16block_id_wrapperIjLb1EEEEEvT_jT0_jPNS9_10value_typeE,comdat
.Lfunc_end415:
	.size	_ZN7rocprim17ROCPRIM_400000_NS6detail31init_lookback_scan_state_kernelINS1_19lookback_scan_stateIN3c104HalfELb0ELb1EEENS1_16block_id_wrapperIjLb1EEEEEvT_jT0_jPNS9_10value_typeE, .Lfunc_end415-_ZN7rocprim17ROCPRIM_400000_NS6detail31init_lookback_scan_state_kernelINS1_19lookback_scan_stateIN3c104HalfELb0ELb1EEENS1_16block_id_wrapperIjLb1EEEEEvT_jT0_jPNS9_10value_typeE
                                        ; -- End function
	.set _ZN7rocprim17ROCPRIM_400000_NS6detail31init_lookback_scan_state_kernelINS1_19lookback_scan_stateIN3c104HalfELb0ELb1EEENS1_16block_id_wrapperIjLb1EEEEEvT_jT0_jPNS9_10value_typeE.num_vgpr, 5
	.set _ZN7rocprim17ROCPRIM_400000_NS6detail31init_lookback_scan_state_kernelINS1_19lookback_scan_stateIN3c104HalfELb0ELb1EEENS1_16block_id_wrapperIjLb1EEEEEvT_jT0_jPNS9_10value_typeE.num_agpr, 0
	.set _ZN7rocprim17ROCPRIM_400000_NS6detail31init_lookback_scan_state_kernelINS1_19lookback_scan_stateIN3c104HalfELb0ELb1EEENS1_16block_id_wrapperIjLb1EEEEEvT_jT0_jPNS9_10value_typeE.numbered_sgpr, 10
	.set _ZN7rocprim17ROCPRIM_400000_NS6detail31init_lookback_scan_state_kernelINS1_19lookback_scan_stateIN3c104HalfELb0ELb1EEENS1_16block_id_wrapperIjLb1EEEEEvT_jT0_jPNS9_10value_typeE.num_named_barrier, 0
	.set _ZN7rocprim17ROCPRIM_400000_NS6detail31init_lookback_scan_state_kernelINS1_19lookback_scan_stateIN3c104HalfELb0ELb1EEENS1_16block_id_wrapperIjLb1EEEEEvT_jT0_jPNS9_10value_typeE.private_seg_size, 0
	.set _ZN7rocprim17ROCPRIM_400000_NS6detail31init_lookback_scan_state_kernelINS1_19lookback_scan_stateIN3c104HalfELb0ELb1EEENS1_16block_id_wrapperIjLb1EEEEEvT_jT0_jPNS9_10value_typeE.uses_vcc, 1
	.set _ZN7rocprim17ROCPRIM_400000_NS6detail31init_lookback_scan_state_kernelINS1_19lookback_scan_stateIN3c104HalfELb0ELb1EEENS1_16block_id_wrapperIjLb1EEEEEvT_jT0_jPNS9_10value_typeE.uses_flat_scratch, 0
	.set _ZN7rocprim17ROCPRIM_400000_NS6detail31init_lookback_scan_state_kernelINS1_19lookback_scan_stateIN3c104HalfELb0ELb1EEENS1_16block_id_wrapperIjLb1EEEEEvT_jT0_jPNS9_10value_typeE.has_dyn_sized_stack, 0
	.set _ZN7rocprim17ROCPRIM_400000_NS6detail31init_lookback_scan_state_kernelINS1_19lookback_scan_stateIN3c104HalfELb0ELb1EEENS1_16block_id_wrapperIjLb1EEEEEvT_jT0_jPNS9_10value_typeE.has_recursion, 0
	.set _ZN7rocprim17ROCPRIM_400000_NS6detail31init_lookback_scan_state_kernelINS1_19lookback_scan_stateIN3c104HalfELb0ELb1EEENS1_16block_id_wrapperIjLb1EEEEEvT_jT0_jPNS9_10value_typeE.has_indirect_call, 0
	.section	.AMDGPU.csdata,"",@progbits
; Kernel info:
; codeLenInByte = 352
; TotalNumSgprs: 12
; NumVgprs: 5
; ScratchSize: 0
; MemoryBound: 0
; FloatMode: 240
; IeeeMode: 1
; LDSByteSize: 0 bytes/workgroup (compile time only)
; SGPRBlocks: 0
; VGPRBlocks: 0
; NumSGPRsForWavesPerEU: 12
; NumVGPRsForWavesPerEU: 5
; Occupancy: 16
; WaveLimiterHint : 0
; COMPUTE_PGM_RSRC2:SCRATCH_EN: 0
; COMPUTE_PGM_RSRC2:USER_SGPR: 6
; COMPUTE_PGM_RSRC2:TRAP_HANDLER: 0
; COMPUTE_PGM_RSRC2:TGID_X_EN: 1
; COMPUTE_PGM_RSRC2:TGID_Y_EN: 0
; COMPUTE_PGM_RSRC2:TGID_Z_EN: 0
; COMPUTE_PGM_RSRC2:TIDIG_COMP_CNT: 0
	.section	.text._ZN7rocprim17ROCPRIM_400000_NS6detail17trampoline_kernelINS0_14default_configENS1_20scan_config_selectorIN3c104HalfEEEZZNS1_9scan_implILNS1_25lookback_scan_determinismE0ELb0ELb0ES3_PKS6_PS6_S6_ZZZN2at6native31launch_logcumsumexp_cuda_kernelERKNSD_10TensorBaseESH_lENKUlvE_clEvENKUlvE3_clEvEUlS6_S6_E_S6_EEDaPvRmT3_T4_T5_mT6_P12ihipStream_tbENKUlT_T0_E_clISt17integral_constantIbLb0EESX_IbLb1EEEEDaST_SU_EUlST_E_NS1_11comp_targetILNS1_3genE0ELNS1_11target_archE4294967295ELNS1_3gpuE0ELNS1_3repE0EEENS1_30default_config_static_selectorELNS0_4arch9wavefront6targetE0EEEvT1_,"axG",@progbits,_ZN7rocprim17ROCPRIM_400000_NS6detail17trampoline_kernelINS0_14default_configENS1_20scan_config_selectorIN3c104HalfEEEZZNS1_9scan_implILNS1_25lookback_scan_determinismE0ELb0ELb0ES3_PKS6_PS6_S6_ZZZN2at6native31launch_logcumsumexp_cuda_kernelERKNSD_10TensorBaseESH_lENKUlvE_clEvENKUlvE3_clEvEUlS6_S6_E_S6_EEDaPvRmT3_T4_T5_mT6_P12ihipStream_tbENKUlT_T0_E_clISt17integral_constantIbLb0EESX_IbLb1EEEEDaST_SU_EUlST_E_NS1_11comp_targetILNS1_3genE0ELNS1_11target_archE4294967295ELNS1_3gpuE0ELNS1_3repE0EEENS1_30default_config_static_selectorELNS0_4arch9wavefront6targetE0EEEvT1_,comdat
	.globl	_ZN7rocprim17ROCPRIM_400000_NS6detail17trampoline_kernelINS0_14default_configENS1_20scan_config_selectorIN3c104HalfEEEZZNS1_9scan_implILNS1_25lookback_scan_determinismE0ELb0ELb0ES3_PKS6_PS6_S6_ZZZN2at6native31launch_logcumsumexp_cuda_kernelERKNSD_10TensorBaseESH_lENKUlvE_clEvENKUlvE3_clEvEUlS6_S6_E_S6_EEDaPvRmT3_T4_T5_mT6_P12ihipStream_tbENKUlT_T0_E_clISt17integral_constantIbLb0EESX_IbLb1EEEEDaST_SU_EUlST_E_NS1_11comp_targetILNS1_3genE0ELNS1_11target_archE4294967295ELNS1_3gpuE0ELNS1_3repE0EEENS1_30default_config_static_selectorELNS0_4arch9wavefront6targetE0EEEvT1_ ; -- Begin function _ZN7rocprim17ROCPRIM_400000_NS6detail17trampoline_kernelINS0_14default_configENS1_20scan_config_selectorIN3c104HalfEEEZZNS1_9scan_implILNS1_25lookback_scan_determinismE0ELb0ELb0ES3_PKS6_PS6_S6_ZZZN2at6native31launch_logcumsumexp_cuda_kernelERKNSD_10TensorBaseESH_lENKUlvE_clEvENKUlvE3_clEvEUlS6_S6_E_S6_EEDaPvRmT3_T4_T5_mT6_P12ihipStream_tbENKUlT_T0_E_clISt17integral_constantIbLb0EESX_IbLb1EEEEDaST_SU_EUlST_E_NS1_11comp_targetILNS1_3genE0ELNS1_11target_archE4294967295ELNS1_3gpuE0ELNS1_3repE0EEENS1_30default_config_static_selectorELNS0_4arch9wavefront6targetE0EEEvT1_
	.p2align	8
	.type	_ZN7rocprim17ROCPRIM_400000_NS6detail17trampoline_kernelINS0_14default_configENS1_20scan_config_selectorIN3c104HalfEEEZZNS1_9scan_implILNS1_25lookback_scan_determinismE0ELb0ELb0ES3_PKS6_PS6_S6_ZZZN2at6native31launch_logcumsumexp_cuda_kernelERKNSD_10TensorBaseESH_lENKUlvE_clEvENKUlvE3_clEvEUlS6_S6_E_S6_EEDaPvRmT3_T4_T5_mT6_P12ihipStream_tbENKUlT_T0_E_clISt17integral_constantIbLb0EESX_IbLb1EEEEDaST_SU_EUlST_E_NS1_11comp_targetILNS1_3genE0ELNS1_11target_archE4294967295ELNS1_3gpuE0ELNS1_3repE0EEENS1_30default_config_static_selectorELNS0_4arch9wavefront6targetE0EEEvT1_,@function
_ZN7rocprim17ROCPRIM_400000_NS6detail17trampoline_kernelINS0_14default_configENS1_20scan_config_selectorIN3c104HalfEEEZZNS1_9scan_implILNS1_25lookback_scan_determinismE0ELb0ELb0ES3_PKS6_PS6_S6_ZZZN2at6native31launch_logcumsumexp_cuda_kernelERKNSD_10TensorBaseESH_lENKUlvE_clEvENKUlvE3_clEvEUlS6_S6_E_S6_EEDaPvRmT3_T4_T5_mT6_P12ihipStream_tbENKUlT_T0_E_clISt17integral_constantIbLb0EESX_IbLb1EEEEDaST_SU_EUlST_E_NS1_11comp_targetILNS1_3genE0ELNS1_11target_archE4294967295ELNS1_3gpuE0ELNS1_3repE0EEENS1_30default_config_static_selectorELNS0_4arch9wavefront6targetE0EEEvT1_: ; @_ZN7rocprim17ROCPRIM_400000_NS6detail17trampoline_kernelINS0_14default_configENS1_20scan_config_selectorIN3c104HalfEEEZZNS1_9scan_implILNS1_25lookback_scan_determinismE0ELb0ELb0ES3_PKS6_PS6_S6_ZZZN2at6native31launch_logcumsumexp_cuda_kernelERKNSD_10TensorBaseESH_lENKUlvE_clEvENKUlvE3_clEvEUlS6_S6_E_S6_EEDaPvRmT3_T4_T5_mT6_P12ihipStream_tbENKUlT_T0_E_clISt17integral_constantIbLb0EESX_IbLb1EEEEDaST_SU_EUlST_E_NS1_11comp_targetILNS1_3genE0ELNS1_11target_archE4294967295ELNS1_3gpuE0ELNS1_3repE0EEENS1_30default_config_static_selectorELNS0_4arch9wavefront6targetE0EEEvT1_
; %bb.0:
	.section	.rodata,"a",@progbits
	.p2align	6, 0x0
	.amdhsa_kernel _ZN7rocprim17ROCPRIM_400000_NS6detail17trampoline_kernelINS0_14default_configENS1_20scan_config_selectorIN3c104HalfEEEZZNS1_9scan_implILNS1_25lookback_scan_determinismE0ELb0ELb0ES3_PKS6_PS6_S6_ZZZN2at6native31launch_logcumsumexp_cuda_kernelERKNSD_10TensorBaseESH_lENKUlvE_clEvENKUlvE3_clEvEUlS6_S6_E_S6_EEDaPvRmT3_T4_T5_mT6_P12ihipStream_tbENKUlT_T0_E_clISt17integral_constantIbLb0EESX_IbLb1EEEEDaST_SU_EUlST_E_NS1_11comp_targetILNS1_3genE0ELNS1_11target_archE4294967295ELNS1_3gpuE0ELNS1_3repE0EEENS1_30default_config_static_selectorELNS0_4arch9wavefront6targetE0EEEvT1_
		.amdhsa_group_segment_fixed_size 0
		.amdhsa_private_segment_fixed_size 0
		.amdhsa_kernarg_size 96
		.amdhsa_user_sgpr_count 6
		.amdhsa_user_sgpr_private_segment_buffer 1
		.amdhsa_user_sgpr_dispatch_ptr 0
		.amdhsa_user_sgpr_queue_ptr 0
		.amdhsa_user_sgpr_kernarg_segment_ptr 1
		.amdhsa_user_sgpr_dispatch_id 0
		.amdhsa_user_sgpr_flat_scratch_init 0
		.amdhsa_user_sgpr_private_segment_size 0
		.amdhsa_wavefront_size32 1
		.amdhsa_uses_dynamic_stack 0
		.amdhsa_system_sgpr_private_segment_wavefront_offset 0
		.amdhsa_system_sgpr_workgroup_id_x 1
		.amdhsa_system_sgpr_workgroup_id_y 0
		.amdhsa_system_sgpr_workgroup_id_z 0
		.amdhsa_system_sgpr_workgroup_info 0
		.amdhsa_system_vgpr_workitem_id 0
		.amdhsa_next_free_vgpr 1
		.amdhsa_next_free_sgpr 1
		.amdhsa_reserve_vcc 0
		.amdhsa_reserve_flat_scratch 0
		.amdhsa_float_round_mode_32 0
		.amdhsa_float_round_mode_16_64 0
		.amdhsa_float_denorm_mode_32 3
		.amdhsa_float_denorm_mode_16_64 3
		.amdhsa_dx10_clamp 1
		.amdhsa_ieee_mode 1
		.amdhsa_fp16_overflow 0
		.amdhsa_workgroup_processor_mode 1
		.amdhsa_memory_ordered 1
		.amdhsa_forward_progress 1
		.amdhsa_shared_vgpr_count 0
		.amdhsa_exception_fp_ieee_invalid_op 0
		.amdhsa_exception_fp_denorm_src 0
		.amdhsa_exception_fp_ieee_div_zero 0
		.amdhsa_exception_fp_ieee_overflow 0
		.amdhsa_exception_fp_ieee_underflow 0
		.amdhsa_exception_fp_ieee_inexact 0
		.amdhsa_exception_int_div_zero 0
	.end_amdhsa_kernel
	.section	.text._ZN7rocprim17ROCPRIM_400000_NS6detail17trampoline_kernelINS0_14default_configENS1_20scan_config_selectorIN3c104HalfEEEZZNS1_9scan_implILNS1_25lookback_scan_determinismE0ELb0ELb0ES3_PKS6_PS6_S6_ZZZN2at6native31launch_logcumsumexp_cuda_kernelERKNSD_10TensorBaseESH_lENKUlvE_clEvENKUlvE3_clEvEUlS6_S6_E_S6_EEDaPvRmT3_T4_T5_mT6_P12ihipStream_tbENKUlT_T0_E_clISt17integral_constantIbLb0EESX_IbLb1EEEEDaST_SU_EUlST_E_NS1_11comp_targetILNS1_3genE0ELNS1_11target_archE4294967295ELNS1_3gpuE0ELNS1_3repE0EEENS1_30default_config_static_selectorELNS0_4arch9wavefront6targetE0EEEvT1_,"axG",@progbits,_ZN7rocprim17ROCPRIM_400000_NS6detail17trampoline_kernelINS0_14default_configENS1_20scan_config_selectorIN3c104HalfEEEZZNS1_9scan_implILNS1_25lookback_scan_determinismE0ELb0ELb0ES3_PKS6_PS6_S6_ZZZN2at6native31launch_logcumsumexp_cuda_kernelERKNSD_10TensorBaseESH_lENKUlvE_clEvENKUlvE3_clEvEUlS6_S6_E_S6_EEDaPvRmT3_T4_T5_mT6_P12ihipStream_tbENKUlT_T0_E_clISt17integral_constantIbLb0EESX_IbLb1EEEEDaST_SU_EUlST_E_NS1_11comp_targetILNS1_3genE0ELNS1_11target_archE4294967295ELNS1_3gpuE0ELNS1_3repE0EEENS1_30default_config_static_selectorELNS0_4arch9wavefront6targetE0EEEvT1_,comdat
.Lfunc_end416:
	.size	_ZN7rocprim17ROCPRIM_400000_NS6detail17trampoline_kernelINS0_14default_configENS1_20scan_config_selectorIN3c104HalfEEEZZNS1_9scan_implILNS1_25lookback_scan_determinismE0ELb0ELb0ES3_PKS6_PS6_S6_ZZZN2at6native31launch_logcumsumexp_cuda_kernelERKNSD_10TensorBaseESH_lENKUlvE_clEvENKUlvE3_clEvEUlS6_S6_E_S6_EEDaPvRmT3_T4_T5_mT6_P12ihipStream_tbENKUlT_T0_E_clISt17integral_constantIbLb0EESX_IbLb1EEEEDaST_SU_EUlST_E_NS1_11comp_targetILNS1_3genE0ELNS1_11target_archE4294967295ELNS1_3gpuE0ELNS1_3repE0EEENS1_30default_config_static_selectorELNS0_4arch9wavefront6targetE0EEEvT1_, .Lfunc_end416-_ZN7rocprim17ROCPRIM_400000_NS6detail17trampoline_kernelINS0_14default_configENS1_20scan_config_selectorIN3c104HalfEEEZZNS1_9scan_implILNS1_25lookback_scan_determinismE0ELb0ELb0ES3_PKS6_PS6_S6_ZZZN2at6native31launch_logcumsumexp_cuda_kernelERKNSD_10TensorBaseESH_lENKUlvE_clEvENKUlvE3_clEvEUlS6_S6_E_S6_EEDaPvRmT3_T4_T5_mT6_P12ihipStream_tbENKUlT_T0_E_clISt17integral_constantIbLb0EESX_IbLb1EEEEDaST_SU_EUlST_E_NS1_11comp_targetILNS1_3genE0ELNS1_11target_archE4294967295ELNS1_3gpuE0ELNS1_3repE0EEENS1_30default_config_static_selectorELNS0_4arch9wavefront6targetE0EEEvT1_
                                        ; -- End function
	.set _ZN7rocprim17ROCPRIM_400000_NS6detail17trampoline_kernelINS0_14default_configENS1_20scan_config_selectorIN3c104HalfEEEZZNS1_9scan_implILNS1_25lookback_scan_determinismE0ELb0ELb0ES3_PKS6_PS6_S6_ZZZN2at6native31launch_logcumsumexp_cuda_kernelERKNSD_10TensorBaseESH_lENKUlvE_clEvENKUlvE3_clEvEUlS6_S6_E_S6_EEDaPvRmT3_T4_T5_mT6_P12ihipStream_tbENKUlT_T0_E_clISt17integral_constantIbLb0EESX_IbLb1EEEEDaST_SU_EUlST_E_NS1_11comp_targetILNS1_3genE0ELNS1_11target_archE4294967295ELNS1_3gpuE0ELNS1_3repE0EEENS1_30default_config_static_selectorELNS0_4arch9wavefront6targetE0EEEvT1_.num_vgpr, 0
	.set _ZN7rocprim17ROCPRIM_400000_NS6detail17trampoline_kernelINS0_14default_configENS1_20scan_config_selectorIN3c104HalfEEEZZNS1_9scan_implILNS1_25lookback_scan_determinismE0ELb0ELb0ES3_PKS6_PS6_S6_ZZZN2at6native31launch_logcumsumexp_cuda_kernelERKNSD_10TensorBaseESH_lENKUlvE_clEvENKUlvE3_clEvEUlS6_S6_E_S6_EEDaPvRmT3_T4_T5_mT6_P12ihipStream_tbENKUlT_T0_E_clISt17integral_constantIbLb0EESX_IbLb1EEEEDaST_SU_EUlST_E_NS1_11comp_targetILNS1_3genE0ELNS1_11target_archE4294967295ELNS1_3gpuE0ELNS1_3repE0EEENS1_30default_config_static_selectorELNS0_4arch9wavefront6targetE0EEEvT1_.num_agpr, 0
	.set _ZN7rocprim17ROCPRIM_400000_NS6detail17trampoline_kernelINS0_14default_configENS1_20scan_config_selectorIN3c104HalfEEEZZNS1_9scan_implILNS1_25lookback_scan_determinismE0ELb0ELb0ES3_PKS6_PS6_S6_ZZZN2at6native31launch_logcumsumexp_cuda_kernelERKNSD_10TensorBaseESH_lENKUlvE_clEvENKUlvE3_clEvEUlS6_S6_E_S6_EEDaPvRmT3_T4_T5_mT6_P12ihipStream_tbENKUlT_T0_E_clISt17integral_constantIbLb0EESX_IbLb1EEEEDaST_SU_EUlST_E_NS1_11comp_targetILNS1_3genE0ELNS1_11target_archE4294967295ELNS1_3gpuE0ELNS1_3repE0EEENS1_30default_config_static_selectorELNS0_4arch9wavefront6targetE0EEEvT1_.numbered_sgpr, 0
	.set _ZN7rocprim17ROCPRIM_400000_NS6detail17trampoline_kernelINS0_14default_configENS1_20scan_config_selectorIN3c104HalfEEEZZNS1_9scan_implILNS1_25lookback_scan_determinismE0ELb0ELb0ES3_PKS6_PS6_S6_ZZZN2at6native31launch_logcumsumexp_cuda_kernelERKNSD_10TensorBaseESH_lENKUlvE_clEvENKUlvE3_clEvEUlS6_S6_E_S6_EEDaPvRmT3_T4_T5_mT6_P12ihipStream_tbENKUlT_T0_E_clISt17integral_constantIbLb0EESX_IbLb1EEEEDaST_SU_EUlST_E_NS1_11comp_targetILNS1_3genE0ELNS1_11target_archE4294967295ELNS1_3gpuE0ELNS1_3repE0EEENS1_30default_config_static_selectorELNS0_4arch9wavefront6targetE0EEEvT1_.num_named_barrier, 0
	.set _ZN7rocprim17ROCPRIM_400000_NS6detail17trampoline_kernelINS0_14default_configENS1_20scan_config_selectorIN3c104HalfEEEZZNS1_9scan_implILNS1_25lookback_scan_determinismE0ELb0ELb0ES3_PKS6_PS6_S6_ZZZN2at6native31launch_logcumsumexp_cuda_kernelERKNSD_10TensorBaseESH_lENKUlvE_clEvENKUlvE3_clEvEUlS6_S6_E_S6_EEDaPvRmT3_T4_T5_mT6_P12ihipStream_tbENKUlT_T0_E_clISt17integral_constantIbLb0EESX_IbLb1EEEEDaST_SU_EUlST_E_NS1_11comp_targetILNS1_3genE0ELNS1_11target_archE4294967295ELNS1_3gpuE0ELNS1_3repE0EEENS1_30default_config_static_selectorELNS0_4arch9wavefront6targetE0EEEvT1_.private_seg_size, 0
	.set _ZN7rocprim17ROCPRIM_400000_NS6detail17trampoline_kernelINS0_14default_configENS1_20scan_config_selectorIN3c104HalfEEEZZNS1_9scan_implILNS1_25lookback_scan_determinismE0ELb0ELb0ES3_PKS6_PS6_S6_ZZZN2at6native31launch_logcumsumexp_cuda_kernelERKNSD_10TensorBaseESH_lENKUlvE_clEvENKUlvE3_clEvEUlS6_S6_E_S6_EEDaPvRmT3_T4_T5_mT6_P12ihipStream_tbENKUlT_T0_E_clISt17integral_constantIbLb0EESX_IbLb1EEEEDaST_SU_EUlST_E_NS1_11comp_targetILNS1_3genE0ELNS1_11target_archE4294967295ELNS1_3gpuE0ELNS1_3repE0EEENS1_30default_config_static_selectorELNS0_4arch9wavefront6targetE0EEEvT1_.uses_vcc, 0
	.set _ZN7rocprim17ROCPRIM_400000_NS6detail17trampoline_kernelINS0_14default_configENS1_20scan_config_selectorIN3c104HalfEEEZZNS1_9scan_implILNS1_25lookback_scan_determinismE0ELb0ELb0ES3_PKS6_PS6_S6_ZZZN2at6native31launch_logcumsumexp_cuda_kernelERKNSD_10TensorBaseESH_lENKUlvE_clEvENKUlvE3_clEvEUlS6_S6_E_S6_EEDaPvRmT3_T4_T5_mT6_P12ihipStream_tbENKUlT_T0_E_clISt17integral_constantIbLb0EESX_IbLb1EEEEDaST_SU_EUlST_E_NS1_11comp_targetILNS1_3genE0ELNS1_11target_archE4294967295ELNS1_3gpuE0ELNS1_3repE0EEENS1_30default_config_static_selectorELNS0_4arch9wavefront6targetE0EEEvT1_.uses_flat_scratch, 0
	.set _ZN7rocprim17ROCPRIM_400000_NS6detail17trampoline_kernelINS0_14default_configENS1_20scan_config_selectorIN3c104HalfEEEZZNS1_9scan_implILNS1_25lookback_scan_determinismE0ELb0ELb0ES3_PKS6_PS6_S6_ZZZN2at6native31launch_logcumsumexp_cuda_kernelERKNSD_10TensorBaseESH_lENKUlvE_clEvENKUlvE3_clEvEUlS6_S6_E_S6_EEDaPvRmT3_T4_T5_mT6_P12ihipStream_tbENKUlT_T0_E_clISt17integral_constantIbLb0EESX_IbLb1EEEEDaST_SU_EUlST_E_NS1_11comp_targetILNS1_3genE0ELNS1_11target_archE4294967295ELNS1_3gpuE0ELNS1_3repE0EEENS1_30default_config_static_selectorELNS0_4arch9wavefront6targetE0EEEvT1_.has_dyn_sized_stack, 0
	.set _ZN7rocprim17ROCPRIM_400000_NS6detail17trampoline_kernelINS0_14default_configENS1_20scan_config_selectorIN3c104HalfEEEZZNS1_9scan_implILNS1_25lookback_scan_determinismE0ELb0ELb0ES3_PKS6_PS6_S6_ZZZN2at6native31launch_logcumsumexp_cuda_kernelERKNSD_10TensorBaseESH_lENKUlvE_clEvENKUlvE3_clEvEUlS6_S6_E_S6_EEDaPvRmT3_T4_T5_mT6_P12ihipStream_tbENKUlT_T0_E_clISt17integral_constantIbLb0EESX_IbLb1EEEEDaST_SU_EUlST_E_NS1_11comp_targetILNS1_3genE0ELNS1_11target_archE4294967295ELNS1_3gpuE0ELNS1_3repE0EEENS1_30default_config_static_selectorELNS0_4arch9wavefront6targetE0EEEvT1_.has_recursion, 0
	.set _ZN7rocprim17ROCPRIM_400000_NS6detail17trampoline_kernelINS0_14default_configENS1_20scan_config_selectorIN3c104HalfEEEZZNS1_9scan_implILNS1_25lookback_scan_determinismE0ELb0ELb0ES3_PKS6_PS6_S6_ZZZN2at6native31launch_logcumsumexp_cuda_kernelERKNSD_10TensorBaseESH_lENKUlvE_clEvENKUlvE3_clEvEUlS6_S6_E_S6_EEDaPvRmT3_T4_T5_mT6_P12ihipStream_tbENKUlT_T0_E_clISt17integral_constantIbLb0EESX_IbLb1EEEEDaST_SU_EUlST_E_NS1_11comp_targetILNS1_3genE0ELNS1_11target_archE4294967295ELNS1_3gpuE0ELNS1_3repE0EEENS1_30default_config_static_selectorELNS0_4arch9wavefront6targetE0EEEvT1_.has_indirect_call, 0
	.section	.AMDGPU.csdata,"",@progbits
; Kernel info:
; codeLenInByte = 0
; TotalNumSgprs: 0
; NumVgprs: 0
; ScratchSize: 0
; MemoryBound: 0
; FloatMode: 240
; IeeeMode: 1
; LDSByteSize: 0 bytes/workgroup (compile time only)
; SGPRBlocks: 0
; VGPRBlocks: 0
; NumSGPRsForWavesPerEU: 1
; NumVGPRsForWavesPerEU: 1
; Occupancy: 16
; WaveLimiterHint : 0
; COMPUTE_PGM_RSRC2:SCRATCH_EN: 0
; COMPUTE_PGM_RSRC2:USER_SGPR: 6
; COMPUTE_PGM_RSRC2:TRAP_HANDLER: 0
; COMPUTE_PGM_RSRC2:TGID_X_EN: 1
; COMPUTE_PGM_RSRC2:TGID_Y_EN: 0
; COMPUTE_PGM_RSRC2:TGID_Z_EN: 0
; COMPUTE_PGM_RSRC2:TIDIG_COMP_CNT: 0
	.section	.text._ZN7rocprim17ROCPRIM_400000_NS6detail17trampoline_kernelINS0_14default_configENS1_20scan_config_selectorIN3c104HalfEEEZZNS1_9scan_implILNS1_25lookback_scan_determinismE0ELb0ELb0ES3_PKS6_PS6_S6_ZZZN2at6native31launch_logcumsumexp_cuda_kernelERKNSD_10TensorBaseESH_lENKUlvE_clEvENKUlvE3_clEvEUlS6_S6_E_S6_EEDaPvRmT3_T4_T5_mT6_P12ihipStream_tbENKUlT_T0_E_clISt17integral_constantIbLb0EESX_IbLb1EEEEDaST_SU_EUlST_E_NS1_11comp_targetILNS1_3genE5ELNS1_11target_archE942ELNS1_3gpuE9ELNS1_3repE0EEENS1_30default_config_static_selectorELNS0_4arch9wavefront6targetE0EEEvT1_,"axG",@progbits,_ZN7rocprim17ROCPRIM_400000_NS6detail17trampoline_kernelINS0_14default_configENS1_20scan_config_selectorIN3c104HalfEEEZZNS1_9scan_implILNS1_25lookback_scan_determinismE0ELb0ELb0ES3_PKS6_PS6_S6_ZZZN2at6native31launch_logcumsumexp_cuda_kernelERKNSD_10TensorBaseESH_lENKUlvE_clEvENKUlvE3_clEvEUlS6_S6_E_S6_EEDaPvRmT3_T4_T5_mT6_P12ihipStream_tbENKUlT_T0_E_clISt17integral_constantIbLb0EESX_IbLb1EEEEDaST_SU_EUlST_E_NS1_11comp_targetILNS1_3genE5ELNS1_11target_archE942ELNS1_3gpuE9ELNS1_3repE0EEENS1_30default_config_static_selectorELNS0_4arch9wavefront6targetE0EEEvT1_,comdat
	.globl	_ZN7rocprim17ROCPRIM_400000_NS6detail17trampoline_kernelINS0_14default_configENS1_20scan_config_selectorIN3c104HalfEEEZZNS1_9scan_implILNS1_25lookback_scan_determinismE0ELb0ELb0ES3_PKS6_PS6_S6_ZZZN2at6native31launch_logcumsumexp_cuda_kernelERKNSD_10TensorBaseESH_lENKUlvE_clEvENKUlvE3_clEvEUlS6_S6_E_S6_EEDaPvRmT3_T4_T5_mT6_P12ihipStream_tbENKUlT_T0_E_clISt17integral_constantIbLb0EESX_IbLb1EEEEDaST_SU_EUlST_E_NS1_11comp_targetILNS1_3genE5ELNS1_11target_archE942ELNS1_3gpuE9ELNS1_3repE0EEENS1_30default_config_static_selectorELNS0_4arch9wavefront6targetE0EEEvT1_ ; -- Begin function _ZN7rocprim17ROCPRIM_400000_NS6detail17trampoline_kernelINS0_14default_configENS1_20scan_config_selectorIN3c104HalfEEEZZNS1_9scan_implILNS1_25lookback_scan_determinismE0ELb0ELb0ES3_PKS6_PS6_S6_ZZZN2at6native31launch_logcumsumexp_cuda_kernelERKNSD_10TensorBaseESH_lENKUlvE_clEvENKUlvE3_clEvEUlS6_S6_E_S6_EEDaPvRmT3_T4_T5_mT6_P12ihipStream_tbENKUlT_T0_E_clISt17integral_constantIbLb0EESX_IbLb1EEEEDaST_SU_EUlST_E_NS1_11comp_targetILNS1_3genE5ELNS1_11target_archE942ELNS1_3gpuE9ELNS1_3repE0EEENS1_30default_config_static_selectorELNS0_4arch9wavefront6targetE0EEEvT1_
	.p2align	8
	.type	_ZN7rocprim17ROCPRIM_400000_NS6detail17trampoline_kernelINS0_14default_configENS1_20scan_config_selectorIN3c104HalfEEEZZNS1_9scan_implILNS1_25lookback_scan_determinismE0ELb0ELb0ES3_PKS6_PS6_S6_ZZZN2at6native31launch_logcumsumexp_cuda_kernelERKNSD_10TensorBaseESH_lENKUlvE_clEvENKUlvE3_clEvEUlS6_S6_E_S6_EEDaPvRmT3_T4_T5_mT6_P12ihipStream_tbENKUlT_T0_E_clISt17integral_constantIbLb0EESX_IbLb1EEEEDaST_SU_EUlST_E_NS1_11comp_targetILNS1_3genE5ELNS1_11target_archE942ELNS1_3gpuE9ELNS1_3repE0EEENS1_30default_config_static_selectorELNS0_4arch9wavefront6targetE0EEEvT1_,@function
_ZN7rocprim17ROCPRIM_400000_NS6detail17trampoline_kernelINS0_14default_configENS1_20scan_config_selectorIN3c104HalfEEEZZNS1_9scan_implILNS1_25lookback_scan_determinismE0ELb0ELb0ES3_PKS6_PS6_S6_ZZZN2at6native31launch_logcumsumexp_cuda_kernelERKNSD_10TensorBaseESH_lENKUlvE_clEvENKUlvE3_clEvEUlS6_S6_E_S6_EEDaPvRmT3_T4_T5_mT6_P12ihipStream_tbENKUlT_T0_E_clISt17integral_constantIbLb0EESX_IbLb1EEEEDaST_SU_EUlST_E_NS1_11comp_targetILNS1_3genE5ELNS1_11target_archE942ELNS1_3gpuE9ELNS1_3repE0EEENS1_30default_config_static_selectorELNS0_4arch9wavefront6targetE0EEEvT1_: ; @_ZN7rocprim17ROCPRIM_400000_NS6detail17trampoline_kernelINS0_14default_configENS1_20scan_config_selectorIN3c104HalfEEEZZNS1_9scan_implILNS1_25lookback_scan_determinismE0ELb0ELb0ES3_PKS6_PS6_S6_ZZZN2at6native31launch_logcumsumexp_cuda_kernelERKNSD_10TensorBaseESH_lENKUlvE_clEvENKUlvE3_clEvEUlS6_S6_E_S6_EEDaPvRmT3_T4_T5_mT6_P12ihipStream_tbENKUlT_T0_E_clISt17integral_constantIbLb0EESX_IbLb1EEEEDaST_SU_EUlST_E_NS1_11comp_targetILNS1_3genE5ELNS1_11target_archE942ELNS1_3gpuE9ELNS1_3repE0EEENS1_30default_config_static_selectorELNS0_4arch9wavefront6targetE0EEEvT1_
; %bb.0:
	.section	.rodata,"a",@progbits
	.p2align	6, 0x0
	.amdhsa_kernel _ZN7rocprim17ROCPRIM_400000_NS6detail17trampoline_kernelINS0_14default_configENS1_20scan_config_selectorIN3c104HalfEEEZZNS1_9scan_implILNS1_25lookback_scan_determinismE0ELb0ELb0ES3_PKS6_PS6_S6_ZZZN2at6native31launch_logcumsumexp_cuda_kernelERKNSD_10TensorBaseESH_lENKUlvE_clEvENKUlvE3_clEvEUlS6_S6_E_S6_EEDaPvRmT3_T4_T5_mT6_P12ihipStream_tbENKUlT_T0_E_clISt17integral_constantIbLb0EESX_IbLb1EEEEDaST_SU_EUlST_E_NS1_11comp_targetILNS1_3genE5ELNS1_11target_archE942ELNS1_3gpuE9ELNS1_3repE0EEENS1_30default_config_static_selectorELNS0_4arch9wavefront6targetE0EEEvT1_
		.amdhsa_group_segment_fixed_size 0
		.amdhsa_private_segment_fixed_size 0
		.amdhsa_kernarg_size 96
		.amdhsa_user_sgpr_count 6
		.amdhsa_user_sgpr_private_segment_buffer 1
		.amdhsa_user_sgpr_dispatch_ptr 0
		.amdhsa_user_sgpr_queue_ptr 0
		.amdhsa_user_sgpr_kernarg_segment_ptr 1
		.amdhsa_user_sgpr_dispatch_id 0
		.amdhsa_user_sgpr_flat_scratch_init 0
		.amdhsa_user_sgpr_private_segment_size 0
		.amdhsa_wavefront_size32 1
		.amdhsa_uses_dynamic_stack 0
		.amdhsa_system_sgpr_private_segment_wavefront_offset 0
		.amdhsa_system_sgpr_workgroup_id_x 1
		.amdhsa_system_sgpr_workgroup_id_y 0
		.amdhsa_system_sgpr_workgroup_id_z 0
		.amdhsa_system_sgpr_workgroup_info 0
		.amdhsa_system_vgpr_workitem_id 0
		.amdhsa_next_free_vgpr 1
		.amdhsa_next_free_sgpr 1
		.amdhsa_reserve_vcc 0
		.amdhsa_reserve_flat_scratch 0
		.amdhsa_float_round_mode_32 0
		.amdhsa_float_round_mode_16_64 0
		.amdhsa_float_denorm_mode_32 3
		.amdhsa_float_denorm_mode_16_64 3
		.amdhsa_dx10_clamp 1
		.amdhsa_ieee_mode 1
		.amdhsa_fp16_overflow 0
		.amdhsa_workgroup_processor_mode 1
		.amdhsa_memory_ordered 1
		.amdhsa_forward_progress 1
		.amdhsa_shared_vgpr_count 0
		.amdhsa_exception_fp_ieee_invalid_op 0
		.amdhsa_exception_fp_denorm_src 0
		.amdhsa_exception_fp_ieee_div_zero 0
		.amdhsa_exception_fp_ieee_overflow 0
		.amdhsa_exception_fp_ieee_underflow 0
		.amdhsa_exception_fp_ieee_inexact 0
		.amdhsa_exception_int_div_zero 0
	.end_amdhsa_kernel
	.section	.text._ZN7rocprim17ROCPRIM_400000_NS6detail17trampoline_kernelINS0_14default_configENS1_20scan_config_selectorIN3c104HalfEEEZZNS1_9scan_implILNS1_25lookback_scan_determinismE0ELb0ELb0ES3_PKS6_PS6_S6_ZZZN2at6native31launch_logcumsumexp_cuda_kernelERKNSD_10TensorBaseESH_lENKUlvE_clEvENKUlvE3_clEvEUlS6_S6_E_S6_EEDaPvRmT3_T4_T5_mT6_P12ihipStream_tbENKUlT_T0_E_clISt17integral_constantIbLb0EESX_IbLb1EEEEDaST_SU_EUlST_E_NS1_11comp_targetILNS1_3genE5ELNS1_11target_archE942ELNS1_3gpuE9ELNS1_3repE0EEENS1_30default_config_static_selectorELNS0_4arch9wavefront6targetE0EEEvT1_,"axG",@progbits,_ZN7rocprim17ROCPRIM_400000_NS6detail17trampoline_kernelINS0_14default_configENS1_20scan_config_selectorIN3c104HalfEEEZZNS1_9scan_implILNS1_25lookback_scan_determinismE0ELb0ELb0ES3_PKS6_PS6_S6_ZZZN2at6native31launch_logcumsumexp_cuda_kernelERKNSD_10TensorBaseESH_lENKUlvE_clEvENKUlvE3_clEvEUlS6_S6_E_S6_EEDaPvRmT3_T4_T5_mT6_P12ihipStream_tbENKUlT_T0_E_clISt17integral_constantIbLb0EESX_IbLb1EEEEDaST_SU_EUlST_E_NS1_11comp_targetILNS1_3genE5ELNS1_11target_archE942ELNS1_3gpuE9ELNS1_3repE0EEENS1_30default_config_static_selectorELNS0_4arch9wavefront6targetE0EEEvT1_,comdat
.Lfunc_end417:
	.size	_ZN7rocprim17ROCPRIM_400000_NS6detail17trampoline_kernelINS0_14default_configENS1_20scan_config_selectorIN3c104HalfEEEZZNS1_9scan_implILNS1_25lookback_scan_determinismE0ELb0ELb0ES3_PKS6_PS6_S6_ZZZN2at6native31launch_logcumsumexp_cuda_kernelERKNSD_10TensorBaseESH_lENKUlvE_clEvENKUlvE3_clEvEUlS6_S6_E_S6_EEDaPvRmT3_T4_T5_mT6_P12ihipStream_tbENKUlT_T0_E_clISt17integral_constantIbLb0EESX_IbLb1EEEEDaST_SU_EUlST_E_NS1_11comp_targetILNS1_3genE5ELNS1_11target_archE942ELNS1_3gpuE9ELNS1_3repE0EEENS1_30default_config_static_selectorELNS0_4arch9wavefront6targetE0EEEvT1_, .Lfunc_end417-_ZN7rocprim17ROCPRIM_400000_NS6detail17trampoline_kernelINS0_14default_configENS1_20scan_config_selectorIN3c104HalfEEEZZNS1_9scan_implILNS1_25lookback_scan_determinismE0ELb0ELb0ES3_PKS6_PS6_S6_ZZZN2at6native31launch_logcumsumexp_cuda_kernelERKNSD_10TensorBaseESH_lENKUlvE_clEvENKUlvE3_clEvEUlS6_S6_E_S6_EEDaPvRmT3_T4_T5_mT6_P12ihipStream_tbENKUlT_T0_E_clISt17integral_constantIbLb0EESX_IbLb1EEEEDaST_SU_EUlST_E_NS1_11comp_targetILNS1_3genE5ELNS1_11target_archE942ELNS1_3gpuE9ELNS1_3repE0EEENS1_30default_config_static_selectorELNS0_4arch9wavefront6targetE0EEEvT1_
                                        ; -- End function
	.set _ZN7rocprim17ROCPRIM_400000_NS6detail17trampoline_kernelINS0_14default_configENS1_20scan_config_selectorIN3c104HalfEEEZZNS1_9scan_implILNS1_25lookback_scan_determinismE0ELb0ELb0ES3_PKS6_PS6_S6_ZZZN2at6native31launch_logcumsumexp_cuda_kernelERKNSD_10TensorBaseESH_lENKUlvE_clEvENKUlvE3_clEvEUlS6_S6_E_S6_EEDaPvRmT3_T4_T5_mT6_P12ihipStream_tbENKUlT_T0_E_clISt17integral_constantIbLb0EESX_IbLb1EEEEDaST_SU_EUlST_E_NS1_11comp_targetILNS1_3genE5ELNS1_11target_archE942ELNS1_3gpuE9ELNS1_3repE0EEENS1_30default_config_static_selectorELNS0_4arch9wavefront6targetE0EEEvT1_.num_vgpr, 0
	.set _ZN7rocprim17ROCPRIM_400000_NS6detail17trampoline_kernelINS0_14default_configENS1_20scan_config_selectorIN3c104HalfEEEZZNS1_9scan_implILNS1_25lookback_scan_determinismE0ELb0ELb0ES3_PKS6_PS6_S6_ZZZN2at6native31launch_logcumsumexp_cuda_kernelERKNSD_10TensorBaseESH_lENKUlvE_clEvENKUlvE3_clEvEUlS6_S6_E_S6_EEDaPvRmT3_T4_T5_mT6_P12ihipStream_tbENKUlT_T0_E_clISt17integral_constantIbLb0EESX_IbLb1EEEEDaST_SU_EUlST_E_NS1_11comp_targetILNS1_3genE5ELNS1_11target_archE942ELNS1_3gpuE9ELNS1_3repE0EEENS1_30default_config_static_selectorELNS0_4arch9wavefront6targetE0EEEvT1_.num_agpr, 0
	.set _ZN7rocprim17ROCPRIM_400000_NS6detail17trampoline_kernelINS0_14default_configENS1_20scan_config_selectorIN3c104HalfEEEZZNS1_9scan_implILNS1_25lookback_scan_determinismE0ELb0ELb0ES3_PKS6_PS6_S6_ZZZN2at6native31launch_logcumsumexp_cuda_kernelERKNSD_10TensorBaseESH_lENKUlvE_clEvENKUlvE3_clEvEUlS6_S6_E_S6_EEDaPvRmT3_T4_T5_mT6_P12ihipStream_tbENKUlT_T0_E_clISt17integral_constantIbLb0EESX_IbLb1EEEEDaST_SU_EUlST_E_NS1_11comp_targetILNS1_3genE5ELNS1_11target_archE942ELNS1_3gpuE9ELNS1_3repE0EEENS1_30default_config_static_selectorELNS0_4arch9wavefront6targetE0EEEvT1_.numbered_sgpr, 0
	.set _ZN7rocprim17ROCPRIM_400000_NS6detail17trampoline_kernelINS0_14default_configENS1_20scan_config_selectorIN3c104HalfEEEZZNS1_9scan_implILNS1_25lookback_scan_determinismE0ELb0ELb0ES3_PKS6_PS6_S6_ZZZN2at6native31launch_logcumsumexp_cuda_kernelERKNSD_10TensorBaseESH_lENKUlvE_clEvENKUlvE3_clEvEUlS6_S6_E_S6_EEDaPvRmT3_T4_T5_mT6_P12ihipStream_tbENKUlT_T0_E_clISt17integral_constantIbLb0EESX_IbLb1EEEEDaST_SU_EUlST_E_NS1_11comp_targetILNS1_3genE5ELNS1_11target_archE942ELNS1_3gpuE9ELNS1_3repE0EEENS1_30default_config_static_selectorELNS0_4arch9wavefront6targetE0EEEvT1_.num_named_barrier, 0
	.set _ZN7rocprim17ROCPRIM_400000_NS6detail17trampoline_kernelINS0_14default_configENS1_20scan_config_selectorIN3c104HalfEEEZZNS1_9scan_implILNS1_25lookback_scan_determinismE0ELb0ELb0ES3_PKS6_PS6_S6_ZZZN2at6native31launch_logcumsumexp_cuda_kernelERKNSD_10TensorBaseESH_lENKUlvE_clEvENKUlvE3_clEvEUlS6_S6_E_S6_EEDaPvRmT3_T4_T5_mT6_P12ihipStream_tbENKUlT_T0_E_clISt17integral_constantIbLb0EESX_IbLb1EEEEDaST_SU_EUlST_E_NS1_11comp_targetILNS1_3genE5ELNS1_11target_archE942ELNS1_3gpuE9ELNS1_3repE0EEENS1_30default_config_static_selectorELNS0_4arch9wavefront6targetE0EEEvT1_.private_seg_size, 0
	.set _ZN7rocprim17ROCPRIM_400000_NS6detail17trampoline_kernelINS0_14default_configENS1_20scan_config_selectorIN3c104HalfEEEZZNS1_9scan_implILNS1_25lookback_scan_determinismE0ELb0ELb0ES3_PKS6_PS6_S6_ZZZN2at6native31launch_logcumsumexp_cuda_kernelERKNSD_10TensorBaseESH_lENKUlvE_clEvENKUlvE3_clEvEUlS6_S6_E_S6_EEDaPvRmT3_T4_T5_mT6_P12ihipStream_tbENKUlT_T0_E_clISt17integral_constantIbLb0EESX_IbLb1EEEEDaST_SU_EUlST_E_NS1_11comp_targetILNS1_3genE5ELNS1_11target_archE942ELNS1_3gpuE9ELNS1_3repE0EEENS1_30default_config_static_selectorELNS0_4arch9wavefront6targetE0EEEvT1_.uses_vcc, 0
	.set _ZN7rocprim17ROCPRIM_400000_NS6detail17trampoline_kernelINS0_14default_configENS1_20scan_config_selectorIN3c104HalfEEEZZNS1_9scan_implILNS1_25lookback_scan_determinismE0ELb0ELb0ES3_PKS6_PS6_S6_ZZZN2at6native31launch_logcumsumexp_cuda_kernelERKNSD_10TensorBaseESH_lENKUlvE_clEvENKUlvE3_clEvEUlS6_S6_E_S6_EEDaPvRmT3_T4_T5_mT6_P12ihipStream_tbENKUlT_T0_E_clISt17integral_constantIbLb0EESX_IbLb1EEEEDaST_SU_EUlST_E_NS1_11comp_targetILNS1_3genE5ELNS1_11target_archE942ELNS1_3gpuE9ELNS1_3repE0EEENS1_30default_config_static_selectorELNS0_4arch9wavefront6targetE0EEEvT1_.uses_flat_scratch, 0
	.set _ZN7rocprim17ROCPRIM_400000_NS6detail17trampoline_kernelINS0_14default_configENS1_20scan_config_selectorIN3c104HalfEEEZZNS1_9scan_implILNS1_25lookback_scan_determinismE0ELb0ELb0ES3_PKS6_PS6_S6_ZZZN2at6native31launch_logcumsumexp_cuda_kernelERKNSD_10TensorBaseESH_lENKUlvE_clEvENKUlvE3_clEvEUlS6_S6_E_S6_EEDaPvRmT3_T4_T5_mT6_P12ihipStream_tbENKUlT_T0_E_clISt17integral_constantIbLb0EESX_IbLb1EEEEDaST_SU_EUlST_E_NS1_11comp_targetILNS1_3genE5ELNS1_11target_archE942ELNS1_3gpuE9ELNS1_3repE0EEENS1_30default_config_static_selectorELNS0_4arch9wavefront6targetE0EEEvT1_.has_dyn_sized_stack, 0
	.set _ZN7rocprim17ROCPRIM_400000_NS6detail17trampoline_kernelINS0_14default_configENS1_20scan_config_selectorIN3c104HalfEEEZZNS1_9scan_implILNS1_25lookback_scan_determinismE0ELb0ELb0ES3_PKS6_PS6_S6_ZZZN2at6native31launch_logcumsumexp_cuda_kernelERKNSD_10TensorBaseESH_lENKUlvE_clEvENKUlvE3_clEvEUlS6_S6_E_S6_EEDaPvRmT3_T4_T5_mT6_P12ihipStream_tbENKUlT_T0_E_clISt17integral_constantIbLb0EESX_IbLb1EEEEDaST_SU_EUlST_E_NS1_11comp_targetILNS1_3genE5ELNS1_11target_archE942ELNS1_3gpuE9ELNS1_3repE0EEENS1_30default_config_static_selectorELNS0_4arch9wavefront6targetE0EEEvT1_.has_recursion, 0
	.set _ZN7rocprim17ROCPRIM_400000_NS6detail17trampoline_kernelINS0_14default_configENS1_20scan_config_selectorIN3c104HalfEEEZZNS1_9scan_implILNS1_25lookback_scan_determinismE0ELb0ELb0ES3_PKS6_PS6_S6_ZZZN2at6native31launch_logcumsumexp_cuda_kernelERKNSD_10TensorBaseESH_lENKUlvE_clEvENKUlvE3_clEvEUlS6_S6_E_S6_EEDaPvRmT3_T4_T5_mT6_P12ihipStream_tbENKUlT_T0_E_clISt17integral_constantIbLb0EESX_IbLb1EEEEDaST_SU_EUlST_E_NS1_11comp_targetILNS1_3genE5ELNS1_11target_archE942ELNS1_3gpuE9ELNS1_3repE0EEENS1_30default_config_static_selectorELNS0_4arch9wavefront6targetE0EEEvT1_.has_indirect_call, 0
	.section	.AMDGPU.csdata,"",@progbits
; Kernel info:
; codeLenInByte = 0
; TotalNumSgprs: 0
; NumVgprs: 0
; ScratchSize: 0
; MemoryBound: 0
; FloatMode: 240
; IeeeMode: 1
; LDSByteSize: 0 bytes/workgroup (compile time only)
; SGPRBlocks: 0
; VGPRBlocks: 0
; NumSGPRsForWavesPerEU: 1
; NumVGPRsForWavesPerEU: 1
; Occupancy: 16
; WaveLimiterHint : 0
; COMPUTE_PGM_RSRC2:SCRATCH_EN: 0
; COMPUTE_PGM_RSRC2:USER_SGPR: 6
; COMPUTE_PGM_RSRC2:TRAP_HANDLER: 0
; COMPUTE_PGM_RSRC2:TGID_X_EN: 1
; COMPUTE_PGM_RSRC2:TGID_Y_EN: 0
; COMPUTE_PGM_RSRC2:TGID_Z_EN: 0
; COMPUTE_PGM_RSRC2:TIDIG_COMP_CNT: 0
	.section	.text._ZN7rocprim17ROCPRIM_400000_NS6detail17trampoline_kernelINS0_14default_configENS1_20scan_config_selectorIN3c104HalfEEEZZNS1_9scan_implILNS1_25lookback_scan_determinismE0ELb0ELb0ES3_PKS6_PS6_S6_ZZZN2at6native31launch_logcumsumexp_cuda_kernelERKNSD_10TensorBaseESH_lENKUlvE_clEvENKUlvE3_clEvEUlS6_S6_E_S6_EEDaPvRmT3_T4_T5_mT6_P12ihipStream_tbENKUlT_T0_E_clISt17integral_constantIbLb0EESX_IbLb1EEEEDaST_SU_EUlST_E_NS1_11comp_targetILNS1_3genE4ELNS1_11target_archE910ELNS1_3gpuE8ELNS1_3repE0EEENS1_30default_config_static_selectorELNS0_4arch9wavefront6targetE0EEEvT1_,"axG",@progbits,_ZN7rocprim17ROCPRIM_400000_NS6detail17trampoline_kernelINS0_14default_configENS1_20scan_config_selectorIN3c104HalfEEEZZNS1_9scan_implILNS1_25lookback_scan_determinismE0ELb0ELb0ES3_PKS6_PS6_S6_ZZZN2at6native31launch_logcumsumexp_cuda_kernelERKNSD_10TensorBaseESH_lENKUlvE_clEvENKUlvE3_clEvEUlS6_S6_E_S6_EEDaPvRmT3_T4_T5_mT6_P12ihipStream_tbENKUlT_T0_E_clISt17integral_constantIbLb0EESX_IbLb1EEEEDaST_SU_EUlST_E_NS1_11comp_targetILNS1_3genE4ELNS1_11target_archE910ELNS1_3gpuE8ELNS1_3repE0EEENS1_30default_config_static_selectorELNS0_4arch9wavefront6targetE0EEEvT1_,comdat
	.globl	_ZN7rocprim17ROCPRIM_400000_NS6detail17trampoline_kernelINS0_14default_configENS1_20scan_config_selectorIN3c104HalfEEEZZNS1_9scan_implILNS1_25lookback_scan_determinismE0ELb0ELb0ES3_PKS6_PS6_S6_ZZZN2at6native31launch_logcumsumexp_cuda_kernelERKNSD_10TensorBaseESH_lENKUlvE_clEvENKUlvE3_clEvEUlS6_S6_E_S6_EEDaPvRmT3_T4_T5_mT6_P12ihipStream_tbENKUlT_T0_E_clISt17integral_constantIbLb0EESX_IbLb1EEEEDaST_SU_EUlST_E_NS1_11comp_targetILNS1_3genE4ELNS1_11target_archE910ELNS1_3gpuE8ELNS1_3repE0EEENS1_30default_config_static_selectorELNS0_4arch9wavefront6targetE0EEEvT1_ ; -- Begin function _ZN7rocprim17ROCPRIM_400000_NS6detail17trampoline_kernelINS0_14default_configENS1_20scan_config_selectorIN3c104HalfEEEZZNS1_9scan_implILNS1_25lookback_scan_determinismE0ELb0ELb0ES3_PKS6_PS6_S6_ZZZN2at6native31launch_logcumsumexp_cuda_kernelERKNSD_10TensorBaseESH_lENKUlvE_clEvENKUlvE3_clEvEUlS6_S6_E_S6_EEDaPvRmT3_T4_T5_mT6_P12ihipStream_tbENKUlT_T0_E_clISt17integral_constantIbLb0EESX_IbLb1EEEEDaST_SU_EUlST_E_NS1_11comp_targetILNS1_3genE4ELNS1_11target_archE910ELNS1_3gpuE8ELNS1_3repE0EEENS1_30default_config_static_selectorELNS0_4arch9wavefront6targetE0EEEvT1_
	.p2align	8
	.type	_ZN7rocprim17ROCPRIM_400000_NS6detail17trampoline_kernelINS0_14default_configENS1_20scan_config_selectorIN3c104HalfEEEZZNS1_9scan_implILNS1_25lookback_scan_determinismE0ELb0ELb0ES3_PKS6_PS6_S6_ZZZN2at6native31launch_logcumsumexp_cuda_kernelERKNSD_10TensorBaseESH_lENKUlvE_clEvENKUlvE3_clEvEUlS6_S6_E_S6_EEDaPvRmT3_T4_T5_mT6_P12ihipStream_tbENKUlT_T0_E_clISt17integral_constantIbLb0EESX_IbLb1EEEEDaST_SU_EUlST_E_NS1_11comp_targetILNS1_3genE4ELNS1_11target_archE910ELNS1_3gpuE8ELNS1_3repE0EEENS1_30default_config_static_selectorELNS0_4arch9wavefront6targetE0EEEvT1_,@function
_ZN7rocprim17ROCPRIM_400000_NS6detail17trampoline_kernelINS0_14default_configENS1_20scan_config_selectorIN3c104HalfEEEZZNS1_9scan_implILNS1_25lookback_scan_determinismE0ELb0ELb0ES3_PKS6_PS6_S6_ZZZN2at6native31launch_logcumsumexp_cuda_kernelERKNSD_10TensorBaseESH_lENKUlvE_clEvENKUlvE3_clEvEUlS6_S6_E_S6_EEDaPvRmT3_T4_T5_mT6_P12ihipStream_tbENKUlT_T0_E_clISt17integral_constantIbLb0EESX_IbLb1EEEEDaST_SU_EUlST_E_NS1_11comp_targetILNS1_3genE4ELNS1_11target_archE910ELNS1_3gpuE8ELNS1_3repE0EEENS1_30default_config_static_selectorELNS0_4arch9wavefront6targetE0EEEvT1_: ; @_ZN7rocprim17ROCPRIM_400000_NS6detail17trampoline_kernelINS0_14default_configENS1_20scan_config_selectorIN3c104HalfEEEZZNS1_9scan_implILNS1_25lookback_scan_determinismE0ELb0ELb0ES3_PKS6_PS6_S6_ZZZN2at6native31launch_logcumsumexp_cuda_kernelERKNSD_10TensorBaseESH_lENKUlvE_clEvENKUlvE3_clEvEUlS6_S6_E_S6_EEDaPvRmT3_T4_T5_mT6_P12ihipStream_tbENKUlT_T0_E_clISt17integral_constantIbLb0EESX_IbLb1EEEEDaST_SU_EUlST_E_NS1_11comp_targetILNS1_3genE4ELNS1_11target_archE910ELNS1_3gpuE8ELNS1_3repE0EEENS1_30default_config_static_selectorELNS0_4arch9wavefront6targetE0EEEvT1_
; %bb.0:
	.section	.rodata,"a",@progbits
	.p2align	6, 0x0
	.amdhsa_kernel _ZN7rocprim17ROCPRIM_400000_NS6detail17trampoline_kernelINS0_14default_configENS1_20scan_config_selectorIN3c104HalfEEEZZNS1_9scan_implILNS1_25lookback_scan_determinismE0ELb0ELb0ES3_PKS6_PS6_S6_ZZZN2at6native31launch_logcumsumexp_cuda_kernelERKNSD_10TensorBaseESH_lENKUlvE_clEvENKUlvE3_clEvEUlS6_S6_E_S6_EEDaPvRmT3_T4_T5_mT6_P12ihipStream_tbENKUlT_T0_E_clISt17integral_constantIbLb0EESX_IbLb1EEEEDaST_SU_EUlST_E_NS1_11comp_targetILNS1_3genE4ELNS1_11target_archE910ELNS1_3gpuE8ELNS1_3repE0EEENS1_30default_config_static_selectorELNS0_4arch9wavefront6targetE0EEEvT1_
		.amdhsa_group_segment_fixed_size 0
		.amdhsa_private_segment_fixed_size 0
		.amdhsa_kernarg_size 96
		.amdhsa_user_sgpr_count 6
		.amdhsa_user_sgpr_private_segment_buffer 1
		.amdhsa_user_sgpr_dispatch_ptr 0
		.amdhsa_user_sgpr_queue_ptr 0
		.amdhsa_user_sgpr_kernarg_segment_ptr 1
		.amdhsa_user_sgpr_dispatch_id 0
		.amdhsa_user_sgpr_flat_scratch_init 0
		.amdhsa_user_sgpr_private_segment_size 0
		.amdhsa_wavefront_size32 1
		.amdhsa_uses_dynamic_stack 0
		.amdhsa_system_sgpr_private_segment_wavefront_offset 0
		.amdhsa_system_sgpr_workgroup_id_x 1
		.amdhsa_system_sgpr_workgroup_id_y 0
		.amdhsa_system_sgpr_workgroup_id_z 0
		.amdhsa_system_sgpr_workgroup_info 0
		.amdhsa_system_vgpr_workitem_id 0
		.amdhsa_next_free_vgpr 1
		.amdhsa_next_free_sgpr 1
		.amdhsa_reserve_vcc 0
		.amdhsa_reserve_flat_scratch 0
		.amdhsa_float_round_mode_32 0
		.amdhsa_float_round_mode_16_64 0
		.amdhsa_float_denorm_mode_32 3
		.amdhsa_float_denorm_mode_16_64 3
		.amdhsa_dx10_clamp 1
		.amdhsa_ieee_mode 1
		.amdhsa_fp16_overflow 0
		.amdhsa_workgroup_processor_mode 1
		.amdhsa_memory_ordered 1
		.amdhsa_forward_progress 1
		.amdhsa_shared_vgpr_count 0
		.amdhsa_exception_fp_ieee_invalid_op 0
		.amdhsa_exception_fp_denorm_src 0
		.amdhsa_exception_fp_ieee_div_zero 0
		.amdhsa_exception_fp_ieee_overflow 0
		.amdhsa_exception_fp_ieee_underflow 0
		.amdhsa_exception_fp_ieee_inexact 0
		.amdhsa_exception_int_div_zero 0
	.end_amdhsa_kernel
	.section	.text._ZN7rocprim17ROCPRIM_400000_NS6detail17trampoline_kernelINS0_14default_configENS1_20scan_config_selectorIN3c104HalfEEEZZNS1_9scan_implILNS1_25lookback_scan_determinismE0ELb0ELb0ES3_PKS6_PS6_S6_ZZZN2at6native31launch_logcumsumexp_cuda_kernelERKNSD_10TensorBaseESH_lENKUlvE_clEvENKUlvE3_clEvEUlS6_S6_E_S6_EEDaPvRmT3_T4_T5_mT6_P12ihipStream_tbENKUlT_T0_E_clISt17integral_constantIbLb0EESX_IbLb1EEEEDaST_SU_EUlST_E_NS1_11comp_targetILNS1_3genE4ELNS1_11target_archE910ELNS1_3gpuE8ELNS1_3repE0EEENS1_30default_config_static_selectorELNS0_4arch9wavefront6targetE0EEEvT1_,"axG",@progbits,_ZN7rocprim17ROCPRIM_400000_NS6detail17trampoline_kernelINS0_14default_configENS1_20scan_config_selectorIN3c104HalfEEEZZNS1_9scan_implILNS1_25lookback_scan_determinismE0ELb0ELb0ES3_PKS6_PS6_S6_ZZZN2at6native31launch_logcumsumexp_cuda_kernelERKNSD_10TensorBaseESH_lENKUlvE_clEvENKUlvE3_clEvEUlS6_S6_E_S6_EEDaPvRmT3_T4_T5_mT6_P12ihipStream_tbENKUlT_T0_E_clISt17integral_constantIbLb0EESX_IbLb1EEEEDaST_SU_EUlST_E_NS1_11comp_targetILNS1_3genE4ELNS1_11target_archE910ELNS1_3gpuE8ELNS1_3repE0EEENS1_30default_config_static_selectorELNS0_4arch9wavefront6targetE0EEEvT1_,comdat
.Lfunc_end418:
	.size	_ZN7rocprim17ROCPRIM_400000_NS6detail17trampoline_kernelINS0_14default_configENS1_20scan_config_selectorIN3c104HalfEEEZZNS1_9scan_implILNS1_25lookback_scan_determinismE0ELb0ELb0ES3_PKS6_PS6_S6_ZZZN2at6native31launch_logcumsumexp_cuda_kernelERKNSD_10TensorBaseESH_lENKUlvE_clEvENKUlvE3_clEvEUlS6_S6_E_S6_EEDaPvRmT3_T4_T5_mT6_P12ihipStream_tbENKUlT_T0_E_clISt17integral_constantIbLb0EESX_IbLb1EEEEDaST_SU_EUlST_E_NS1_11comp_targetILNS1_3genE4ELNS1_11target_archE910ELNS1_3gpuE8ELNS1_3repE0EEENS1_30default_config_static_selectorELNS0_4arch9wavefront6targetE0EEEvT1_, .Lfunc_end418-_ZN7rocprim17ROCPRIM_400000_NS6detail17trampoline_kernelINS0_14default_configENS1_20scan_config_selectorIN3c104HalfEEEZZNS1_9scan_implILNS1_25lookback_scan_determinismE0ELb0ELb0ES3_PKS6_PS6_S6_ZZZN2at6native31launch_logcumsumexp_cuda_kernelERKNSD_10TensorBaseESH_lENKUlvE_clEvENKUlvE3_clEvEUlS6_S6_E_S6_EEDaPvRmT3_T4_T5_mT6_P12ihipStream_tbENKUlT_T0_E_clISt17integral_constantIbLb0EESX_IbLb1EEEEDaST_SU_EUlST_E_NS1_11comp_targetILNS1_3genE4ELNS1_11target_archE910ELNS1_3gpuE8ELNS1_3repE0EEENS1_30default_config_static_selectorELNS0_4arch9wavefront6targetE0EEEvT1_
                                        ; -- End function
	.set _ZN7rocprim17ROCPRIM_400000_NS6detail17trampoline_kernelINS0_14default_configENS1_20scan_config_selectorIN3c104HalfEEEZZNS1_9scan_implILNS1_25lookback_scan_determinismE0ELb0ELb0ES3_PKS6_PS6_S6_ZZZN2at6native31launch_logcumsumexp_cuda_kernelERKNSD_10TensorBaseESH_lENKUlvE_clEvENKUlvE3_clEvEUlS6_S6_E_S6_EEDaPvRmT3_T4_T5_mT6_P12ihipStream_tbENKUlT_T0_E_clISt17integral_constantIbLb0EESX_IbLb1EEEEDaST_SU_EUlST_E_NS1_11comp_targetILNS1_3genE4ELNS1_11target_archE910ELNS1_3gpuE8ELNS1_3repE0EEENS1_30default_config_static_selectorELNS0_4arch9wavefront6targetE0EEEvT1_.num_vgpr, 0
	.set _ZN7rocprim17ROCPRIM_400000_NS6detail17trampoline_kernelINS0_14default_configENS1_20scan_config_selectorIN3c104HalfEEEZZNS1_9scan_implILNS1_25lookback_scan_determinismE0ELb0ELb0ES3_PKS6_PS6_S6_ZZZN2at6native31launch_logcumsumexp_cuda_kernelERKNSD_10TensorBaseESH_lENKUlvE_clEvENKUlvE3_clEvEUlS6_S6_E_S6_EEDaPvRmT3_T4_T5_mT6_P12ihipStream_tbENKUlT_T0_E_clISt17integral_constantIbLb0EESX_IbLb1EEEEDaST_SU_EUlST_E_NS1_11comp_targetILNS1_3genE4ELNS1_11target_archE910ELNS1_3gpuE8ELNS1_3repE0EEENS1_30default_config_static_selectorELNS0_4arch9wavefront6targetE0EEEvT1_.num_agpr, 0
	.set _ZN7rocprim17ROCPRIM_400000_NS6detail17trampoline_kernelINS0_14default_configENS1_20scan_config_selectorIN3c104HalfEEEZZNS1_9scan_implILNS1_25lookback_scan_determinismE0ELb0ELb0ES3_PKS6_PS6_S6_ZZZN2at6native31launch_logcumsumexp_cuda_kernelERKNSD_10TensorBaseESH_lENKUlvE_clEvENKUlvE3_clEvEUlS6_S6_E_S6_EEDaPvRmT3_T4_T5_mT6_P12ihipStream_tbENKUlT_T0_E_clISt17integral_constantIbLb0EESX_IbLb1EEEEDaST_SU_EUlST_E_NS1_11comp_targetILNS1_3genE4ELNS1_11target_archE910ELNS1_3gpuE8ELNS1_3repE0EEENS1_30default_config_static_selectorELNS0_4arch9wavefront6targetE0EEEvT1_.numbered_sgpr, 0
	.set _ZN7rocprim17ROCPRIM_400000_NS6detail17trampoline_kernelINS0_14default_configENS1_20scan_config_selectorIN3c104HalfEEEZZNS1_9scan_implILNS1_25lookback_scan_determinismE0ELb0ELb0ES3_PKS6_PS6_S6_ZZZN2at6native31launch_logcumsumexp_cuda_kernelERKNSD_10TensorBaseESH_lENKUlvE_clEvENKUlvE3_clEvEUlS6_S6_E_S6_EEDaPvRmT3_T4_T5_mT6_P12ihipStream_tbENKUlT_T0_E_clISt17integral_constantIbLb0EESX_IbLb1EEEEDaST_SU_EUlST_E_NS1_11comp_targetILNS1_3genE4ELNS1_11target_archE910ELNS1_3gpuE8ELNS1_3repE0EEENS1_30default_config_static_selectorELNS0_4arch9wavefront6targetE0EEEvT1_.num_named_barrier, 0
	.set _ZN7rocprim17ROCPRIM_400000_NS6detail17trampoline_kernelINS0_14default_configENS1_20scan_config_selectorIN3c104HalfEEEZZNS1_9scan_implILNS1_25lookback_scan_determinismE0ELb0ELb0ES3_PKS6_PS6_S6_ZZZN2at6native31launch_logcumsumexp_cuda_kernelERKNSD_10TensorBaseESH_lENKUlvE_clEvENKUlvE3_clEvEUlS6_S6_E_S6_EEDaPvRmT3_T4_T5_mT6_P12ihipStream_tbENKUlT_T0_E_clISt17integral_constantIbLb0EESX_IbLb1EEEEDaST_SU_EUlST_E_NS1_11comp_targetILNS1_3genE4ELNS1_11target_archE910ELNS1_3gpuE8ELNS1_3repE0EEENS1_30default_config_static_selectorELNS0_4arch9wavefront6targetE0EEEvT1_.private_seg_size, 0
	.set _ZN7rocprim17ROCPRIM_400000_NS6detail17trampoline_kernelINS0_14default_configENS1_20scan_config_selectorIN3c104HalfEEEZZNS1_9scan_implILNS1_25lookback_scan_determinismE0ELb0ELb0ES3_PKS6_PS6_S6_ZZZN2at6native31launch_logcumsumexp_cuda_kernelERKNSD_10TensorBaseESH_lENKUlvE_clEvENKUlvE3_clEvEUlS6_S6_E_S6_EEDaPvRmT3_T4_T5_mT6_P12ihipStream_tbENKUlT_T0_E_clISt17integral_constantIbLb0EESX_IbLb1EEEEDaST_SU_EUlST_E_NS1_11comp_targetILNS1_3genE4ELNS1_11target_archE910ELNS1_3gpuE8ELNS1_3repE0EEENS1_30default_config_static_selectorELNS0_4arch9wavefront6targetE0EEEvT1_.uses_vcc, 0
	.set _ZN7rocprim17ROCPRIM_400000_NS6detail17trampoline_kernelINS0_14default_configENS1_20scan_config_selectorIN3c104HalfEEEZZNS1_9scan_implILNS1_25lookback_scan_determinismE0ELb0ELb0ES3_PKS6_PS6_S6_ZZZN2at6native31launch_logcumsumexp_cuda_kernelERKNSD_10TensorBaseESH_lENKUlvE_clEvENKUlvE3_clEvEUlS6_S6_E_S6_EEDaPvRmT3_T4_T5_mT6_P12ihipStream_tbENKUlT_T0_E_clISt17integral_constantIbLb0EESX_IbLb1EEEEDaST_SU_EUlST_E_NS1_11comp_targetILNS1_3genE4ELNS1_11target_archE910ELNS1_3gpuE8ELNS1_3repE0EEENS1_30default_config_static_selectorELNS0_4arch9wavefront6targetE0EEEvT1_.uses_flat_scratch, 0
	.set _ZN7rocprim17ROCPRIM_400000_NS6detail17trampoline_kernelINS0_14default_configENS1_20scan_config_selectorIN3c104HalfEEEZZNS1_9scan_implILNS1_25lookback_scan_determinismE0ELb0ELb0ES3_PKS6_PS6_S6_ZZZN2at6native31launch_logcumsumexp_cuda_kernelERKNSD_10TensorBaseESH_lENKUlvE_clEvENKUlvE3_clEvEUlS6_S6_E_S6_EEDaPvRmT3_T4_T5_mT6_P12ihipStream_tbENKUlT_T0_E_clISt17integral_constantIbLb0EESX_IbLb1EEEEDaST_SU_EUlST_E_NS1_11comp_targetILNS1_3genE4ELNS1_11target_archE910ELNS1_3gpuE8ELNS1_3repE0EEENS1_30default_config_static_selectorELNS0_4arch9wavefront6targetE0EEEvT1_.has_dyn_sized_stack, 0
	.set _ZN7rocprim17ROCPRIM_400000_NS6detail17trampoline_kernelINS0_14default_configENS1_20scan_config_selectorIN3c104HalfEEEZZNS1_9scan_implILNS1_25lookback_scan_determinismE0ELb0ELb0ES3_PKS6_PS6_S6_ZZZN2at6native31launch_logcumsumexp_cuda_kernelERKNSD_10TensorBaseESH_lENKUlvE_clEvENKUlvE3_clEvEUlS6_S6_E_S6_EEDaPvRmT3_T4_T5_mT6_P12ihipStream_tbENKUlT_T0_E_clISt17integral_constantIbLb0EESX_IbLb1EEEEDaST_SU_EUlST_E_NS1_11comp_targetILNS1_3genE4ELNS1_11target_archE910ELNS1_3gpuE8ELNS1_3repE0EEENS1_30default_config_static_selectorELNS0_4arch9wavefront6targetE0EEEvT1_.has_recursion, 0
	.set _ZN7rocprim17ROCPRIM_400000_NS6detail17trampoline_kernelINS0_14default_configENS1_20scan_config_selectorIN3c104HalfEEEZZNS1_9scan_implILNS1_25lookback_scan_determinismE0ELb0ELb0ES3_PKS6_PS6_S6_ZZZN2at6native31launch_logcumsumexp_cuda_kernelERKNSD_10TensorBaseESH_lENKUlvE_clEvENKUlvE3_clEvEUlS6_S6_E_S6_EEDaPvRmT3_T4_T5_mT6_P12ihipStream_tbENKUlT_T0_E_clISt17integral_constantIbLb0EESX_IbLb1EEEEDaST_SU_EUlST_E_NS1_11comp_targetILNS1_3genE4ELNS1_11target_archE910ELNS1_3gpuE8ELNS1_3repE0EEENS1_30default_config_static_selectorELNS0_4arch9wavefront6targetE0EEEvT1_.has_indirect_call, 0
	.section	.AMDGPU.csdata,"",@progbits
; Kernel info:
; codeLenInByte = 0
; TotalNumSgprs: 0
; NumVgprs: 0
; ScratchSize: 0
; MemoryBound: 0
; FloatMode: 240
; IeeeMode: 1
; LDSByteSize: 0 bytes/workgroup (compile time only)
; SGPRBlocks: 0
; VGPRBlocks: 0
; NumSGPRsForWavesPerEU: 1
; NumVGPRsForWavesPerEU: 1
; Occupancy: 16
; WaveLimiterHint : 0
; COMPUTE_PGM_RSRC2:SCRATCH_EN: 0
; COMPUTE_PGM_RSRC2:USER_SGPR: 6
; COMPUTE_PGM_RSRC2:TRAP_HANDLER: 0
; COMPUTE_PGM_RSRC2:TGID_X_EN: 1
; COMPUTE_PGM_RSRC2:TGID_Y_EN: 0
; COMPUTE_PGM_RSRC2:TGID_Z_EN: 0
; COMPUTE_PGM_RSRC2:TIDIG_COMP_CNT: 0
	.section	.text._ZN7rocprim17ROCPRIM_400000_NS6detail17trampoline_kernelINS0_14default_configENS1_20scan_config_selectorIN3c104HalfEEEZZNS1_9scan_implILNS1_25lookback_scan_determinismE0ELb0ELb0ES3_PKS6_PS6_S6_ZZZN2at6native31launch_logcumsumexp_cuda_kernelERKNSD_10TensorBaseESH_lENKUlvE_clEvENKUlvE3_clEvEUlS6_S6_E_S6_EEDaPvRmT3_T4_T5_mT6_P12ihipStream_tbENKUlT_T0_E_clISt17integral_constantIbLb0EESX_IbLb1EEEEDaST_SU_EUlST_E_NS1_11comp_targetILNS1_3genE3ELNS1_11target_archE908ELNS1_3gpuE7ELNS1_3repE0EEENS1_30default_config_static_selectorELNS0_4arch9wavefront6targetE0EEEvT1_,"axG",@progbits,_ZN7rocprim17ROCPRIM_400000_NS6detail17trampoline_kernelINS0_14default_configENS1_20scan_config_selectorIN3c104HalfEEEZZNS1_9scan_implILNS1_25lookback_scan_determinismE0ELb0ELb0ES3_PKS6_PS6_S6_ZZZN2at6native31launch_logcumsumexp_cuda_kernelERKNSD_10TensorBaseESH_lENKUlvE_clEvENKUlvE3_clEvEUlS6_S6_E_S6_EEDaPvRmT3_T4_T5_mT6_P12ihipStream_tbENKUlT_T0_E_clISt17integral_constantIbLb0EESX_IbLb1EEEEDaST_SU_EUlST_E_NS1_11comp_targetILNS1_3genE3ELNS1_11target_archE908ELNS1_3gpuE7ELNS1_3repE0EEENS1_30default_config_static_selectorELNS0_4arch9wavefront6targetE0EEEvT1_,comdat
	.globl	_ZN7rocprim17ROCPRIM_400000_NS6detail17trampoline_kernelINS0_14default_configENS1_20scan_config_selectorIN3c104HalfEEEZZNS1_9scan_implILNS1_25lookback_scan_determinismE0ELb0ELb0ES3_PKS6_PS6_S6_ZZZN2at6native31launch_logcumsumexp_cuda_kernelERKNSD_10TensorBaseESH_lENKUlvE_clEvENKUlvE3_clEvEUlS6_S6_E_S6_EEDaPvRmT3_T4_T5_mT6_P12ihipStream_tbENKUlT_T0_E_clISt17integral_constantIbLb0EESX_IbLb1EEEEDaST_SU_EUlST_E_NS1_11comp_targetILNS1_3genE3ELNS1_11target_archE908ELNS1_3gpuE7ELNS1_3repE0EEENS1_30default_config_static_selectorELNS0_4arch9wavefront6targetE0EEEvT1_ ; -- Begin function _ZN7rocprim17ROCPRIM_400000_NS6detail17trampoline_kernelINS0_14default_configENS1_20scan_config_selectorIN3c104HalfEEEZZNS1_9scan_implILNS1_25lookback_scan_determinismE0ELb0ELb0ES3_PKS6_PS6_S6_ZZZN2at6native31launch_logcumsumexp_cuda_kernelERKNSD_10TensorBaseESH_lENKUlvE_clEvENKUlvE3_clEvEUlS6_S6_E_S6_EEDaPvRmT3_T4_T5_mT6_P12ihipStream_tbENKUlT_T0_E_clISt17integral_constantIbLb0EESX_IbLb1EEEEDaST_SU_EUlST_E_NS1_11comp_targetILNS1_3genE3ELNS1_11target_archE908ELNS1_3gpuE7ELNS1_3repE0EEENS1_30default_config_static_selectorELNS0_4arch9wavefront6targetE0EEEvT1_
	.p2align	8
	.type	_ZN7rocprim17ROCPRIM_400000_NS6detail17trampoline_kernelINS0_14default_configENS1_20scan_config_selectorIN3c104HalfEEEZZNS1_9scan_implILNS1_25lookback_scan_determinismE0ELb0ELb0ES3_PKS6_PS6_S6_ZZZN2at6native31launch_logcumsumexp_cuda_kernelERKNSD_10TensorBaseESH_lENKUlvE_clEvENKUlvE3_clEvEUlS6_S6_E_S6_EEDaPvRmT3_T4_T5_mT6_P12ihipStream_tbENKUlT_T0_E_clISt17integral_constantIbLb0EESX_IbLb1EEEEDaST_SU_EUlST_E_NS1_11comp_targetILNS1_3genE3ELNS1_11target_archE908ELNS1_3gpuE7ELNS1_3repE0EEENS1_30default_config_static_selectorELNS0_4arch9wavefront6targetE0EEEvT1_,@function
_ZN7rocprim17ROCPRIM_400000_NS6detail17trampoline_kernelINS0_14default_configENS1_20scan_config_selectorIN3c104HalfEEEZZNS1_9scan_implILNS1_25lookback_scan_determinismE0ELb0ELb0ES3_PKS6_PS6_S6_ZZZN2at6native31launch_logcumsumexp_cuda_kernelERKNSD_10TensorBaseESH_lENKUlvE_clEvENKUlvE3_clEvEUlS6_S6_E_S6_EEDaPvRmT3_T4_T5_mT6_P12ihipStream_tbENKUlT_T0_E_clISt17integral_constantIbLb0EESX_IbLb1EEEEDaST_SU_EUlST_E_NS1_11comp_targetILNS1_3genE3ELNS1_11target_archE908ELNS1_3gpuE7ELNS1_3repE0EEENS1_30default_config_static_selectorELNS0_4arch9wavefront6targetE0EEEvT1_: ; @_ZN7rocprim17ROCPRIM_400000_NS6detail17trampoline_kernelINS0_14default_configENS1_20scan_config_selectorIN3c104HalfEEEZZNS1_9scan_implILNS1_25lookback_scan_determinismE0ELb0ELb0ES3_PKS6_PS6_S6_ZZZN2at6native31launch_logcumsumexp_cuda_kernelERKNSD_10TensorBaseESH_lENKUlvE_clEvENKUlvE3_clEvEUlS6_S6_E_S6_EEDaPvRmT3_T4_T5_mT6_P12ihipStream_tbENKUlT_T0_E_clISt17integral_constantIbLb0EESX_IbLb1EEEEDaST_SU_EUlST_E_NS1_11comp_targetILNS1_3genE3ELNS1_11target_archE908ELNS1_3gpuE7ELNS1_3repE0EEENS1_30default_config_static_selectorELNS0_4arch9wavefront6targetE0EEEvT1_
; %bb.0:
	.section	.rodata,"a",@progbits
	.p2align	6, 0x0
	.amdhsa_kernel _ZN7rocprim17ROCPRIM_400000_NS6detail17trampoline_kernelINS0_14default_configENS1_20scan_config_selectorIN3c104HalfEEEZZNS1_9scan_implILNS1_25lookback_scan_determinismE0ELb0ELb0ES3_PKS6_PS6_S6_ZZZN2at6native31launch_logcumsumexp_cuda_kernelERKNSD_10TensorBaseESH_lENKUlvE_clEvENKUlvE3_clEvEUlS6_S6_E_S6_EEDaPvRmT3_T4_T5_mT6_P12ihipStream_tbENKUlT_T0_E_clISt17integral_constantIbLb0EESX_IbLb1EEEEDaST_SU_EUlST_E_NS1_11comp_targetILNS1_3genE3ELNS1_11target_archE908ELNS1_3gpuE7ELNS1_3repE0EEENS1_30default_config_static_selectorELNS0_4arch9wavefront6targetE0EEEvT1_
		.amdhsa_group_segment_fixed_size 0
		.amdhsa_private_segment_fixed_size 0
		.amdhsa_kernarg_size 96
		.amdhsa_user_sgpr_count 6
		.amdhsa_user_sgpr_private_segment_buffer 1
		.amdhsa_user_sgpr_dispatch_ptr 0
		.amdhsa_user_sgpr_queue_ptr 0
		.amdhsa_user_sgpr_kernarg_segment_ptr 1
		.amdhsa_user_sgpr_dispatch_id 0
		.amdhsa_user_sgpr_flat_scratch_init 0
		.amdhsa_user_sgpr_private_segment_size 0
		.amdhsa_wavefront_size32 1
		.amdhsa_uses_dynamic_stack 0
		.amdhsa_system_sgpr_private_segment_wavefront_offset 0
		.amdhsa_system_sgpr_workgroup_id_x 1
		.amdhsa_system_sgpr_workgroup_id_y 0
		.amdhsa_system_sgpr_workgroup_id_z 0
		.amdhsa_system_sgpr_workgroup_info 0
		.amdhsa_system_vgpr_workitem_id 0
		.amdhsa_next_free_vgpr 1
		.amdhsa_next_free_sgpr 1
		.amdhsa_reserve_vcc 0
		.amdhsa_reserve_flat_scratch 0
		.amdhsa_float_round_mode_32 0
		.amdhsa_float_round_mode_16_64 0
		.amdhsa_float_denorm_mode_32 3
		.amdhsa_float_denorm_mode_16_64 3
		.amdhsa_dx10_clamp 1
		.amdhsa_ieee_mode 1
		.amdhsa_fp16_overflow 0
		.amdhsa_workgroup_processor_mode 1
		.amdhsa_memory_ordered 1
		.amdhsa_forward_progress 1
		.amdhsa_shared_vgpr_count 0
		.amdhsa_exception_fp_ieee_invalid_op 0
		.amdhsa_exception_fp_denorm_src 0
		.amdhsa_exception_fp_ieee_div_zero 0
		.amdhsa_exception_fp_ieee_overflow 0
		.amdhsa_exception_fp_ieee_underflow 0
		.amdhsa_exception_fp_ieee_inexact 0
		.amdhsa_exception_int_div_zero 0
	.end_amdhsa_kernel
	.section	.text._ZN7rocprim17ROCPRIM_400000_NS6detail17trampoline_kernelINS0_14default_configENS1_20scan_config_selectorIN3c104HalfEEEZZNS1_9scan_implILNS1_25lookback_scan_determinismE0ELb0ELb0ES3_PKS6_PS6_S6_ZZZN2at6native31launch_logcumsumexp_cuda_kernelERKNSD_10TensorBaseESH_lENKUlvE_clEvENKUlvE3_clEvEUlS6_S6_E_S6_EEDaPvRmT3_T4_T5_mT6_P12ihipStream_tbENKUlT_T0_E_clISt17integral_constantIbLb0EESX_IbLb1EEEEDaST_SU_EUlST_E_NS1_11comp_targetILNS1_3genE3ELNS1_11target_archE908ELNS1_3gpuE7ELNS1_3repE0EEENS1_30default_config_static_selectorELNS0_4arch9wavefront6targetE0EEEvT1_,"axG",@progbits,_ZN7rocprim17ROCPRIM_400000_NS6detail17trampoline_kernelINS0_14default_configENS1_20scan_config_selectorIN3c104HalfEEEZZNS1_9scan_implILNS1_25lookback_scan_determinismE0ELb0ELb0ES3_PKS6_PS6_S6_ZZZN2at6native31launch_logcumsumexp_cuda_kernelERKNSD_10TensorBaseESH_lENKUlvE_clEvENKUlvE3_clEvEUlS6_S6_E_S6_EEDaPvRmT3_T4_T5_mT6_P12ihipStream_tbENKUlT_T0_E_clISt17integral_constantIbLb0EESX_IbLb1EEEEDaST_SU_EUlST_E_NS1_11comp_targetILNS1_3genE3ELNS1_11target_archE908ELNS1_3gpuE7ELNS1_3repE0EEENS1_30default_config_static_selectorELNS0_4arch9wavefront6targetE0EEEvT1_,comdat
.Lfunc_end419:
	.size	_ZN7rocprim17ROCPRIM_400000_NS6detail17trampoline_kernelINS0_14default_configENS1_20scan_config_selectorIN3c104HalfEEEZZNS1_9scan_implILNS1_25lookback_scan_determinismE0ELb0ELb0ES3_PKS6_PS6_S6_ZZZN2at6native31launch_logcumsumexp_cuda_kernelERKNSD_10TensorBaseESH_lENKUlvE_clEvENKUlvE3_clEvEUlS6_S6_E_S6_EEDaPvRmT3_T4_T5_mT6_P12ihipStream_tbENKUlT_T0_E_clISt17integral_constantIbLb0EESX_IbLb1EEEEDaST_SU_EUlST_E_NS1_11comp_targetILNS1_3genE3ELNS1_11target_archE908ELNS1_3gpuE7ELNS1_3repE0EEENS1_30default_config_static_selectorELNS0_4arch9wavefront6targetE0EEEvT1_, .Lfunc_end419-_ZN7rocprim17ROCPRIM_400000_NS6detail17trampoline_kernelINS0_14default_configENS1_20scan_config_selectorIN3c104HalfEEEZZNS1_9scan_implILNS1_25lookback_scan_determinismE0ELb0ELb0ES3_PKS6_PS6_S6_ZZZN2at6native31launch_logcumsumexp_cuda_kernelERKNSD_10TensorBaseESH_lENKUlvE_clEvENKUlvE3_clEvEUlS6_S6_E_S6_EEDaPvRmT3_T4_T5_mT6_P12ihipStream_tbENKUlT_T0_E_clISt17integral_constantIbLb0EESX_IbLb1EEEEDaST_SU_EUlST_E_NS1_11comp_targetILNS1_3genE3ELNS1_11target_archE908ELNS1_3gpuE7ELNS1_3repE0EEENS1_30default_config_static_selectorELNS0_4arch9wavefront6targetE0EEEvT1_
                                        ; -- End function
	.set _ZN7rocprim17ROCPRIM_400000_NS6detail17trampoline_kernelINS0_14default_configENS1_20scan_config_selectorIN3c104HalfEEEZZNS1_9scan_implILNS1_25lookback_scan_determinismE0ELb0ELb0ES3_PKS6_PS6_S6_ZZZN2at6native31launch_logcumsumexp_cuda_kernelERKNSD_10TensorBaseESH_lENKUlvE_clEvENKUlvE3_clEvEUlS6_S6_E_S6_EEDaPvRmT3_T4_T5_mT6_P12ihipStream_tbENKUlT_T0_E_clISt17integral_constantIbLb0EESX_IbLb1EEEEDaST_SU_EUlST_E_NS1_11comp_targetILNS1_3genE3ELNS1_11target_archE908ELNS1_3gpuE7ELNS1_3repE0EEENS1_30default_config_static_selectorELNS0_4arch9wavefront6targetE0EEEvT1_.num_vgpr, 0
	.set _ZN7rocprim17ROCPRIM_400000_NS6detail17trampoline_kernelINS0_14default_configENS1_20scan_config_selectorIN3c104HalfEEEZZNS1_9scan_implILNS1_25lookback_scan_determinismE0ELb0ELb0ES3_PKS6_PS6_S6_ZZZN2at6native31launch_logcumsumexp_cuda_kernelERKNSD_10TensorBaseESH_lENKUlvE_clEvENKUlvE3_clEvEUlS6_S6_E_S6_EEDaPvRmT3_T4_T5_mT6_P12ihipStream_tbENKUlT_T0_E_clISt17integral_constantIbLb0EESX_IbLb1EEEEDaST_SU_EUlST_E_NS1_11comp_targetILNS1_3genE3ELNS1_11target_archE908ELNS1_3gpuE7ELNS1_3repE0EEENS1_30default_config_static_selectorELNS0_4arch9wavefront6targetE0EEEvT1_.num_agpr, 0
	.set _ZN7rocprim17ROCPRIM_400000_NS6detail17trampoline_kernelINS0_14default_configENS1_20scan_config_selectorIN3c104HalfEEEZZNS1_9scan_implILNS1_25lookback_scan_determinismE0ELb0ELb0ES3_PKS6_PS6_S6_ZZZN2at6native31launch_logcumsumexp_cuda_kernelERKNSD_10TensorBaseESH_lENKUlvE_clEvENKUlvE3_clEvEUlS6_S6_E_S6_EEDaPvRmT3_T4_T5_mT6_P12ihipStream_tbENKUlT_T0_E_clISt17integral_constantIbLb0EESX_IbLb1EEEEDaST_SU_EUlST_E_NS1_11comp_targetILNS1_3genE3ELNS1_11target_archE908ELNS1_3gpuE7ELNS1_3repE0EEENS1_30default_config_static_selectorELNS0_4arch9wavefront6targetE0EEEvT1_.numbered_sgpr, 0
	.set _ZN7rocprim17ROCPRIM_400000_NS6detail17trampoline_kernelINS0_14default_configENS1_20scan_config_selectorIN3c104HalfEEEZZNS1_9scan_implILNS1_25lookback_scan_determinismE0ELb0ELb0ES3_PKS6_PS6_S6_ZZZN2at6native31launch_logcumsumexp_cuda_kernelERKNSD_10TensorBaseESH_lENKUlvE_clEvENKUlvE3_clEvEUlS6_S6_E_S6_EEDaPvRmT3_T4_T5_mT6_P12ihipStream_tbENKUlT_T0_E_clISt17integral_constantIbLb0EESX_IbLb1EEEEDaST_SU_EUlST_E_NS1_11comp_targetILNS1_3genE3ELNS1_11target_archE908ELNS1_3gpuE7ELNS1_3repE0EEENS1_30default_config_static_selectorELNS0_4arch9wavefront6targetE0EEEvT1_.num_named_barrier, 0
	.set _ZN7rocprim17ROCPRIM_400000_NS6detail17trampoline_kernelINS0_14default_configENS1_20scan_config_selectorIN3c104HalfEEEZZNS1_9scan_implILNS1_25lookback_scan_determinismE0ELb0ELb0ES3_PKS6_PS6_S6_ZZZN2at6native31launch_logcumsumexp_cuda_kernelERKNSD_10TensorBaseESH_lENKUlvE_clEvENKUlvE3_clEvEUlS6_S6_E_S6_EEDaPvRmT3_T4_T5_mT6_P12ihipStream_tbENKUlT_T0_E_clISt17integral_constantIbLb0EESX_IbLb1EEEEDaST_SU_EUlST_E_NS1_11comp_targetILNS1_3genE3ELNS1_11target_archE908ELNS1_3gpuE7ELNS1_3repE0EEENS1_30default_config_static_selectorELNS0_4arch9wavefront6targetE0EEEvT1_.private_seg_size, 0
	.set _ZN7rocprim17ROCPRIM_400000_NS6detail17trampoline_kernelINS0_14default_configENS1_20scan_config_selectorIN3c104HalfEEEZZNS1_9scan_implILNS1_25lookback_scan_determinismE0ELb0ELb0ES3_PKS6_PS6_S6_ZZZN2at6native31launch_logcumsumexp_cuda_kernelERKNSD_10TensorBaseESH_lENKUlvE_clEvENKUlvE3_clEvEUlS6_S6_E_S6_EEDaPvRmT3_T4_T5_mT6_P12ihipStream_tbENKUlT_T0_E_clISt17integral_constantIbLb0EESX_IbLb1EEEEDaST_SU_EUlST_E_NS1_11comp_targetILNS1_3genE3ELNS1_11target_archE908ELNS1_3gpuE7ELNS1_3repE0EEENS1_30default_config_static_selectorELNS0_4arch9wavefront6targetE0EEEvT1_.uses_vcc, 0
	.set _ZN7rocprim17ROCPRIM_400000_NS6detail17trampoline_kernelINS0_14default_configENS1_20scan_config_selectorIN3c104HalfEEEZZNS1_9scan_implILNS1_25lookback_scan_determinismE0ELb0ELb0ES3_PKS6_PS6_S6_ZZZN2at6native31launch_logcumsumexp_cuda_kernelERKNSD_10TensorBaseESH_lENKUlvE_clEvENKUlvE3_clEvEUlS6_S6_E_S6_EEDaPvRmT3_T4_T5_mT6_P12ihipStream_tbENKUlT_T0_E_clISt17integral_constantIbLb0EESX_IbLb1EEEEDaST_SU_EUlST_E_NS1_11comp_targetILNS1_3genE3ELNS1_11target_archE908ELNS1_3gpuE7ELNS1_3repE0EEENS1_30default_config_static_selectorELNS0_4arch9wavefront6targetE0EEEvT1_.uses_flat_scratch, 0
	.set _ZN7rocprim17ROCPRIM_400000_NS6detail17trampoline_kernelINS0_14default_configENS1_20scan_config_selectorIN3c104HalfEEEZZNS1_9scan_implILNS1_25lookback_scan_determinismE0ELb0ELb0ES3_PKS6_PS6_S6_ZZZN2at6native31launch_logcumsumexp_cuda_kernelERKNSD_10TensorBaseESH_lENKUlvE_clEvENKUlvE3_clEvEUlS6_S6_E_S6_EEDaPvRmT3_T4_T5_mT6_P12ihipStream_tbENKUlT_T0_E_clISt17integral_constantIbLb0EESX_IbLb1EEEEDaST_SU_EUlST_E_NS1_11comp_targetILNS1_3genE3ELNS1_11target_archE908ELNS1_3gpuE7ELNS1_3repE0EEENS1_30default_config_static_selectorELNS0_4arch9wavefront6targetE0EEEvT1_.has_dyn_sized_stack, 0
	.set _ZN7rocprim17ROCPRIM_400000_NS6detail17trampoline_kernelINS0_14default_configENS1_20scan_config_selectorIN3c104HalfEEEZZNS1_9scan_implILNS1_25lookback_scan_determinismE0ELb0ELb0ES3_PKS6_PS6_S6_ZZZN2at6native31launch_logcumsumexp_cuda_kernelERKNSD_10TensorBaseESH_lENKUlvE_clEvENKUlvE3_clEvEUlS6_S6_E_S6_EEDaPvRmT3_T4_T5_mT6_P12ihipStream_tbENKUlT_T0_E_clISt17integral_constantIbLb0EESX_IbLb1EEEEDaST_SU_EUlST_E_NS1_11comp_targetILNS1_3genE3ELNS1_11target_archE908ELNS1_3gpuE7ELNS1_3repE0EEENS1_30default_config_static_selectorELNS0_4arch9wavefront6targetE0EEEvT1_.has_recursion, 0
	.set _ZN7rocprim17ROCPRIM_400000_NS6detail17trampoline_kernelINS0_14default_configENS1_20scan_config_selectorIN3c104HalfEEEZZNS1_9scan_implILNS1_25lookback_scan_determinismE0ELb0ELb0ES3_PKS6_PS6_S6_ZZZN2at6native31launch_logcumsumexp_cuda_kernelERKNSD_10TensorBaseESH_lENKUlvE_clEvENKUlvE3_clEvEUlS6_S6_E_S6_EEDaPvRmT3_T4_T5_mT6_P12ihipStream_tbENKUlT_T0_E_clISt17integral_constantIbLb0EESX_IbLb1EEEEDaST_SU_EUlST_E_NS1_11comp_targetILNS1_3genE3ELNS1_11target_archE908ELNS1_3gpuE7ELNS1_3repE0EEENS1_30default_config_static_selectorELNS0_4arch9wavefront6targetE0EEEvT1_.has_indirect_call, 0
	.section	.AMDGPU.csdata,"",@progbits
; Kernel info:
; codeLenInByte = 0
; TotalNumSgprs: 0
; NumVgprs: 0
; ScratchSize: 0
; MemoryBound: 0
; FloatMode: 240
; IeeeMode: 1
; LDSByteSize: 0 bytes/workgroup (compile time only)
; SGPRBlocks: 0
; VGPRBlocks: 0
; NumSGPRsForWavesPerEU: 1
; NumVGPRsForWavesPerEU: 1
; Occupancy: 16
; WaveLimiterHint : 0
; COMPUTE_PGM_RSRC2:SCRATCH_EN: 0
; COMPUTE_PGM_RSRC2:USER_SGPR: 6
; COMPUTE_PGM_RSRC2:TRAP_HANDLER: 0
; COMPUTE_PGM_RSRC2:TGID_X_EN: 1
; COMPUTE_PGM_RSRC2:TGID_Y_EN: 0
; COMPUTE_PGM_RSRC2:TGID_Z_EN: 0
; COMPUTE_PGM_RSRC2:TIDIG_COMP_CNT: 0
	.section	.text._ZN7rocprim17ROCPRIM_400000_NS6detail17trampoline_kernelINS0_14default_configENS1_20scan_config_selectorIN3c104HalfEEEZZNS1_9scan_implILNS1_25lookback_scan_determinismE0ELb0ELb0ES3_PKS6_PS6_S6_ZZZN2at6native31launch_logcumsumexp_cuda_kernelERKNSD_10TensorBaseESH_lENKUlvE_clEvENKUlvE3_clEvEUlS6_S6_E_S6_EEDaPvRmT3_T4_T5_mT6_P12ihipStream_tbENKUlT_T0_E_clISt17integral_constantIbLb0EESX_IbLb1EEEEDaST_SU_EUlST_E_NS1_11comp_targetILNS1_3genE2ELNS1_11target_archE906ELNS1_3gpuE6ELNS1_3repE0EEENS1_30default_config_static_selectorELNS0_4arch9wavefront6targetE0EEEvT1_,"axG",@progbits,_ZN7rocprim17ROCPRIM_400000_NS6detail17trampoline_kernelINS0_14default_configENS1_20scan_config_selectorIN3c104HalfEEEZZNS1_9scan_implILNS1_25lookback_scan_determinismE0ELb0ELb0ES3_PKS6_PS6_S6_ZZZN2at6native31launch_logcumsumexp_cuda_kernelERKNSD_10TensorBaseESH_lENKUlvE_clEvENKUlvE3_clEvEUlS6_S6_E_S6_EEDaPvRmT3_T4_T5_mT6_P12ihipStream_tbENKUlT_T0_E_clISt17integral_constantIbLb0EESX_IbLb1EEEEDaST_SU_EUlST_E_NS1_11comp_targetILNS1_3genE2ELNS1_11target_archE906ELNS1_3gpuE6ELNS1_3repE0EEENS1_30default_config_static_selectorELNS0_4arch9wavefront6targetE0EEEvT1_,comdat
	.globl	_ZN7rocprim17ROCPRIM_400000_NS6detail17trampoline_kernelINS0_14default_configENS1_20scan_config_selectorIN3c104HalfEEEZZNS1_9scan_implILNS1_25lookback_scan_determinismE0ELb0ELb0ES3_PKS6_PS6_S6_ZZZN2at6native31launch_logcumsumexp_cuda_kernelERKNSD_10TensorBaseESH_lENKUlvE_clEvENKUlvE3_clEvEUlS6_S6_E_S6_EEDaPvRmT3_T4_T5_mT6_P12ihipStream_tbENKUlT_T0_E_clISt17integral_constantIbLb0EESX_IbLb1EEEEDaST_SU_EUlST_E_NS1_11comp_targetILNS1_3genE2ELNS1_11target_archE906ELNS1_3gpuE6ELNS1_3repE0EEENS1_30default_config_static_selectorELNS0_4arch9wavefront6targetE0EEEvT1_ ; -- Begin function _ZN7rocprim17ROCPRIM_400000_NS6detail17trampoline_kernelINS0_14default_configENS1_20scan_config_selectorIN3c104HalfEEEZZNS1_9scan_implILNS1_25lookback_scan_determinismE0ELb0ELb0ES3_PKS6_PS6_S6_ZZZN2at6native31launch_logcumsumexp_cuda_kernelERKNSD_10TensorBaseESH_lENKUlvE_clEvENKUlvE3_clEvEUlS6_S6_E_S6_EEDaPvRmT3_T4_T5_mT6_P12ihipStream_tbENKUlT_T0_E_clISt17integral_constantIbLb0EESX_IbLb1EEEEDaST_SU_EUlST_E_NS1_11comp_targetILNS1_3genE2ELNS1_11target_archE906ELNS1_3gpuE6ELNS1_3repE0EEENS1_30default_config_static_selectorELNS0_4arch9wavefront6targetE0EEEvT1_
	.p2align	8
	.type	_ZN7rocprim17ROCPRIM_400000_NS6detail17trampoline_kernelINS0_14default_configENS1_20scan_config_selectorIN3c104HalfEEEZZNS1_9scan_implILNS1_25lookback_scan_determinismE0ELb0ELb0ES3_PKS6_PS6_S6_ZZZN2at6native31launch_logcumsumexp_cuda_kernelERKNSD_10TensorBaseESH_lENKUlvE_clEvENKUlvE3_clEvEUlS6_S6_E_S6_EEDaPvRmT3_T4_T5_mT6_P12ihipStream_tbENKUlT_T0_E_clISt17integral_constantIbLb0EESX_IbLb1EEEEDaST_SU_EUlST_E_NS1_11comp_targetILNS1_3genE2ELNS1_11target_archE906ELNS1_3gpuE6ELNS1_3repE0EEENS1_30default_config_static_selectorELNS0_4arch9wavefront6targetE0EEEvT1_,@function
_ZN7rocprim17ROCPRIM_400000_NS6detail17trampoline_kernelINS0_14default_configENS1_20scan_config_selectorIN3c104HalfEEEZZNS1_9scan_implILNS1_25lookback_scan_determinismE0ELb0ELb0ES3_PKS6_PS6_S6_ZZZN2at6native31launch_logcumsumexp_cuda_kernelERKNSD_10TensorBaseESH_lENKUlvE_clEvENKUlvE3_clEvEUlS6_S6_E_S6_EEDaPvRmT3_T4_T5_mT6_P12ihipStream_tbENKUlT_T0_E_clISt17integral_constantIbLb0EESX_IbLb1EEEEDaST_SU_EUlST_E_NS1_11comp_targetILNS1_3genE2ELNS1_11target_archE906ELNS1_3gpuE6ELNS1_3repE0EEENS1_30default_config_static_selectorELNS0_4arch9wavefront6targetE0EEEvT1_: ; @_ZN7rocprim17ROCPRIM_400000_NS6detail17trampoline_kernelINS0_14default_configENS1_20scan_config_selectorIN3c104HalfEEEZZNS1_9scan_implILNS1_25lookback_scan_determinismE0ELb0ELb0ES3_PKS6_PS6_S6_ZZZN2at6native31launch_logcumsumexp_cuda_kernelERKNSD_10TensorBaseESH_lENKUlvE_clEvENKUlvE3_clEvEUlS6_S6_E_S6_EEDaPvRmT3_T4_T5_mT6_P12ihipStream_tbENKUlT_T0_E_clISt17integral_constantIbLb0EESX_IbLb1EEEEDaST_SU_EUlST_E_NS1_11comp_targetILNS1_3genE2ELNS1_11target_archE906ELNS1_3gpuE6ELNS1_3repE0EEENS1_30default_config_static_selectorELNS0_4arch9wavefront6targetE0EEEvT1_
; %bb.0:
	.section	.rodata,"a",@progbits
	.p2align	6, 0x0
	.amdhsa_kernel _ZN7rocprim17ROCPRIM_400000_NS6detail17trampoline_kernelINS0_14default_configENS1_20scan_config_selectorIN3c104HalfEEEZZNS1_9scan_implILNS1_25lookback_scan_determinismE0ELb0ELb0ES3_PKS6_PS6_S6_ZZZN2at6native31launch_logcumsumexp_cuda_kernelERKNSD_10TensorBaseESH_lENKUlvE_clEvENKUlvE3_clEvEUlS6_S6_E_S6_EEDaPvRmT3_T4_T5_mT6_P12ihipStream_tbENKUlT_T0_E_clISt17integral_constantIbLb0EESX_IbLb1EEEEDaST_SU_EUlST_E_NS1_11comp_targetILNS1_3genE2ELNS1_11target_archE906ELNS1_3gpuE6ELNS1_3repE0EEENS1_30default_config_static_selectorELNS0_4arch9wavefront6targetE0EEEvT1_
		.amdhsa_group_segment_fixed_size 0
		.amdhsa_private_segment_fixed_size 0
		.amdhsa_kernarg_size 96
		.amdhsa_user_sgpr_count 6
		.amdhsa_user_sgpr_private_segment_buffer 1
		.amdhsa_user_sgpr_dispatch_ptr 0
		.amdhsa_user_sgpr_queue_ptr 0
		.amdhsa_user_sgpr_kernarg_segment_ptr 1
		.amdhsa_user_sgpr_dispatch_id 0
		.amdhsa_user_sgpr_flat_scratch_init 0
		.amdhsa_user_sgpr_private_segment_size 0
		.amdhsa_wavefront_size32 1
		.amdhsa_uses_dynamic_stack 0
		.amdhsa_system_sgpr_private_segment_wavefront_offset 0
		.amdhsa_system_sgpr_workgroup_id_x 1
		.amdhsa_system_sgpr_workgroup_id_y 0
		.amdhsa_system_sgpr_workgroup_id_z 0
		.amdhsa_system_sgpr_workgroup_info 0
		.amdhsa_system_vgpr_workitem_id 0
		.amdhsa_next_free_vgpr 1
		.amdhsa_next_free_sgpr 1
		.amdhsa_reserve_vcc 0
		.amdhsa_reserve_flat_scratch 0
		.amdhsa_float_round_mode_32 0
		.amdhsa_float_round_mode_16_64 0
		.amdhsa_float_denorm_mode_32 3
		.amdhsa_float_denorm_mode_16_64 3
		.amdhsa_dx10_clamp 1
		.amdhsa_ieee_mode 1
		.amdhsa_fp16_overflow 0
		.amdhsa_workgroup_processor_mode 1
		.amdhsa_memory_ordered 1
		.amdhsa_forward_progress 1
		.amdhsa_shared_vgpr_count 0
		.amdhsa_exception_fp_ieee_invalid_op 0
		.amdhsa_exception_fp_denorm_src 0
		.amdhsa_exception_fp_ieee_div_zero 0
		.amdhsa_exception_fp_ieee_overflow 0
		.amdhsa_exception_fp_ieee_underflow 0
		.amdhsa_exception_fp_ieee_inexact 0
		.amdhsa_exception_int_div_zero 0
	.end_amdhsa_kernel
	.section	.text._ZN7rocprim17ROCPRIM_400000_NS6detail17trampoline_kernelINS0_14default_configENS1_20scan_config_selectorIN3c104HalfEEEZZNS1_9scan_implILNS1_25lookback_scan_determinismE0ELb0ELb0ES3_PKS6_PS6_S6_ZZZN2at6native31launch_logcumsumexp_cuda_kernelERKNSD_10TensorBaseESH_lENKUlvE_clEvENKUlvE3_clEvEUlS6_S6_E_S6_EEDaPvRmT3_T4_T5_mT6_P12ihipStream_tbENKUlT_T0_E_clISt17integral_constantIbLb0EESX_IbLb1EEEEDaST_SU_EUlST_E_NS1_11comp_targetILNS1_3genE2ELNS1_11target_archE906ELNS1_3gpuE6ELNS1_3repE0EEENS1_30default_config_static_selectorELNS0_4arch9wavefront6targetE0EEEvT1_,"axG",@progbits,_ZN7rocprim17ROCPRIM_400000_NS6detail17trampoline_kernelINS0_14default_configENS1_20scan_config_selectorIN3c104HalfEEEZZNS1_9scan_implILNS1_25lookback_scan_determinismE0ELb0ELb0ES3_PKS6_PS6_S6_ZZZN2at6native31launch_logcumsumexp_cuda_kernelERKNSD_10TensorBaseESH_lENKUlvE_clEvENKUlvE3_clEvEUlS6_S6_E_S6_EEDaPvRmT3_T4_T5_mT6_P12ihipStream_tbENKUlT_T0_E_clISt17integral_constantIbLb0EESX_IbLb1EEEEDaST_SU_EUlST_E_NS1_11comp_targetILNS1_3genE2ELNS1_11target_archE906ELNS1_3gpuE6ELNS1_3repE0EEENS1_30default_config_static_selectorELNS0_4arch9wavefront6targetE0EEEvT1_,comdat
.Lfunc_end420:
	.size	_ZN7rocprim17ROCPRIM_400000_NS6detail17trampoline_kernelINS0_14default_configENS1_20scan_config_selectorIN3c104HalfEEEZZNS1_9scan_implILNS1_25lookback_scan_determinismE0ELb0ELb0ES3_PKS6_PS6_S6_ZZZN2at6native31launch_logcumsumexp_cuda_kernelERKNSD_10TensorBaseESH_lENKUlvE_clEvENKUlvE3_clEvEUlS6_S6_E_S6_EEDaPvRmT3_T4_T5_mT6_P12ihipStream_tbENKUlT_T0_E_clISt17integral_constantIbLb0EESX_IbLb1EEEEDaST_SU_EUlST_E_NS1_11comp_targetILNS1_3genE2ELNS1_11target_archE906ELNS1_3gpuE6ELNS1_3repE0EEENS1_30default_config_static_selectorELNS0_4arch9wavefront6targetE0EEEvT1_, .Lfunc_end420-_ZN7rocprim17ROCPRIM_400000_NS6detail17trampoline_kernelINS0_14default_configENS1_20scan_config_selectorIN3c104HalfEEEZZNS1_9scan_implILNS1_25lookback_scan_determinismE0ELb0ELb0ES3_PKS6_PS6_S6_ZZZN2at6native31launch_logcumsumexp_cuda_kernelERKNSD_10TensorBaseESH_lENKUlvE_clEvENKUlvE3_clEvEUlS6_S6_E_S6_EEDaPvRmT3_T4_T5_mT6_P12ihipStream_tbENKUlT_T0_E_clISt17integral_constantIbLb0EESX_IbLb1EEEEDaST_SU_EUlST_E_NS1_11comp_targetILNS1_3genE2ELNS1_11target_archE906ELNS1_3gpuE6ELNS1_3repE0EEENS1_30default_config_static_selectorELNS0_4arch9wavefront6targetE0EEEvT1_
                                        ; -- End function
	.set _ZN7rocprim17ROCPRIM_400000_NS6detail17trampoline_kernelINS0_14default_configENS1_20scan_config_selectorIN3c104HalfEEEZZNS1_9scan_implILNS1_25lookback_scan_determinismE0ELb0ELb0ES3_PKS6_PS6_S6_ZZZN2at6native31launch_logcumsumexp_cuda_kernelERKNSD_10TensorBaseESH_lENKUlvE_clEvENKUlvE3_clEvEUlS6_S6_E_S6_EEDaPvRmT3_T4_T5_mT6_P12ihipStream_tbENKUlT_T0_E_clISt17integral_constantIbLb0EESX_IbLb1EEEEDaST_SU_EUlST_E_NS1_11comp_targetILNS1_3genE2ELNS1_11target_archE906ELNS1_3gpuE6ELNS1_3repE0EEENS1_30default_config_static_selectorELNS0_4arch9wavefront6targetE0EEEvT1_.num_vgpr, 0
	.set _ZN7rocprim17ROCPRIM_400000_NS6detail17trampoline_kernelINS0_14default_configENS1_20scan_config_selectorIN3c104HalfEEEZZNS1_9scan_implILNS1_25lookback_scan_determinismE0ELb0ELb0ES3_PKS6_PS6_S6_ZZZN2at6native31launch_logcumsumexp_cuda_kernelERKNSD_10TensorBaseESH_lENKUlvE_clEvENKUlvE3_clEvEUlS6_S6_E_S6_EEDaPvRmT3_T4_T5_mT6_P12ihipStream_tbENKUlT_T0_E_clISt17integral_constantIbLb0EESX_IbLb1EEEEDaST_SU_EUlST_E_NS1_11comp_targetILNS1_3genE2ELNS1_11target_archE906ELNS1_3gpuE6ELNS1_3repE0EEENS1_30default_config_static_selectorELNS0_4arch9wavefront6targetE0EEEvT1_.num_agpr, 0
	.set _ZN7rocprim17ROCPRIM_400000_NS6detail17trampoline_kernelINS0_14default_configENS1_20scan_config_selectorIN3c104HalfEEEZZNS1_9scan_implILNS1_25lookback_scan_determinismE0ELb0ELb0ES3_PKS6_PS6_S6_ZZZN2at6native31launch_logcumsumexp_cuda_kernelERKNSD_10TensorBaseESH_lENKUlvE_clEvENKUlvE3_clEvEUlS6_S6_E_S6_EEDaPvRmT3_T4_T5_mT6_P12ihipStream_tbENKUlT_T0_E_clISt17integral_constantIbLb0EESX_IbLb1EEEEDaST_SU_EUlST_E_NS1_11comp_targetILNS1_3genE2ELNS1_11target_archE906ELNS1_3gpuE6ELNS1_3repE0EEENS1_30default_config_static_selectorELNS0_4arch9wavefront6targetE0EEEvT1_.numbered_sgpr, 0
	.set _ZN7rocprim17ROCPRIM_400000_NS6detail17trampoline_kernelINS0_14default_configENS1_20scan_config_selectorIN3c104HalfEEEZZNS1_9scan_implILNS1_25lookback_scan_determinismE0ELb0ELb0ES3_PKS6_PS6_S6_ZZZN2at6native31launch_logcumsumexp_cuda_kernelERKNSD_10TensorBaseESH_lENKUlvE_clEvENKUlvE3_clEvEUlS6_S6_E_S6_EEDaPvRmT3_T4_T5_mT6_P12ihipStream_tbENKUlT_T0_E_clISt17integral_constantIbLb0EESX_IbLb1EEEEDaST_SU_EUlST_E_NS1_11comp_targetILNS1_3genE2ELNS1_11target_archE906ELNS1_3gpuE6ELNS1_3repE0EEENS1_30default_config_static_selectorELNS0_4arch9wavefront6targetE0EEEvT1_.num_named_barrier, 0
	.set _ZN7rocprim17ROCPRIM_400000_NS6detail17trampoline_kernelINS0_14default_configENS1_20scan_config_selectorIN3c104HalfEEEZZNS1_9scan_implILNS1_25lookback_scan_determinismE0ELb0ELb0ES3_PKS6_PS6_S6_ZZZN2at6native31launch_logcumsumexp_cuda_kernelERKNSD_10TensorBaseESH_lENKUlvE_clEvENKUlvE3_clEvEUlS6_S6_E_S6_EEDaPvRmT3_T4_T5_mT6_P12ihipStream_tbENKUlT_T0_E_clISt17integral_constantIbLb0EESX_IbLb1EEEEDaST_SU_EUlST_E_NS1_11comp_targetILNS1_3genE2ELNS1_11target_archE906ELNS1_3gpuE6ELNS1_3repE0EEENS1_30default_config_static_selectorELNS0_4arch9wavefront6targetE0EEEvT1_.private_seg_size, 0
	.set _ZN7rocprim17ROCPRIM_400000_NS6detail17trampoline_kernelINS0_14default_configENS1_20scan_config_selectorIN3c104HalfEEEZZNS1_9scan_implILNS1_25lookback_scan_determinismE0ELb0ELb0ES3_PKS6_PS6_S6_ZZZN2at6native31launch_logcumsumexp_cuda_kernelERKNSD_10TensorBaseESH_lENKUlvE_clEvENKUlvE3_clEvEUlS6_S6_E_S6_EEDaPvRmT3_T4_T5_mT6_P12ihipStream_tbENKUlT_T0_E_clISt17integral_constantIbLb0EESX_IbLb1EEEEDaST_SU_EUlST_E_NS1_11comp_targetILNS1_3genE2ELNS1_11target_archE906ELNS1_3gpuE6ELNS1_3repE0EEENS1_30default_config_static_selectorELNS0_4arch9wavefront6targetE0EEEvT1_.uses_vcc, 0
	.set _ZN7rocprim17ROCPRIM_400000_NS6detail17trampoline_kernelINS0_14default_configENS1_20scan_config_selectorIN3c104HalfEEEZZNS1_9scan_implILNS1_25lookback_scan_determinismE0ELb0ELb0ES3_PKS6_PS6_S6_ZZZN2at6native31launch_logcumsumexp_cuda_kernelERKNSD_10TensorBaseESH_lENKUlvE_clEvENKUlvE3_clEvEUlS6_S6_E_S6_EEDaPvRmT3_T4_T5_mT6_P12ihipStream_tbENKUlT_T0_E_clISt17integral_constantIbLb0EESX_IbLb1EEEEDaST_SU_EUlST_E_NS1_11comp_targetILNS1_3genE2ELNS1_11target_archE906ELNS1_3gpuE6ELNS1_3repE0EEENS1_30default_config_static_selectorELNS0_4arch9wavefront6targetE0EEEvT1_.uses_flat_scratch, 0
	.set _ZN7rocprim17ROCPRIM_400000_NS6detail17trampoline_kernelINS0_14default_configENS1_20scan_config_selectorIN3c104HalfEEEZZNS1_9scan_implILNS1_25lookback_scan_determinismE0ELb0ELb0ES3_PKS6_PS6_S6_ZZZN2at6native31launch_logcumsumexp_cuda_kernelERKNSD_10TensorBaseESH_lENKUlvE_clEvENKUlvE3_clEvEUlS6_S6_E_S6_EEDaPvRmT3_T4_T5_mT6_P12ihipStream_tbENKUlT_T0_E_clISt17integral_constantIbLb0EESX_IbLb1EEEEDaST_SU_EUlST_E_NS1_11comp_targetILNS1_3genE2ELNS1_11target_archE906ELNS1_3gpuE6ELNS1_3repE0EEENS1_30default_config_static_selectorELNS0_4arch9wavefront6targetE0EEEvT1_.has_dyn_sized_stack, 0
	.set _ZN7rocprim17ROCPRIM_400000_NS6detail17trampoline_kernelINS0_14default_configENS1_20scan_config_selectorIN3c104HalfEEEZZNS1_9scan_implILNS1_25lookback_scan_determinismE0ELb0ELb0ES3_PKS6_PS6_S6_ZZZN2at6native31launch_logcumsumexp_cuda_kernelERKNSD_10TensorBaseESH_lENKUlvE_clEvENKUlvE3_clEvEUlS6_S6_E_S6_EEDaPvRmT3_T4_T5_mT6_P12ihipStream_tbENKUlT_T0_E_clISt17integral_constantIbLb0EESX_IbLb1EEEEDaST_SU_EUlST_E_NS1_11comp_targetILNS1_3genE2ELNS1_11target_archE906ELNS1_3gpuE6ELNS1_3repE0EEENS1_30default_config_static_selectorELNS0_4arch9wavefront6targetE0EEEvT1_.has_recursion, 0
	.set _ZN7rocprim17ROCPRIM_400000_NS6detail17trampoline_kernelINS0_14default_configENS1_20scan_config_selectorIN3c104HalfEEEZZNS1_9scan_implILNS1_25lookback_scan_determinismE0ELb0ELb0ES3_PKS6_PS6_S6_ZZZN2at6native31launch_logcumsumexp_cuda_kernelERKNSD_10TensorBaseESH_lENKUlvE_clEvENKUlvE3_clEvEUlS6_S6_E_S6_EEDaPvRmT3_T4_T5_mT6_P12ihipStream_tbENKUlT_T0_E_clISt17integral_constantIbLb0EESX_IbLb1EEEEDaST_SU_EUlST_E_NS1_11comp_targetILNS1_3genE2ELNS1_11target_archE906ELNS1_3gpuE6ELNS1_3repE0EEENS1_30default_config_static_selectorELNS0_4arch9wavefront6targetE0EEEvT1_.has_indirect_call, 0
	.section	.AMDGPU.csdata,"",@progbits
; Kernel info:
; codeLenInByte = 0
; TotalNumSgprs: 0
; NumVgprs: 0
; ScratchSize: 0
; MemoryBound: 0
; FloatMode: 240
; IeeeMode: 1
; LDSByteSize: 0 bytes/workgroup (compile time only)
; SGPRBlocks: 0
; VGPRBlocks: 0
; NumSGPRsForWavesPerEU: 1
; NumVGPRsForWavesPerEU: 1
; Occupancy: 16
; WaveLimiterHint : 0
; COMPUTE_PGM_RSRC2:SCRATCH_EN: 0
; COMPUTE_PGM_RSRC2:USER_SGPR: 6
; COMPUTE_PGM_RSRC2:TRAP_HANDLER: 0
; COMPUTE_PGM_RSRC2:TGID_X_EN: 1
; COMPUTE_PGM_RSRC2:TGID_Y_EN: 0
; COMPUTE_PGM_RSRC2:TGID_Z_EN: 0
; COMPUTE_PGM_RSRC2:TIDIG_COMP_CNT: 0
	.section	.text._ZN7rocprim17ROCPRIM_400000_NS6detail17trampoline_kernelINS0_14default_configENS1_20scan_config_selectorIN3c104HalfEEEZZNS1_9scan_implILNS1_25lookback_scan_determinismE0ELb0ELb0ES3_PKS6_PS6_S6_ZZZN2at6native31launch_logcumsumexp_cuda_kernelERKNSD_10TensorBaseESH_lENKUlvE_clEvENKUlvE3_clEvEUlS6_S6_E_S6_EEDaPvRmT3_T4_T5_mT6_P12ihipStream_tbENKUlT_T0_E_clISt17integral_constantIbLb0EESX_IbLb1EEEEDaST_SU_EUlST_E_NS1_11comp_targetILNS1_3genE10ELNS1_11target_archE1201ELNS1_3gpuE5ELNS1_3repE0EEENS1_30default_config_static_selectorELNS0_4arch9wavefront6targetE0EEEvT1_,"axG",@progbits,_ZN7rocprim17ROCPRIM_400000_NS6detail17trampoline_kernelINS0_14default_configENS1_20scan_config_selectorIN3c104HalfEEEZZNS1_9scan_implILNS1_25lookback_scan_determinismE0ELb0ELb0ES3_PKS6_PS6_S6_ZZZN2at6native31launch_logcumsumexp_cuda_kernelERKNSD_10TensorBaseESH_lENKUlvE_clEvENKUlvE3_clEvEUlS6_S6_E_S6_EEDaPvRmT3_T4_T5_mT6_P12ihipStream_tbENKUlT_T0_E_clISt17integral_constantIbLb0EESX_IbLb1EEEEDaST_SU_EUlST_E_NS1_11comp_targetILNS1_3genE10ELNS1_11target_archE1201ELNS1_3gpuE5ELNS1_3repE0EEENS1_30default_config_static_selectorELNS0_4arch9wavefront6targetE0EEEvT1_,comdat
	.globl	_ZN7rocprim17ROCPRIM_400000_NS6detail17trampoline_kernelINS0_14default_configENS1_20scan_config_selectorIN3c104HalfEEEZZNS1_9scan_implILNS1_25lookback_scan_determinismE0ELb0ELb0ES3_PKS6_PS6_S6_ZZZN2at6native31launch_logcumsumexp_cuda_kernelERKNSD_10TensorBaseESH_lENKUlvE_clEvENKUlvE3_clEvEUlS6_S6_E_S6_EEDaPvRmT3_T4_T5_mT6_P12ihipStream_tbENKUlT_T0_E_clISt17integral_constantIbLb0EESX_IbLb1EEEEDaST_SU_EUlST_E_NS1_11comp_targetILNS1_3genE10ELNS1_11target_archE1201ELNS1_3gpuE5ELNS1_3repE0EEENS1_30default_config_static_selectorELNS0_4arch9wavefront6targetE0EEEvT1_ ; -- Begin function _ZN7rocprim17ROCPRIM_400000_NS6detail17trampoline_kernelINS0_14default_configENS1_20scan_config_selectorIN3c104HalfEEEZZNS1_9scan_implILNS1_25lookback_scan_determinismE0ELb0ELb0ES3_PKS6_PS6_S6_ZZZN2at6native31launch_logcumsumexp_cuda_kernelERKNSD_10TensorBaseESH_lENKUlvE_clEvENKUlvE3_clEvEUlS6_S6_E_S6_EEDaPvRmT3_T4_T5_mT6_P12ihipStream_tbENKUlT_T0_E_clISt17integral_constantIbLb0EESX_IbLb1EEEEDaST_SU_EUlST_E_NS1_11comp_targetILNS1_3genE10ELNS1_11target_archE1201ELNS1_3gpuE5ELNS1_3repE0EEENS1_30default_config_static_selectorELNS0_4arch9wavefront6targetE0EEEvT1_
	.p2align	8
	.type	_ZN7rocprim17ROCPRIM_400000_NS6detail17trampoline_kernelINS0_14default_configENS1_20scan_config_selectorIN3c104HalfEEEZZNS1_9scan_implILNS1_25lookback_scan_determinismE0ELb0ELb0ES3_PKS6_PS6_S6_ZZZN2at6native31launch_logcumsumexp_cuda_kernelERKNSD_10TensorBaseESH_lENKUlvE_clEvENKUlvE3_clEvEUlS6_S6_E_S6_EEDaPvRmT3_T4_T5_mT6_P12ihipStream_tbENKUlT_T0_E_clISt17integral_constantIbLb0EESX_IbLb1EEEEDaST_SU_EUlST_E_NS1_11comp_targetILNS1_3genE10ELNS1_11target_archE1201ELNS1_3gpuE5ELNS1_3repE0EEENS1_30default_config_static_selectorELNS0_4arch9wavefront6targetE0EEEvT1_,@function
_ZN7rocprim17ROCPRIM_400000_NS6detail17trampoline_kernelINS0_14default_configENS1_20scan_config_selectorIN3c104HalfEEEZZNS1_9scan_implILNS1_25lookback_scan_determinismE0ELb0ELb0ES3_PKS6_PS6_S6_ZZZN2at6native31launch_logcumsumexp_cuda_kernelERKNSD_10TensorBaseESH_lENKUlvE_clEvENKUlvE3_clEvEUlS6_S6_E_S6_EEDaPvRmT3_T4_T5_mT6_P12ihipStream_tbENKUlT_T0_E_clISt17integral_constantIbLb0EESX_IbLb1EEEEDaST_SU_EUlST_E_NS1_11comp_targetILNS1_3genE10ELNS1_11target_archE1201ELNS1_3gpuE5ELNS1_3repE0EEENS1_30default_config_static_selectorELNS0_4arch9wavefront6targetE0EEEvT1_: ; @_ZN7rocprim17ROCPRIM_400000_NS6detail17trampoline_kernelINS0_14default_configENS1_20scan_config_selectorIN3c104HalfEEEZZNS1_9scan_implILNS1_25lookback_scan_determinismE0ELb0ELb0ES3_PKS6_PS6_S6_ZZZN2at6native31launch_logcumsumexp_cuda_kernelERKNSD_10TensorBaseESH_lENKUlvE_clEvENKUlvE3_clEvEUlS6_S6_E_S6_EEDaPvRmT3_T4_T5_mT6_P12ihipStream_tbENKUlT_T0_E_clISt17integral_constantIbLb0EESX_IbLb1EEEEDaST_SU_EUlST_E_NS1_11comp_targetILNS1_3genE10ELNS1_11target_archE1201ELNS1_3gpuE5ELNS1_3repE0EEENS1_30default_config_static_selectorELNS0_4arch9wavefront6targetE0EEEvT1_
; %bb.0:
	.section	.rodata,"a",@progbits
	.p2align	6, 0x0
	.amdhsa_kernel _ZN7rocprim17ROCPRIM_400000_NS6detail17trampoline_kernelINS0_14default_configENS1_20scan_config_selectorIN3c104HalfEEEZZNS1_9scan_implILNS1_25lookback_scan_determinismE0ELb0ELb0ES3_PKS6_PS6_S6_ZZZN2at6native31launch_logcumsumexp_cuda_kernelERKNSD_10TensorBaseESH_lENKUlvE_clEvENKUlvE3_clEvEUlS6_S6_E_S6_EEDaPvRmT3_T4_T5_mT6_P12ihipStream_tbENKUlT_T0_E_clISt17integral_constantIbLb0EESX_IbLb1EEEEDaST_SU_EUlST_E_NS1_11comp_targetILNS1_3genE10ELNS1_11target_archE1201ELNS1_3gpuE5ELNS1_3repE0EEENS1_30default_config_static_selectorELNS0_4arch9wavefront6targetE0EEEvT1_
		.amdhsa_group_segment_fixed_size 0
		.amdhsa_private_segment_fixed_size 0
		.amdhsa_kernarg_size 96
		.amdhsa_user_sgpr_count 6
		.amdhsa_user_sgpr_private_segment_buffer 1
		.amdhsa_user_sgpr_dispatch_ptr 0
		.amdhsa_user_sgpr_queue_ptr 0
		.amdhsa_user_sgpr_kernarg_segment_ptr 1
		.amdhsa_user_sgpr_dispatch_id 0
		.amdhsa_user_sgpr_flat_scratch_init 0
		.amdhsa_user_sgpr_private_segment_size 0
		.amdhsa_wavefront_size32 1
		.amdhsa_uses_dynamic_stack 0
		.amdhsa_system_sgpr_private_segment_wavefront_offset 0
		.amdhsa_system_sgpr_workgroup_id_x 1
		.amdhsa_system_sgpr_workgroup_id_y 0
		.amdhsa_system_sgpr_workgroup_id_z 0
		.amdhsa_system_sgpr_workgroup_info 0
		.amdhsa_system_vgpr_workitem_id 0
		.amdhsa_next_free_vgpr 1
		.amdhsa_next_free_sgpr 1
		.amdhsa_reserve_vcc 0
		.amdhsa_reserve_flat_scratch 0
		.amdhsa_float_round_mode_32 0
		.amdhsa_float_round_mode_16_64 0
		.amdhsa_float_denorm_mode_32 3
		.amdhsa_float_denorm_mode_16_64 3
		.amdhsa_dx10_clamp 1
		.amdhsa_ieee_mode 1
		.amdhsa_fp16_overflow 0
		.amdhsa_workgroup_processor_mode 1
		.amdhsa_memory_ordered 1
		.amdhsa_forward_progress 1
		.amdhsa_shared_vgpr_count 0
		.amdhsa_exception_fp_ieee_invalid_op 0
		.amdhsa_exception_fp_denorm_src 0
		.amdhsa_exception_fp_ieee_div_zero 0
		.amdhsa_exception_fp_ieee_overflow 0
		.amdhsa_exception_fp_ieee_underflow 0
		.amdhsa_exception_fp_ieee_inexact 0
		.amdhsa_exception_int_div_zero 0
	.end_amdhsa_kernel
	.section	.text._ZN7rocprim17ROCPRIM_400000_NS6detail17trampoline_kernelINS0_14default_configENS1_20scan_config_selectorIN3c104HalfEEEZZNS1_9scan_implILNS1_25lookback_scan_determinismE0ELb0ELb0ES3_PKS6_PS6_S6_ZZZN2at6native31launch_logcumsumexp_cuda_kernelERKNSD_10TensorBaseESH_lENKUlvE_clEvENKUlvE3_clEvEUlS6_S6_E_S6_EEDaPvRmT3_T4_T5_mT6_P12ihipStream_tbENKUlT_T0_E_clISt17integral_constantIbLb0EESX_IbLb1EEEEDaST_SU_EUlST_E_NS1_11comp_targetILNS1_3genE10ELNS1_11target_archE1201ELNS1_3gpuE5ELNS1_3repE0EEENS1_30default_config_static_selectorELNS0_4arch9wavefront6targetE0EEEvT1_,"axG",@progbits,_ZN7rocprim17ROCPRIM_400000_NS6detail17trampoline_kernelINS0_14default_configENS1_20scan_config_selectorIN3c104HalfEEEZZNS1_9scan_implILNS1_25lookback_scan_determinismE0ELb0ELb0ES3_PKS6_PS6_S6_ZZZN2at6native31launch_logcumsumexp_cuda_kernelERKNSD_10TensorBaseESH_lENKUlvE_clEvENKUlvE3_clEvEUlS6_S6_E_S6_EEDaPvRmT3_T4_T5_mT6_P12ihipStream_tbENKUlT_T0_E_clISt17integral_constantIbLb0EESX_IbLb1EEEEDaST_SU_EUlST_E_NS1_11comp_targetILNS1_3genE10ELNS1_11target_archE1201ELNS1_3gpuE5ELNS1_3repE0EEENS1_30default_config_static_selectorELNS0_4arch9wavefront6targetE0EEEvT1_,comdat
.Lfunc_end421:
	.size	_ZN7rocprim17ROCPRIM_400000_NS6detail17trampoline_kernelINS0_14default_configENS1_20scan_config_selectorIN3c104HalfEEEZZNS1_9scan_implILNS1_25lookback_scan_determinismE0ELb0ELb0ES3_PKS6_PS6_S6_ZZZN2at6native31launch_logcumsumexp_cuda_kernelERKNSD_10TensorBaseESH_lENKUlvE_clEvENKUlvE3_clEvEUlS6_S6_E_S6_EEDaPvRmT3_T4_T5_mT6_P12ihipStream_tbENKUlT_T0_E_clISt17integral_constantIbLb0EESX_IbLb1EEEEDaST_SU_EUlST_E_NS1_11comp_targetILNS1_3genE10ELNS1_11target_archE1201ELNS1_3gpuE5ELNS1_3repE0EEENS1_30default_config_static_selectorELNS0_4arch9wavefront6targetE0EEEvT1_, .Lfunc_end421-_ZN7rocprim17ROCPRIM_400000_NS6detail17trampoline_kernelINS0_14default_configENS1_20scan_config_selectorIN3c104HalfEEEZZNS1_9scan_implILNS1_25lookback_scan_determinismE0ELb0ELb0ES3_PKS6_PS6_S6_ZZZN2at6native31launch_logcumsumexp_cuda_kernelERKNSD_10TensorBaseESH_lENKUlvE_clEvENKUlvE3_clEvEUlS6_S6_E_S6_EEDaPvRmT3_T4_T5_mT6_P12ihipStream_tbENKUlT_T0_E_clISt17integral_constantIbLb0EESX_IbLb1EEEEDaST_SU_EUlST_E_NS1_11comp_targetILNS1_3genE10ELNS1_11target_archE1201ELNS1_3gpuE5ELNS1_3repE0EEENS1_30default_config_static_selectorELNS0_4arch9wavefront6targetE0EEEvT1_
                                        ; -- End function
	.set _ZN7rocprim17ROCPRIM_400000_NS6detail17trampoline_kernelINS0_14default_configENS1_20scan_config_selectorIN3c104HalfEEEZZNS1_9scan_implILNS1_25lookback_scan_determinismE0ELb0ELb0ES3_PKS6_PS6_S6_ZZZN2at6native31launch_logcumsumexp_cuda_kernelERKNSD_10TensorBaseESH_lENKUlvE_clEvENKUlvE3_clEvEUlS6_S6_E_S6_EEDaPvRmT3_T4_T5_mT6_P12ihipStream_tbENKUlT_T0_E_clISt17integral_constantIbLb0EESX_IbLb1EEEEDaST_SU_EUlST_E_NS1_11comp_targetILNS1_3genE10ELNS1_11target_archE1201ELNS1_3gpuE5ELNS1_3repE0EEENS1_30default_config_static_selectorELNS0_4arch9wavefront6targetE0EEEvT1_.num_vgpr, 0
	.set _ZN7rocprim17ROCPRIM_400000_NS6detail17trampoline_kernelINS0_14default_configENS1_20scan_config_selectorIN3c104HalfEEEZZNS1_9scan_implILNS1_25lookback_scan_determinismE0ELb0ELb0ES3_PKS6_PS6_S6_ZZZN2at6native31launch_logcumsumexp_cuda_kernelERKNSD_10TensorBaseESH_lENKUlvE_clEvENKUlvE3_clEvEUlS6_S6_E_S6_EEDaPvRmT3_T4_T5_mT6_P12ihipStream_tbENKUlT_T0_E_clISt17integral_constantIbLb0EESX_IbLb1EEEEDaST_SU_EUlST_E_NS1_11comp_targetILNS1_3genE10ELNS1_11target_archE1201ELNS1_3gpuE5ELNS1_3repE0EEENS1_30default_config_static_selectorELNS0_4arch9wavefront6targetE0EEEvT1_.num_agpr, 0
	.set _ZN7rocprim17ROCPRIM_400000_NS6detail17trampoline_kernelINS0_14default_configENS1_20scan_config_selectorIN3c104HalfEEEZZNS1_9scan_implILNS1_25lookback_scan_determinismE0ELb0ELb0ES3_PKS6_PS6_S6_ZZZN2at6native31launch_logcumsumexp_cuda_kernelERKNSD_10TensorBaseESH_lENKUlvE_clEvENKUlvE3_clEvEUlS6_S6_E_S6_EEDaPvRmT3_T4_T5_mT6_P12ihipStream_tbENKUlT_T0_E_clISt17integral_constantIbLb0EESX_IbLb1EEEEDaST_SU_EUlST_E_NS1_11comp_targetILNS1_3genE10ELNS1_11target_archE1201ELNS1_3gpuE5ELNS1_3repE0EEENS1_30default_config_static_selectorELNS0_4arch9wavefront6targetE0EEEvT1_.numbered_sgpr, 0
	.set _ZN7rocprim17ROCPRIM_400000_NS6detail17trampoline_kernelINS0_14default_configENS1_20scan_config_selectorIN3c104HalfEEEZZNS1_9scan_implILNS1_25lookback_scan_determinismE0ELb0ELb0ES3_PKS6_PS6_S6_ZZZN2at6native31launch_logcumsumexp_cuda_kernelERKNSD_10TensorBaseESH_lENKUlvE_clEvENKUlvE3_clEvEUlS6_S6_E_S6_EEDaPvRmT3_T4_T5_mT6_P12ihipStream_tbENKUlT_T0_E_clISt17integral_constantIbLb0EESX_IbLb1EEEEDaST_SU_EUlST_E_NS1_11comp_targetILNS1_3genE10ELNS1_11target_archE1201ELNS1_3gpuE5ELNS1_3repE0EEENS1_30default_config_static_selectorELNS0_4arch9wavefront6targetE0EEEvT1_.num_named_barrier, 0
	.set _ZN7rocprim17ROCPRIM_400000_NS6detail17trampoline_kernelINS0_14default_configENS1_20scan_config_selectorIN3c104HalfEEEZZNS1_9scan_implILNS1_25lookback_scan_determinismE0ELb0ELb0ES3_PKS6_PS6_S6_ZZZN2at6native31launch_logcumsumexp_cuda_kernelERKNSD_10TensorBaseESH_lENKUlvE_clEvENKUlvE3_clEvEUlS6_S6_E_S6_EEDaPvRmT3_T4_T5_mT6_P12ihipStream_tbENKUlT_T0_E_clISt17integral_constantIbLb0EESX_IbLb1EEEEDaST_SU_EUlST_E_NS1_11comp_targetILNS1_3genE10ELNS1_11target_archE1201ELNS1_3gpuE5ELNS1_3repE0EEENS1_30default_config_static_selectorELNS0_4arch9wavefront6targetE0EEEvT1_.private_seg_size, 0
	.set _ZN7rocprim17ROCPRIM_400000_NS6detail17trampoline_kernelINS0_14default_configENS1_20scan_config_selectorIN3c104HalfEEEZZNS1_9scan_implILNS1_25lookback_scan_determinismE0ELb0ELb0ES3_PKS6_PS6_S6_ZZZN2at6native31launch_logcumsumexp_cuda_kernelERKNSD_10TensorBaseESH_lENKUlvE_clEvENKUlvE3_clEvEUlS6_S6_E_S6_EEDaPvRmT3_T4_T5_mT6_P12ihipStream_tbENKUlT_T0_E_clISt17integral_constantIbLb0EESX_IbLb1EEEEDaST_SU_EUlST_E_NS1_11comp_targetILNS1_3genE10ELNS1_11target_archE1201ELNS1_3gpuE5ELNS1_3repE0EEENS1_30default_config_static_selectorELNS0_4arch9wavefront6targetE0EEEvT1_.uses_vcc, 0
	.set _ZN7rocprim17ROCPRIM_400000_NS6detail17trampoline_kernelINS0_14default_configENS1_20scan_config_selectorIN3c104HalfEEEZZNS1_9scan_implILNS1_25lookback_scan_determinismE0ELb0ELb0ES3_PKS6_PS6_S6_ZZZN2at6native31launch_logcumsumexp_cuda_kernelERKNSD_10TensorBaseESH_lENKUlvE_clEvENKUlvE3_clEvEUlS6_S6_E_S6_EEDaPvRmT3_T4_T5_mT6_P12ihipStream_tbENKUlT_T0_E_clISt17integral_constantIbLb0EESX_IbLb1EEEEDaST_SU_EUlST_E_NS1_11comp_targetILNS1_3genE10ELNS1_11target_archE1201ELNS1_3gpuE5ELNS1_3repE0EEENS1_30default_config_static_selectorELNS0_4arch9wavefront6targetE0EEEvT1_.uses_flat_scratch, 0
	.set _ZN7rocprim17ROCPRIM_400000_NS6detail17trampoline_kernelINS0_14default_configENS1_20scan_config_selectorIN3c104HalfEEEZZNS1_9scan_implILNS1_25lookback_scan_determinismE0ELb0ELb0ES3_PKS6_PS6_S6_ZZZN2at6native31launch_logcumsumexp_cuda_kernelERKNSD_10TensorBaseESH_lENKUlvE_clEvENKUlvE3_clEvEUlS6_S6_E_S6_EEDaPvRmT3_T4_T5_mT6_P12ihipStream_tbENKUlT_T0_E_clISt17integral_constantIbLb0EESX_IbLb1EEEEDaST_SU_EUlST_E_NS1_11comp_targetILNS1_3genE10ELNS1_11target_archE1201ELNS1_3gpuE5ELNS1_3repE0EEENS1_30default_config_static_selectorELNS0_4arch9wavefront6targetE0EEEvT1_.has_dyn_sized_stack, 0
	.set _ZN7rocprim17ROCPRIM_400000_NS6detail17trampoline_kernelINS0_14default_configENS1_20scan_config_selectorIN3c104HalfEEEZZNS1_9scan_implILNS1_25lookback_scan_determinismE0ELb0ELb0ES3_PKS6_PS6_S6_ZZZN2at6native31launch_logcumsumexp_cuda_kernelERKNSD_10TensorBaseESH_lENKUlvE_clEvENKUlvE3_clEvEUlS6_S6_E_S6_EEDaPvRmT3_T4_T5_mT6_P12ihipStream_tbENKUlT_T0_E_clISt17integral_constantIbLb0EESX_IbLb1EEEEDaST_SU_EUlST_E_NS1_11comp_targetILNS1_3genE10ELNS1_11target_archE1201ELNS1_3gpuE5ELNS1_3repE0EEENS1_30default_config_static_selectorELNS0_4arch9wavefront6targetE0EEEvT1_.has_recursion, 0
	.set _ZN7rocprim17ROCPRIM_400000_NS6detail17trampoline_kernelINS0_14default_configENS1_20scan_config_selectorIN3c104HalfEEEZZNS1_9scan_implILNS1_25lookback_scan_determinismE0ELb0ELb0ES3_PKS6_PS6_S6_ZZZN2at6native31launch_logcumsumexp_cuda_kernelERKNSD_10TensorBaseESH_lENKUlvE_clEvENKUlvE3_clEvEUlS6_S6_E_S6_EEDaPvRmT3_T4_T5_mT6_P12ihipStream_tbENKUlT_T0_E_clISt17integral_constantIbLb0EESX_IbLb1EEEEDaST_SU_EUlST_E_NS1_11comp_targetILNS1_3genE10ELNS1_11target_archE1201ELNS1_3gpuE5ELNS1_3repE0EEENS1_30default_config_static_selectorELNS0_4arch9wavefront6targetE0EEEvT1_.has_indirect_call, 0
	.section	.AMDGPU.csdata,"",@progbits
; Kernel info:
; codeLenInByte = 0
; TotalNumSgprs: 0
; NumVgprs: 0
; ScratchSize: 0
; MemoryBound: 0
; FloatMode: 240
; IeeeMode: 1
; LDSByteSize: 0 bytes/workgroup (compile time only)
; SGPRBlocks: 0
; VGPRBlocks: 0
; NumSGPRsForWavesPerEU: 1
; NumVGPRsForWavesPerEU: 1
; Occupancy: 16
; WaveLimiterHint : 0
; COMPUTE_PGM_RSRC2:SCRATCH_EN: 0
; COMPUTE_PGM_RSRC2:USER_SGPR: 6
; COMPUTE_PGM_RSRC2:TRAP_HANDLER: 0
; COMPUTE_PGM_RSRC2:TGID_X_EN: 1
; COMPUTE_PGM_RSRC2:TGID_Y_EN: 0
; COMPUTE_PGM_RSRC2:TGID_Z_EN: 0
; COMPUTE_PGM_RSRC2:TIDIG_COMP_CNT: 0
	.section	.text._ZN7rocprim17ROCPRIM_400000_NS6detail17trampoline_kernelINS0_14default_configENS1_20scan_config_selectorIN3c104HalfEEEZZNS1_9scan_implILNS1_25lookback_scan_determinismE0ELb0ELb0ES3_PKS6_PS6_S6_ZZZN2at6native31launch_logcumsumexp_cuda_kernelERKNSD_10TensorBaseESH_lENKUlvE_clEvENKUlvE3_clEvEUlS6_S6_E_S6_EEDaPvRmT3_T4_T5_mT6_P12ihipStream_tbENKUlT_T0_E_clISt17integral_constantIbLb0EESX_IbLb1EEEEDaST_SU_EUlST_E_NS1_11comp_targetILNS1_3genE10ELNS1_11target_archE1200ELNS1_3gpuE4ELNS1_3repE0EEENS1_30default_config_static_selectorELNS0_4arch9wavefront6targetE0EEEvT1_,"axG",@progbits,_ZN7rocprim17ROCPRIM_400000_NS6detail17trampoline_kernelINS0_14default_configENS1_20scan_config_selectorIN3c104HalfEEEZZNS1_9scan_implILNS1_25lookback_scan_determinismE0ELb0ELb0ES3_PKS6_PS6_S6_ZZZN2at6native31launch_logcumsumexp_cuda_kernelERKNSD_10TensorBaseESH_lENKUlvE_clEvENKUlvE3_clEvEUlS6_S6_E_S6_EEDaPvRmT3_T4_T5_mT6_P12ihipStream_tbENKUlT_T0_E_clISt17integral_constantIbLb0EESX_IbLb1EEEEDaST_SU_EUlST_E_NS1_11comp_targetILNS1_3genE10ELNS1_11target_archE1200ELNS1_3gpuE4ELNS1_3repE0EEENS1_30default_config_static_selectorELNS0_4arch9wavefront6targetE0EEEvT1_,comdat
	.globl	_ZN7rocprim17ROCPRIM_400000_NS6detail17trampoline_kernelINS0_14default_configENS1_20scan_config_selectorIN3c104HalfEEEZZNS1_9scan_implILNS1_25lookback_scan_determinismE0ELb0ELb0ES3_PKS6_PS6_S6_ZZZN2at6native31launch_logcumsumexp_cuda_kernelERKNSD_10TensorBaseESH_lENKUlvE_clEvENKUlvE3_clEvEUlS6_S6_E_S6_EEDaPvRmT3_T4_T5_mT6_P12ihipStream_tbENKUlT_T0_E_clISt17integral_constantIbLb0EESX_IbLb1EEEEDaST_SU_EUlST_E_NS1_11comp_targetILNS1_3genE10ELNS1_11target_archE1200ELNS1_3gpuE4ELNS1_3repE0EEENS1_30default_config_static_selectorELNS0_4arch9wavefront6targetE0EEEvT1_ ; -- Begin function _ZN7rocprim17ROCPRIM_400000_NS6detail17trampoline_kernelINS0_14default_configENS1_20scan_config_selectorIN3c104HalfEEEZZNS1_9scan_implILNS1_25lookback_scan_determinismE0ELb0ELb0ES3_PKS6_PS6_S6_ZZZN2at6native31launch_logcumsumexp_cuda_kernelERKNSD_10TensorBaseESH_lENKUlvE_clEvENKUlvE3_clEvEUlS6_S6_E_S6_EEDaPvRmT3_T4_T5_mT6_P12ihipStream_tbENKUlT_T0_E_clISt17integral_constantIbLb0EESX_IbLb1EEEEDaST_SU_EUlST_E_NS1_11comp_targetILNS1_3genE10ELNS1_11target_archE1200ELNS1_3gpuE4ELNS1_3repE0EEENS1_30default_config_static_selectorELNS0_4arch9wavefront6targetE0EEEvT1_
	.p2align	8
	.type	_ZN7rocprim17ROCPRIM_400000_NS6detail17trampoline_kernelINS0_14default_configENS1_20scan_config_selectorIN3c104HalfEEEZZNS1_9scan_implILNS1_25lookback_scan_determinismE0ELb0ELb0ES3_PKS6_PS6_S6_ZZZN2at6native31launch_logcumsumexp_cuda_kernelERKNSD_10TensorBaseESH_lENKUlvE_clEvENKUlvE3_clEvEUlS6_S6_E_S6_EEDaPvRmT3_T4_T5_mT6_P12ihipStream_tbENKUlT_T0_E_clISt17integral_constantIbLb0EESX_IbLb1EEEEDaST_SU_EUlST_E_NS1_11comp_targetILNS1_3genE10ELNS1_11target_archE1200ELNS1_3gpuE4ELNS1_3repE0EEENS1_30default_config_static_selectorELNS0_4arch9wavefront6targetE0EEEvT1_,@function
_ZN7rocprim17ROCPRIM_400000_NS6detail17trampoline_kernelINS0_14default_configENS1_20scan_config_selectorIN3c104HalfEEEZZNS1_9scan_implILNS1_25lookback_scan_determinismE0ELb0ELb0ES3_PKS6_PS6_S6_ZZZN2at6native31launch_logcumsumexp_cuda_kernelERKNSD_10TensorBaseESH_lENKUlvE_clEvENKUlvE3_clEvEUlS6_S6_E_S6_EEDaPvRmT3_T4_T5_mT6_P12ihipStream_tbENKUlT_T0_E_clISt17integral_constantIbLb0EESX_IbLb1EEEEDaST_SU_EUlST_E_NS1_11comp_targetILNS1_3genE10ELNS1_11target_archE1200ELNS1_3gpuE4ELNS1_3repE0EEENS1_30default_config_static_selectorELNS0_4arch9wavefront6targetE0EEEvT1_: ; @_ZN7rocprim17ROCPRIM_400000_NS6detail17trampoline_kernelINS0_14default_configENS1_20scan_config_selectorIN3c104HalfEEEZZNS1_9scan_implILNS1_25lookback_scan_determinismE0ELb0ELb0ES3_PKS6_PS6_S6_ZZZN2at6native31launch_logcumsumexp_cuda_kernelERKNSD_10TensorBaseESH_lENKUlvE_clEvENKUlvE3_clEvEUlS6_S6_E_S6_EEDaPvRmT3_T4_T5_mT6_P12ihipStream_tbENKUlT_T0_E_clISt17integral_constantIbLb0EESX_IbLb1EEEEDaST_SU_EUlST_E_NS1_11comp_targetILNS1_3genE10ELNS1_11target_archE1200ELNS1_3gpuE4ELNS1_3repE0EEENS1_30default_config_static_selectorELNS0_4arch9wavefront6targetE0EEEvT1_
; %bb.0:
	.section	.rodata,"a",@progbits
	.p2align	6, 0x0
	.amdhsa_kernel _ZN7rocprim17ROCPRIM_400000_NS6detail17trampoline_kernelINS0_14default_configENS1_20scan_config_selectorIN3c104HalfEEEZZNS1_9scan_implILNS1_25lookback_scan_determinismE0ELb0ELb0ES3_PKS6_PS6_S6_ZZZN2at6native31launch_logcumsumexp_cuda_kernelERKNSD_10TensorBaseESH_lENKUlvE_clEvENKUlvE3_clEvEUlS6_S6_E_S6_EEDaPvRmT3_T4_T5_mT6_P12ihipStream_tbENKUlT_T0_E_clISt17integral_constantIbLb0EESX_IbLb1EEEEDaST_SU_EUlST_E_NS1_11comp_targetILNS1_3genE10ELNS1_11target_archE1200ELNS1_3gpuE4ELNS1_3repE0EEENS1_30default_config_static_selectorELNS0_4arch9wavefront6targetE0EEEvT1_
		.amdhsa_group_segment_fixed_size 0
		.amdhsa_private_segment_fixed_size 0
		.amdhsa_kernarg_size 96
		.amdhsa_user_sgpr_count 6
		.amdhsa_user_sgpr_private_segment_buffer 1
		.amdhsa_user_sgpr_dispatch_ptr 0
		.amdhsa_user_sgpr_queue_ptr 0
		.amdhsa_user_sgpr_kernarg_segment_ptr 1
		.amdhsa_user_sgpr_dispatch_id 0
		.amdhsa_user_sgpr_flat_scratch_init 0
		.amdhsa_user_sgpr_private_segment_size 0
		.amdhsa_wavefront_size32 1
		.amdhsa_uses_dynamic_stack 0
		.amdhsa_system_sgpr_private_segment_wavefront_offset 0
		.amdhsa_system_sgpr_workgroup_id_x 1
		.amdhsa_system_sgpr_workgroup_id_y 0
		.amdhsa_system_sgpr_workgroup_id_z 0
		.amdhsa_system_sgpr_workgroup_info 0
		.amdhsa_system_vgpr_workitem_id 0
		.amdhsa_next_free_vgpr 1
		.amdhsa_next_free_sgpr 1
		.amdhsa_reserve_vcc 0
		.amdhsa_reserve_flat_scratch 0
		.amdhsa_float_round_mode_32 0
		.amdhsa_float_round_mode_16_64 0
		.amdhsa_float_denorm_mode_32 3
		.amdhsa_float_denorm_mode_16_64 3
		.amdhsa_dx10_clamp 1
		.amdhsa_ieee_mode 1
		.amdhsa_fp16_overflow 0
		.amdhsa_workgroup_processor_mode 1
		.amdhsa_memory_ordered 1
		.amdhsa_forward_progress 1
		.amdhsa_shared_vgpr_count 0
		.amdhsa_exception_fp_ieee_invalid_op 0
		.amdhsa_exception_fp_denorm_src 0
		.amdhsa_exception_fp_ieee_div_zero 0
		.amdhsa_exception_fp_ieee_overflow 0
		.amdhsa_exception_fp_ieee_underflow 0
		.amdhsa_exception_fp_ieee_inexact 0
		.amdhsa_exception_int_div_zero 0
	.end_amdhsa_kernel
	.section	.text._ZN7rocprim17ROCPRIM_400000_NS6detail17trampoline_kernelINS0_14default_configENS1_20scan_config_selectorIN3c104HalfEEEZZNS1_9scan_implILNS1_25lookback_scan_determinismE0ELb0ELb0ES3_PKS6_PS6_S6_ZZZN2at6native31launch_logcumsumexp_cuda_kernelERKNSD_10TensorBaseESH_lENKUlvE_clEvENKUlvE3_clEvEUlS6_S6_E_S6_EEDaPvRmT3_T4_T5_mT6_P12ihipStream_tbENKUlT_T0_E_clISt17integral_constantIbLb0EESX_IbLb1EEEEDaST_SU_EUlST_E_NS1_11comp_targetILNS1_3genE10ELNS1_11target_archE1200ELNS1_3gpuE4ELNS1_3repE0EEENS1_30default_config_static_selectorELNS0_4arch9wavefront6targetE0EEEvT1_,"axG",@progbits,_ZN7rocprim17ROCPRIM_400000_NS6detail17trampoline_kernelINS0_14default_configENS1_20scan_config_selectorIN3c104HalfEEEZZNS1_9scan_implILNS1_25lookback_scan_determinismE0ELb0ELb0ES3_PKS6_PS6_S6_ZZZN2at6native31launch_logcumsumexp_cuda_kernelERKNSD_10TensorBaseESH_lENKUlvE_clEvENKUlvE3_clEvEUlS6_S6_E_S6_EEDaPvRmT3_T4_T5_mT6_P12ihipStream_tbENKUlT_T0_E_clISt17integral_constantIbLb0EESX_IbLb1EEEEDaST_SU_EUlST_E_NS1_11comp_targetILNS1_3genE10ELNS1_11target_archE1200ELNS1_3gpuE4ELNS1_3repE0EEENS1_30default_config_static_selectorELNS0_4arch9wavefront6targetE0EEEvT1_,comdat
.Lfunc_end422:
	.size	_ZN7rocprim17ROCPRIM_400000_NS6detail17trampoline_kernelINS0_14default_configENS1_20scan_config_selectorIN3c104HalfEEEZZNS1_9scan_implILNS1_25lookback_scan_determinismE0ELb0ELb0ES3_PKS6_PS6_S6_ZZZN2at6native31launch_logcumsumexp_cuda_kernelERKNSD_10TensorBaseESH_lENKUlvE_clEvENKUlvE3_clEvEUlS6_S6_E_S6_EEDaPvRmT3_T4_T5_mT6_P12ihipStream_tbENKUlT_T0_E_clISt17integral_constantIbLb0EESX_IbLb1EEEEDaST_SU_EUlST_E_NS1_11comp_targetILNS1_3genE10ELNS1_11target_archE1200ELNS1_3gpuE4ELNS1_3repE0EEENS1_30default_config_static_selectorELNS0_4arch9wavefront6targetE0EEEvT1_, .Lfunc_end422-_ZN7rocprim17ROCPRIM_400000_NS6detail17trampoline_kernelINS0_14default_configENS1_20scan_config_selectorIN3c104HalfEEEZZNS1_9scan_implILNS1_25lookback_scan_determinismE0ELb0ELb0ES3_PKS6_PS6_S6_ZZZN2at6native31launch_logcumsumexp_cuda_kernelERKNSD_10TensorBaseESH_lENKUlvE_clEvENKUlvE3_clEvEUlS6_S6_E_S6_EEDaPvRmT3_T4_T5_mT6_P12ihipStream_tbENKUlT_T0_E_clISt17integral_constantIbLb0EESX_IbLb1EEEEDaST_SU_EUlST_E_NS1_11comp_targetILNS1_3genE10ELNS1_11target_archE1200ELNS1_3gpuE4ELNS1_3repE0EEENS1_30default_config_static_selectorELNS0_4arch9wavefront6targetE0EEEvT1_
                                        ; -- End function
	.set _ZN7rocprim17ROCPRIM_400000_NS6detail17trampoline_kernelINS0_14default_configENS1_20scan_config_selectorIN3c104HalfEEEZZNS1_9scan_implILNS1_25lookback_scan_determinismE0ELb0ELb0ES3_PKS6_PS6_S6_ZZZN2at6native31launch_logcumsumexp_cuda_kernelERKNSD_10TensorBaseESH_lENKUlvE_clEvENKUlvE3_clEvEUlS6_S6_E_S6_EEDaPvRmT3_T4_T5_mT6_P12ihipStream_tbENKUlT_T0_E_clISt17integral_constantIbLb0EESX_IbLb1EEEEDaST_SU_EUlST_E_NS1_11comp_targetILNS1_3genE10ELNS1_11target_archE1200ELNS1_3gpuE4ELNS1_3repE0EEENS1_30default_config_static_selectorELNS0_4arch9wavefront6targetE0EEEvT1_.num_vgpr, 0
	.set _ZN7rocprim17ROCPRIM_400000_NS6detail17trampoline_kernelINS0_14default_configENS1_20scan_config_selectorIN3c104HalfEEEZZNS1_9scan_implILNS1_25lookback_scan_determinismE0ELb0ELb0ES3_PKS6_PS6_S6_ZZZN2at6native31launch_logcumsumexp_cuda_kernelERKNSD_10TensorBaseESH_lENKUlvE_clEvENKUlvE3_clEvEUlS6_S6_E_S6_EEDaPvRmT3_T4_T5_mT6_P12ihipStream_tbENKUlT_T0_E_clISt17integral_constantIbLb0EESX_IbLb1EEEEDaST_SU_EUlST_E_NS1_11comp_targetILNS1_3genE10ELNS1_11target_archE1200ELNS1_3gpuE4ELNS1_3repE0EEENS1_30default_config_static_selectorELNS0_4arch9wavefront6targetE0EEEvT1_.num_agpr, 0
	.set _ZN7rocprim17ROCPRIM_400000_NS6detail17trampoline_kernelINS0_14default_configENS1_20scan_config_selectorIN3c104HalfEEEZZNS1_9scan_implILNS1_25lookback_scan_determinismE0ELb0ELb0ES3_PKS6_PS6_S6_ZZZN2at6native31launch_logcumsumexp_cuda_kernelERKNSD_10TensorBaseESH_lENKUlvE_clEvENKUlvE3_clEvEUlS6_S6_E_S6_EEDaPvRmT3_T4_T5_mT6_P12ihipStream_tbENKUlT_T0_E_clISt17integral_constantIbLb0EESX_IbLb1EEEEDaST_SU_EUlST_E_NS1_11comp_targetILNS1_3genE10ELNS1_11target_archE1200ELNS1_3gpuE4ELNS1_3repE0EEENS1_30default_config_static_selectorELNS0_4arch9wavefront6targetE0EEEvT1_.numbered_sgpr, 0
	.set _ZN7rocprim17ROCPRIM_400000_NS6detail17trampoline_kernelINS0_14default_configENS1_20scan_config_selectorIN3c104HalfEEEZZNS1_9scan_implILNS1_25lookback_scan_determinismE0ELb0ELb0ES3_PKS6_PS6_S6_ZZZN2at6native31launch_logcumsumexp_cuda_kernelERKNSD_10TensorBaseESH_lENKUlvE_clEvENKUlvE3_clEvEUlS6_S6_E_S6_EEDaPvRmT3_T4_T5_mT6_P12ihipStream_tbENKUlT_T0_E_clISt17integral_constantIbLb0EESX_IbLb1EEEEDaST_SU_EUlST_E_NS1_11comp_targetILNS1_3genE10ELNS1_11target_archE1200ELNS1_3gpuE4ELNS1_3repE0EEENS1_30default_config_static_selectorELNS0_4arch9wavefront6targetE0EEEvT1_.num_named_barrier, 0
	.set _ZN7rocprim17ROCPRIM_400000_NS6detail17trampoline_kernelINS0_14default_configENS1_20scan_config_selectorIN3c104HalfEEEZZNS1_9scan_implILNS1_25lookback_scan_determinismE0ELb0ELb0ES3_PKS6_PS6_S6_ZZZN2at6native31launch_logcumsumexp_cuda_kernelERKNSD_10TensorBaseESH_lENKUlvE_clEvENKUlvE3_clEvEUlS6_S6_E_S6_EEDaPvRmT3_T4_T5_mT6_P12ihipStream_tbENKUlT_T0_E_clISt17integral_constantIbLb0EESX_IbLb1EEEEDaST_SU_EUlST_E_NS1_11comp_targetILNS1_3genE10ELNS1_11target_archE1200ELNS1_3gpuE4ELNS1_3repE0EEENS1_30default_config_static_selectorELNS0_4arch9wavefront6targetE0EEEvT1_.private_seg_size, 0
	.set _ZN7rocprim17ROCPRIM_400000_NS6detail17trampoline_kernelINS0_14default_configENS1_20scan_config_selectorIN3c104HalfEEEZZNS1_9scan_implILNS1_25lookback_scan_determinismE0ELb0ELb0ES3_PKS6_PS6_S6_ZZZN2at6native31launch_logcumsumexp_cuda_kernelERKNSD_10TensorBaseESH_lENKUlvE_clEvENKUlvE3_clEvEUlS6_S6_E_S6_EEDaPvRmT3_T4_T5_mT6_P12ihipStream_tbENKUlT_T0_E_clISt17integral_constantIbLb0EESX_IbLb1EEEEDaST_SU_EUlST_E_NS1_11comp_targetILNS1_3genE10ELNS1_11target_archE1200ELNS1_3gpuE4ELNS1_3repE0EEENS1_30default_config_static_selectorELNS0_4arch9wavefront6targetE0EEEvT1_.uses_vcc, 0
	.set _ZN7rocprim17ROCPRIM_400000_NS6detail17trampoline_kernelINS0_14default_configENS1_20scan_config_selectorIN3c104HalfEEEZZNS1_9scan_implILNS1_25lookback_scan_determinismE0ELb0ELb0ES3_PKS6_PS6_S6_ZZZN2at6native31launch_logcumsumexp_cuda_kernelERKNSD_10TensorBaseESH_lENKUlvE_clEvENKUlvE3_clEvEUlS6_S6_E_S6_EEDaPvRmT3_T4_T5_mT6_P12ihipStream_tbENKUlT_T0_E_clISt17integral_constantIbLb0EESX_IbLb1EEEEDaST_SU_EUlST_E_NS1_11comp_targetILNS1_3genE10ELNS1_11target_archE1200ELNS1_3gpuE4ELNS1_3repE0EEENS1_30default_config_static_selectorELNS0_4arch9wavefront6targetE0EEEvT1_.uses_flat_scratch, 0
	.set _ZN7rocprim17ROCPRIM_400000_NS6detail17trampoline_kernelINS0_14default_configENS1_20scan_config_selectorIN3c104HalfEEEZZNS1_9scan_implILNS1_25lookback_scan_determinismE0ELb0ELb0ES3_PKS6_PS6_S6_ZZZN2at6native31launch_logcumsumexp_cuda_kernelERKNSD_10TensorBaseESH_lENKUlvE_clEvENKUlvE3_clEvEUlS6_S6_E_S6_EEDaPvRmT3_T4_T5_mT6_P12ihipStream_tbENKUlT_T0_E_clISt17integral_constantIbLb0EESX_IbLb1EEEEDaST_SU_EUlST_E_NS1_11comp_targetILNS1_3genE10ELNS1_11target_archE1200ELNS1_3gpuE4ELNS1_3repE0EEENS1_30default_config_static_selectorELNS0_4arch9wavefront6targetE0EEEvT1_.has_dyn_sized_stack, 0
	.set _ZN7rocprim17ROCPRIM_400000_NS6detail17trampoline_kernelINS0_14default_configENS1_20scan_config_selectorIN3c104HalfEEEZZNS1_9scan_implILNS1_25lookback_scan_determinismE0ELb0ELb0ES3_PKS6_PS6_S6_ZZZN2at6native31launch_logcumsumexp_cuda_kernelERKNSD_10TensorBaseESH_lENKUlvE_clEvENKUlvE3_clEvEUlS6_S6_E_S6_EEDaPvRmT3_T4_T5_mT6_P12ihipStream_tbENKUlT_T0_E_clISt17integral_constantIbLb0EESX_IbLb1EEEEDaST_SU_EUlST_E_NS1_11comp_targetILNS1_3genE10ELNS1_11target_archE1200ELNS1_3gpuE4ELNS1_3repE0EEENS1_30default_config_static_selectorELNS0_4arch9wavefront6targetE0EEEvT1_.has_recursion, 0
	.set _ZN7rocprim17ROCPRIM_400000_NS6detail17trampoline_kernelINS0_14default_configENS1_20scan_config_selectorIN3c104HalfEEEZZNS1_9scan_implILNS1_25lookback_scan_determinismE0ELb0ELb0ES3_PKS6_PS6_S6_ZZZN2at6native31launch_logcumsumexp_cuda_kernelERKNSD_10TensorBaseESH_lENKUlvE_clEvENKUlvE3_clEvEUlS6_S6_E_S6_EEDaPvRmT3_T4_T5_mT6_P12ihipStream_tbENKUlT_T0_E_clISt17integral_constantIbLb0EESX_IbLb1EEEEDaST_SU_EUlST_E_NS1_11comp_targetILNS1_3genE10ELNS1_11target_archE1200ELNS1_3gpuE4ELNS1_3repE0EEENS1_30default_config_static_selectorELNS0_4arch9wavefront6targetE0EEEvT1_.has_indirect_call, 0
	.section	.AMDGPU.csdata,"",@progbits
; Kernel info:
; codeLenInByte = 0
; TotalNumSgprs: 0
; NumVgprs: 0
; ScratchSize: 0
; MemoryBound: 0
; FloatMode: 240
; IeeeMode: 1
; LDSByteSize: 0 bytes/workgroup (compile time only)
; SGPRBlocks: 0
; VGPRBlocks: 0
; NumSGPRsForWavesPerEU: 1
; NumVGPRsForWavesPerEU: 1
; Occupancy: 16
; WaveLimiterHint : 0
; COMPUTE_PGM_RSRC2:SCRATCH_EN: 0
; COMPUTE_PGM_RSRC2:USER_SGPR: 6
; COMPUTE_PGM_RSRC2:TRAP_HANDLER: 0
; COMPUTE_PGM_RSRC2:TGID_X_EN: 1
; COMPUTE_PGM_RSRC2:TGID_Y_EN: 0
; COMPUTE_PGM_RSRC2:TGID_Z_EN: 0
; COMPUTE_PGM_RSRC2:TIDIG_COMP_CNT: 0
	.section	.text._ZN7rocprim17ROCPRIM_400000_NS6detail17trampoline_kernelINS0_14default_configENS1_20scan_config_selectorIN3c104HalfEEEZZNS1_9scan_implILNS1_25lookback_scan_determinismE0ELb0ELb0ES3_PKS6_PS6_S6_ZZZN2at6native31launch_logcumsumexp_cuda_kernelERKNSD_10TensorBaseESH_lENKUlvE_clEvENKUlvE3_clEvEUlS6_S6_E_S6_EEDaPvRmT3_T4_T5_mT6_P12ihipStream_tbENKUlT_T0_E_clISt17integral_constantIbLb0EESX_IbLb1EEEEDaST_SU_EUlST_E_NS1_11comp_targetILNS1_3genE9ELNS1_11target_archE1100ELNS1_3gpuE3ELNS1_3repE0EEENS1_30default_config_static_selectorELNS0_4arch9wavefront6targetE0EEEvT1_,"axG",@progbits,_ZN7rocprim17ROCPRIM_400000_NS6detail17trampoline_kernelINS0_14default_configENS1_20scan_config_selectorIN3c104HalfEEEZZNS1_9scan_implILNS1_25lookback_scan_determinismE0ELb0ELb0ES3_PKS6_PS6_S6_ZZZN2at6native31launch_logcumsumexp_cuda_kernelERKNSD_10TensorBaseESH_lENKUlvE_clEvENKUlvE3_clEvEUlS6_S6_E_S6_EEDaPvRmT3_T4_T5_mT6_P12ihipStream_tbENKUlT_T0_E_clISt17integral_constantIbLb0EESX_IbLb1EEEEDaST_SU_EUlST_E_NS1_11comp_targetILNS1_3genE9ELNS1_11target_archE1100ELNS1_3gpuE3ELNS1_3repE0EEENS1_30default_config_static_selectorELNS0_4arch9wavefront6targetE0EEEvT1_,comdat
	.globl	_ZN7rocprim17ROCPRIM_400000_NS6detail17trampoline_kernelINS0_14default_configENS1_20scan_config_selectorIN3c104HalfEEEZZNS1_9scan_implILNS1_25lookback_scan_determinismE0ELb0ELb0ES3_PKS6_PS6_S6_ZZZN2at6native31launch_logcumsumexp_cuda_kernelERKNSD_10TensorBaseESH_lENKUlvE_clEvENKUlvE3_clEvEUlS6_S6_E_S6_EEDaPvRmT3_T4_T5_mT6_P12ihipStream_tbENKUlT_T0_E_clISt17integral_constantIbLb0EESX_IbLb1EEEEDaST_SU_EUlST_E_NS1_11comp_targetILNS1_3genE9ELNS1_11target_archE1100ELNS1_3gpuE3ELNS1_3repE0EEENS1_30default_config_static_selectorELNS0_4arch9wavefront6targetE0EEEvT1_ ; -- Begin function _ZN7rocprim17ROCPRIM_400000_NS6detail17trampoline_kernelINS0_14default_configENS1_20scan_config_selectorIN3c104HalfEEEZZNS1_9scan_implILNS1_25lookback_scan_determinismE0ELb0ELb0ES3_PKS6_PS6_S6_ZZZN2at6native31launch_logcumsumexp_cuda_kernelERKNSD_10TensorBaseESH_lENKUlvE_clEvENKUlvE3_clEvEUlS6_S6_E_S6_EEDaPvRmT3_T4_T5_mT6_P12ihipStream_tbENKUlT_T0_E_clISt17integral_constantIbLb0EESX_IbLb1EEEEDaST_SU_EUlST_E_NS1_11comp_targetILNS1_3genE9ELNS1_11target_archE1100ELNS1_3gpuE3ELNS1_3repE0EEENS1_30default_config_static_selectorELNS0_4arch9wavefront6targetE0EEEvT1_
	.p2align	8
	.type	_ZN7rocprim17ROCPRIM_400000_NS6detail17trampoline_kernelINS0_14default_configENS1_20scan_config_selectorIN3c104HalfEEEZZNS1_9scan_implILNS1_25lookback_scan_determinismE0ELb0ELb0ES3_PKS6_PS6_S6_ZZZN2at6native31launch_logcumsumexp_cuda_kernelERKNSD_10TensorBaseESH_lENKUlvE_clEvENKUlvE3_clEvEUlS6_S6_E_S6_EEDaPvRmT3_T4_T5_mT6_P12ihipStream_tbENKUlT_T0_E_clISt17integral_constantIbLb0EESX_IbLb1EEEEDaST_SU_EUlST_E_NS1_11comp_targetILNS1_3genE9ELNS1_11target_archE1100ELNS1_3gpuE3ELNS1_3repE0EEENS1_30default_config_static_selectorELNS0_4arch9wavefront6targetE0EEEvT1_,@function
_ZN7rocprim17ROCPRIM_400000_NS6detail17trampoline_kernelINS0_14default_configENS1_20scan_config_selectorIN3c104HalfEEEZZNS1_9scan_implILNS1_25lookback_scan_determinismE0ELb0ELb0ES3_PKS6_PS6_S6_ZZZN2at6native31launch_logcumsumexp_cuda_kernelERKNSD_10TensorBaseESH_lENKUlvE_clEvENKUlvE3_clEvEUlS6_S6_E_S6_EEDaPvRmT3_T4_T5_mT6_P12ihipStream_tbENKUlT_T0_E_clISt17integral_constantIbLb0EESX_IbLb1EEEEDaST_SU_EUlST_E_NS1_11comp_targetILNS1_3genE9ELNS1_11target_archE1100ELNS1_3gpuE3ELNS1_3repE0EEENS1_30default_config_static_selectorELNS0_4arch9wavefront6targetE0EEEvT1_: ; @_ZN7rocprim17ROCPRIM_400000_NS6detail17trampoline_kernelINS0_14default_configENS1_20scan_config_selectorIN3c104HalfEEEZZNS1_9scan_implILNS1_25lookback_scan_determinismE0ELb0ELb0ES3_PKS6_PS6_S6_ZZZN2at6native31launch_logcumsumexp_cuda_kernelERKNSD_10TensorBaseESH_lENKUlvE_clEvENKUlvE3_clEvEUlS6_S6_E_S6_EEDaPvRmT3_T4_T5_mT6_P12ihipStream_tbENKUlT_T0_E_clISt17integral_constantIbLb0EESX_IbLb1EEEEDaST_SU_EUlST_E_NS1_11comp_targetILNS1_3genE9ELNS1_11target_archE1100ELNS1_3gpuE3ELNS1_3repE0EEENS1_30default_config_static_selectorELNS0_4arch9wavefront6targetE0EEEvT1_
; %bb.0:
	.section	.rodata,"a",@progbits
	.p2align	6, 0x0
	.amdhsa_kernel _ZN7rocprim17ROCPRIM_400000_NS6detail17trampoline_kernelINS0_14default_configENS1_20scan_config_selectorIN3c104HalfEEEZZNS1_9scan_implILNS1_25lookback_scan_determinismE0ELb0ELb0ES3_PKS6_PS6_S6_ZZZN2at6native31launch_logcumsumexp_cuda_kernelERKNSD_10TensorBaseESH_lENKUlvE_clEvENKUlvE3_clEvEUlS6_S6_E_S6_EEDaPvRmT3_T4_T5_mT6_P12ihipStream_tbENKUlT_T0_E_clISt17integral_constantIbLb0EESX_IbLb1EEEEDaST_SU_EUlST_E_NS1_11comp_targetILNS1_3genE9ELNS1_11target_archE1100ELNS1_3gpuE3ELNS1_3repE0EEENS1_30default_config_static_selectorELNS0_4arch9wavefront6targetE0EEEvT1_
		.amdhsa_group_segment_fixed_size 0
		.amdhsa_private_segment_fixed_size 0
		.amdhsa_kernarg_size 96
		.amdhsa_user_sgpr_count 6
		.amdhsa_user_sgpr_private_segment_buffer 1
		.amdhsa_user_sgpr_dispatch_ptr 0
		.amdhsa_user_sgpr_queue_ptr 0
		.amdhsa_user_sgpr_kernarg_segment_ptr 1
		.amdhsa_user_sgpr_dispatch_id 0
		.amdhsa_user_sgpr_flat_scratch_init 0
		.amdhsa_user_sgpr_private_segment_size 0
		.amdhsa_wavefront_size32 1
		.amdhsa_uses_dynamic_stack 0
		.amdhsa_system_sgpr_private_segment_wavefront_offset 0
		.amdhsa_system_sgpr_workgroup_id_x 1
		.amdhsa_system_sgpr_workgroup_id_y 0
		.amdhsa_system_sgpr_workgroup_id_z 0
		.amdhsa_system_sgpr_workgroup_info 0
		.amdhsa_system_vgpr_workitem_id 0
		.amdhsa_next_free_vgpr 1
		.amdhsa_next_free_sgpr 1
		.amdhsa_reserve_vcc 0
		.amdhsa_reserve_flat_scratch 0
		.amdhsa_float_round_mode_32 0
		.amdhsa_float_round_mode_16_64 0
		.amdhsa_float_denorm_mode_32 3
		.amdhsa_float_denorm_mode_16_64 3
		.amdhsa_dx10_clamp 1
		.amdhsa_ieee_mode 1
		.amdhsa_fp16_overflow 0
		.amdhsa_workgroup_processor_mode 1
		.amdhsa_memory_ordered 1
		.amdhsa_forward_progress 1
		.amdhsa_shared_vgpr_count 0
		.amdhsa_exception_fp_ieee_invalid_op 0
		.amdhsa_exception_fp_denorm_src 0
		.amdhsa_exception_fp_ieee_div_zero 0
		.amdhsa_exception_fp_ieee_overflow 0
		.amdhsa_exception_fp_ieee_underflow 0
		.amdhsa_exception_fp_ieee_inexact 0
		.amdhsa_exception_int_div_zero 0
	.end_amdhsa_kernel
	.section	.text._ZN7rocprim17ROCPRIM_400000_NS6detail17trampoline_kernelINS0_14default_configENS1_20scan_config_selectorIN3c104HalfEEEZZNS1_9scan_implILNS1_25lookback_scan_determinismE0ELb0ELb0ES3_PKS6_PS6_S6_ZZZN2at6native31launch_logcumsumexp_cuda_kernelERKNSD_10TensorBaseESH_lENKUlvE_clEvENKUlvE3_clEvEUlS6_S6_E_S6_EEDaPvRmT3_T4_T5_mT6_P12ihipStream_tbENKUlT_T0_E_clISt17integral_constantIbLb0EESX_IbLb1EEEEDaST_SU_EUlST_E_NS1_11comp_targetILNS1_3genE9ELNS1_11target_archE1100ELNS1_3gpuE3ELNS1_3repE0EEENS1_30default_config_static_selectorELNS0_4arch9wavefront6targetE0EEEvT1_,"axG",@progbits,_ZN7rocprim17ROCPRIM_400000_NS6detail17trampoline_kernelINS0_14default_configENS1_20scan_config_selectorIN3c104HalfEEEZZNS1_9scan_implILNS1_25lookback_scan_determinismE0ELb0ELb0ES3_PKS6_PS6_S6_ZZZN2at6native31launch_logcumsumexp_cuda_kernelERKNSD_10TensorBaseESH_lENKUlvE_clEvENKUlvE3_clEvEUlS6_S6_E_S6_EEDaPvRmT3_T4_T5_mT6_P12ihipStream_tbENKUlT_T0_E_clISt17integral_constantIbLb0EESX_IbLb1EEEEDaST_SU_EUlST_E_NS1_11comp_targetILNS1_3genE9ELNS1_11target_archE1100ELNS1_3gpuE3ELNS1_3repE0EEENS1_30default_config_static_selectorELNS0_4arch9wavefront6targetE0EEEvT1_,comdat
.Lfunc_end423:
	.size	_ZN7rocprim17ROCPRIM_400000_NS6detail17trampoline_kernelINS0_14default_configENS1_20scan_config_selectorIN3c104HalfEEEZZNS1_9scan_implILNS1_25lookback_scan_determinismE0ELb0ELb0ES3_PKS6_PS6_S6_ZZZN2at6native31launch_logcumsumexp_cuda_kernelERKNSD_10TensorBaseESH_lENKUlvE_clEvENKUlvE3_clEvEUlS6_S6_E_S6_EEDaPvRmT3_T4_T5_mT6_P12ihipStream_tbENKUlT_T0_E_clISt17integral_constantIbLb0EESX_IbLb1EEEEDaST_SU_EUlST_E_NS1_11comp_targetILNS1_3genE9ELNS1_11target_archE1100ELNS1_3gpuE3ELNS1_3repE0EEENS1_30default_config_static_selectorELNS0_4arch9wavefront6targetE0EEEvT1_, .Lfunc_end423-_ZN7rocprim17ROCPRIM_400000_NS6detail17trampoline_kernelINS0_14default_configENS1_20scan_config_selectorIN3c104HalfEEEZZNS1_9scan_implILNS1_25lookback_scan_determinismE0ELb0ELb0ES3_PKS6_PS6_S6_ZZZN2at6native31launch_logcumsumexp_cuda_kernelERKNSD_10TensorBaseESH_lENKUlvE_clEvENKUlvE3_clEvEUlS6_S6_E_S6_EEDaPvRmT3_T4_T5_mT6_P12ihipStream_tbENKUlT_T0_E_clISt17integral_constantIbLb0EESX_IbLb1EEEEDaST_SU_EUlST_E_NS1_11comp_targetILNS1_3genE9ELNS1_11target_archE1100ELNS1_3gpuE3ELNS1_3repE0EEENS1_30default_config_static_selectorELNS0_4arch9wavefront6targetE0EEEvT1_
                                        ; -- End function
	.set _ZN7rocprim17ROCPRIM_400000_NS6detail17trampoline_kernelINS0_14default_configENS1_20scan_config_selectorIN3c104HalfEEEZZNS1_9scan_implILNS1_25lookback_scan_determinismE0ELb0ELb0ES3_PKS6_PS6_S6_ZZZN2at6native31launch_logcumsumexp_cuda_kernelERKNSD_10TensorBaseESH_lENKUlvE_clEvENKUlvE3_clEvEUlS6_S6_E_S6_EEDaPvRmT3_T4_T5_mT6_P12ihipStream_tbENKUlT_T0_E_clISt17integral_constantIbLb0EESX_IbLb1EEEEDaST_SU_EUlST_E_NS1_11comp_targetILNS1_3genE9ELNS1_11target_archE1100ELNS1_3gpuE3ELNS1_3repE0EEENS1_30default_config_static_selectorELNS0_4arch9wavefront6targetE0EEEvT1_.num_vgpr, 0
	.set _ZN7rocprim17ROCPRIM_400000_NS6detail17trampoline_kernelINS0_14default_configENS1_20scan_config_selectorIN3c104HalfEEEZZNS1_9scan_implILNS1_25lookback_scan_determinismE0ELb0ELb0ES3_PKS6_PS6_S6_ZZZN2at6native31launch_logcumsumexp_cuda_kernelERKNSD_10TensorBaseESH_lENKUlvE_clEvENKUlvE3_clEvEUlS6_S6_E_S6_EEDaPvRmT3_T4_T5_mT6_P12ihipStream_tbENKUlT_T0_E_clISt17integral_constantIbLb0EESX_IbLb1EEEEDaST_SU_EUlST_E_NS1_11comp_targetILNS1_3genE9ELNS1_11target_archE1100ELNS1_3gpuE3ELNS1_3repE0EEENS1_30default_config_static_selectorELNS0_4arch9wavefront6targetE0EEEvT1_.num_agpr, 0
	.set _ZN7rocprim17ROCPRIM_400000_NS6detail17trampoline_kernelINS0_14default_configENS1_20scan_config_selectorIN3c104HalfEEEZZNS1_9scan_implILNS1_25lookback_scan_determinismE0ELb0ELb0ES3_PKS6_PS6_S6_ZZZN2at6native31launch_logcumsumexp_cuda_kernelERKNSD_10TensorBaseESH_lENKUlvE_clEvENKUlvE3_clEvEUlS6_S6_E_S6_EEDaPvRmT3_T4_T5_mT6_P12ihipStream_tbENKUlT_T0_E_clISt17integral_constantIbLb0EESX_IbLb1EEEEDaST_SU_EUlST_E_NS1_11comp_targetILNS1_3genE9ELNS1_11target_archE1100ELNS1_3gpuE3ELNS1_3repE0EEENS1_30default_config_static_selectorELNS0_4arch9wavefront6targetE0EEEvT1_.numbered_sgpr, 0
	.set _ZN7rocprim17ROCPRIM_400000_NS6detail17trampoline_kernelINS0_14default_configENS1_20scan_config_selectorIN3c104HalfEEEZZNS1_9scan_implILNS1_25lookback_scan_determinismE0ELb0ELb0ES3_PKS6_PS6_S6_ZZZN2at6native31launch_logcumsumexp_cuda_kernelERKNSD_10TensorBaseESH_lENKUlvE_clEvENKUlvE3_clEvEUlS6_S6_E_S6_EEDaPvRmT3_T4_T5_mT6_P12ihipStream_tbENKUlT_T0_E_clISt17integral_constantIbLb0EESX_IbLb1EEEEDaST_SU_EUlST_E_NS1_11comp_targetILNS1_3genE9ELNS1_11target_archE1100ELNS1_3gpuE3ELNS1_3repE0EEENS1_30default_config_static_selectorELNS0_4arch9wavefront6targetE0EEEvT1_.num_named_barrier, 0
	.set _ZN7rocprim17ROCPRIM_400000_NS6detail17trampoline_kernelINS0_14default_configENS1_20scan_config_selectorIN3c104HalfEEEZZNS1_9scan_implILNS1_25lookback_scan_determinismE0ELb0ELb0ES3_PKS6_PS6_S6_ZZZN2at6native31launch_logcumsumexp_cuda_kernelERKNSD_10TensorBaseESH_lENKUlvE_clEvENKUlvE3_clEvEUlS6_S6_E_S6_EEDaPvRmT3_T4_T5_mT6_P12ihipStream_tbENKUlT_T0_E_clISt17integral_constantIbLb0EESX_IbLb1EEEEDaST_SU_EUlST_E_NS1_11comp_targetILNS1_3genE9ELNS1_11target_archE1100ELNS1_3gpuE3ELNS1_3repE0EEENS1_30default_config_static_selectorELNS0_4arch9wavefront6targetE0EEEvT1_.private_seg_size, 0
	.set _ZN7rocprim17ROCPRIM_400000_NS6detail17trampoline_kernelINS0_14default_configENS1_20scan_config_selectorIN3c104HalfEEEZZNS1_9scan_implILNS1_25lookback_scan_determinismE0ELb0ELb0ES3_PKS6_PS6_S6_ZZZN2at6native31launch_logcumsumexp_cuda_kernelERKNSD_10TensorBaseESH_lENKUlvE_clEvENKUlvE3_clEvEUlS6_S6_E_S6_EEDaPvRmT3_T4_T5_mT6_P12ihipStream_tbENKUlT_T0_E_clISt17integral_constantIbLb0EESX_IbLb1EEEEDaST_SU_EUlST_E_NS1_11comp_targetILNS1_3genE9ELNS1_11target_archE1100ELNS1_3gpuE3ELNS1_3repE0EEENS1_30default_config_static_selectorELNS0_4arch9wavefront6targetE0EEEvT1_.uses_vcc, 0
	.set _ZN7rocprim17ROCPRIM_400000_NS6detail17trampoline_kernelINS0_14default_configENS1_20scan_config_selectorIN3c104HalfEEEZZNS1_9scan_implILNS1_25lookback_scan_determinismE0ELb0ELb0ES3_PKS6_PS6_S6_ZZZN2at6native31launch_logcumsumexp_cuda_kernelERKNSD_10TensorBaseESH_lENKUlvE_clEvENKUlvE3_clEvEUlS6_S6_E_S6_EEDaPvRmT3_T4_T5_mT6_P12ihipStream_tbENKUlT_T0_E_clISt17integral_constantIbLb0EESX_IbLb1EEEEDaST_SU_EUlST_E_NS1_11comp_targetILNS1_3genE9ELNS1_11target_archE1100ELNS1_3gpuE3ELNS1_3repE0EEENS1_30default_config_static_selectorELNS0_4arch9wavefront6targetE0EEEvT1_.uses_flat_scratch, 0
	.set _ZN7rocprim17ROCPRIM_400000_NS6detail17trampoline_kernelINS0_14default_configENS1_20scan_config_selectorIN3c104HalfEEEZZNS1_9scan_implILNS1_25lookback_scan_determinismE0ELb0ELb0ES3_PKS6_PS6_S6_ZZZN2at6native31launch_logcumsumexp_cuda_kernelERKNSD_10TensorBaseESH_lENKUlvE_clEvENKUlvE3_clEvEUlS6_S6_E_S6_EEDaPvRmT3_T4_T5_mT6_P12ihipStream_tbENKUlT_T0_E_clISt17integral_constantIbLb0EESX_IbLb1EEEEDaST_SU_EUlST_E_NS1_11comp_targetILNS1_3genE9ELNS1_11target_archE1100ELNS1_3gpuE3ELNS1_3repE0EEENS1_30default_config_static_selectorELNS0_4arch9wavefront6targetE0EEEvT1_.has_dyn_sized_stack, 0
	.set _ZN7rocprim17ROCPRIM_400000_NS6detail17trampoline_kernelINS0_14default_configENS1_20scan_config_selectorIN3c104HalfEEEZZNS1_9scan_implILNS1_25lookback_scan_determinismE0ELb0ELb0ES3_PKS6_PS6_S6_ZZZN2at6native31launch_logcumsumexp_cuda_kernelERKNSD_10TensorBaseESH_lENKUlvE_clEvENKUlvE3_clEvEUlS6_S6_E_S6_EEDaPvRmT3_T4_T5_mT6_P12ihipStream_tbENKUlT_T0_E_clISt17integral_constantIbLb0EESX_IbLb1EEEEDaST_SU_EUlST_E_NS1_11comp_targetILNS1_3genE9ELNS1_11target_archE1100ELNS1_3gpuE3ELNS1_3repE0EEENS1_30default_config_static_selectorELNS0_4arch9wavefront6targetE0EEEvT1_.has_recursion, 0
	.set _ZN7rocprim17ROCPRIM_400000_NS6detail17trampoline_kernelINS0_14default_configENS1_20scan_config_selectorIN3c104HalfEEEZZNS1_9scan_implILNS1_25lookback_scan_determinismE0ELb0ELb0ES3_PKS6_PS6_S6_ZZZN2at6native31launch_logcumsumexp_cuda_kernelERKNSD_10TensorBaseESH_lENKUlvE_clEvENKUlvE3_clEvEUlS6_S6_E_S6_EEDaPvRmT3_T4_T5_mT6_P12ihipStream_tbENKUlT_T0_E_clISt17integral_constantIbLb0EESX_IbLb1EEEEDaST_SU_EUlST_E_NS1_11comp_targetILNS1_3genE9ELNS1_11target_archE1100ELNS1_3gpuE3ELNS1_3repE0EEENS1_30default_config_static_selectorELNS0_4arch9wavefront6targetE0EEEvT1_.has_indirect_call, 0
	.section	.AMDGPU.csdata,"",@progbits
; Kernel info:
; codeLenInByte = 0
; TotalNumSgprs: 0
; NumVgprs: 0
; ScratchSize: 0
; MemoryBound: 0
; FloatMode: 240
; IeeeMode: 1
; LDSByteSize: 0 bytes/workgroup (compile time only)
; SGPRBlocks: 0
; VGPRBlocks: 0
; NumSGPRsForWavesPerEU: 1
; NumVGPRsForWavesPerEU: 1
; Occupancy: 16
; WaveLimiterHint : 0
; COMPUTE_PGM_RSRC2:SCRATCH_EN: 0
; COMPUTE_PGM_RSRC2:USER_SGPR: 6
; COMPUTE_PGM_RSRC2:TRAP_HANDLER: 0
; COMPUTE_PGM_RSRC2:TGID_X_EN: 1
; COMPUTE_PGM_RSRC2:TGID_Y_EN: 0
; COMPUTE_PGM_RSRC2:TGID_Z_EN: 0
; COMPUTE_PGM_RSRC2:TIDIG_COMP_CNT: 0
	.section	.text._ZN7rocprim17ROCPRIM_400000_NS6detail17trampoline_kernelINS0_14default_configENS1_20scan_config_selectorIN3c104HalfEEEZZNS1_9scan_implILNS1_25lookback_scan_determinismE0ELb0ELb0ES3_PKS6_PS6_S6_ZZZN2at6native31launch_logcumsumexp_cuda_kernelERKNSD_10TensorBaseESH_lENKUlvE_clEvENKUlvE3_clEvEUlS6_S6_E_S6_EEDaPvRmT3_T4_T5_mT6_P12ihipStream_tbENKUlT_T0_E_clISt17integral_constantIbLb0EESX_IbLb1EEEEDaST_SU_EUlST_E_NS1_11comp_targetILNS1_3genE8ELNS1_11target_archE1030ELNS1_3gpuE2ELNS1_3repE0EEENS1_30default_config_static_selectorELNS0_4arch9wavefront6targetE0EEEvT1_,"axG",@progbits,_ZN7rocprim17ROCPRIM_400000_NS6detail17trampoline_kernelINS0_14default_configENS1_20scan_config_selectorIN3c104HalfEEEZZNS1_9scan_implILNS1_25lookback_scan_determinismE0ELb0ELb0ES3_PKS6_PS6_S6_ZZZN2at6native31launch_logcumsumexp_cuda_kernelERKNSD_10TensorBaseESH_lENKUlvE_clEvENKUlvE3_clEvEUlS6_S6_E_S6_EEDaPvRmT3_T4_T5_mT6_P12ihipStream_tbENKUlT_T0_E_clISt17integral_constantIbLb0EESX_IbLb1EEEEDaST_SU_EUlST_E_NS1_11comp_targetILNS1_3genE8ELNS1_11target_archE1030ELNS1_3gpuE2ELNS1_3repE0EEENS1_30default_config_static_selectorELNS0_4arch9wavefront6targetE0EEEvT1_,comdat
	.globl	_ZN7rocprim17ROCPRIM_400000_NS6detail17trampoline_kernelINS0_14default_configENS1_20scan_config_selectorIN3c104HalfEEEZZNS1_9scan_implILNS1_25lookback_scan_determinismE0ELb0ELb0ES3_PKS6_PS6_S6_ZZZN2at6native31launch_logcumsumexp_cuda_kernelERKNSD_10TensorBaseESH_lENKUlvE_clEvENKUlvE3_clEvEUlS6_S6_E_S6_EEDaPvRmT3_T4_T5_mT6_P12ihipStream_tbENKUlT_T0_E_clISt17integral_constantIbLb0EESX_IbLb1EEEEDaST_SU_EUlST_E_NS1_11comp_targetILNS1_3genE8ELNS1_11target_archE1030ELNS1_3gpuE2ELNS1_3repE0EEENS1_30default_config_static_selectorELNS0_4arch9wavefront6targetE0EEEvT1_ ; -- Begin function _ZN7rocprim17ROCPRIM_400000_NS6detail17trampoline_kernelINS0_14default_configENS1_20scan_config_selectorIN3c104HalfEEEZZNS1_9scan_implILNS1_25lookback_scan_determinismE0ELb0ELb0ES3_PKS6_PS6_S6_ZZZN2at6native31launch_logcumsumexp_cuda_kernelERKNSD_10TensorBaseESH_lENKUlvE_clEvENKUlvE3_clEvEUlS6_S6_E_S6_EEDaPvRmT3_T4_T5_mT6_P12ihipStream_tbENKUlT_T0_E_clISt17integral_constantIbLb0EESX_IbLb1EEEEDaST_SU_EUlST_E_NS1_11comp_targetILNS1_3genE8ELNS1_11target_archE1030ELNS1_3gpuE2ELNS1_3repE0EEENS1_30default_config_static_selectorELNS0_4arch9wavefront6targetE0EEEvT1_
	.p2align	8
	.type	_ZN7rocprim17ROCPRIM_400000_NS6detail17trampoline_kernelINS0_14default_configENS1_20scan_config_selectorIN3c104HalfEEEZZNS1_9scan_implILNS1_25lookback_scan_determinismE0ELb0ELb0ES3_PKS6_PS6_S6_ZZZN2at6native31launch_logcumsumexp_cuda_kernelERKNSD_10TensorBaseESH_lENKUlvE_clEvENKUlvE3_clEvEUlS6_S6_E_S6_EEDaPvRmT3_T4_T5_mT6_P12ihipStream_tbENKUlT_T0_E_clISt17integral_constantIbLb0EESX_IbLb1EEEEDaST_SU_EUlST_E_NS1_11comp_targetILNS1_3genE8ELNS1_11target_archE1030ELNS1_3gpuE2ELNS1_3repE0EEENS1_30default_config_static_selectorELNS0_4arch9wavefront6targetE0EEEvT1_,@function
_ZN7rocprim17ROCPRIM_400000_NS6detail17trampoline_kernelINS0_14default_configENS1_20scan_config_selectorIN3c104HalfEEEZZNS1_9scan_implILNS1_25lookback_scan_determinismE0ELb0ELb0ES3_PKS6_PS6_S6_ZZZN2at6native31launch_logcumsumexp_cuda_kernelERKNSD_10TensorBaseESH_lENKUlvE_clEvENKUlvE3_clEvEUlS6_S6_E_S6_EEDaPvRmT3_T4_T5_mT6_P12ihipStream_tbENKUlT_T0_E_clISt17integral_constantIbLb0EESX_IbLb1EEEEDaST_SU_EUlST_E_NS1_11comp_targetILNS1_3genE8ELNS1_11target_archE1030ELNS1_3gpuE2ELNS1_3repE0EEENS1_30default_config_static_selectorELNS0_4arch9wavefront6targetE0EEEvT1_: ; @_ZN7rocprim17ROCPRIM_400000_NS6detail17trampoline_kernelINS0_14default_configENS1_20scan_config_selectorIN3c104HalfEEEZZNS1_9scan_implILNS1_25lookback_scan_determinismE0ELb0ELb0ES3_PKS6_PS6_S6_ZZZN2at6native31launch_logcumsumexp_cuda_kernelERKNSD_10TensorBaseESH_lENKUlvE_clEvENKUlvE3_clEvEUlS6_S6_E_S6_EEDaPvRmT3_T4_T5_mT6_P12ihipStream_tbENKUlT_T0_E_clISt17integral_constantIbLb0EESX_IbLb1EEEEDaST_SU_EUlST_E_NS1_11comp_targetILNS1_3genE8ELNS1_11target_archE1030ELNS1_3gpuE2ELNS1_3repE0EEENS1_30default_config_static_selectorELNS0_4arch9wavefront6targetE0EEEvT1_
; %bb.0:
	s_load_dwordx2 s[18:19], s[4:5], 0x28
	v_cmp_ne_u32_e64 s1, 0, v0
	v_cmp_eq_u32_e64 s2, 0, v0
	s_and_saveexec_b32 s0, s2
	s_cbranch_execz .LBB424_4
; %bb.1:
	s_mov_b32 s6, exec_lo
	s_mov_b32 s3, exec_lo
	v_mbcnt_lo_u32_b32 v1, s6, 0
                                        ; implicit-def: $vgpr2
	v_cmpx_eq_u32_e32 0, v1
	s_cbranch_execz .LBB424_3
; %bb.2:
	s_load_dwordx2 s[8:9], s[4:5], 0x58
	s_bcnt1_i32_b32 s6, s6
	v_mov_b32_e32 v2, 0
	v_mov_b32_e32 v3, s6
	s_waitcnt lgkmcnt(0)
	global_atomic_add v2, v2, v3, s[8:9] glc
.LBB424_3:
	s_or_b32 exec_lo, exec_lo, s3
	s_waitcnt vmcnt(0)
	v_readfirstlane_b32 s3, v2
	v_mov_b32_e32 v2, 0
	v_add_nc_u32_e32 v1, s3, v1
	ds_write_b32 v2, v1
.LBB424_4:
	s_or_b32 exec_lo, exec_lo, s0
	v_mov_b32_e32 v1, 0
	s_clause 0x2
	s_load_dwordx8 s[36:43], s[4:5], 0x0
	s_load_dword s0, s[4:5], 0x30
	s_load_dwordx8 s[20:27], s[4:5], 0x38
	s_waitcnt lgkmcnt(0)
	s_barrier
	buffer_gl0_inv
	ds_read_b32 v1, v1
	s_mov_b32 s5, 0
	v_lshlrev_b32_e32 v12, 1, v0
	s_waitcnt lgkmcnt(0)
	s_barrier
	buffer_gl0_inv
	s_lshl_b64 s[28:29], s[38:39], 1
	s_add_u32 s3, s36, s28
	s_addc_u32 s6, s37, s29
	s_add_i32 s0, s0, -1
	s_mul_i32 s4, s0, 0x300
	v_readfirstlane_b32 s35, v1
	s_sub_u32 s33, s42, s4
	v_cmp_ne_u32_e64 s0, s0, v1
	s_subb_u32 s34, s43, 0
	s_mul_i32 s4, s35, 0x300
	s_lshl_b64 s[30:31], s[4:5], 1
	s_add_u32 s4, s3, s30
	s_addc_u32 s5, s6, s31
	s_and_b32 vcc_lo, exec_lo, s0
	s_mov_b32 s6, -1
	s_cbranch_vccz .LBB424_6
; %bb.5:
	s_clause 0xb
	global_load_ushort v1, v12, s[4:5]
	global_load_ushort v2, v12, s[4:5] offset:128
	global_load_ushort v3, v12, s[4:5] offset:256
	;; [unrolled: 1-line block ×11, first 2 shown]
	s_mov_b32 s6, 0
	s_waitcnt vmcnt(11)
	ds_write_b16 v12, v1
	s_waitcnt vmcnt(10)
	ds_write_b16 v12, v2 offset:128
	s_waitcnt vmcnt(9)
	ds_write_b16 v12, v3 offset:256
	s_waitcnt vmcnt(8)
	ds_write_b16 v12, v4 offset:384
	s_waitcnt vmcnt(7)
	ds_write_b16 v12, v5 offset:512
	s_waitcnt vmcnt(6)
	ds_write_b16 v12, v6 offset:640
	s_waitcnt vmcnt(5)
	ds_write_b16 v12, v7 offset:768
	s_waitcnt vmcnt(4)
	ds_write_b16 v12, v8 offset:896
	s_waitcnt vmcnt(3)
	ds_write_b16 v12, v9 offset:1024
	s_waitcnt vmcnt(2)
	ds_write_b16 v12, v10 offset:1152
	s_waitcnt vmcnt(1)
	ds_write_b16 v12, v11 offset:1280
	s_waitcnt vmcnt(0)
	ds_write_b16 v12, v13 offset:1408
	s_waitcnt lgkmcnt(0)
	s_barrier
.LBB424_6:
	v_cmp_gt_u32_e64 s3, s33, v0
	s_andn2_b32 vcc_lo, exec_lo, s6
	s_cbranch_vccnz .LBB424_32
; %bb.7:
	v_mov_b32_e32 v1, 0
	global_load_ushort v1, v1, s[4:5]
	s_waitcnt vmcnt(0)
	v_mov_b32_e32 v2, v1
	s_and_saveexec_b32 s6, s3
	s_cbranch_execz .LBB424_9
; %bb.8:
	global_load_ushort v2, v12, s[4:5]
.LBB424_9:
	s_or_b32 exec_lo, exec_lo, s6
	v_or_b32_e32 v3, 64, v0
	v_cmp_gt_u32_e32 vcc_lo, s33, v3
	v_mov_b32_e32 v3, v1
	s_and_saveexec_b32 s3, vcc_lo
	s_cbranch_execz .LBB424_11
; %bb.10:
	global_load_ushort v3, v12, s[4:5] offset:128
.LBB424_11:
	s_or_b32 exec_lo, exec_lo, s3
	v_or_b32_e32 v4, 0x80, v0
	v_cmp_gt_u32_e32 vcc_lo, s33, v4
	v_mov_b32_e32 v4, v1
	s_and_saveexec_b32 s3, vcc_lo
	s_cbranch_execz .LBB424_13
; %bb.12:
	global_load_ushort v4, v12, s[4:5] offset:256
.LBB424_13:
	;; [unrolled: 9-line block ×10, first 2 shown]
	s_or_b32 exec_lo, exec_lo, s3
	v_or_b32_e32 v14, 0x2c0, v0
	s_mov_b32 s3, exec_lo
	v_cmpx_gt_u32_e64 s33, v14
	s_cbranch_execz .LBB424_31
; %bb.30:
	global_load_ushort v1, v12, s[4:5] offset:1408
.LBB424_31:
	s_or_b32 exec_lo, exec_lo, s3
	s_waitcnt vmcnt(0)
	ds_write_b16 v12, v2
	ds_write_b16 v12, v3 offset:128
	ds_write_b16 v12, v4 offset:256
	;; [unrolled: 1-line block ×11, first 2 shown]
	s_waitcnt lgkmcnt(0)
	s_barrier
.LBB424_32:
	v_mul_u32_u24_e32 v13, 24, v0
	buffer_gl0_inv
	s_cmp_lg_u32 s35, 0
	ds_read2_b64 v[1:4], v13 offset1:1
	ds_read_b64 v[5:6], v13 offset:16
	s_waitcnt lgkmcnt(0)
	s_barrier
	buffer_gl0_inv
	v_cvt_f32_f16_sdwa v14, v1 dst_sel:DWORD dst_unused:UNUSED_PAD src0_sel:WORD_1
	v_cmp_u_f16_sdwa s3, v1, v1 src0_sel:WORD_1 src1_sel:WORD_1
	s_cbranch_scc0 .LBB424_142
; %bb.33:
	v_cvt_f32_f16_e32 v25, v1
	v_cmp_u_f16_e64 s14, v1, v1
	v_mov_b32_e32 v26, v1
	v_min_f32_e32 v7, v25, v14
	v_max_f32_e32 v8, v25, v14
	v_cndmask_b32_e64 v7, v7, v25, s14
	v_cndmask_b32_e64 v8, v8, v25, s14
	;; [unrolled: 1-line block ×4, first 2 shown]
	v_mov_b32_e32 v8, v25
	v_mov_b32_e32 v7, v1
	v_cmp_class_f32_e64 s4, v10, 0x1f8
	v_cmp_neq_f32_e32 vcc_lo, v10, v9
	s_or_b32 s5, vcc_lo, s4
	s_and_saveexec_b32 s4, s5
	s_cbranch_execz .LBB424_35
; %bb.34:
	v_sub_f32_e32 v7, v10, v9
	s_mov_b32 s5, 0x3e9b6dac
	v_mul_f32_e32 v8, 0x3fb8aa3b, v7
	v_cmp_ngt_f32_e32 vcc_lo, 0xc2ce8ed0, v7
	v_fma_f32 v10, 0x3fb8aa3b, v7, -v8
	v_rndne_f32_e32 v11, v8
	v_fmamk_f32 v10, v7, 0x32a5705f, v10
	v_sub_f32_e32 v8, v8, v11
	v_add_f32_e32 v8, v8, v10
	v_cvt_i32_f32_e32 v10, v11
	v_exp_f32_e32 v8, v8
	v_ldexp_f32 v8, v8, v10
	v_cndmask_b32_e32 v8, 0, v8, vcc_lo
	v_cmp_nlt_f32_e32 vcc_lo, 0x42b17218, v7
	v_cndmask_b32_e32 v10, 0x7f800000, v8, vcc_lo
	v_add_f32_e32 v11, 1.0, v10
	v_cvt_f64_f32_e32 v[7:8], v11
	v_frexp_exp_i32_f64_e32 v7, v[7:8]
	v_frexp_mant_f32_e32 v8, v11
	v_cmp_gt_f32_e32 vcc_lo, 0x3f2aaaab, v8
	v_add_f32_e32 v8, -1.0, v11
	v_sub_f32_e32 v16, v8, v11
	v_sub_f32_e32 v8, v10, v8
	v_add_f32_e32 v16, 1.0, v16
	v_add_f32_e32 v8, v8, v16
	v_subrev_co_ci_u32_e64 v7, null, 0, v7, vcc_lo
	v_cmp_neq_f32_e32 vcc_lo, 0x7f800000, v10
	v_sub_nc_u32_e32 v15, 0, v7
	v_cvt_f32_i32_e32 v7, v7
	v_ldexp_f32 v11, v11, v15
	v_ldexp_f32 v8, v8, v15
	v_add_f32_e32 v17, 1.0, v11
	v_add_f32_e32 v15, -1.0, v11
	v_add_f32_e32 v16, -1.0, v17
	v_add_f32_e32 v18, 1.0, v15
	v_sub_f32_e32 v16, v11, v16
	v_sub_f32_e32 v11, v11, v18
	v_add_f32_e32 v16, v8, v16
	v_add_f32_e32 v8, v8, v11
	;; [unrolled: 1-line block ×4, first 2 shown]
	v_rcp_f32_e32 v11, v18
	v_sub_f32_e32 v17, v17, v18
	v_sub_f32_e32 v15, v15, v19
	v_add_f32_e32 v16, v16, v17
	v_add_f32_e32 v8, v8, v15
	v_mul_f32_e32 v20, v19, v11
	v_mul_f32_e32 v21, v18, v20
	v_fma_f32 v17, v20, v18, -v21
	v_fmac_f32_e32 v17, v20, v16
	v_add_f32_e32 v22, v21, v17
	v_sub_f32_e32 v23, v19, v22
	v_sub_f32_e32 v15, v22, v21
	;; [unrolled: 1-line block ×5, first 2 shown]
	v_add_f32_e32 v8, v8, v19
	v_add_f32_e32 v8, v15, v8
	;; [unrolled: 1-line block ×3, first 2 shown]
	v_mul_f32_e32 v17, v11, v15
	v_sub_f32_e32 v22, v23, v15
	v_mul_f32_e32 v19, v18, v17
	v_add_f32_e32 v8, v8, v22
	v_fma_f32 v18, v17, v18, -v19
	v_fmac_f32_e32 v18, v17, v16
	v_add_f32_e32 v16, v19, v18
	v_sub_f32_e32 v21, v15, v16
	v_sub_f32_e32 v19, v16, v19
	;; [unrolled: 1-line block ×5, first 2 shown]
	v_add_f32_e32 v8, v8, v15
	v_add_f32_e32 v15, v20, v17
	;; [unrolled: 1-line block ×3, first 2 shown]
	v_sub_f32_e32 v16, v15, v20
	v_add_f32_e32 v8, v21, v8
	v_sub_f32_e32 v16, v17, v16
	v_mul_f32_e32 v8, v11, v8
	v_add_f32_e32 v8, v16, v8
	v_add_f32_e32 v11, v15, v8
	v_mul_f32_e32 v16, v11, v11
	v_fmaak_f32 v17, s5, v16, 0x3ecc95a3
	v_mul_f32_e32 v18, v11, v16
	v_fmaak_f32 v16, v16, v17, 0x3f2aaada
	v_ldexp_f32 v17, v11, 1
	v_sub_f32_e32 v11, v11, v15
	v_mul_f32_e32 v16, v18, v16
	v_mul_f32_e32 v18, 0x3f317218, v7
	v_sub_f32_e32 v8, v8, v11
	v_add_f32_e32 v15, v17, v16
	v_ldexp_f32 v8, v8, 1
	v_sub_f32_e32 v11, v15, v17
	v_fma_f32 v17, 0x3f317218, v7, -v18
	v_sub_f32_e32 v11, v16, v11
	v_fmamk_f32 v7, v7, 0xb102e308, v17
	v_add_f32_e32 v8, v8, v11
	v_add_f32_e32 v11, v18, v7
	;; [unrolled: 1-line block ×3, first 2 shown]
	v_sub_f32_e32 v18, v11, v18
	v_add_f32_e32 v17, v11, v16
	v_sub_f32_e32 v15, v16, v15
	v_sub_f32_e32 v7, v7, v18
	;; [unrolled: 1-line block ×6, first 2 shown]
	v_add_f32_e32 v16, v7, v8
	v_sub_f32_e32 v11, v11, v20
	v_add_f32_e32 v11, v15, v11
	v_sub_f32_e32 v15, v16, v7
	;; [unrolled: 2-line block ×3, first 2 shown]
	v_sub_f32_e32 v8, v8, v15
	v_add_f32_e32 v18, v17, v11
	v_sub_f32_e32 v7, v7, v16
	v_sub_f32_e32 v15, v18, v17
	v_add_f32_e32 v7, v8, v7
	v_sub_f32_e32 v8, v11, v15
	v_add_f32_e32 v7, v7, v8
	v_add_f32_e32 v7, v18, v7
	v_cndmask_b32_e32 v7, 0x7f800000, v7, vcc_lo
	v_cmp_gt_f32_e64 vcc_lo, 0x33800000, |v10|
	v_cndmask_b32_e32 v7, v7, v10, vcc_lo
	v_add_f32_e32 v7, v9, v7
	v_cvt_f16_f32_e32 v7, v7
	v_cvt_f32_f16_e32 v8, v7
	v_mov_b32_e32 v26, v7
.LBB424_35:
	s_or_b32 exec_lo, exec_lo, s4
	v_cvt_f32_f16_e32 v15, v2
	v_max_f32_e32 v9, v8, v8
	v_cmp_u_f16_e32 vcc_lo, v7, v7
	v_cmp_u_f16_e64 s4, v2, v2
	v_min_f32_e32 v10, v9, v15
	v_max_f32_e32 v9, v9, v15
	v_cndmask_b32_e32 v10, v10, v8, vcc_lo
	v_cndmask_b32_e32 v9, v9, v8, vcc_lo
	v_cndmask_b32_e64 v10, v10, v15, s4
	v_cndmask_b32_e64 v9, v9, v15, s4
	v_cmp_class_f32_e64 s5, v10, 0x1f8
	v_cmp_neq_f32_e32 vcc_lo, v10, v9
	s_or_b32 s6, vcc_lo, s5
	s_and_saveexec_b32 s5, s6
	s_cbranch_execz .LBB424_37
; %bb.36:
	v_sub_f32_e32 v7, v10, v9
	s_mov_b32 s6, 0x3e9b6dac
	v_mul_f32_e32 v8, 0x3fb8aa3b, v7
	v_cmp_ngt_f32_e32 vcc_lo, 0xc2ce8ed0, v7
	v_fma_f32 v10, 0x3fb8aa3b, v7, -v8
	v_rndne_f32_e32 v11, v8
	v_fmamk_f32 v10, v7, 0x32a5705f, v10
	v_sub_f32_e32 v8, v8, v11
	v_add_f32_e32 v8, v8, v10
	v_cvt_i32_f32_e32 v10, v11
	v_exp_f32_e32 v8, v8
	v_ldexp_f32 v8, v8, v10
	v_cndmask_b32_e32 v8, 0, v8, vcc_lo
	v_cmp_nlt_f32_e32 vcc_lo, 0x42b17218, v7
	v_cndmask_b32_e32 v10, 0x7f800000, v8, vcc_lo
	v_add_f32_e32 v11, 1.0, v10
	v_cvt_f64_f32_e32 v[7:8], v11
	v_frexp_exp_i32_f64_e32 v7, v[7:8]
	v_frexp_mant_f32_e32 v8, v11
	v_cmp_gt_f32_e32 vcc_lo, 0x3f2aaaab, v8
	v_add_f32_e32 v8, -1.0, v11
	v_sub_f32_e32 v17, v8, v11
	v_sub_f32_e32 v8, v10, v8
	v_add_f32_e32 v17, 1.0, v17
	v_add_f32_e32 v8, v8, v17
	v_subrev_co_ci_u32_e64 v7, null, 0, v7, vcc_lo
	v_cmp_neq_f32_e32 vcc_lo, 0x7f800000, v10
	v_sub_nc_u32_e32 v16, 0, v7
	v_cvt_f32_i32_e32 v7, v7
	v_ldexp_f32 v11, v11, v16
	v_ldexp_f32 v8, v8, v16
	v_add_f32_e32 v18, 1.0, v11
	v_add_f32_e32 v16, -1.0, v11
	v_add_f32_e32 v17, -1.0, v18
	v_add_f32_e32 v19, 1.0, v16
	v_sub_f32_e32 v17, v11, v17
	v_sub_f32_e32 v11, v11, v19
	v_add_f32_e32 v17, v8, v17
	v_add_f32_e32 v8, v8, v11
	;; [unrolled: 1-line block ×4, first 2 shown]
	v_rcp_f32_e32 v11, v19
	v_sub_f32_e32 v18, v18, v19
	v_sub_f32_e32 v16, v16, v20
	v_add_f32_e32 v17, v17, v18
	v_add_f32_e32 v8, v8, v16
	v_mul_f32_e32 v21, v20, v11
	v_mul_f32_e32 v22, v19, v21
	v_fma_f32 v18, v21, v19, -v22
	v_fmac_f32_e32 v18, v21, v17
	v_add_f32_e32 v23, v22, v18
	v_sub_f32_e32 v24, v20, v23
	v_sub_f32_e32 v16, v23, v22
	;; [unrolled: 1-line block ×5, first 2 shown]
	v_add_f32_e32 v8, v8, v20
	v_add_f32_e32 v8, v16, v8
	;; [unrolled: 1-line block ×3, first 2 shown]
	v_mul_f32_e32 v18, v11, v16
	v_sub_f32_e32 v23, v24, v16
	v_mul_f32_e32 v20, v19, v18
	v_add_f32_e32 v8, v8, v23
	v_fma_f32 v19, v18, v19, -v20
	v_fmac_f32_e32 v19, v18, v17
	v_add_f32_e32 v17, v20, v19
	v_sub_f32_e32 v22, v16, v17
	v_sub_f32_e32 v20, v17, v20
	;; [unrolled: 1-line block ×5, first 2 shown]
	v_add_f32_e32 v8, v8, v16
	v_add_f32_e32 v16, v21, v18
	;; [unrolled: 1-line block ×3, first 2 shown]
	v_sub_f32_e32 v17, v16, v21
	v_add_f32_e32 v8, v22, v8
	v_sub_f32_e32 v17, v18, v17
	v_mul_f32_e32 v8, v11, v8
	v_add_f32_e32 v8, v17, v8
	v_add_f32_e32 v11, v16, v8
	v_mul_f32_e32 v17, v11, v11
	v_fmaak_f32 v18, s6, v17, 0x3ecc95a3
	v_mul_f32_e32 v19, v11, v17
	v_fmaak_f32 v17, v17, v18, 0x3f2aaada
	v_ldexp_f32 v18, v11, 1
	v_sub_f32_e32 v11, v11, v16
	v_mul_f32_e32 v17, v19, v17
	v_mul_f32_e32 v19, 0x3f317218, v7
	v_sub_f32_e32 v8, v8, v11
	v_add_f32_e32 v16, v18, v17
	v_ldexp_f32 v8, v8, 1
	v_sub_f32_e32 v11, v16, v18
	v_fma_f32 v18, 0x3f317218, v7, -v19
	v_sub_f32_e32 v11, v17, v11
	v_fmamk_f32 v7, v7, 0xb102e308, v18
	v_add_f32_e32 v8, v8, v11
	v_add_f32_e32 v11, v19, v7
	;; [unrolled: 1-line block ×3, first 2 shown]
	v_sub_f32_e32 v19, v11, v19
	v_add_f32_e32 v18, v11, v17
	v_sub_f32_e32 v16, v17, v16
	v_sub_f32_e32 v7, v7, v19
	;; [unrolled: 1-line block ×6, first 2 shown]
	v_add_f32_e32 v17, v7, v8
	v_sub_f32_e32 v11, v11, v21
	v_add_f32_e32 v11, v16, v11
	v_sub_f32_e32 v16, v17, v7
	;; [unrolled: 2-line block ×3, first 2 shown]
	v_sub_f32_e32 v8, v8, v16
	v_add_f32_e32 v19, v18, v11
	v_sub_f32_e32 v7, v7, v17
	v_sub_f32_e32 v16, v19, v18
	v_add_f32_e32 v7, v8, v7
	v_sub_f32_e32 v8, v11, v16
	v_add_f32_e32 v7, v7, v8
	v_add_f32_e32 v7, v19, v7
	v_cndmask_b32_e32 v7, 0x7f800000, v7, vcc_lo
	v_cmp_gt_f32_e64 vcc_lo, 0x33800000, |v10|
	v_cndmask_b32_e32 v7, v7, v10, vcc_lo
	v_add_f32_e32 v7, v9, v7
	v_cvt_f16_f32_e32 v7, v7
	v_cvt_f32_f16_e32 v8, v7
	v_mov_b32_e32 v26, v7
.LBB424_37:
	s_or_b32 exec_lo, exec_lo, s5
	v_cvt_f32_f16_sdwa v16, v2 dst_sel:DWORD dst_unused:UNUSED_PAD src0_sel:WORD_1
	v_max_f32_e32 v9, v8, v8
	v_cmp_u_f16_e32 vcc_lo, v7, v7
	v_cmp_u_f16_sdwa s5, v2, v2 src0_sel:WORD_1 src1_sel:WORD_1
	v_min_f32_e32 v10, v9, v16
	v_max_f32_e32 v9, v9, v16
	v_cndmask_b32_e32 v10, v10, v8, vcc_lo
	v_cndmask_b32_e32 v9, v9, v8, vcc_lo
	v_cndmask_b32_e64 v10, v10, v16, s5
	v_cndmask_b32_e64 v9, v9, v16, s5
	v_cmp_class_f32_e64 s6, v10, 0x1f8
	v_cmp_neq_f32_e32 vcc_lo, v10, v9
	s_or_b32 s7, vcc_lo, s6
	s_and_saveexec_b32 s6, s7
	s_cbranch_execz .LBB424_39
; %bb.38:
	v_sub_f32_e32 v7, v10, v9
	s_mov_b32 s7, 0x3e9b6dac
	v_mul_f32_e32 v8, 0x3fb8aa3b, v7
	v_cmp_ngt_f32_e32 vcc_lo, 0xc2ce8ed0, v7
	v_fma_f32 v10, 0x3fb8aa3b, v7, -v8
	v_rndne_f32_e32 v11, v8
	v_fmamk_f32 v10, v7, 0x32a5705f, v10
	v_sub_f32_e32 v8, v8, v11
	v_add_f32_e32 v8, v8, v10
	v_cvt_i32_f32_e32 v10, v11
	v_exp_f32_e32 v8, v8
	v_ldexp_f32 v8, v8, v10
	v_cndmask_b32_e32 v8, 0, v8, vcc_lo
	v_cmp_nlt_f32_e32 vcc_lo, 0x42b17218, v7
	v_cndmask_b32_e32 v10, 0x7f800000, v8, vcc_lo
	v_add_f32_e32 v11, 1.0, v10
	v_cvt_f64_f32_e32 v[7:8], v11
	v_frexp_exp_i32_f64_e32 v7, v[7:8]
	v_frexp_mant_f32_e32 v8, v11
	v_cmp_gt_f32_e32 vcc_lo, 0x3f2aaaab, v8
	v_add_f32_e32 v8, -1.0, v11
	v_sub_f32_e32 v18, v8, v11
	v_sub_f32_e32 v8, v10, v8
	v_add_f32_e32 v18, 1.0, v18
	v_add_f32_e32 v8, v8, v18
	v_subrev_co_ci_u32_e64 v7, null, 0, v7, vcc_lo
	v_cmp_neq_f32_e32 vcc_lo, 0x7f800000, v10
	v_sub_nc_u32_e32 v17, 0, v7
	v_cvt_f32_i32_e32 v7, v7
	v_ldexp_f32 v11, v11, v17
	v_ldexp_f32 v8, v8, v17
	v_add_f32_e32 v19, 1.0, v11
	v_add_f32_e32 v17, -1.0, v11
	v_add_f32_e32 v18, -1.0, v19
	v_add_f32_e32 v20, 1.0, v17
	v_sub_f32_e32 v18, v11, v18
	v_sub_f32_e32 v11, v11, v20
	v_add_f32_e32 v18, v8, v18
	v_add_f32_e32 v8, v8, v11
	;; [unrolled: 1-line block ×4, first 2 shown]
	v_rcp_f32_e32 v11, v20
	v_sub_f32_e32 v19, v19, v20
	v_sub_f32_e32 v17, v17, v21
	v_add_f32_e32 v18, v18, v19
	v_add_f32_e32 v8, v8, v17
	v_mul_f32_e32 v22, v21, v11
	v_mul_f32_e32 v23, v20, v22
	v_fma_f32 v19, v22, v20, -v23
	v_fmac_f32_e32 v19, v22, v18
	v_add_f32_e32 v24, v23, v19
	v_sub_f32_e32 v26, v21, v24
	v_sub_f32_e32 v17, v24, v23
	;; [unrolled: 1-line block ×5, first 2 shown]
	v_add_f32_e32 v8, v8, v21
	v_add_f32_e32 v8, v17, v8
	;; [unrolled: 1-line block ×3, first 2 shown]
	v_mul_f32_e32 v19, v11, v17
	v_sub_f32_e32 v24, v26, v17
	v_mul_f32_e32 v21, v20, v19
	v_add_f32_e32 v8, v8, v24
	v_fma_f32 v20, v19, v20, -v21
	v_fmac_f32_e32 v20, v19, v18
	v_add_f32_e32 v18, v21, v20
	v_sub_f32_e32 v23, v17, v18
	v_sub_f32_e32 v21, v18, v21
	;; [unrolled: 1-line block ×5, first 2 shown]
	v_add_f32_e32 v8, v8, v17
	v_add_f32_e32 v17, v22, v19
	;; [unrolled: 1-line block ×3, first 2 shown]
	v_sub_f32_e32 v18, v17, v22
	v_add_f32_e32 v8, v23, v8
	v_sub_f32_e32 v18, v19, v18
	v_mul_f32_e32 v8, v11, v8
	v_add_f32_e32 v8, v18, v8
	v_add_f32_e32 v11, v17, v8
	v_mul_f32_e32 v18, v11, v11
	v_fmaak_f32 v19, s7, v18, 0x3ecc95a3
	v_mul_f32_e32 v20, v11, v18
	v_fmaak_f32 v18, v18, v19, 0x3f2aaada
	v_ldexp_f32 v19, v11, 1
	v_sub_f32_e32 v11, v11, v17
	v_mul_f32_e32 v18, v20, v18
	v_mul_f32_e32 v20, 0x3f317218, v7
	v_sub_f32_e32 v8, v8, v11
	v_add_f32_e32 v17, v19, v18
	v_ldexp_f32 v8, v8, 1
	v_sub_f32_e32 v11, v17, v19
	v_fma_f32 v19, 0x3f317218, v7, -v20
	v_sub_f32_e32 v11, v18, v11
	v_fmamk_f32 v7, v7, 0xb102e308, v19
	v_add_f32_e32 v8, v8, v11
	v_add_f32_e32 v11, v20, v7
	v_add_f32_e32 v18, v17, v8
	v_sub_f32_e32 v20, v11, v20
	v_add_f32_e32 v19, v11, v18
	v_sub_f32_e32 v17, v18, v17
	v_sub_f32_e32 v7, v7, v20
	;; [unrolled: 1-line block ×6, first 2 shown]
	v_add_f32_e32 v18, v7, v8
	v_sub_f32_e32 v11, v11, v22
	v_add_f32_e32 v11, v17, v11
	v_sub_f32_e32 v17, v18, v7
	;; [unrolled: 2-line block ×3, first 2 shown]
	v_sub_f32_e32 v8, v8, v17
	v_add_f32_e32 v20, v19, v11
	v_sub_f32_e32 v7, v7, v18
	v_sub_f32_e32 v17, v20, v19
	v_add_f32_e32 v7, v8, v7
	v_sub_f32_e32 v8, v11, v17
	v_add_f32_e32 v7, v7, v8
	v_add_f32_e32 v7, v20, v7
	v_cndmask_b32_e32 v7, 0x7f800000, v7, vcc_lo
	v_cmp_gt_f32_e64 vcc_lo, 0x33800000, |v10|
	v_cndmask_b32_e32 v7, v7, v10, vcc_lo
	v_add_f32_e32 v7, v9, v7
	v_cvt_f16_f32_e32 v7, v7
	v_cvt_f32_f16_e32 v8, v7
	v_mov_b32_e32 v26, v7
.LBB424_39:
	s_or_b32 exec_lo, exec_lo, s6
	v_cvt_f32_f16_e32 v17, v3
	v_max_f32_e32 v9, v8, v8
	v_cmp_u_f16_e32 vcc_lo, v7, v7
	v_cmp_u_f16_e64 s6, v3, v3
	v_min_f32_e32 v10, v9, v17
	v_max_f32_e32 v9, v9, v17
	v_cndmask_b32_e32 v10, v10, v8, vcc_lo
	v_cndmask_b32_e32 v9, v9, v8, vcc_lo
	v_cndmask_b32_e64 v10, v10, v17, s6
	v_cndmask_b32_e64 v9, v9, v17, s6
	v_cmp_class_f32_e64 s7, v10, 0x1f8
	v_cmp_neq_f32_e32 vcc_lo, v10, v9
	s_or_b32 s8, vcc_lo, s7
	s_and_saveexec_b32 s7, s8
	s_cbranch_execz .LBB424_41
; %bb.40:
	v_sub_f32_e32 v7, v10, v9
	s_mov_b32 s8, 0x3e9b6dac
	v_mul_f32_e32 v8, 0x3fb8aa3b, v7
	v_cmp_ngt_f32_e32 vcc_lo, 0xc2ce8ed0, v7
	v_fma_f32 v10, 0x3fb8aa3b, v7, -v8
	v_rndne_f32_e32 v11, v8
	v_fmamk_f32 v10, v7, 0x32a5705f, v10
	v_sub_f32_e32 v8, v8, v11
	v_add_f32_e32 v8, v8, v10
	v_cvt_i32_f32_e32 v10, v11
	v_exp_f32_e32 v8, v8
	v_ldexp_f32 v8, v8, v10
	v_cndmask_b32_e32 v8, 0, v8, vcc_lo
	v_cmp_nlt_f32_e32 vcc_lo, 0x42b17218, v7
	v_cndmask_b32_e32 v10, 0x7f800000, v8, vcc_lo
	v_add_f32_e32 v11, 1.0, v10
	v_cvt_f64_f32_e32 v[7:8], v11
	v_frexp_exp_i32_f64_e32 v7, v[7:8]
	v_frexp_mant_f32_e32 v8, v11
	v_cmp_gt_f32_e32 vcc_lo, 0x3f2aaaab, v8
	v_add_f32_e32 v8, -1.0, v11
	v_sub_f32_e32 v19, v8, v11
	v_sub_f32_e32 v8, v10, v8
	v_add_f32_e32 v19, 1.0, v19
	v_add_f32_e32 v8, v8, v19
	v_subrev_co_ci_u32_e64 v7, null, 0, v7, vcc_lo
	v_cmp_neq_f32_e32 vcc_lo, 0x7f800000, v10
	v_sub_nc_u32_e32 v18, 0, v7
	v_cvt_f32_i32_e32 v7, v7
	v_ldexp_f32 v11, v11, v18
	v_ldexp_f32 v8, v8, v18
	v_add_f32_e32 v20, 1.0, v11
	v_add_f32_e32 v18, -1.0, v11
	v_add_f32_e32 v19, -1.0, v20
	v_add_f32_e32 v21, 1.0, v18
	v_sub_f32_e32 v19, v11, v19
	v_sub_f32_e32 v11, v11, v21
	v_add_f32_e32 v19, v8, v19
	v_add_f32_e32 v8, v8, v11
	;; [unrolled: 1-line block ×4, first 2 shown]
	v_rcp_f32_e32 v11, v21
	v_sub_f32_e32 v20, v20, v21
	v_sub_f32_e32 v18, v18, v22
	v_add_f32_e32 v19, v19, v20
	v_add_f32_e32 v8, v8, v18
	v_mul_f32_e32 v23, v22, v11
	v_mul_f32_e32 v24, v21, v23
	v_fma_f32 v20, v23, v21, -v24
	v_fmac_f32_e32 v20, v23, v19
	v_add_f32_e32 v26, v24, v20
	v_sub_f32_e32 v27, v22, v26
	v_sub_f32_e32 v18, v26, v24
	;; [unrolled: 1-line block ×5, first 2 shown]
	v_add_f32_e32 v8, v8, v22
	v_add_f32_e32 v8, v18, v8
	;; [unrolled: 1-line block ×3, first 2 shown]
	v_mul_f32_e32 v20, v11, v18
	v_sub_f32_e32 v26, v27, v18
	v_mul_f32_e32 v22, v21, v20
	v_add_f32_e32 v8, v8, v26
	v_fma_f32 v21, v20, v21, -v22
	v_fmac_f32_e32 v21, v20, v19
	v_add_f32_e32 v19, v22, v21
	v_sub_f32_e32 v24, v18, v19
	v_sub_f32_e32 v22, v19, v22
	v_sub_f32_e32 v18, v18, v24
	v_sub_f32_e32 v18, v18, v19
	v_sub_f32_e32 v19, v22, v21
	v_add_f32_e32 v8, v8, v18
	v_add_f32_e32 v18, v23, v20
	;; [unrolled: 1-line block ×3, first 2 shown]
	v_sub_f32_e32 v19, v18, v23
	v_add_f32_e32 v8, v24, v8
	v_sub_f32_e32 v19, v20, v19
	v_mul_f32_e32 v8, v11, v8
	v_add_f32_e32 v8, v19, v8
	v_add_f32_e32 v11, v18, v8
	v_mul_f32_e32 v19, v11, v11
	v_fmaak_f32 v20, s8, v19, 0x3ecc95a3
	v_mul_f32_e32 v21, v11, v19
	v_fmaak_f32 v19, v19, v20, 0x3f2aaada
	v_ldexp_f32 v20, v11, 1
	v_sub_f32_e32 v11, v11, v18
	v_mul_f32_e32 v19, v21, v19
	v_mul_f32_e32 v21, 0x3f317218, v7
	v_sub_f32_e32 v8, v8, v11
	v_add_f32_e32 v18, v20, v19
	v_ldexp_f32 v8, v8, 1
	v_sub_f32_e32 v11, v18, v20
	v_fma_f32 v20, 0x3f317218, v7, -v21
	v_sub_f32_e32 v11, v19, v11
	v_fmamk_f32 v7, v7, 0xb102e308, v20
	v_add_f32_e32 v8, v8, v11
	v_add_f32_e32 v11, v21, v7
	v_add_f32_e32 v19, v18, v8
	v_sub_f32_e32 v21, v11, v21
	v_add_f32_e32 v20, v11, v19
	v_sub_f32_e32 v18, v19, v18
	v_sub_f32_e32 v7, v7, v21
	;; [unrolled: 1-line block ×6, first 2 shown]
	v_add_f32_e32 v19, v7, v8
	v_sub_f32_e32 v11, v11, v23
	v_add_f32_e32 v11, v18, v11
	v_sub_f32_e32 v18, v19, v7
	;; [unrolled: 2-line block ×3, first 2 shown]
	v_sub_f32_e32 v8, v8, v18
	v_add_f32_e32 v21, v20, v11
	v_sub_f32_e32 v7, v7, v19
	v_sub_f32_e32 v18, v21, v20
	v_add_f32_e32 v7, v8, v7
	v_sub_f32_e32 v8, v11, v18
	v_add_f32_e32 v7, v7, v8
	v_add_f32_e32 v7, v21, v7
	v_cndmask_b32_e32 v7, 0x7f800000, v7, vcc_lo
	v_cmp_gt_f32_e64 vcc_lo, 0x33800000, |v10|
	v_cndmask_b32_e32 v7, v7, v10, vcc_lo
	v_add_f32_e32 v7, v9, v7
	v_cvt_f16_f32_e32 v7, v7
	v_cvt_f32_f16_e32 v8, v7
	v_mov_b32_e32 v26, v7
.LBB424_41:
	s_or_b32 exec_lo, exec_lo, s7
	v_cvt_f32_f16_sdwa v18, v3 dst_sel:DWORD dst_unused:UNUSED_PAD src0_sel:WORD_1
	v_max_f32_e32 v9, v8, v8
	v_cmp_u_f16_e32 vcc_lo, v7, v7
	v_cmp_u_f16_sdwa s7, v3, v3 src0_sel:WORD_1 src1_sel:WORD_1
	v_min_f32_e32 v10, v9, v18
	v_max_f32_e32 v9, v9, v18
	v_cndmask_b32_e32 v10, v10, v8, vcc_lo
	v_cndmask_b32_e32 v9, v9, v8, vcc_lo
	v_cndmask_b32_e64 v10, v10, v18, s7
	v_cndmask_b32_e64 v9, v9, v18, s7
	v_cmp_class_f32_e64 s8, v10, 0x1f8
	v_cmp_neq_f32_e32 vcc_lo, v10, v9
	s_or_b32 s9, vcc_lo, s8
	s_and_saveexec_b32 s8, s9
	s_cbranch_execz .LBB424_43
; %bb.42:
	v_sub_f32_e32 v7, v10, v9
	s_mov_b32 s9, 0x3e9b6dac
	v_mul_f32_e32 v8, 0x3fb8aa3b, v7
	v_cmp_ngt_f32_e32 vcc_lo, 0xc2ce8ed0, v7
	v_fma_f32 v10, 0x3fb8aa3b, v7, -v8
	v_rndne_f32_e32 v11, v8
	v_fmamk_f32 v10, v7, 0x32a5705f, v10
	v_sub_f32_e32 v8, v8, v11
	v_add_f32_e32 v8, v8, v10
	v_cvt_i32_f32_e32 v10, v11
	v_exp_f32_e32 v8, v8
	v_ldexp_f32 v8, v8, v10
	v_cndmask_b32_e32 v8, 0, v8, vcc_lo
	v_cmp_nlt_f32_e32 vcc_lo, 0x42b17218, v7
	v_cndmask_b32_e32 v10, 0x7f800000, v8, vcc_lo
	v_add_f32_e32 v11, 1.0, v10
	v_cvt_f64_f32_e32 v[7:8], v11
	v_frexp_exp_i32_f64_e32 v7, v[7:8]
	v_frexp_mant_f32_e32 v8, v11
	v_cmp_gt_f32_e32 vcc_lo, 0x3f2aaaab, v8
	v_add_f32_e32 v8, -1.0, v11
	v_sub_f32_e32 v20, v8, v11
	v_sub_f32_e32 v8, v10, v8
	v_add_f32_e32 v20, 1.0, v20
	v_add_f32_e32 v8, v8, v20
	v_subrev_co_ci_u32_e64 v7, null, 0, v7, vcc_lo
	v_cmp_neq_f32_e32 vcc_lo, 0x7f800000, v10
	v_sub_nc_u32_e32 v19, 0, v7
	v_cvt_f32_i32_e32 v7, v7
	v_ldexp_f32 v11, v11, v19
	v_ldexp_f32 v8, v8, v19
	v_add_f32_e32 v21, 1.0, v11
	v_add_f32_e32 v19, -1.0, v11
	v_add_f32_e32 v20, -1.0, v21
	v_add_f32_e32 v22, 1.0, v19
	v_sub_f32_e32 v20, v11, v20
	v_sub_f32_e32 v11, v11, v22
	v_add_f32_e32 v20, v8, v20
	v_add_f32_e32 v8, v8, v11
	;; [unrolled: 1-line block ×4, first 2 shown]
	v_rcp_f32_e32 v11, v22
	v_sub_f32_e32 v21, v21, v22
	v_sub_f32_e32 v19, v19, v23
	v_add_f32_e32 v20, v20, v21
	v_add_f32_e32 v8, v8, v19
	v_mul_f32_e32 v24, v23, v11
	v_mul_f32_e32 v26, v22, v24
	v_fma_f32 v21, v24, v22, -v26
	v_fmac_f32_e32 v21, v24, v20
	v_add_f32_e32 v27, v26, v21
	v_sub_f32_e32 v28, v23, v27
	v_sub_f32_e32 v19, v27, v26
	;; [unrolled: 1-line block ×5, first 2 shown]
	v_add_f32_e32 v8, v8, v23
	v_add_f32_e32 v8, v19, v8
	;; [unrolled: 1-line block ×3, first 2 shown]
	v_mul_f32_e32 v21, v11, v19
	v_sub_f32_e32 v27, v28, v19
	v_mul_f32_e32 v23, v22, v21
	v_add_f32_e32 v8, v8, v27
	v_fma_f32 v22, v21, v22, -v23
	v_fmac_f32_e32 v22, v21, v20
	v_add_f32_e32 v20, v23, v22
	v_sub_f32_e32 v26, v19, v20
	v_sub_f32_e32 v23, v20, v23
	;; [unrolled: 1-line block ×5, first 2 shown]
	v_add_f32_e32 v8, v8, v19
	v_add_f32_e32 v19, v24, v21
	;; [unrolled: 1-line block ×3, first 2 shown]
	v_sub_f32_e32 v20, v19, v24
	v_add_f32_e32 v8, v26, v8
	v_sub_f32_e32 v20, v21, v20
	v_mul_f32_e32 v8, v11, v8
	v_add_f32_e32 v8, v20, v8
	v_add_f32_e32 v11, v19, v8
	v_mul_f32_e32 v20, v11, v11
	v_fmaak_f32 v21, s9, v20, 0x3ecc95a3
	v_mul_f32_e32 v22, v11, v20
	v_fmaak_f32 v20, v20, v21, 0x3f2aaada
	v_ldexp_f32 v21, v11, 1
	v_sub_f32_e32 v11, v11, v19
	v_mul_f32_e32 v20, v22, v20
	v_mul_f32_e32 v22, 0x3f317218, v7
	v_sub_f32_e32 v8, v8, v11
	v_add_f32_e32 v19, v21, v20
	v_ldexp_f32 v8, v8, 1
	v_sub_f32_e32 v11, v19, v21
	v_fma_f32 v21, 0x3f317218, v7, -v22
	v_sub_f32_e32 v11, v20, v11
	v_fmamk_f32 v7, v7, 0xb102e308, v21
	v_add_f32_e32 v8, v8, v11
	v_add_f32_e32 v11, v22, v7
	;; [unrolled: 1-line block ×3, first 2 shown]
	v_sub_f32_e32 v22, v11, v22
	v_add_f32_e32 v21, v11, v20
	v_sub_f32_e32 v19, v20, v19
	v_sub_f32_e32 v7, v7, v22
	;; [unrolled: 1-line block ×6, first 2 shown]
	v_add_f32_e32 v20, v7, v8
	v_sub_f32_e32 v11, v11, v24
	v_add_f32_e32 v11, v19, v11
	v_sub_f32_e32 v19, v20, v7
	;; [unrolled: 2-line block ×3, first 2 shown]
	v_sub_f32_e32 v8, v8, v19
	v_add_f32_e32 v22, v21, v11
	v_sub_f32_e32 v7, v7, v20
	v_sub_f32_e32 v19, v22, v21
	v_add_f32_e32 v7, v8, v7
	v_sub_f32_e32 v8, v11, v19
	v_add_f32_e32 v7, v7, v8
	v_add_f32_e32 v7, v22, v7
	v_cndmask_b32_e32 v7, 0x7f800000, v7, vcc_lo
	v_cmp_gt_f32_e64 vcc_lo, 0x33800000, |v10|
	v_cndmask_b32_e32 v7, v7, v10, vcc_lo
	v_add_f32_e32 v7, v9, v7
	v_cvt_f16_f32_e32 v7, v7
	v_cvt_f32_f16_e32 v8, v7
	v_mov_b32_e32 v26, v7
.LBB424_43:
	s_or_b32 exec_lo, exec_lo, s8
	v_cvt_f32_f16_e32 v19, v4
	v_max_f32_e32 v9, v8, v8
	v_cmp_u_f16_e32 vcc_lo, v7, v7
	v_cmp_u_f16_e64 s8, v4, v4
	v_min_f32_e32 v10, v9, v19
	v_max_f32_e32 v9, v9, v19
	v_cndmask_b32_e32 v10, v10, v8, vcc_lo
	v_cndmask_b32_e32 v9, v9, v8, vcc_lo
	v_cndmask_b32_e64 v10, v10, v19, s8
	v_cndmask_b32_e64 v9, v9, v19, s8
	v_cmp_class_f32_e64 s9, v10, 0x1f8
	v_cmp_neq_f32_e32 vcc_lo, v10, v9
	s_or_b32 s10, vcc_lo, s9
	s_and_saveexec_b32 s9, s10
	s_cbranch_execz .LBB424_45
; %bb.44:
	v_sub_f32_e32 v7, v10, v9
	s_mov_b32 s10, 0x3e9b6dac
	v_mul_f32_e32 v8, 0x3fb8aa3b, v7
	v_cmp_ngt_f32_e32 vcc_lo, 0xc2ce8ed0, v7
	v_fma_f32 v10, 0x3fb8aa3b, v7, -v8
	v_rndne_f32_e32 v11, v8
	v_fmamk_f32 v10, v7, 0x32a5705f, v10
	v_sub_f32_e32 v8, v8, v11
	v_add_f32_e32 v8, v8, v10
	v_cvt_i32_f32_e32 v10, v11
	v_exp_f32_e32 v8, v8
	v_ldexp_f32 v8, v8, v10
	v_cndmask_b32_e32 v8, 0, v8, vcc_lo
	v_cmp_nlt_f32_e32 vcc_lo, 0x42b17218, v7
	v_cndmask_b32_e32 v10, 0x7f800000, v8, vcc_lo
	v_add_f32_e32 v11, 1.0, v10
	v_cvt_f64_f32_e32 v[7:8], v11
	v_frexp_exp_i32_f64_e32 v7, v[7:8]
	v_frexp_mant_f32_e32 v8, v11
	v_cmp_gt_f32_e32 vcc_lo, 0x3f2aaaab, v8
	v_add_f32_e32 v8, -1.0, v11
	v_sub_f32_e32 v21, v8, v11
	v_sub_f32_e32 v8, v10, v8
	v_add_f32_e32 v21, 1.0, v21
	v_add_f32_e32 v8, v8, v21
	v_subrev_co_ci_u32_e64 v7, null, 0, v7, vcc_lo
	v_cmp_neq_f32_e32 vcc_lo, 0x7f800000, v10
	v_sub_nc_u32_e32 v20, 0, v7
	v_cvt_f32_i32_e32 v7, v7
	v_ldexp_f32 v11, v11, v20
	v_ldexp_f32 v8, v8, v20
	v_add_f32_e32 v22, 1.0, v11
	v_add_f32_e32 v20, -1.0, v11
	v_add_f32_e32 v21, -1.0, v22
	v_add_f32_e32 v23, 1.0, v20
	v_sub_f32_e32 v21, v11, v21
	v_sub_f32_e32 v11, v11, v23
	v_add_f32_e32 v21, v8, v21
	v_add_f32_e32 v8, v8, v11
	;; [unrolled: 1-line block ×4, first 2 shown]
	v_rcp_f32_e32 v11, v23
	v_sub_f32_e32 v22, v22, v23
	v_sub_f32_e32 v20, v20, v24
	v_add_f32_e32 v21, v21, v22
	v_add_f32_e32 v8, v8, v20
	v_mul_f32_e32 v26, v24, v11
	v_mul_f32_e32 v27, v23, v26
	v_fma_f32 v22, v26, v23, -v27
	v_fmac_f32_e32 v22, v26, v21
	v_add_f32_e32 v28, v27, v22
	v_sub_f32_e32 v29, v24, v28
	v_sub_f32_e32 v20, v28, v27
	;; [unrolled: 1-line block ×5, first 2 shown]
	v_add_f32_e32 v8, v8, v24
	v_add_f32_e32 v8, v20, v8
	;; [unrolled: 1-line block ×3, first 2 shown]
	v_mul_f32_e32 v22, v11, v20
	v_sub_f32_e32 v28, v29, v20
	v_mul_f32_e32 v24, v23, v22
	v_add_f32_e32 v8, v8, v28
	v_fma_f32 v23, v22, v23, -v24
	v_fmac_f32_e32 v23, v22, v21
	v_add_f32_e32 v21, v24, v23
	v_sub_f32_e32 v27, v20, v21
	v_sub_f32_e32 v24, v21, v24
	;; [unrolled: 1-line block ×5, first 2 shown]
	v_add_f32_e32 v8, v8, v20
	v_add_f32_e32 v20, v26, v22
	;; [unrolled: 1-line block ×3, first 2 shown]
	v_sub_f32_e32 v21, v20, v26
	v_add_f32_e32 v8, v27, v8
	v_sub_f32_e32 v21, v22, v21
	v_mul_f32_e32 v8, v11, v8
	v_add_f32_e32 v8, v21, v8
	v_add_f32_e32 v11, v20, v8
	v_mul_f32_e32 v21, v11, v11
	v_fmaak_f32 v22, s10, v21, 0x3ecc95a3
	v_mul_f32_e32 v23, v11, v21
	v_fmaak_f32 v21, v21, v22, 0x3f2aaada
	v_ldexp_f32 v22, v11, 1
	v_sub_f32_e32 v11, v11, v20
	v_mul_f32_e32 v21, v23, v21
	v_mul_f32_e32 v23, 0x3f317218, v7
	v_sub_f32_e32 v8, v8, v11
	v_add_f32_e32 v20, v22, v21
	v_ldexp_f32 v8, v8, 1
	v_sub_f32_e32 v11, v20, v22
	v_fma_f32 v22, 0x3f317218, v7, -v23
	v_sub_f32_e32 v11, v21, v11
	v_fmamk_f32 v7, v7, 0xb102e308, v22
	v_add_f32_e32 v8, v8, v11
	v_add_f32_e32 v11, v23, v7
	;; [unrolled: 1-line block ×3, first 2 shown]
	v_sub_f32_e32 v23, v11, v23
	v_add_f32_e32 v22, v11, v21
	v_sub_f32_e32 v20, v21, v20
	v_sub_f32_e32 v7, v7, v23
	;; [unrolled: 1-line block ×6, first 2 shown]
	v_add_f32_e32 v21, v7, v8
	v_sub_f32_e32 v11, v11, v26
	v_add_f32_e32 v11, v20, v11
	v_sub_f32_e32 v20, v21, v7
	;; [unrolled: 2-line block ×3, first 2 shown]
	v_sub_f32_e32 v8, v8, v20
	v_add_f32_e32 v23, v22, v11
	v_sub_f32_e32 v7, v7, v21
	v_sub_f32_e32 v20, v23, v22
	v_add_f32_e32 v7, v8, v7
	v_sub_f32_e32 v8, v11, v20
	v_add_f32_e32 v7, v7, v8
	v_add_f32_e32 v7, v23, v7
	v_cndmask_b32_e32 v7, 0x7f800000, v7, vcc_lo
	v_cmp_gt_f32_e64 vcc_lo, 0x33800000, |v10|
	v_cndmask_b32_e32 v7, v7, v10, vcc_lo
	v_add_f32_e32 v7, v9, v7
	v_cvt_f16_f32_e32 v7, v7
	v_cvt_f32_f16_e32 v8, v7
	v_mov_b32_e32 v26, v7
.LBB424_45:
	s_or_b32 exec_lo, exec_lo, s9
	v_cvt_f32_f16_sdwa v20, v4 dst_sel:DWORD dst_unused:UNUSED_PAD src0_sel:WORD_1
	v_max_f32_e32 v9, v8, v8
	v_cmp_u_f16_e32 vcc_lo, v7, v7
	v_cmp_u_f16_sdwa s9, v4, v4 src0_sel:WORD_1 src1_sel:WORD_1
	v_min_f32_e32 v10, v9, v20
	v_max_f32_e32 v9, v9, v20
	v_cndmask_b32_e32 v10, v10, v8, vcc_lo
	v_cndmask_b32_e32 v9, v9, v8, vcc_lo
	v_cndmask_b32_e64 v10, v10, v20, s9
	v_cndmask_b32_e64 v9, v9, v20, s9
	v_cmp_class_f32_e64 s10, v10, 0x1f8
	v_cmp_neq_f32_e32 vcc_lo, v10, v9
	s_or_b32 s11, vcc_lo, s10
	s_and_saveexec_b32 s10, s11
	s_cbranch_execz .LBB424_47
; %bb.46:
	v_sub_f32_e32 v7, v10, v9
	s_mov_b32 s11, 0x3e9b6dac
	v_mul_f32_e32 v8, 0x3fb8aa3b, v7
	v_cmp_ngt_f32_e32 vcc_lo, 0xc2ce8ed0, v7
	v_fma_f32 v10, 0x3fb8aa3b, v7, -v8
	v_rndne_f32_e32 v11, v8
	v_fmamk_f32 v10, v7, 0x32a5705f, v10
	v_sub_f32_e32 v8, v8, v11
	v_add_f32_e32 v8, v8, v10
	v_cvt_i32_f32_e32 v10, v11
	v_exp_f32_e32 v8, v8
	v_ldexp_f32 v8, v8, v10
	v_cndmask_b32_e32 v8, 0, v8, vcc_lo
	v_cmp_nlt_f32_e32 vcc_lo, 0x42b17218, v7
	v_cndmask_b32_e32 v10, 0x7f800000, v8, vcc_lo
	v_add_f32_e32 v11, 1.0, v10
	v_cvt_f64_f32_e32 v[7:8], v11
	v_frexp_exp_i32_f64_e32 v7, v[7:8]
	v_frexp_mant_f32_e32 v8, v11
	v_cmp_gt_f32_e32 vcc_lo, 0x3f2aaaab, v8
	v_add_f32_e32 v8, -1.0, v11
	v_sub_f32_e32 v22, v8, v11
	v_sub_f32_e32 v8, v10, v8
	v_add_f32_e32 v22, 1.0, v22
	v_add_f32_e32 v8, v8, v22
	v_subrev_co_ci_u32_e64 v7, null, 0, v7, vcc_lo
	v_cmp_neq_f32_e32 vcc_lo, 0x7f800000, v10
	v_sub_nc_u32_e32 v21, 0, v7
	v_cvt_f32_i32_e32 v7, v7
	v_ldexp_f32 v11, v11, v21
	v_ldexp_f32 v8, v8, v21
	v_add_f32_e32 v23, 1.0, v11
	v_add_f32_e32 v21, -1.0, v11
	v_add_f32_e32 v22, -1.0, v23
	v_add_f32_e32 v24, 1.0, v21
	v_sub_f32_e32 v22, v11, v22
	v_sub_f32_e32 v11, v11, v24
	v_add_f32_e32 v22, v8, v22
	v_add_f32_e32 v8, v8, v11
	;; [unrolled: 1-line block ×4, first 2 shown]
	v_rcp_f32_e32 v11, v24
	v_sub_f32_e32 v23, v23, v24
	v_sub_f32_e32 v21, v21, v26
	v_add_f32_e32 v22, v22, v23
	v_add_f32_e32 v8, v8, v21
	v_mul_f32_e32 v27, v26, v11
	v_mul_f32_e32 v28, v24, v27
	v_fma_f32 v23, v27, v24, -v28
	v_fmac_f32_e32 v23, v27, v22
	v_add_f32_e32 v29, v28, v23
	v_sub_f32_e32 v30, v26, v29
	v_sub_f32_e32 v21, v29, v28
	;; [unrolled: 1-line block ×5, first 2 shown]
	v_add_f32_e32 v8, v8, v26
	v_add_f32_e32 v8, v21, v8
	;; [unrolled: 1-line block ×3, first 2 shown]
	v_mul_f32_e32 v23, v11, v21
	v_sub_f32_e32 v29, v30, v21
	v_mul_f32_e32 v26, v24, v23
	v_add_f32_e32 v8, v8, v29
	v_fma_f32 v24, v23, v24, -v26
	v_fmac_f32_e32 v24, v23, v22
	v_add_f32_e32 v22, v26, v24
	v_sub_f32_e32 v28, v21, v22
	v_sub_f32_e32 v26, v22, v26
	;; [unrolled: 1-line block ×5, first 2 shown]
	v_add_f32_e32 v8, v8, v21
	v_add_f32_e32 v21, v27, v23
	;; [unrolled: 1-line block ×3, first 2 shown]
	v_sub_f32_e32 v22, v21, v27
	v_add_f32_e32 v8, v28, v8
	v_sub_f32_e32 v22, v23, v22
	v_mul_f32_e32 v8, v11, v8
	v_add_f32_e32 v8, v22, v8
	v_add_f32_e32 v11, v21, v8
	v_mul_f32_e32 v22, v11, v11
	v_fmaak_f32 v23, s11, v22, 0x3ecc95a3
	v_mul_f32_e32 v24, v11, v22
	v_fmaak_f32 v22, v22, v23, 0x3f2aaada
	v_ldexp_f32 v23, v11, 1
	v_sub_f32_e32 v11, v11, v21
	v_mul_f32_e32 v22, v24, v22
	v_mul_f32_e32 v24, 0x3f317218, v7
	v_sub_f32_e32 v8, v8, v11
	v_add_f32_e32 v21, v23, v22
	v_ldexp_f32 v8, v8, 1
	v_sub_f32_e32 v11, v21, v23
	v_fma_f32 v23, 0x3f317218, v7, -v24
	v_sub_f32_e32 v11, v22, v11
	v_fmamk_f32 v7, v7, 0xb102e308, v23
	v_add_f32_e32 v8, v8, v11
	v_add_f32_e32 v11, v24, v7
	v_add_f32_e32 v22, v21, v8
	v_sub_f32_e32 v24, v11, v24
	v_add_f32_e32 v23, v11, v22
	v_sub_f32_e32 v21, v22, v21
	v_sub_f32_e32 v7, v7, v24
	;; [unrolled: 1-line block ×6, first 2 shown]
	v_add_f32_e32 v22, v7, v8
	v_sub_f32_e32 v11, v11, v27
	v_add_f32_e32 v11, v21, v11
	v_sub_f32_e32 v21, v22, v7
	;; [unrolled: 2-line block ×3, first 2 shown]
	v_sub_f32_e32 v8, v8, v21
	v_add_f32_e32 v24, v23, v11
	v_sub_f32_e32 v7, v7, v22
	v_sub_f32_e32 v21, v24, v23
	v_add_f32_e32 v7, v8, v7
	v_sub_f32_e32 v8, v11, v21
	v_add_f32_e32 v7, v7, v8
	v_add_f32_e32 v7, v24, v7
	v_cndmask_b32_e32 v7, 0x7f800000, v7, vcc_lo
	v_cmp_gt_f32_e64 vcc_lo, 0x33800000, |v10|
	v_cndmask_b32_e32 v7, v7, v10, vcc_lo
	v_add_f32_e32 v7, v9, v7
	v_cvt_f16_f32_e32 v7, v7
	v_cvt_f32_f16_e32 v8, v7
	v_mov_b32_e32 v26, v7
.LBB424_47:
	s_or_b32 exec_lo, exec_lo, s10
	v_cvt_f32_f16_e32 v21, v5
	v_max_f32_e32 v9, v8, v8
	v_cmp_u_f16_e32 vcc_lo, v7, v7
	v_cmp_u_f16_e64 s10, v5, v5
	v_min_f32_e32 v10, v9, v21
	v_max_f32_e32 v9, v9, v21
	v_cndmask_b32_e32 v10, v10, v8, vcc_lo
	v_cndmask_b32_e32 v9, v9, v8, vcc_lo
	v_cndmask_b32_e64 v10, v10, v21, s10
	v_cndmask_b32_e64 v9, v9, v21, s10
	v_cmp_class_f32_e64 s11, v10, 0x1f8
	v_cmp_neq_f32_e32 vcc_lo, v10, v9
	s_or_b32 s12, vcc_lo, s11
	s_and_saveexec_b32 s11, s12
	s_cbranch_execz .LBB424_49
; %bb.48:
	v_sub_f32_e32 v7, v10, v9
	s_mov_b32 s12, 0x3e9b6dac
	v_mul_f32_e32 v8, 0x3fb8aa3b, v7
	v_cmp_ngt_f32_e32 vcc_lo, 0xc2ce8ed0, v7
	v_fma_f32 v10, 0x3fb8aa3b, v7, -v8
	v_rndne_f32_e32 v11, v8
	v_fmamk_f32 v10, v7, 0x32a5705f, v10
	v_sub_f32_e32 v8, v8, v11
	v_add_f32_e32 v8, v8, v10
	v_cvt_i32_f32_e32 v10, v11
	v_exp_f32_e32 v8, v8
	v_ldexp_f32 v8, v8, v10
	v_cndmask_b32_e32 v8, 0, v8, vcc_lo
	v_cmp_nlt_f32_e32 vcc_lo, 0x42b17218, v7
	v_cndmask_b32_e32 v10, 0x7f800000, v8, vcc_lo
	v_add_f32_e32 v11, 1.0, v10
	v_cvt_f64_f32_e32 v[7:8], v11
	v_frexp_exp_i32_f64_e32 v7, v[7:8]
	v_frexp_mant_f32_e32 v8, v11
	v_cmp_gt_f32_e32 vcc_lo, 0x3f2aaaab, v8
	v_add_f32_e32 v8, -1.0, v11
	v_sub_f32_e32 v23, v8, v11
	v_sub_f32_e32 v8, v10, v8
	v_add_f32_e32 v23, 1.0, v23
	v_add_f32_e32 v8, v8, v23
	v_subrev_co_ci_u32_e64 v7, null, 0, v7, vcc_lo
	v_cmp_neq_f32_e32 vcc_lo, 0x7f800000, v10
	v_sub_nc_u32_e32 v22, 0, v7
	v_cvt_f32_i32_e32 v7, v7
	v_ldexp_f32 v11, v11, v22
	v_ldexp_f32 v8, v8, v22
	v_add_f32_e32 v24, 1.0, v11
	v_add_f32_e32 v22, -1.0, v11
	v_add_f32_e32 v23, -1.0, v24
	v_add_f32_e32 v26, 1.0, v22
	v_sub_f32_e32 v23, v11, v23
	v_sub_f32_e32 v11, v11, v26
	v_add_f32_e32 v23, v8, v23
	v_add_f32_e32 v8, v8, v11
	;; [unrolled: 1-line block ×4, first 2 shown]
	v_rcp_f32_e32 v11, v26
	v_sub_f32_e32 v24, v24, v26
	v_sub_f32_e32 v22, v22, v27
	v_add_f32_e32 v23, v23, v24
	v_add_f32_e32 v8, v8, v22
	v_mul_f32_e32 v28, v27, v11
	v_mul_f32_e32 v29, v26, v28
	v_fma_f32 v24, v28, v26, -v29
	v_fmac_f32_e32 v24, v28, v23
	v_add_f32_e32 v30, v29, v24
	v_sub_f32_e32 v31, v27, v30
	v_sub_f32_e32 v22, v30, v29
	;; [unrolled: 1-line block ×5, first 2 shown]
	v_add_f32_e32 v8, v8, v27
	v_add_f32_e32 v8, v22, v8
	;; [unrolled: 1-line block ×3, first 2 shown]
	v_mul_f32_e32 v24, v11, v22
	v_sub_f32_e32 v30, v31, v22
	v_mul_f32_e32 v27, v26, v24
	v_add_f32_e32 v8, v8, v30
	v_fma_f32 v26, v24, v26, -v27
	v_fmac_f32_e32 v26, v24, v23
	v_add_f32_e32 v23, v27, v26
	v_sub_f32_e32 v29, v22, v23
	v_sub_f32_e32 v27, v23, v27
	;; [unrolled: 1-line block ×5, first 2 shown]
	v_add_f32_e32 v8, v8, v22
	v_add_f32_e32 v22, v28, v24
	;; [unrolled: 1-line block ×3, first 2 shown]
	v_sub_f32_e32 v23, v22, v28
	v_add_f32_e32 v8, v29, v8
	v_sub_f32_e32 v23, v24, v23
	v_mul_f32_e32 v8, v11, v8
	v_add_f32_e32 v8, v23, v8
	v_add_f32_e32 v11, v22, v8
	v_mul_f32_e32 v23, v11, v11
	v_fmaak_f32 v24, s12, v23, 0x3ecc95a3
	v_mul_f32_e32 v26, v11, v23
	v_fmaak_f32 v23, v23, v24, 0x3f2aaada
	v_ldexp_f32 v24, v11, 1
	v_sub_f32_e32 v11, v11, v22
	v_mul_f32_e32 v23, v26, v23
	v_mul_f32_e32 v26, 0x3f317218, v7
	v_sub_f32_e32 v8, v8, v11
	v_add_f32_e32 v22, v24, v23
	v_ldexp_f32 v8, v8, 1
	v_sub_f32_e32 v11, v22, v24
	v_fma_f32 v24, 0x3f317218, v7, -v26
	v_sub_f32_e32 v11, v23, v11
	v_fmamk_f32 v7, v7, 0xb102e308, v24
	v_add_f32_e32 v8, v8, v11
	v_add_f32_e32 v11, v26, v7
	;; [unrolled: 1-line block ×3, first 2 shown]
	v_sub_f32_e32 v26, v11, v26
	v_add_f32_e32 v24, v11, v23
	v_sub_f32_e32 v22, v23, v22
	v_sub_f32_e32 v7, v7, v26
	;; [unrolled: 1-line block ×6, first 2 shown]
	v_add_f32_e32 v23, v7, v8
	v_sub_f32_e32 v11, v11, v28
	v_add_f32_e32 v11, v22, v11
	v_sub_f32_e32 v22, v23, v7
	;; [unrolled: 2-line block ×3, first 2 shown]
	v_sub_f32_e32 v8, v8, v22
	v_add_f32_e32 v26, v24, v11
	v_sub_f32_e32 v7, v7, v23
	v_sub_f32_e32 v22, v26, v24
	v_add_f32_e32 v7, v8, v7
	v_sub_f32_e32 v8, v11, v22
	v_add_f32_e32 v7, v7, v8
	v_add_f32_e32 v7, v26, v7
	v_cndmask_b32_e32 v7, 0x7f800000, v7, vcc_lo
	v_cmp_gt_f32_e64 vcc_lo, 0x33800000, |v10|
	v_cndmask_b32_e32 v7, v7, v10, vcc_lo
	v_add_f32_e32 v7, v9, v7
	v_cvt_f16_f32_e32 v7, v7
	v_cvt_f32_f16_e32 v8, v7
	v_mov_b32_e32 v26, v7
.LBB424_49:
	s_or_b32 exec_lo, exec_lo, s11
	v_cvt_f32_f16_sdwa v22, v5 dst_sel:DWORD dst_unused:UNUSED_PAD src0_sel:WORD_1
	v_max_f32_e32 v9, v8, v8
	v_cmp_u_f16_e32 vcc_lo, v7, v7
	v_cmp_u_f16_sdwa s11, v5, v5 src0_sel:WORD_1 src1_sel:WORD_1
	v_min_f32_e32 v10, v9, v22
	v_max_f32_e32 v9, v9, v22
	v_cndmask_b32_e32 v10, v10, v8, vcc_lo
	v_cndmask_b32_e32 v9, v9, v8, vcc_lo
	v_cndmask_b32_e64 v10, v10, v22, s11
	v_cndmask_b32_e64 v9, v9, v22, s11
	v_cmp_class_f32_e64 s12, v10, 0x1f8
	v_cmp_neq_f32_e32 vcc_lo, v10, v9
	s_or_b32 s13, vcc_lo, s12
	s_and_saveexec_b32 s12, s13
	s_cbranch_execz .LBB424_51
; %bb.50:
	v_sub_f32_e32 v7, v10, v9
	s_mov_b32 s13, 0x3e9b6dac
	v_mul_f32_e32 v8, 0x3fb8aa3b, v7
	v_cmp_ngt_f32_e32 vcc_lo, 0xc2ce8ed0, v7
	v_fma_f32 v10, 0x3fb8aa3b, v7, -v8
	v_rndne_f32_e32 v11, v8
	v_fmamk_f32 v10, v7, 0x32a5705f, v10
	v_sub_f32_e32 v8, v8, v11
	v_add_f32_e32 v8, v8, v10
	v_cvt_i32_f32_e32 v10, v11
	v_exp_f32_e32 v8, v8
	v_ldexp_f32 v8, v8, v10
	v_cndmask_b32_e32 v8, 0, v8, vcc_lo
	v_cmp_nlt_f32_e32 vcc_lo, 0x42b17218, v7
	v_cndmask_b32_e32 v10, 0x7f800000, v8, vcc_lo
	v_add_f32_e32 v11, 1.0, v10
	v_cvt_f64_f32_e32 v[7:8], v11
	v_frexp_exp_i32_f64_e32 v7, v[7:8]
	v_frexp_mant_f32_e32 v8, v11
	v_cmp_gt_f32_e32 vcc_lo, 0x3f2aaaab, v8
	v_add_f32_e32 v8, -1.0, v11
	v_sub_f32_e32 v24, v8, v11
	v_sub_f32_e32 v8, v10, v8
	v_add_f32_e32 v24, 1.0, v24
	v_add_f32_e32 v8, v8, v24
	v_subrev_co_ci_u32_e64 v7, null, 0, v7, vcc_lo
	v_cmp_neq_f32_e32 vcc_lo, 0x7f800000, v10
	v_sub_nc_u32_e32 v23, 0, v7
	v_cvt_f32_i32_e32 v7, v7
	v_ldexp_f32 v11, v11, v23
	v_ldexp_f32 v8, v8, v23
	v_add_f32_e32 v26, 1.0, v11
	v_add_f32_e32 v23, -1.0, v11
	v_add_f32_e32 v24, -1.0, v26
	v_add_f32_e32 v27, 1.0, v23
	v_sub_f32_e32 v24, v11, v24
	v_sub_f32_e32 v11, v11, v27
	v_add_f32_e32 v24, v8, v24
	v_add_f32_e32 v8, v8, v11
	;; [unrolled: 1-line block ×4, first 2 shown]
	v_rcp_f32_e32 v11, v27
	v_sub_f32_e32 v26, v26, v27
	v_sub_f32_e32 v23, v23, v28
	v_add_f32_e32 v24, v24, v26
	v_add_f32_e32 v8, v8, v23
	v_mul_f32_e32 v29, v28, v11
	v_mul_f32_e32 v30, v27, v29
	v_fma_f32 v26, v29, v27, -v30
	v_fmac_f32_e32 v26, v29, v24
	v_add_f32_e32 v31, v30, v26
	v_sub_f32_e32 v32, v28, v31
	v_sub_f32_e32 v23, v31, v30
	;; [unrolled: 1-line block ×5, first 2 shown]
	v_add_f32_e32 v8, v8, v28
	v_add_f32_e32 v8, v23, v8
	;; [unrolled: 1-line block ×3, first 2 shown]
	v_mul_f32_e32 v26, v11, v23
	v_sub_f32_e32 v31, v32, v23
	v_mul_f32_e32 v28, v27, v26
	v_add_f32_e32 v8, v8, v31
	v_fma_f32 v27, v26, v27, -v28
	v_fmac_f32_e32 v27, v26, v24
	v_add_f32_e32 v24, v28, v27
	v_sub_f32_e32 v30, v23, v24
	v_sub_f32_e32 v28, v24, v28
	;; [unrolled: 1-line block ×5, first 2 shown]
	v_add_f32_e32 v8, v8, v23
	v_add_f32_e32 v23, v29, v26
	;; [unrolled: 1-line block ×3, first 2 shown]
	v_sub_f32_e32 v24, v23, v29
	v_add_f32_e32 v8, v30, v8
	v_sub_f32_e32 v24, v26, v24
	v_mul_f32_e32 v8, v11, v8
	v_add_f32_e32 v8, v24, v8
	v_add_f32_e32 v11, v23, v8
	v_mul_f32_e32 v24, v11, v11
	v_fmaak_f32 v26, s13, v24, 0x3ecc95a3
	v_mul_f32_e32 v27, v11, v24
	v_fmaak_f32 v24, v24, v26, 0x3f2aaada
	v_ldexp_f32 v26, v11, 1
	v_sub_f32_e32 v11, v11, v23
	v_mul_f32_e32 v24, v27, v24
	v_mul_f32_e32 v27, 0x3f317218, v7
	v_sub_f32_e32 v8, v8, v11
	v_add_f32_e32 v23, v26, v24
	v_ldexp_f32 v8, v8, 1
	v_sub_f32_e32 v11, v23, v26
	v_fma_f32 v26, 0x3f317218, v7, -v27
	v_sub_f32_e32 v11, v24, v11
	v_fmamk_f32 v7, v7, 0xb102e308, v26
	v_add_f32_e32 v8, v8, v11
	v_add_f32_e32 v11, v27, v7
	;; [unrolled: 1-line block ×3, first 2 shown]
	v_sub_f32_e32 v27, v11, v27
	v_add_f32_e32 v26, v11, v24
	v_sub_f32_e32 v23, v24, v23
	v_sub_f32_e32 v7, v7, v27
	;; [unrolled: 1-line block ×6, first 2 shown]
	v_add_f32_e32 v24, v7, v8
	v_sub_f32_e32 v11, v11, v29
	v_add_f32_e32 v11, v23, v11
	v_sub_f32_e32 v23, v24, v7
	;; [unrolled: 2-line block ×3, first 2 shown]
	v_sub_f32_e32 v8, v8, v23
	v_add_f32_e32 v27, v26, v11
	v_sub_f32_e32 v7, v7, v24
	v_sub_f32_e32 v23, v27, v26
	v_add_f32_e32 v7, v8, v7
	v_sub_f32_e32 v8, v11, v23
	v_add_f32_e32 v7, v7, v8
	v_add_f32_e32 v7, v27, v7
	v_cndmask_b32_e32 v7, 0x7f800000, v7, vcc_lo
	v_cmp_gt_f32_e64 vcc_lo, 0x33800000, |v10|
	v_cndmask_b32_e32 v7, v7, v10, vcc_lo
	v_add_f32_e32 v7, v9, v7
	v_cvt_f16_f32_e32 v7, v7
	v_cvt_f32_f16_e32 v8, v7
	v_mov_b32_e32 v26, v7
.LBB424_51:
	s_or_b32 exec_lo, exec_lo, s12
	v_cvt_f32_f16_e32 v23, v6
	v_max_f32_e32 v9, v8, v8
	v_cmp_u_f16_e32 vcc_lo, v7, v7
	v_cmp_u_f16_e64 s12, v6, v6
	v_min_f32_e32 v10, v9, v23
	v_max_f32_e32 v9, v9, v23
	v_cndmask_b32_e32 v10, v10, v8, vcc_lo
	v_cndmask_b32_e32 v9, v9, v8, vcc_lo
	v_cndmask_b32_e64 v10, v10, v23, s12
	v_cndmask_b32_e64 v9, v9, v23, s12
	v_cmp_class_f32_e64 s13, v10, 0x1f8
	v_cmp_neq_f32_e32 vcc_lo, v10, v9
	s_or_b32 s15, vcc_lo, s13
	s_and_saveexec_b32 s13, s15
	s_cbranch_execz .LBB424_53
; %bb.52:
	v_sub_f32_e32 v7, v10, v9
	s_mov_b32 s15, 0x3e9b6dac
	v_mul_f32_e32 v8, 0x3fb8aa3b, v7
	v_cmp_ngt_f32_e32 vcc_lo, 0xc2ce8ed0, v7
	v_fma_f32 v10, 0x3fb8aa3b, v7, -v8
	v_rndne_f32_e32 v11, v8
	v_fmamk_f32 v10, v7, 0x32a5705f, v10
	v_sub_f32_e32 v8, v8, v11
	v_add_f32_e32 v8, v8, v10
	v_cvt_i32_f32_e32 v10, v11
	v_exp_f32_e32 v8, v8
	v_ldexp_f32 v8, v8, v10
	v_cndmask_b32_e32 v8, 0, v8, vcc_lo
	v_cmp_nlt_f32_e32 vcc_lo, 0x42b17218, v7
	v_cndmask_b32_e32 v10, 0x7f800000, v8, vcc_lo
	v_add_f32_e32 v11, 1.0, v10
	v_cvt_f64_f32_e32 v[7:8], v11
	v_frexp_exp_i32_f64_e32 v7, v[7:8]
	v_frexp_mant_f32_e32 v8, v11
	v_cmp_gt_f32_e32 vcc_lo, 0x3f2aaaab, v8
	v_add_f32_e32 v8, -1.0, v11
	v_sub_f32_e32 v26, v8, v11
	v_sub_f32_e32 v8, v10, v8
	v_add_f32_e32 v26, 1.0, v26
	v_add_f32_e32 v8, v8, v26
	v_subrev_co_ci_u32_e64 v7, null, 0, v7, vcc_lo
	v_cmp_neq_f32_e32 vcc_lo, 0x7f800000, v10
	v_sub_nc_u32_e32 v24, 0, v7
	v_cvt_f32_i32_e32 v7, v7
	v_ldexp_f32 v11, v11, v24
	v_ldexp_f32 v8, v8, v24
	v_add_f32_e32 v27, 1.0, v11
	v_add_f32_e32 v24, -1.0, v11
	v_add_f32_e32 v26, -1.0, v27
	v_add_f32_e32 v28, 1.0, v24
	v_sub_f32_e32 v26, v11, v26
	v_sub_f32_e32 v11, v11, v28
	v_add_f32_e32 v26, v8, v26
	v_add_f32_e32 v8, v8, v11
	;; [unrolled: 1-line block ×4, first 2 shown]
	v_rcp_f32_e32 v11, v28
	v_sub_f32_e32 v27, v27, v28
	v_sub_f32_e32 v24, v24, v29
	v_add_f32_e32 v26, v26, v27
	v_add_f32_e32 v8, v8, v24
	v_mul_f32_e32 v30, v29, v11
	v_mul_f32_e32 v31, v28, v30
	v_fma_f32 v27, v30, v28, -v31
	v_fmac_f32_e32 v27, v30, v26
	v_add_f32_e32 v32, v31, v27
	v_sub_f32_e32 v33, v29, v32
	v_sub_f32_e32 v24, v32, v31
	;; [unrolled: 1-line block ×5, first 2 shown]
	v_add_f32_e32 v8, v8, v29
	v_add_f32_e32 v8, v24, v8
	;; [unrolled: 1-line block ×3, first 2 shown]
	v_mul_f32_e32 v27, v11, v24
	v_sub_f32_e32 v32, v33, v24
	v_mul_f32_e32 v29, v28, v27
	v_add_f32_e32 v8, v8, v32
	v_fma_f32 v28, v27, v28, -v29
	v_fmac_f32_e32 v28, v27, v26
	v_add_f32_e32 v26, v29, v28
	v_sub_f32_e32 v31, v24, v26
	v_sub_f32_e32 v29, v26, v29
	;; [unrolled: 1-line block ×5, first 2 shown]
	v_add_f32_e32 v8, v8, v24
	v_add_f32_e32 v24, v30, v27
	;; [unrolled: 1-line block ×3, first 2 shown]
	v_sub_f32_e32 v26, v24, v30
	v_add_f32_e32 v8, v31, v8
	v_sub_f32_e32 v26, v27, v26
	v_mul_f32_e32 v8, v11, v8
	v_add_f32_e32 v8, v26, v8
	v_add_f32_e32 v11, v24, v8
	v_mul_f32_e32 v26, v11, v11
	v_fmaak_f32 v27, s15, v26, 0x3ecc95a3
	v_mul_f32_e32 v28, v11, v26
	v_fmaak_f32 v26, v26, v27, 0x3f2aaada
	v_ldexp_f32 v27, v11, 1
	v_sub_f32_e32 v11, v11, v24
	v_mul_f32_e32 v26, v28, v26
	v_mul_f32_e32 v28, 0x3f317218, v7
	v_sub_f32_e32 v8, v8, v11
	v_add_f32_e32 v24, v27, v26
	v_ldexp_f32 v8, v8, 1
	v_sub_f32_e32 v11, v24, v27
	v_fma_f32 v27, 0x3f317218, v7, -v28
	v_sub_f32_e32 v11, v26, v11
	v_fmamk_f32 v7, v7, 0xb102e308, v27
	v_add_f32_e32 v8, v8, v11
	v_add_f32_e32 v11, v28, v7
	;; [unrolled: 1-line block ×3, first 2 shown]
	v_sub_f32_e32 v28, v11, v28
	v_add_f32_e32 v27, v11, v26
	v_sub_f32_e32 v24, v26, v24
	v_sub_f32_e32 v7, v7, v28
	;; [unrolled: 1-line block ×6, first 2 shown]
	v_add_f32_e32 v26, v7, v8
	v_sub_f32_e32 v11, v11, v30
	v_add_f32_e32 v11, v24, v11
	v_sub_f32_e32 v24, v26, v7
	;; [unrolled: 2-line block ×3, first 2 shown]
	v_sub_f32_e32 v8, v8, v24
	v_add_f32_e32 v28, v27, v11
	v_sub_f32_e32 v7, v7, v26
	v_sub_f32_e32 v24, v28, v27
	v_add_f32_e32 v7, v8, v7
	v_sub_f32_e32 v8, v11, v24
	v_add_f32_e32 v7, v7, v8
	v_add_f32_e32 v7, v28, v7
	v_cndmask_b32_e32 v7, 0x7f800000, v7, vcc_lo
	v_cmp_gt_f32_e64 vcc_lo, 0x33800000, |v10|
	v_cndmask_b32_e32 v7, v7, v10, vcc_lo
	v_add_f32_e32 v7, v9, v7
	v_cvt_f16_f32_e32 v7, v7
	v_cvt_f32_f16_e32 v8, v7
	v_mov_b32_e32 v26, v7
.LBB424_53:
	s_or_b32 exec_lo, exec_lo, s13
	v_cvt_f32_f16_sdwa v24, v6 dst_sel:DWORD dst_unused:UNUSED_PAD src0_sel:WORD_1
	v_max_f32_e32 v9, v8, v8
	v_cmp_u_f16_e32 vcc_lo, v7, v7
	v_cmp_u_f16_sdwa s13, v6, v6 src0_sel:WORD_1 src1_sel:WORD_1
	v_min_f32_e32 v10, v9, v24
	v_max_f32_e32 v9, v9, v24
	v_cndmask_b32_e32 v7, v10, v8, vcc_lo
	v_cndmask_b32_e32 v9, v9, v8, vcc_lo
	v_cndmask_b32_e64 v8, v7, v24, s13
	v_cndmask_b32_e64 v7, v9, v24, s13
	v_cmp_class_f32_e64 s15, v8, 0x1f8
	v_cmp_neq_f32_e32 vcc_lo, v8, v7
	s_or_b32 s16, vcc_lo, s15
	s_and_saveexec_b32 s15, s16
	s_cbranch_execz .LBB424_55
; %bb.54:
	v_sub_f32_e32 v8, v8, v7
	s_mov_b32 s16, 0x3e9b6dac
	v_mul_f32_e32 v9, 0x3fb8aa3b, v8
	v_cmp_ngt_f32_e32 vcc_lo, 0xc2ce8ed0, v8
	v_fma_f32 v10, 0x3fb8aa3b, v8, -v9
	v_rndne_f32_e32 v11, v9
	v_fmamk_f32 v10, v8, 0x32a5705f, v10
	v_sub_f32_e32 v9, v9, v11
	v_add_f32_e32 v9, v9, v10
	v_cvt_i32_f32_e32 v10, v11
	v_exp_f32_e32 v9, v9
	v_ldexp_f32 v9, v9, v10
	v_cndmask_b32_e32 v9, 0, v9, vcc_lo
	v_cmp_nlt_f32_e32 vcc_lo, 0x42b17218, v8
	v_cndmask_b32_e32 v10, 0x7f800000, v9, vcc_lo
	v_add_f32_e32 v11, 1.0, v10
	v_cvt_f64_f32_e32 v[8:9], v11
	v_frexp_exp_i32_f64_e32 v8, v[8:9]
	v_frexp_mant_f32_e32 v9, v11
	v_cmp_gt_f32_e32 vcc_lo, 0x3f2aaaab, v9
	v_add_f32_e32 v9, -1.0, v11
	v_sub_f32_e32 v27, v9, v11
	v_sub_f32_e32 v9, v10, v9
	v_add_f32_e32 v27, 1.0, v27
	v_add_f32_e32 v9, v9, v27
	v_subrev_co_ci_u32_e64 v8, null, 0, v8, vcc_lo
	v_cmp_neq_f32_e32 vcc_lo, 0x7f800000, v10
	v_sub_nc_u32_e32 v26, 0, v8
	v_cvt_f32_i32_e32 v8, v8
	v_ldexp_f32 v11, v11, v26
	v_ldexp_f32 v9, v9, v26
	v_add_f32_e32 v28, 1.0, v11
	v_add_f32_e32 v26, -1.0, v11
	v_add_f32_e32 v27, -1.0, v28
	v_add_f32_e32 v29, 1.0, v26
	v_sub_f32_e32 v27, v11, v27
	v_sub_f32_e32 v11, v11, v29
	v_add_f32_e32 v27, v9, v27
	v_add_f32_e32 v9, v9, v11
	v_add_f32_e32 v29, v28, v27
	v_add_f32_e32 v30, v26, v9
	v_rcp_f32_e32 v11, v29
	v_sub_f32_e32 v28, v28, v29
	v_sub_f32_e32 v26, v26, v30
	v_add_f32_e32 v27, v27, v28
	v_add_f32_e32 v9, v9, v26
	v_mul_f32_e32 v31, v30, v11
	v_mul_f32_e32 v32, v29, v31
	v_fma_f32 v28, v31, v29, -v32
	v_fmac_f32_e32 v28, v31, v27
	v_add_f32_e32 v33, v32, v28
	v_sub_f32_e32 v34, v30, v33
	v_sub_f32_e32 v26, v33, v32
	;; [unrolled: 1-line block ×5, first 2 shown]
	v_add_f32_e32 v9, v9, v30
	v_add_f32_e32 v9, v26, v9
	;; [unrolled: 1-line block ×3, first 2 shown]
	v_mul_f32_e32 v28, v11, v26
	v_sub_f32_e32 v33, v34, v26
	v_mul_f32_e32 v30, v29, v28
	v_add_f32_e32 v9, v9, v33
	v_fma_f32 v29, v28, v29, -v30
	v_fmac_f32_e32 v29, v28, v27
	v_add_f32_e32 v27, v30, v29
	v_sub_f32_e32 v32, v26, v27
	v_sub_f32_e32 v30, v27, v30
	;; [unrolled: 1-line block ×5, first 2 shown]
	v_add_f32_e32 v9, v9, v26
	v_add_f32_e32 v26, v31, v28
	;; [unrolled: 1-line block ×3, first 2 shown]
	v_sub_f32_e32 v27, v26, v31
	v_add_f32_e32 v9, v32, v9
	v_sub_f32_e32 v27, v28, v27
	v_mul_f32_e32 v9, v11, v9
	v_add_f32_e32 v9, v27, v9
	v_add_f32_e32 v11, v26, v9
	v_mul_f32_e32 v27, v11, v11
	v_fmaak_f32 v28, s16, v27, 0x3ecc95a3
	v_mul_f32_e32 v29, v11, v27
	v_fmaak_f32 v27, v27, v28, 0x3f2aaada
	v_ldexp_f32 v28, v11, 1
	v_sub_f32_e32 v11, v11, v26
	v_mul_f32_e32 v27, v29, v27
	v_mul_f32_e32 v29, 0x3f317218, v8
	v_sub_f32_e32 v9, v9, v11
	v_add_f32_e32 v26, v28, v27
	v_ldexp_f32 v9, v9, 1
	v_sub_f32_e32 v11, v26, v28
	v_fma_f32 v28, 0x3f317218, v8, -v29
	v_sub_f32_e32 v11, v27, v11
	v_fmamk_f32 v8, v8, 0xb102e308, v28
	v_add_f32_e32 v9, v9, v11
	v_add_f32_e32 v11, v29, v8
	;; [unrolled: 1-line block ×3, first 2 shown]
	v_sub_f32_e32 v29, v11, v29
	v_add_f32_e32 v28, v11, v27
	v_sub_f32_e32 v26, v27, v26
	v_sub_f32_e32 v8, v8, v29
	;; [unrolled: 1-line block ×6, first 2 shown]
	v_add_f32_e32 v27, v8, v9
	v_sub_f32_e32 v11, v11, v31
	v_add_f32_e32 v11, v26, v11
	v_sub_f32_e32 v26, v27, v8
	;; [unrolled: 2-line block ×3, first 2 shown]
	v_sub_f32_e32 v9, v9, v26
	v_add_f32_e32 v29, v28, v11
	v_sub_f32_e32 v8, v8, v27
	v_sub_f32_e32 v26, v29, v28
	v_add_f32_e32 v8, v9, v8
	v_sub_f32_e32 v9, v11, v26
	v_add_f32_e32 v8, v8, v9
	v_add_f32_e32 v8, v29, v8
	v_cndmask_b32_e32 v8, 0x7f800000, v8, vcc_lo
	v_cmp_gt_f32_e64 vcc_lo, 0x33800000, |v10|
	v_cndmask_b32_e32 v8, v8, v10, vcc_lo
	v_add_f32_e32 v7, v7, v8
	v_cvt_f16_f32_e32 v26, v7
.LBB424_55:
	s_or_b32 exec_lo, exec_lo, s15
	v_lshrrev_b32_e32 v7, 4, v0
	v_cmp_gt_u32_e32 vcc_lo, 32, v0
	v_and_b32_e32 v7, 2, v7
	v_lshl_add_u32 v7, v0, 1, v7
	ds_write_b16 v7, v26
	s_waitcnt lgkmcnt(0)
	s_barrier
	buffer_gl0_inv
	s_and_saveexec_b32 s17, vcc_lo
	s_cbranch_execz .LBB424_83
; %bb.56:
	v_lshrrev_b32_e32 v7, 3, v0
	v_lshlrev_b32_e32 v8, 2, v0
	v_and_b32_e32 v7, 6, v7
	v_add_nc_u32_e32 v7, v7, v8
	ds_read_u16 v9, v7 offset:2
	ds_read_u16 v11, v7
	s_waitcnt lgkmcnt(1)
	v_cvt_f32_f16_e32 v27, v9
	s_waitcnt lgkmcnt(0)
	v_cvt_f32_f16_e32 v8, v11
	v_cmp_u_f16_e64 s15, v11, v11
	v_cmp_u_f16_e64 s16, v9, v9
	v_min_f32_e32 v10, v8, v27
	v_max_f32_e32 v28, v8, v27
	v_cndmask_b32_e64 v10, v10, v8, s15
	v_cndmask_b32_e64 v28, v28, v8, s15
	;; [unrolled: 1-line block ×4, first 2 shown]
	v_cmp_class_f32_e64 s36, v10, 0x1f8
	v_cmp_neq_f32_e64 s16, v10, v9
	s_or_b32 s16, s16, s36
	s_and_saveexec_b32 s36, s16
	s_cbranch_execz .LBB424_58
; %bb.57:
	v_sub_f32_e32 v10, v10, v9
	v_mul_f32_e32 v11, 0x3fb8aa3b, v10
	v_cmp_ngt_f32_e64 s16, 0xc2ce8ed0, v10
	v_fma_f32 v27, 0x3fb8aa3b, v10, -v11
	v_rndne_f32_e32 v28, v11
	v_fmamk_f32 v27, v10, 0x32a5705f, v27
	v_sub_f32_e32 v11, v11, v28
	v_add_f32_e32 v11, v11, v27
	v_cvt_i32_f32_e32 v27, v28
	v_exp_f32_e32 v11, v11
	v_ldexp_f32 v11, v11, v27
	v_cndmask_b32_e64 v11, 0, v11, s16
	v_cmp_nlt_f32_e64 s16, 0x42b17218, v10
	v_cndmask_b32_e64 v27, 0x7f800000, v11, s16
	v_add_f32_e32 v28, 1.0, v27
	v_cvt_f64_f32_e32 v[10:11], v28
	v_frexp_exp_i32_f64_e32 v10, v[10:11]
	v_frexp_mant_f32_e32 v11, v28
	v_cmp_gt_f32_e64 s16, 0x3f2aaaab, v11
	v_add_f32_e32 v11, -1.0, v28
	v_sub_f32_e32 v30, v11, v28
	v_sub_f32_e32 v11, v27, v11
	v_add_f32_e32 v30, 1.0, v30
	v_add_f32_e32 v11, v11, v30
	v_subrev_co_ci_u32_e64 v10, null, 0, v10, s16
	s_mov_b32 s16, 0x3e9b6dac
	v_sub_nc_u32_e32 v29, 0, v10
	v_cvt_f32_i32_e32 v10, v10
	v_ldexp_f32 v28, v28, v29
	v_ldexp_f32 v11, v11, v29
	v_add_f32_e32 v31, 1.0, v28
	v_add_f32_e32 v29, -1.0, v28
	v_add_f32_e32 v30, -1.0, v31
	v_add_f32_e32 v32, 1.0, v29
	v_sub_f32_e32 v30, v28, v30
	v_sub_f32_e32 v28, v28, v32
	v_add_f32_e32 v30, v11, v30
	v_add_f32_e32 v11, v11, v28
	;; [unrolled: 1-line block ×4, first 2 shown]
	v_rcp_f32_e32 v28, v32
	v_sub_f32_e32 v31, v31, v32
	v_sub_f32_e32 v29, v29, v33
	v_add_f32_e32 v30, v30, v31
	v_add_f32_e32 v11, v11, v29
	v_mul_f32_e32 v34, v33, v28
	v_mul_f32_e32 v35, v32, v34
	v_fma_f32 v31, v34, v32, -v35
	v_fmac_f32_e32 v31, v34, v30
	v_add_f32_e32 v36, v35, v31
	v_sub_f32_e32 v37, v33, v36
	v_sub_f32_e32 v29, v36, v35
	;; [unrolled: 1-line block ×5, first 2 shown]
	v_add_f32_e32 v11, v11, v33
	v_add_f32_e32 v11, v29, v11
	;; [unrolled: 1-line block ×3, first 2 shown]
	v_mul_f32_e32 v31, v28, v29
	v_sub_f32_e32 v36, v37, v29
	v_mul_f32_e32 v33, v32, v31
	v_add_f32_e32 v11, v11, v36
	v_fma_f32 v32, v31, v32, -v33
	v_fmac_f32_e32 v32, v31, v30
	v_add_f32_e32 v30, v33, v32
	v_sub_f32_e32 v35, v29, v30
	v_sub_f32_e32 v33, v30, v33
	;; [unrolled: 1-line block ×5, first 2 shown]
	v_add_f32_e32 v11, v11, v29
	v_add_f32_e32 v29, v34, v31
	;; [unrolled: 1-line block ×3, first 2 shown]
	v_sub_f32_e32 v30, v29, v34
	v_add_f32_e32 v11, v35, v11
	v_sub_f32_e32 v30, v31, v30
	v_mul_f32_e32 v11, v28, v11
	v_add_f32_e32 v11, v30, v11
	v_add_f32_e32 v28, v29, v11
	v_mul_f32_e32 v30, v28, v28
	v_fmaak_f32 v31, s16, v30, 0x3ecc95a3
	v_mul_f32_e32 v32, v28, v30
	v_cmp_neq_f32_e64 s16, 0x7f800000, v27
	v_fmaak_f32 v30, v30, v31, 0x3f2aaada
	v_ldexp_f32 v31, v28, 1
	v_sub_f32_e32 v28, v28, v29
	v_mul_f32_e32 v30, v32, v30
	v_mul_f32_e32 v32, 0x3f317218, v10
	v_sub_f32_e32 v11, v11, v28
	v_add_f32_e32 v29, v31, v30
	v_ldexp_f32 v11, v11, 1
	v_sub_f32_e32 v28, v29, v31
	v_fma_f32 v31, 0x3f317218, v10, -v32
	v_sub_f32_e32 v28, v30, v28
	v_fmamk_f32 v10, v10, 0xb102e308, v31
	v_add_f32_e32 v11, v11, v28
	v_add_f32_e32 v28, v32, v10
	;; [unrolled: 1-line block ×3, first 2 shown]
	v_sub_f32_e32 v32, v28, v32
	v_add_f32_e32 v31, v28, v30
	v_sub_f32_e32 v29, v30, v29
	v_sub_f32_e32 v10, v10, v32
	;; [unrolled: 1-line block ×6, first 2 shown]
	v_add_f32_e32 v30, v10, v11
	v_sub_f32_e32 v28, v28, v34
	v_add_f32_e32 v28, v29, v28
	v_sub_f32_e32 v29, v30, v10
	;; [unrolled: 2-line block ×3, first 2 shown]
	v_sub_f32_e32 v11, v11, v29
	v_add_f32_e32 v32, v31, v28
	v_sub_f32_e32 v10, v10, v30
	v_sub_f32_e32 v29, v32, v31
	v_add_f32_e32 v10, v11, v10
	v_sub_f32_e32 v11, v28, v29
	v_add_f32_e32 v10, v10, v11
	v_add_f32_e32 v10, v32, v10
	v_cndmask_b32_e64 v10, 0x7f800000, v10, s16
	v_cmp_gt_f32_e64 s16, 0x33800000, |v27|
	v_cndmask_b32_e64 v10, v10, v27, s16
	v_add_f32_e32 v9, v9, v10
	v_cvt_f16_f32_e32 v11, v9
.LBB424_58:
	s_or_b32 exec_lo, exec_lo, s36
	v_mbcnt_lo_u32_b32 v9, -1, 0
	v_and_b32_e32 v27, 0xffff, v11
	s_mov_b32 s36, exec_lo
	v_and_b32_e32 v10, 15, v9
	v_mov_b32_dpp v28, v27 row_shr:1 row_mask:0xf bank_mask:0xf
	v_cmpx_ne_u32_e32 0, v10
	s_xor_b32 s36, exec_lo, s36
	s_cbranch_execz .LBB424_62
; %bb.59:
	v_cvt_f32_f16_e32 v27, v28
	v_cvt_f32_f16_e32 v29, v11
	v_cmp_u_f16_e64 s16, v28, v28
	v_min_f32_e32 v30, v27, v29
	v_max_f32_e32 v31, v27, v29
	v_cndmask_b32_e64 v30, v30, v27, s16
	v_cndmask_b32_e64 v31, v31, v27, s16
	v_cmp_u_f16_e64 s16, v11, v11
	v_cndmask_b32_e64 v27, v30, v29, s16
	v_cndmask_b32_e64 v11, v31, v29, s16
	v_cmp_class_f32_e64 s37, v27, 0x1f8
	v_cmp_neq_f32_e64 s16, v27, v11
	s_or_b32 s16, s16, s37
	s_and_saveexec_b32 s37, s16
	s_cbranch_execz .LBB424_61
; %bb.60:
	v_sub_f32_e32 v27, v27, v11
	v_mul_f32_e32 v28, 0x3fb8aa3b, v27
	v_cmp_ngt_f32_e64 s16, 0xc2ce8ed0, v27
	v_fma_f32 v29, 0x3fb8aa3b, v27, -v28
	v_rndne_f32_e32 v30, v28
	v_fmamk_f32 v29, v27, 0x32a5705f, v29
	v_sub_f32_e32 v28, v28, v30
	v_add_f32_e32 v28, v28, v29
	v_cvt_i32_f32_e32 v29, v30
	v_exp_f32_e32 v28, v28
	v_ldexp_f32 v28, v28, v29
	v_cndmask_b32_e64 v28, 0, v28, s16
	v_cmp_nlt_f32_e64 s16, 0x42b17218, v27
	v_cndmask_b32_e64 v29, 0x7f800000, v28, s16
	v_add_f32_e32 v30, 1.0, v29
	v_cvt_f64_f32_e32 v[27:28], v30
	v_frexp_exp_i32_f64_e32 v27, v[27:28]
	v_frexp_mant_f32_e32 v28, v30
	v_cmp_gt_f32_e64 s16, 0x3f2aaaab, v28
	v_add_f32_e32 v28, -1.0, v30
	v_sub_f32_e32 v32, v28, v30
	v_sub_f32_e32 v28, v29, v28
	v_add_f32_e32 v32, 1.0, v32
	v_add_f32_e32 v28, v28, v32
	v_subrev_co_ci_u32_e64 v27, null, 0, v27, s16
	s_mov_b32 s16, 0x3e9b6dac
	v_sub_nc_u32_e32 v31, 0, v27
	v_cvt_f32_i32_e32 v27, v27
	v_ldexp_f32 v30, v30, v31
	v_ldexp_f32 v28, v28, v31
	v_add_f32_e32 v33, 1.0, v30
	v_add_f32_e32 v31, -1.0, v30
	v_add_f32_e32 v32, -1.0, v33
	v_add_f32_e32 v34, 1.0, v31
	v_sub_f32_e32 v32, v30, v32
	v_sub_f32_e32 v30, v30, v34
	v_add_f32_e32 v32, v28, v32
	v_add_f32_e32 v28, v28, v30
	;; [unrolled: 1-line block ×4, first 2 shown]
	v_rcp_f32_e32 v30, v34
	v_sub_f32_e32 v33, v33, v34
	v_sub_f32_e32 v31, v31, v35
	v_add_f32_e32 v32, v32, v33
	v_add_f32_e32 v28, v28, v31
	v_mul_f32_e32 v36, v35, v30
	v_mul_f32_e32 v37, v34, v36
	v_fma_f32 v33, v36, v34, -v37
	v_fmac_f32_e32 v33, v36, v32
	v_add_f32_e32 v38, v37, v33
	v_sub_f32_e32 v39, v35, v38
	v_sub_f32_e32 v31, v38, v37
	;; [unrolled: 1-line block ×5, first 2 shown]
	v_add_f32_e32 v28, v28, v35
	v_add_f32_e32 v28, v31, v28
	;; [unrolled: 1-line block ×3, first 2 shown]
	v_mul_f32_e32 v33, v30, v31
	v_sub_f32_e32 v38, v39, v31
	v_mul_f32_e32 v35, v34, v33
	v_add_f32_e32 v28, v28, v38
	v_fma_f32 v34, v33, v34, -v35
	v_fmac_f32_e32 v34, v33, v32
	v_add_f32_e32 v32, v35, v34
	v_sub_f32_e32 v37, v31, v32
	v_sub_f32_e32 v35, v32, v35
	v_sub_f32_e32 v31, v31, v37
	v_sub_f32_e32 v31, v31, v32
	v_sub_f32_e32 v32, v35, v34
	v_add_f32_e32 v28, v28, v31
	v_add_f32_e32 v31, v36, v33
	;; [unrolled: 1-line block ×3, first 2 shown]
	v_sub_f32_e32 v32, v31, v36
	v_add_f32_e32 v28, v37, v28
	v_sub_f32_e32 v32, v33, v32
	v_mul_f32_e32 v28, v30, v28
	v_add_f32_e32 v28, v32, v28
	v_add_f32_e32 v30, v31, v28
	v_mul_f32_e32 v32, v30, v30
	v_fmaak_f32 v33, s16, v32, 0x3ecc95a3
	v_mul_f32_e32 v34, v30, v32
	v_cmp_neq_f32_e64 s16, 0x7f800000, v29
	v_fmaak_f32 v32, v32, v33, 0x3f2aaada
	v_ldexp_f32 v33, v30, 1
	v_sub_f32_e32 v30, v30, v31
	v_mul_f32_e32 v32, v34, v32
	v_mul_f32_e32 v34, 0x3f317218, v27
	v_sub_f32_e32 v28, v28, v30
	v_add_f32_e32 v31, v33, v32
	v_ldexp_f32 v28, v28, 1
	v_sub_f32_e32 v30, v31, v33
	v_fma_f32 v33, 0x3f317218, v27, -v34
	v_sub_f32_e32 v30, v32, v30
	v_fmamk_f32 v27, v27, 0xb102e308, v33
	v_add_f32_e32 v28, v28, v30
	v_add_f32_e32 v30, v34, v27
	;; [unrolled: 1-line block ×3, first 2 shown]
	v_sub_f32_e32 v34, v30, v34
	v_add_f32_e32 v33, v30, v32
	v_sub_f32_e32 v31, v32, v31
	v_sub_f32_e32 v27, v27, v34
	;; [unrolled: 1-line block ×6, first 2 shown]
	v_add_f32_e32 v32, v27, v28
	v_sub_f32_e32 v30, v30, v36
	v_add_f32_e32 v30, v31, v30
	v_sub_f32_e32 v31, v32, v27
	;; [unrolled: 2-line block ×3, first 2 shown]
	v_sub_f32_e32 v28, v28, v31
	v_add_f32_e32 v34, v33, v30
	v_sub_f32_e32 v27, v27, v32
	v_sub_f32_e32 v31, v34, v33
	v_add_f32_e32 v27, v28, v27
	v_sub_f32_e32 v28, v30, v31
	v_add_f32_e32 v27, v27, v28
	v_add_f32_e32 v27, v34, v27
	v_cndmask_b32_e64 v27, 0x7f800000, v27, s16
	v_cmp_gt_f32_e64 s16, 0x33800000, |v29|
	v_cndmask_b32_e64 v27, v27, v29, s16
	v_add_f32_e32 v11, v11, v27
	v_cvt_f16_f32_e32 v28, v11
.LBB424_61:
	s_or_b32 exec_lo, exec_lo, s37
	v_and_b32_e32 v27, 0xffff, v28
	v_mov_b32_e32 v11, v28
.LBB424_62:
	s_or_b32 exec_lo, exec_lo, s36
	v_mov_b32_dpp v28, v27 row_shr:2 row_mask:0xf bank_mask:0xf
	s_mov_b32 s36, exec_lo
	v_cmpx_lt_u32_e32 1, v10
	s_cbranch_execz .LBB424_66
; %bb.63:
	v_cvt_f32_f16_e32 v27, v28
	v_cvt_f32_f16_e32 v29, v11
	v_cmp_u_f16_e64 s16, v28, v28
	v_min_f32_e32 v30, v27, v29
	v_max_f32_e32 v31, v27, v29
	v_cndmask_b32_e64 v30, v30, v27, s16
	v_cndmask_b32_e64 v31, v31, v27, s16
	v_cmp_u_f16_e64 s16, v11, v11
	v_cndmask_b32_e64 v27, v30, v29, s16
	v_cndmask_b32_e64 v11, v31, v29, s16
	v_cmp_class_f32_e64 s37, v27, 0x1f8
	v_cmp_neq_f32_e64 s16, v27, v11
	s_or_b32 s16, s16, s37
	s_and_saveexec_b32 s37, s16
	s_cbranch_execz .LBB424_65
; %bb.64:
	v_sub_f32_e32 v27, v27, v11
	v_mul_f32_e32 v28, 0x3fb8aa3b, v27
	v_cmp_ngt_f32_e64 s16, 0xc2ce8ed0, v27
	v_fma_f32 v29, 0x3fb8aa3b, v27, -v28
	v_rndne_f32_e32 v30, v28
	v_fmamk_f32 v29, v27, 0x32a5705f, v29
	v_sub_f32_e32 v28, v28, v30
	v_add_f32_e32 v28, v28, v29
	v_cvt_i32_f32_e32 v29, v30
	v_exp_f32_e32 v28, v28
	v_ldexp_f32 v28, v28, v29
	v_cndmask_b32_e64 v28, 0, v28, s16
	v_cmp_nlt_f32_e64 s16, 0x42b17218, v27
	v_cndmask_b32_e64 v29, 0x7f800000, v28, s16
	v_add_f32_e32 v30, 1.0, v29
	v_cvt_f64_f32_e32 v[27:28], v30
	v_frexp_exp_i32_f64_e32 v27, v[27:28]
	v_frexp_mant_f32_e32 v28, v30
	v_cmp_gt_f32_e64 s16, 0x3f2aaaab, v28
	v_add_f32_e32 v28, -1.0, v30
	v_sub_f32_e32 v32, v28, v30
	v_sub_f32_e32 v28, v29, v28
	v_add_f32_e32 v32, 1.0, v32
	v_add_f32_e32 v28, v28, v32
	v_subrev_co_ci_u32_e64 v27, null, 0, v27, s16
	s_mov_b32 s16, 0x3e9b6dac
	v_sub_nc_u32_e32 v31, 0, v27
	v_cvt_f32_i32_e32 v27, v27
	v_ldexp_f32 v30, v30, v31
	v_ldexp_f32 v28, v28, v31
	v_add_f32_e32 v33, 1.0, v30
	v_add_f32_e32 v31, -1.0, v30
	v_add_f32_e32 v32, -1.0, v33
	v_add_f32_e32 v34, 1.0, v31
	v_sub_f32_e32 v32, v30, v32
	v_sub_f32_e32 v30, v30, v34
	v_add_f32_e32 v32, v28, v32
	v_add_f32_e32 v28, v28, v30
	;; [unrolled: 1-line block ×4, first 2 shown]
	v_rcp_f32_e32 v30, v34
	v_sub_f32_e32 v33, v33, v34
	v_sub_f32_e32 v31, v31, v35
	v_add_f32_e32 v32, v32, v33
	v_add_f32_e32 v28, v28, v31
	v_mul_f32_e32 v36, v35, v30
	v_mul_f32_e32 v37, v34, v36
	v_fma_f32 v33, v36, v34, -v37
	v_fmac_f32_e32 v33, v36, v32
	v_add_f32_e32 v38, v37, v33
	v_sub_f32_e32 v39, v35, v38
	v_sub_f32_e32 v31, v38, v37
	;; [unrolled: 1-line block ×5, first 2 shown]
	v_add_f32_e32 v28, v28, v35
	v_add_f32_e32 v28, v31, v28
	;; [unrolled: 1-line block ×3, first 2 shown]
	v_mul_f32_e32 v33, v30, v31
	v_sub_f32_e32 v38, v39, v31
	v_mul_f32_e32 v35, v34, v33
	v_add_f32_e32 v28, v28, v38
	v_fma_f32 v34, v33, v34, -v35
	v_fmac_f32_e32 v34, v33, v32
	v_add_f32_e32 v32, v35, v34
	v_sub_f32_e32 v37, v31, v32
	v_sub_f32_e32 v35, v32, v35
	;; [unrolled: 1-line block ×5, first 2 shown]
	v_add_f32_e32 v28, v28, v31
	v_add_f32_e32 v31, v36, v33
	v_add_f32_e32 v28, v32, v28
	v_sub_f32_e32 v32, v31, v36
	v_add_f32_e32 v28, v37, v28
	v_sub_f32_e32 v32, v33, v32
	v_mul_f32_e32 v28, v30, v28
	v_add_f32_e32 v28, v32, v28
	v_add_f32_e32 v30, v31, v28
	v_mul_f32_e32 v32, v30, v30
	v_fmaak_f32 v33, s16, v32, 0x3ecc95a3
	v_mul_f32_e32 v34, v30, v32
	v_cmp_neq_f32_e64 s16, 0x7f800000, v29
	v_fmaak_f32 v32, v32, v33, 0x3f2aaada
	v_ldexp_f32 v33, v30, 1
	v_sub_f32_e32 v30, v30, v31
	v_mul_f32_e32 v32, v34, v32
	v_mul_f32_e32 v34, 0x3f317218, v27
	v_sub_f32_e32 v28, v28, v30
	v_add_f32_e32 v31, v33, v32
	v_ldexp_f32 v28, v28, 1
	v_sub_f32_e32 v30, v31, v33
	v_fma_f32 v33, 0x3f317218, v27, -v34
	v_sub_f32_e32 v30, v32, v30
	v_fmamk_f32 v27, v27, 0xb102e308, v33
	v_add_f32_e32 v28, v28, v30
	v_add_f32_e32 v30, v34, v27
	;; [unrolled: 1-line block ×3, first 2 shown]
	v_sub_f32_e32 v34, v30, v34
	v_add_f32_e32 v33, v30, v32
	v_sub_f32_e32 v31, v32, v31
	v_sub_f32_e32 v27, v27, v34
	;; [unrolled: 1-line block ×6, first 2 shown]
	v_add_f32_e32 v32, v27, v28
	v_sub_f32_e32 v30, v30, v36
	v_add_f32_e32 v30, v31, v30
	v_sub_f32_e32 v31, v32, v27
	;; [unrolled: 2-line block ×3, first 2 shown]
	v_sub_f32_e32 v28, v28, v31
	v_add_f32_e32 v34, v33, v30
	v_sub_f32_e32 v27, v27, v32
	v_sub_f32_e32 v31, v34, v33
	v_add_f32_e32 v27, v28, v27
	v_sub_f32_e32 v28, v30, v31
	v_add_f32_e32 v27, v27, v28
	v_add_f32_e32 v27, v34, v27
	v_cndmask_b32_e64 v27, 0x7f800000, v27, s16
	v_cmp_gt_f32_e64 s16, 0x33800000, |v29|
	v_cndmask_b32_e64 v27, v27, v29, s16
	v_add_f32_e32 v11, v11, v27
	v_cvt_f16_f32_e32 v28, v11
.LBB424_65:
	s_or_b32 exec_lo, exec_lo, s37
	v_and_b32_e32 v27, 0xffff, v28
	v_mov_b32_e32 v11, v28
.LBB424_66:
	s_or_b32 exec_lo, exec_lo, s36
	v_mov_b32_dpp v28, v27 row_shr:4 row_mask:0xf bank_mask:0xf
	s_mov_b32 s36, exec_lo
	v_cmpx_lt_u32_e32 3, v10
	s_cbranch_execz .LBB424_70
; %bb.67:
	v_cvt_f32_f16_e32 v27, v28
	v_cvt_f32_f16_e32 v29, v11
	v_cmp_u_f16_e64 s16, v28, v28
	v_min_f32_e32 v30, v27, v29
	v_max_f32_e32 v31, v27, v29
	v_cndmask_b32_e64 v30, v30, v27, s16
	v_cndmask_b32_e64 v31, v31, v27, s16
	v_cmp_u_f16_e64 s16, v11, v11
	v_cndmask_b32_e64 v27, v30, v29, s16
	v_cndmask_b32_e64 v11, v31, v29, s16
	v_cmp_class_f32_e64 s37, v27, 0x1f8
	v_cmp_neq_f32_e64 s16, v27, v11
	s_or_b32 s16, s16, s37
	s_and_saveexec_b32 s37, s16
	s_cbranch_execz .LBB424_69
; %bb.68:
	v_sub_f32_e32 v27, v27, v11
	v_mul_f32_e32 v28, 0x3fb8aa3b, v27
	v_cmp_ngt_f32_e64 s16, 0xc2ce8ed0, v27
	v_fma_f32 v29, 0x3fb8aa3b, v27, -v28
	v_rndne_f32_e32 v30, v28
	v_fmamk_f32 v29, v27, 0x32a5705f, v29
	v_sub_f32_e32 v28, v28, v30
	v_add_f32_e32 v28, v28, v29
	v_cvt_i32_f32_e32 v29, v30
	v_exp_f32_e32 v28, v28
	v_ldexp_f32 v28, v28, v29
	v_cndmask_b32_e64 v28, 0, v28, s16
	v_cmp_nlt_f32_e64 s16, 0x42b17218, v27
	v_cndmask_b32_e64 v29, 0x7f800000, v28, s16
	v_add_f32_e32 v30, 1.0, v29
	v_cvt_f64_f32_e32 v[27:28], v30
	v_frexp_exp_i32_f64_e32 v27, v[27:28]
	v_frexp_mant_f32_e32 v28, v30
	v_cmp_gt_f32_e64 s16, 0x3f2aaaab, v28
	v_add_f32_e32 v28, -1.0, v30
	v_sub_f32_e32 v32, v28, v30
	v_sub_f32_e32 v28, v29, v28
	v_add_f32_e32 v32, 1.0, v32
	v_add_f32_e32 v28, v28, v32
	v_subrev_co_ci_u32_e64 v27, null, 0, v27, s16
	s_mov_b32 s16, 0x3e9b6dac
	v_sub_nc_u32_e32 v31, 0, v27
	v_cvt_f32_i32_e32 v27, v27
	v_ldexp_f32 v30, v30, v31
	v_ldexp_f32 v28, v28, v31
	v_add_f32_e32 v33, 1.0, v30
	v_add_f32_e32 v31, -1.0, v30
	v_add_f32_e32 v32, -1.0, v33
	v_add_f32_e32 v34, 1.0, v31
	v_sub_f32_e32 v32, v30, v32
	v_sub_f32_e32 v30, v30, v34
	v_add_f32_e32 v32, v28, v32
	v_add_f32_e32 v28, v28, v30
	v_add_f32_e32 v34, v33, v32
	v_add_f32_e32 v35, v31, v28
	v_rcp_f32_e32 v30, v34
	v_sub_f32_e32 v33, v33, v34
	v_sub_f32_e32 v31, v31, v35
	v_add_f32_e32 v32, v32, v33
	v_add_f32_e32 v28, v28, v31
	v_mul_f32_e32 v36, v35, v30
	v_mul_f32_e32 v37, v34, v36
	v_fma_f32 v33, v36, v34, -v37
	v_fmac_f32_e32 v33, v36, v32
	v_add_f32_e32 v38, v37, v33
	v_sub_f32_e32 v39, v35, v38
	v_sub_f32_e32 v31, v38, v37
	;; [unrolled: 1-line block ×5, first 2 shown]
	v_add_f32_e32 v28, v28, v35
	v_add_f32_e32 v28, v31, v28
	;; [unrolled: 1-line block ×3, first 2 shown]
	v_mul_f32_e32 v33, v30, v31
	v_sub_f32_e32 v38, v39, v31
	v_mul_f32_e32 v35, v34, v33
	v_add_f32_e32 v28, v28, v38
	v_fma_f32 v34, v33, v34, -v35
	v_fmac_f32_e32 v34, v33, v32
	v_add_f32_e32 v32, v35, v34
	v_sub_f32_e32 v37, v31, v32
	v_sub_f32_e32 v35, v32, v35
	;; [unrolled: 1-line block ×5, first 2 shown]
	v_add_f32_e32 v28, v28, v31
	v_add_f32_e32 v31, v36, v33
	;; [unrolled: 1-line block ×3, first 2 shown]
	v_sub_f32_e32 v32, v31, v36
	v_add_f32_e32 v28, v37, v28
	v_sub_f32_e32 v32, v33, v32
	v_mul_f32_e32 v28, v30, v28
	v_add_f32_e32 v28, v32, v28
	v_add_f32_e32 v30, v31, v28
	v_mul_f32_e32 v32, v30, v30
	v_fmaak_f32 v33, s16, v32, 0x3ecc95a3
	v_mul_f32_e32 v34, v30, v32
	v_cmp_neq_f32_e64 s16, 0x7f800000, v29
	v_fmaak_f32 v32, v32, v33, 0x3f2aaada
	v_ldexp_f32 v33, v30, 1
	v_sub_f32_e32 v30, v30, v31
	v_mul_f32_e32 v32, v34, v32
	v_mul_f32_e32 v34, 0x3f317218, v27
	v_sub_f32_e32 v28, v28, v30
	v_add_f32_e32 v31, v33, v32
	v_ldexp_f32 v28, v28, 1
	v_sub_f32_e32 v30, v31, v33
	v_fma_f32 v33, 0x3f317218, v27, -v34
	v_sub_f32_e32 v30, v32, v30
	v_fmamk_f32 v27, v27, 0xb102e308, v33
	v_add_f32_e32 v28, v28, v30
	v_add_f32_e32 v30, v34, v27
	;; [unrolled: 1-line block ×3, first 2 shown]
	v_sub_f32_e32 v34, v30, v34
	v_add_f32_e32 v33, v30, v32
	v_sub_f32_e32 v31, v32, v31
	v_sub_f32_e32 v27, v27, v34
	v_sub_f32_e32 v35, v33, v30
	v_sub_f32_e32 v28, v28, v31
	v_sub_f32_e32 v36, v33, v35
	v_sub_f32_e32 v31, v32, v35
	v_add_f32_e32 v32, v27, v28
	v_sub_f32_e32 v30, v30, v36
	v_add_f32_e32 v30, v31, v30
	v_sub_f32_e32 v31, v32, v27
	;; [unrolled: 2-line block ×3, first 2 shown]
	v_sub_f32_e32 v28, v28, v31
	v_add_f32_e32 v34, v33, v30
	v_sub_f32_e32 v27, v27, v32
	v_sub_f32_e32 v31, v34, v33
	v_add_f32_e32 v27, v28, v27
	v_sub_f32_e32 v28, v30, v31
	v_add_f32_e32 v27, v27, v28
	v_add_f32_e32 v27, v34, v27
	v_cndmask_b32_e64 v27, 0x7f800000, v27, s16
	v_cmp_gt_f32_e64 s16, 0x33800000, |v29|
	v_cndmask_b32_e64 v27, v27, v29, s16
	v_add_f32_e32 v11, v11, v27
	v_cvt_f16_f32_e32 v28, v11
.LBB424_69:
	s_or_b32 exec_lo, exec_lo, s37
	v_and_b32_e32 v27, 0xffff, v28
	v_mov_b32_e32 v11, v28
.LBB424_70:
	s_or_b32 exec_lo, exec_lo, s36
	v_mov_b32_dpp v28, v27 row_shr:8 row_mask:0xf bank_mask:0xf
	s_mov_b32 s36, exec_lo
	v_cmpx_lt_u32_e32 7, v10
	s_cbranch_execz .LBB424_74
; %bb.71:
	v_cvt_f32_f16_e32 v10, v28
	v_cvt_f32_f16_e32 v27, v11
	v_cmp_u_f16_e64 s16, v28, v28
	v_min_f32_e32 v29, v10, v27
	v_max_f32_e32 v30, v10, v27
	v_cndmask_b32_e64 v29, v29, v10, s16
	v_cndmask_b32_e64 v10, v30, v10, s16
	v_cmp_u_f16_e64 s16, v11, v11
	v_cndmask_b32_e64 v11, v29, v27, s16
	v_cndmask_b32_e64 v10, v10, v27, s16
	v_cmp_class_f32_e64 s37, v11, 0x1f8
	v_cmp_neq_f32_e64 s16, v11, v10
	s_or_b32 s16, s16, s37
	s_and_saveexec_b32 s37, s16
	s_cbranch_execz .LBB424_73
; %bb.72:
	v_sub_f32_e32 v11, v11, v10
	v_mul_f32_e32 v27, 0x3fb8aa3b, v11
	v_cmp_ngt_f32_e64 s16, 0xc2ce8ed0, v11
	v_fma_f32 v28, 0x3fb8aa3b, v11, -v27
	v_rndne_f32_e32 v29, v27
	v_fmamk_f32 v28, v11, 0x32a5705f, v28
	v_sub_f32_e32 v27, v27, v29
	v_add_f32_e32 v27, v27, v28
	v_cvt_i32_f32_e32 v28, v29
	v_exp_f32_e32 v27, v27
	v_ldexp_f32 v27, v27, v28
	v_cndmask_b32_e64 v27, 0, v27, s16
	v_cmp_nlt_f32_e64 s16, 0x42b17218, v11
	v_cndmask_b32_e64 v11, 0x7f800000, v27, s16
	v_add_f32_e32 v29, 1.0, v11
	v_cvt_f64_f32_e32 v[27:28], v29
	v_frexp_exp_i32_f64_e32 v27, v[27:28]
	v_frexp_mant_f32_e32 v28, v29
	v_cmp_gt_f32_e64 s16, 0x3f2aaaab, v28
	v_add_f32_e32 v28, -1.0, v29
	v_sub_f32_e32 v31, v28, v29
	v_sub_f32_e32 v28, v11, v28
	v_add_f32_e32 v31, 1.0, v31
	v_add_f32_e32 v28, v28, v31
	v_subrev_co_ci_u32_e64 v27, null, 0, v27, s16
	s_mov_b32 s16, 0x3e9b6dac
	v_sub_nc_u32_e32 v30, 0, v27
	v_cvt_f32_i32_e32 v27, v27
	v_ldexp_f32 v29, v29, v30
	v_ldexp_f32 v28, v28, v30
	v_add_f32_e32 v32, 1.0, v29
	v_add_f32_e32 v30, -1.0, v29
	v_add_f32_e32 v31, -1.0, v32
	v_add_f32_e32 v33, 1.0, v30
	v_sub_f32_e32 v31, v29, v31
	v_sub_f32_e32 v29, v29, v33
	v_add_f32_e32 v31, v28, v31
	v_add_f32_e32 v28, v28, v29
	;; [unrolled: 1-line block ×4, first 2 shown]
	v_rcp_f32_e32 v29, v33
	v_sub_f32_e32 v32, v32, v33
	v_sub_f32_e32 v30, v30, v34
	v_add_f32_e32 v31, v31, v32
	v_add_f32_e32 v28, v28, v30
	v_mul_f32_e32 v35, v34, v29
	v_mul_f32_e32 v36, v33, v35
	v_fma_f32 v32, v35, v33, -v36
	v_fmac_f32_e32 v32, v35, v31
	v_add_f32_e32 v37, v36, v32
	v_sub_f32_e32 v38, v34, v37
	v_sub_f32_e32 v30, v37, v36
	;; [unrolled: 1-line block ×5, first 2 shown]
	v_add_f32_e32 v28, v28, v34
	v_add_f32_e32 v28, v30, v28
	;; [unrolled: 1-line block ×3, first 2 shown]
	v_mul_f32_e32 v32, v29, v30
	v_sub_f32_e32 v37, v38, v30
	v_mul_f32_e32 v34, v33, v32
	v_add_f32_e32 v28, v28, v37
	v_fma_f32 v33, v32, v33, -v34
	v_fmac_f32_e32 v33, v32, v31
	v_add_f32_e32 v31, v34, v33
	v_sub_f32_e32 v36, v30, v31
	v_sub_f32_e32 v34, v31, v34
	v_sub_f32_e32 v30, v30, v36
	v_sub_f32_e32 v30, v30, v31
	v_sub_f32_e32 v31, v34, v33
	v_add_f32_e32 v28, v28, v30
	v_add_f32_e32 v30, v35, v32
	;; [unrolled: 1-line block ×3, first 2 shown]
	v_sub_f32_e32 v31, v30, v35
	v_add_f32_e32 v28, v36, v28
	v_sub_f32_e32 v31, v32, v31
	v_mul_f32_e32 v28, v29, v28
	v_add_f32_e32 v28, v31, v28
	v_add_f32_e32 v29, v30, v28
	v_mul_f32_e32 v31, v29, v29
	v_fmaak_f32 v32, s16, v31, 0x3ecc95a3
	v_mul_f32_e32 v33, v29, v31
	v_cmp_neq_f32_e64 s16, 0x7f800000, v11
	v_fmaak_f32 v31, v31, v32, 0x3f2aaada
	v_ldexp_f32 v32, v29, 1
	v_sub_f32_e32 v29, v29, v30
	v_mul_f32_e32 v31, v33, v31
	v_mul_f32_e32 v33, 0x3f317218, v27
	v_sub_f32_e32 v28, v28, v29
	v_add_f32_e32 v30, v32, v31
	v_ldexp_f32 v28, v28, 1
	v_sub_f32_e32 v29, v30, v32
	v_fma_f32 v32, 0x3f317218, v27, -v33
	v_sub_f32_e32 v29, v31, v29
	v_fmamk_f32 v27, v27, 0xb102e308, v32
	v_add_f32_e32 v28, v28, v29
	v_add_f32_e32 v29, v33, v27
	;; [unrolled: 1-line block ×3, first 2 shown]
	v_sub_f32_e32 v33, v29, v33
	v_add_f32_e32 v32, v29, v31
	v_sub_f32_e32 v30, v31, v30
	v_sub_f32_e32 v27, v27, v33
	v_sub_f32_e32 v34, v32, v29
	v_sub_f32_e32 v28, v28, v30
	v_sub_f32_e32 v35, v32, v34
	v_sub_f32_e32 v30, v31, v34
	v_add_f32_e32 v31, v27, v28
	v_sub_f32_e32 v29, v29, v35
	v_add_f32_e32 v29, v30, v29
	v_sub_f32_e32 v30, v31, v27
	;; [unrolled: 2-line block ×3, first 2 shown]
	v_sub_f32_e32 v28, v28, v30
	v_add_f32_e32 v33, v32, v29
	v_sub_f32_e32 v27, v27, v31
	v_sub_f32_e32 v30, v33, v32
	v_add_f32_e32 v27, v28, v27
	v_sub_f32_e32 v28, v29, v30
	v_add_f32_e32 v27, v27, v28
	v_add_f32_e32 v27, v33, v27
	v_cndmask_b32_e64 v27, 0x7f800000, v27, s16
	v_cmp_gt_f32_e64 s16, 0x33800000, |v11|
	v_cndmask_b32_e64 v11, v27, v11, s16
	v_add_f32_e32 v10, v10, v11
	v_cvt_f16_f32_e32 v28, v10
.LBB424_73:
	s_or_b32 exec_lo, exec_lo, s37
	v_and_b32_e32 v27, 0xffff, v28
	v_mov_b32_e32 v11, v28
.LBB424_74:
	s_or_b32 exec_lo, exec_lo, s36
	ds_swizzle_b32 v27, v27 offset:swizzle(BROADCAST,32,15)
	v_and_b32_e32 v10, 16, v9
	s_mov_b32 s36, exec_lo
	v_cmpx_ne_u32_e32 0, v10
	s_cbranch_execz .LBB424_78
; %bb.75:
	s_waitcnt lgkmcnt(0)
	v_cvt_f32_f16_e32 v10, v27
	v_cvt_f32_f16_e32 v28, v11
	v_cmp_u_f16_e64 s16, v27, v27
	v_min_f32_e32 v29, v10, v28
	v_max_f32_e32 v30, v10, v28
	v_cndmask_b32_e64 v29, v29, v10, s16
	v_cndmask_b32_e64 v10, v30, v10, s16
	v_cmp_u_f16_e64 s16, v11, v11
	v_cndmask_b32_e64 v11, v29, v28, s16
	v_cndmask_b32_e64 v10, v10, v28, s16
	v_cmp_class_f32_e64 s37, v11, 0x1f8
	v_cmp_neq_f32_e64 s16, v11, v10
	s_or_b32 s16, s16, s37
	s_and_saveexec_b32 s37, s16
	s_cbranch_execz .LBB424_77
; %bb.76:
	v_sub_f32_e32 v11, v11, v10
	v_mul_f32_e32 v27, 0x3fb8aa3b, v11
	v_cmp_ngt_f32_e64 s16, 0xc2ce8ed0, v11
	v_fma_f32 v28, 0x3fb8aa3b, v11, -v27
	v_rndne_f32_e32 v29, v27
	v_fmamk_f32 v28, v11, 0x32a5705f, v28
	v_sub_f32_e32 v27, v27, v29
	v_add_f32_e32 v27, v27, v28
	v_cvt_i32_f32_e32 v28, v29
	v_exp_f32_e32 v27, v27
	v_ldexp_f32 v27, v27, v28
	v_cndmask_b32_e64 v27, 0, v27, s16
	v_cmp_nlt_f32_e64 s16, 0x42b17218, v11
	v_cndmask_b32_e64 v11, 0x7f800000, v27, s16
	v_add_f32_e32 v29, 1.0, v11
	v_cvt_f64_f32_e32 v[27:28], v29
	v_frexp_exp_i32_f64_e32 v27, v[27:28]
	v_frexp_mant_f32_e32 v28, v29
	v_cmp_gt_f32_e64 s16, 0x3f2aaaab, v28
	v_add_f32_e32 v28, -1.0, v29
	v_sub_f32_e32 v31, v28, v29
	v_sub_f32_e32 v28, v11, v28
	v_add_f32_e32 v31, 1.0, v31
	v_add_f32_e32 v28, v28, v31
	v_subrev_co_ci_u32_e64 v27, null, 0, v27, s16
	s_mov_b32 s16, 0x3e9b6dac
	v_sub_nc_u32_e32 v30, 0, v27
	v_cvt_f32_i32_e32 v27, v27
	v_ldexp_f32 v29, v29, v30
	v_ldexp_f32 v28, v28, v30
	v_add_f32_e32 v32, 1.0, v29
	v_add_f32_e32 v30, -1.0, v29
	v_add_f32_e32 v31, -1.0, v32
	v_add_f32_e32 v33, 1.0, v30
	v_sub_f32_e32 v31, v29, v31
	v_sub_f32_e32 v29, v29, v33
	v_add_f32_e32 v31, v28, v31
	v_add_f32_e32 v28, v28, v29
	v_add_f32_e32 v33, v32, v31
	v_add_f32_e32 v34, v30, v28
	v_rcp_f32_e32 v29, v33
	v_sub_f32_e32 v32, v32, v33
	v_sub_f32_e32 v30, v30, v34
	v_add_f32_e32 v31, v31, v32
	v_add_f32_e32 v28, v28, v30
	v_mul_f32_e32 v35, v34, v29
	v_mul_f32_e32 v36, v33, v35
	v_fma_f32 v32, v35, v33, -v36
	v_fmac_f32_e32 v32, v35, v31
	v_add_f32_e32 v37, v36, v32
	v_sub_f32_e32 v38, v34, v37
	v_sub_f32_e32 v30, v37, v36
	;; [unrolled: 1-line block ×5, first 2 shown]
	v_add_f32_e32 v28, v28, v34
	v_add_f32_e32 v28, v30, v28
	;; [unrolled: 1-line block ×3, first 2 shown]
	v_mul_f32_e32 v32, v29, v30
	v_sub_f32_e32 v37, v38, v30
	v_mul_f32_e32 v34, v33, v32
	v_add_f32_e32 v28, v28, v37
	v_fma_f32 v33, v32, v33, -v34
	v_fmac_f32_e32 v33, v32, v31
	v_add_f32_e32 v31, v34, v33
	v_sub_f32_e32 v36, v30, v31
	v_sub_f32_e32 v34, v31, v34
	;; [unrolled: 1-line block ×5, first 2 shown]
	v_add_f32_e32 v28, v28, v30
	v_add_f32_e32 v30, v35, v32
	;; [unrolled: 1-line block ×3, first 2 shown]
	v_sub_f32_e32 v31, v30, v35
	v_add_f32_e32 v28, v36, v28
	v_sub_f32_e32 v31, v32, v31
	v_mul_f32_e32 v28, v29, v28
	v_add_f32_e32 v28, v31, v28
	v_add_f32_e32 v29, v30, v28
	v_mul_f32_e32 v31, v29, v29
	v_fmaak_f32 v32, s16, v31, 0x3ecc95a3
	v_mul_f32_e32 v33, v29, v31
	v_cmp_neq_f32_e64 s16, 0x7f800000, v11
	v_fmaak_f32 v31, v31, v32, 0x3f2aaada
	v_ldexp_f32 v32, v29, 1
	v_sub_f32_e32 v29, v29, v30
	v_mul_f32_e32 v31, v33, v31
	v_mul_f32_e32 v33, 0x3f317218, v27
	v_sub_f32_e32 v28, v28, v29
	v_add_f32_e32 v30, v32, v31
	v_ldexp_f32 v28, v28, 1
	v_sub_f32_e32 v29, v30, v32
	v_fma_f32 v32, 0x3f317218, v27, -v33
	v_sub_f32_e32 v29, v31, v29
	v_fmamk_f32 v27, v27, 0xb102e308, v32
	v_add_f32_e32 v28, v28, v29
	v_add_f32_e32 v29, v33, v27
	;; [unrolled: 1-line block ×3, first 2 shown]
	v_sub_f32_e32 v33, v29, v33
	v_add_f32_e32 v32, v29, v31
	v_sub_f32_e32 v30, v31, v30
	v_sub_f32_e32 v27, v27, v33
	;; [unrolled: 1-line block ×6, first 2 shown]
	v_add_f32_e32 v31, v27, v28
	v_sub_f32_e32 v29, v29, v35
	v_add_f32_e32 v29, v30, v29
	v_sub_f32_e32 v30, v31, v27
	;; [unrolled: 2-line block ×3, first 2 shown]
	v_sub_f32_e32 v28, v28, v30
	v_add_f32_e32 v33, v32, v29
	v_sub_f32_e32 v27, v27, v31
	v_sub_f32_e32 v30, v33, v32
	v_add_f32_e32 v27, v28, v27
	v_sub_f32_e32 v28, v29, v30
	v_add_f32_e32 v27, v27, v28
	v_add_f32_e32 v27, v33, v27
	v_cndmask_b32_e64 v27, 0x7f800000, v27, s16
	v_cmp_gt_f32_e64 s16, 0x33800000, |v11|
	v_cndmask_b32_e64 v11, v27, v11, s16
	v_add_f32_e32 v10, v10, v11
	v_cvt_f16_f32_e32 v27, v10
.LBB424_77:
	s_or_b32 exec_lo, exec_lo, s37
	v_mov_b32_e32 v11, v27
.LBB424_78:
	s_or_b32 exec_lo, exec_lo, s36
	v_add_nc_u32_e32 v10, -1, v9
	v_cmp_gt_i32_e64 s16, 0, v10
	v_cndmask_b32_e64 v9, v10, v9, s16
	v_and_b32_e32 v10, 0xffff, v11
	v_lshlrev_b32_e32 v9, 2, v9
	ds_bpermute_b32 v9, v9, v10
	v_max_f32_e32 v10, v8, v8
	s_waitcnt lgkmcnt(0)
	v_cvt_f32_f16_e32 v11, v9
	v_cmp_u_f16_e64 s16, v9, v9
	v_min_f32_e32 v27, v11, v10
	v_max_f32_e32 v10, v11, v10
	v_cndmask_b32_e64 v27, v27, v11, s16
	v_cndmask_b32_e64 v11, v10, v11, s16
	;; [unrolled: 1-line block ×4, first 2 shown]
	v_cmp_class_f32_e64 s16, v10, 0x1f8
	v_cmp_neq_f32_e64 s15, v10, v8
	s_or_b32 s15, s15, s16
	s_and_saveexec_b32 s16, s15
	s_cbranch_execz .LBB424_80
; %bb.79:
	v_sub_f32_e32 v9, v10, v8
	v_mul_f32_e32 v10, 0x3fb8aa3b, v9
	v_cmp_ngt_f32_e64 s15, 0xc2ce8ed0, v9
	v_fma_f32 v11, 0x3fb8aa3b, v9, -v10
	v_rndne_f32_e32 v27, v10
	v_fmamk_f32 v11, v9, 0x32a5705f, v11
	v_sub_f32_e32 v10, v10, v27
	v_add_f32_e32 v10, v10, v11
	v_cvt_i32_f32_e32 v11, v27
	v_exp_f32_e32 v10, v10
	v_ldexp_f32 v10, v10, v11
	v_cndmask_b32_e64 v10, 0, v10, s15
	v_cmp_nlt_f32_e64 s15, 0x42b17218, v9
	v_cndmask_b32_e64 v11, 0x7f800000, v10, s15
	v_add_f32_e32 v27, 1.0, v11
	v_cvt_f64_f32_e32 v[9:10], v27
	v_frexp_exp_i32_f64_e32 v9, v[9:10]
	v_frexp_mant_f32_e32 v10, v27
	v_cmp_gt_f32_e64 s15, 0x3f2aaaab, v10
	v_add_f32_e32 v10, -1.0, v27
	v_sub_f32_e32 v29, v10, v27
	v_sub_f32_e32 v10, v11, v10
	v_add_f32_e32 v29, 1.0, v29
	v_add_f32_e32 v10, v10, v29
	v_subrev_co_ci_u32_e64 v9, null, 0, v9, s15
	s_mov_b32 s15, 0x3e9b6dac
	v_sub_nc_u32_e32 v28, 0, v9
	v_cvt_f32_i32_e32 v9, v9
	v_ldexp_f32 v27, v27, v28
	v_ldexp_f32 v10, v10, v28
	v_add_f32_e32 v30, 1.0, v27
	v_add_f32_e32 v28, -1.0, v27
	v_add_f32_e32 v29, -1.0, v30
	v_add_f32_e32 v31, 1.0, v28
	v_sub_f32_e32 v29, v27, v29
	v_sub_f32_e32 v27, v27, v31
	v_add_f32_e32 v29, v10, v29
	v_add_f32_e32 v10, v10, v27
	;; [unrolled: 1-line block ×4, first 2 shown]
	v_rcp_f32_e32 v27, v31
	v_sub_f32_e32 v30, v30, v31
	v_sub_f32_e32 v28, v28, v32
	v_add_f32_e32 v29, v29, v30
	v_add_f32_e32 v10, v10, v28
	v_mul_f32_e32 v33, v32, v27
	v_mul_f32_e32 v34, v31, v33
	v_fma_f32 v30, v33, v31, -v34
	v_fmac_f32_e32 v30, v33, v29
	v_add_f32_e32 v35, v34, v30
	v_sub_f32_e32 v36, v32, v35
	v_sub_f32_e32 v28, v35, v34
	;; [unrolled: 1-line block ×5, first 2 shown]
	v_add_f32_e32 v10, v10, v32
	v_add_f32_e32 v10, v28, v10
	;; [unrolled: 1-line block ×3, first 2 shown]
	v_mul_f32_e32 v30, v27, v28
	v_sub_f32_e32 v35, v36, v28
	v_mul_f32_e32 v32, v31, v30
	v_add_f32_e32 v10, v10, v35
	v_fma_f32 v31, v30, v31, -v32
	v_fmac_f32_e32 v31, v30, v29
	v_add_f32_e32 v29, v32, v31
	v_sub_f32_e32 v34, v28, v29
	v_sub_f32_e32 v32, v29, v32
	;; [unrolled: 1-line block ×5, first 2 shown]
	v_add_f32_e32 v10, v10, v28
	v_add_f32_e32 v28, v33, v30
	;; [unrolled: 1-line block ×3, first 2 shown]
	v_sub_f32_e32 v29, v28, v33
	v_add_f32_e32 v10, v34, v10
	v_sub_f32_e32 v29, v30, v29
	v_mul_f32_e32 v10, v27, v10
	v_add_f32_e32 v10, v29, v10
	v_add_f32_e32 v27, v28, v10
	v_mul_f32_e32 v29, v27, v27
	v_fmaak_f32 v30, s15, v29, 0x3ecc95a3
	v_mul_f32_e32 v31, v27, v29
	v_cmp_neq_f32_e64 s15, 0x7f800000, v11
	v_fmaak_f32 v29, v29, v30, 0x3f2aaada
	v_ldexp_f32 v30, v27, 1
	v_sub_f32_e32 v27, v27, v28
	v_mul_f32_e32 v29, v31, v29
	v_mul_f32_e32 v31, 0x3f317218, v9
	v_sub_f32_e32 v10, v10, v27
	v_add_f32_e32 v28, v30, v29
	v_ldexp_f32 v10, v10, 1
	v_sub_f32_e32 v27, v28, v30
	v_fma_f32 v30, 0x3f317218, v9, -v31
	v_sub_f32_e32 v27, v29, v27
	v_fmamk_f32 v9, v9, 0xb102e308, v30
	v_add_f32_e32 v10, v10, v27
	v_add_f32_e32 v27, v31, v9
	;; [unrolled: 1-line block ×3, first 2 shown]
	v_sub_f32_e32 v31, v27, v31
	v_add_f32_e32 v30, v27, v29
	v_sub_f32_e32 v28, v29, v28
	v_sub_f32_e32 v9, v9, v31
	;; [unrolled: 1-line block ×6, first 2 shown]
	v_add_f32_e32 v29, v9, v10
	v_sub_f32_e32 v27, v27, v33
	v_add_f32_e32 v27, v28, v27
	v_sub_f32_e32 v28, v29, v9
	v_add_f32_e32 v27, v29, v27
	v_sub_f32_e32 v29, v29, v28
	v_sub_f32_e32 v10, v10, v28
	v_add_f32_e32 v31, v30, v27
	v_sub_f32_e32 v9, v9, v29
	v_sub_f32_e32 v28, v31, v30
	v_add_f32_e32 v9, v10, v9
	v_sub_f32_e32 v10, v27, v28
	v_add_f32_e32 v9, v9, v10
	v_add_f32_e32 v9, v31, v9
	v_cndmask_b32_e64 v9, 0x7f800000, v9, s15
	v_cmp_gt_f32_e64 s15, 0x33800000, |v11|
	v_cndmask_b32_e64 v9, v9, v11, s15
	v_add_f32_e32 v8, v8, v9
	v_cvt_f16_f32_e32 v9, v8
.LBB424_80:
	s_or_b32 exec_lo, exec_lo, s16
	v_cndmask_b32_e64 v9, v9, v26, s2
	; wave barrier
	ds_write_b16 v7, v9
	; wave barrier
	ds_read_u16 v8, v7 offset:2
	v_cvt_f32_f16_e32 v10, v9
	v_cmp_u_f16_e64 s15, v9, v9
	s_waitcnt lgkmcnt(0)
	v_cvt_f32_f16_e32 v11, v8
	v_min_f32_e32 v27, v10, v11
	v_max_f32_e32 v28, v10, v11
	v_cndmask_b32_e64 v27, v27, v10, s15
	v_cndmask_b32_e64 v28, v28, v10, s15
	v_cmp_u_f16_e64 s15, v8, v8
	v_cndmask_b32_e64 v10, v27, v11, s15
	v_cndmask_b32_e64 v8, v28, v11, s15
	v_cmp_class_f32_e64 s16, v10, 0x1f8
	v_cmp_neq_f32_e64 s15, v10, v8
	s_or_b32 s15, s15, s16
	s_and_saveexec_b32 s16, s15
	s_cbranch_execz .LBB424_82
; %bb.81:
	v_sub_f32_e32 v9, v10, v8
	v_mul_f32_e32 v10, 0x3fb8aa3b, v9
	v_cmp_ngt_f32_e64 s15, 0xc2ce8ed0, v9
	v_fma_f32 v11, 0x3fb8aa3b, v9, -v10
	v_rndne_f32_e32 v27, v10
	v_fmamk_f32 v11, v9, 0x32a5705f, v11
	v_sub_f32_e32 v10, v10, v27
	v_add_f32_e32 v10, v10, v11
	v_cvt_i32_f32_e32 v11, v27
	v_exp_f32_e32 v10, v10
	v_ldexp_f32 v10, v10, v11
	v_cndmask_b32_e64 v10, 0, v10, s15
	v_cmp_nlt_f32_e64 s15, 0x42b17218, v9
	v_cndmask_b32_e64 v11, 0x7f800000, v10, s15
	v_add_f32_e32 v27, 1.0, v11
	v_cvt_f64_f32_e32 v[9:10], v27
	v_frexp_exp_i32_f64_e32 v9, v[9:10]
	v_frexp_mant_f32_e32 v10, v27
	v_cmp_gt_f32_e64 s15, 0x3f2aaaab, v10
	v_add_f32_e32 v10, -1.0, v27
	v_sub_f32_e32 v29, v10, v27
	v_sub_f32_e32 v10, v11, v10
	v_add_f32_e32 v29, 1.0, v29
	v_add_f32_e32 v10, v10, v29
	v_subrev_co_ci_u32_e64 v9, null, 0, v9, s15
	s_mov_b32 s15, 0x3e9b6dac
	v_sub_nc_u32_e32 v28, 0, v9
	v_cvt_f32_i32_e32 v9, v9
	v_ldexp_f32 v27, v27, v28
	v_ldexp_f32 v10, v10, v28
	v_add_f32_e32 v30, 1.0, v27
	v_add_f32_e32 v28, -1.0, v27
	v_add_f32_e32 v29, -1.0, v30
	v_add_f32_e32 v31, 1.0, v28
	v_sub_f32_e32 v29, v27, v29
	v_sub_f32_e32 v27, v27, v31
	v_add_f32_e32 v29, v10, v29
	v_add_f32_e32 v10, v10, v27
	;; [unrolled: 1-line block ×4, first 2 shown]
	v_rcp_f32_e32 v27, v31
	v_sub_f32_e32 v30, v30, v31
	v_sub_f32_e32 v28, v28, v32
	v_add_f32_e32 v29, v29, v30
	v_add_f32_e32 v10, v10, v28
	v_mul_f32_e32 v33, v32, v27
	v_mul_f32_e32 v34, v31, v33
	v_fma_f32 v30, v33, v31, -v34
	v_fmac_f32_e32 v30, v33, v29
	v_add_f32_e32 v35, v34, v30
	v_sub_f32_e32 v36, v32, v35
	v_sub_f32_e32 v28, v35, v34
	;; [unrolled: 1-line block ×5, first 2 shown]
	v_add_f32_e32 v10, v10, v32
	v_add_f32_e32 v10, v28, v10
	;; [unrolled: 1-line block ×3, first 2 shown]
	v_mul_f32_e32 v30, v27, v28
	v_sub_f32_e32 v35, v36, v28
	v_mul_f32_e32 v32, v31, v30
	v_add_f32_e32 v10, v10, v35
	v_fma_f32 v31, v30, v31, -v32
	v_fmac_f32_e32 v31, v30, v29
	v_add_f32_e32 v29, v32, v31
	v_sub_f32_e32 v34, v28, v29
	v_sub_f32_e32 v32, v29, v32
	;; [unrolled: 1-line block ×5, first 2 shown]
	v_add_f32_e32 v10, v10, v28
	v_add_f32_e32 v28, v33, v30
	;; [unrolled: 1-line block ×3, first 2 shown]
	v_sub_f32_e32 v29, v28, v33
	v_add_f32_e32 v10, v34, v10
	v_sub_f32_e32 v29, v30, v29
	v_mul_f32_e32 v10, v27, v10
	v_add_f32_e32 v10, v29, v10
	v_add_f32_e32 v27, v28, v10
	v_mul_f32_e32 v29, v27, v27
	v_fmaak_f32 v30, s15, v29, 0x3ecc95a3
	v_mul_f32_e32 v31, v27, v29
	v_cmp_neq_f32_e64 s15, 0x7f800000, v11
	v_fmaak_f32 v29, v29, v30, 0x3f2aaada
	v_ldexp_f32 v30, v27, 1
	v_sub_f32_e32 v27, v27, v28
	v_mul_f32_e32 v29, v31, v29
	v_mul_f32_e32 v31, 0x3f317218, v9
	v_sub_f32_e32 v10, v10, v27
	v_add_f32_e32 v28, v30, v29
	v_ldexp_f32 v10, v10, 1
	v_sub_f32_e32 v27, v28, v30
	v_fma_f32 v30, 0x3f317218, v9, -v31
	v_sub_f32_e32 v27, v29, v27
	v_fmamk_f32 v9, v9, 0xb102e308, v30
	v_add_f32_e32 v10, v10, v27
	v_add_f32_e32 v27, v31, v9
	;; [unrolled: 1-line block ×3, first 2 shown]
	v_sub_f32_e32 v31, v27, v31
	v_add_f32_e32 v30, v27, v29
	v_sub_f32_e32 v28, v29, v28
	v_sub_f32_e32 v9, v9, v31
	;; [unrolled: 1-line block ×6, first 2 shown]
	v_add_f32_e32 v29, v9, v10
	v_sub_f32_e32 v27, v27, v33
	v_add_f32_e32 v27, v28, v27
	v_sub_f32_e32 v28, v29, v9
	;; [unrolled: 2-line block ×3, first 2 shown]
	v_sub_f32_e32 v10, v10, v28
	v_add_f32_e32 v31, v30, v27
	v_sub_f32_e32 v9, v9, v29
	v_sub_f32_e32 v28, v31, v30
	v_add_f32_e32 v9, v10, v9
	v_sub_f32_e32 v10, v27, v28
	v_add_f32_e32 v9, v9, v10
	v_add_f32_e32 v9, v31, v9
	v_cndmask_b32_e64 v9, 0x7f800000, v9, s15
	v_cmp_gt_f32_e64 s15, 0x33800000, |v11|
	v_cndmask_b32_e64 v9, v9, v11, s15
	v_add_f32_e32 v8, v8, v9
	v_cvt_f16_f32_e32 v9, v8
.LBB424_82:
	s_or_b32 exec_lo, exec_lo, s16
	ds_write_b16 v7, v9 offset:2
.LBB424_83:
	s_or_b32 exec_lo, exec_lo, s17
	s_waitcnt lgkmcnt(0)
	s_barrier
	buffer_gl0_inv
	s_and_saveexec_b32 s15, s1
	s_cbranch_execz .LBB424_85
; %bb.84:
	v_add_nc_u32_e32 v7, -1, v0
	v_lshrrev_b32_e32 v8, 4, v7
	v_and_b32_e32 v8, 0xffffffe, v8
	v_lshl_add_u32 v7, v7, 1, v8
	ds_read_u16 v26, v7
.LBB424_85:
	s_or_b32 exec_lo, exec_lo, s15
	s_and_saveexec_b32 s36, vcc_lo
	s_cbranch_execz .LBB424_149
; %bb.86:
	v_mov_b32_e32 v9, 0
	v_mbcnt_lo_u32_b32 v28, -1, 0
	s_mov_b32 s17, 0
	ds_read_u16 v27, v9 offset:128
	v_cmp_eq_u32_e64 s15, 0, v28
	s_and_saveexec_b32 s37, s15
	s_cbranch_execz .LBB424_88
; %bb.87:
	s_add_i32 s16, s35, 32
	s_waitcnt lgkmcnt(0)
	v_or_b32_e32 v7, 0x10000, v27
	s_lshl_b64 s[16:17], s[16:17], 2
	s_add_u32 s16, s18, s16
	s_addc_u32 s17, s19, s17
	global_store_dword v9, v7, s[16:17]
.LBB424_88:
	s_or_b32 exec_lo, exec_lo, s37
	v_xad_u32 v7, v28, -1, s35
	v_add_nc_u32_e32 v8, 32, v7
	v_lshlrev_b64 v[10:11], 2, v[8:9]
	v_add_co_u32 v10, vcc_lo, s18, v10
	v_add_co_ci_u32_e64 v11, null, s19, v11, vcc_lo
	global_load_dword v41, v[10:11], off glc dlc
	s_waitcnt vmcnt(0)
	v_lshrrev_b32_e32 v29, 16, v41
	v_cmp_eq_u16_sdwa s17, v29, v9 src0_sel:BYTE_0 src1_sel:DWORD
	s_and_saveexec_b32 s16, s17
	s_cbranch_execz .LBB424_92
; %bb.89:
	v_mov_b32_e32 v8, 0
	s_mov_b32 s17, 0
.LBB424_90:                             ; =>This Inner Loop Header: Depth=1
	global_load_dword v41, v[10:11], off glc dlc
	s_waitcnt vmcnt(0)
	v_lshrrev_b32_e32 v29, 16, v41
	v_cmp_ne_u16_sdwa s37, v29, v8 src0_sel:BYTE_0 src1_sel:DWORD
	s_or_b32 s17, s37, s17
	s_andn2_b32 exec_lo, exec_lo, s17
	s_cbranch_execnz .LBB424_90
; %bb.91:
	s_or_b32 exec_lo, exec_lo, s17
.LBB424_92:
	s_or_b32 exec_lo, exec_lo, s16
	v_cmp_ne_u32_e32 vcc_lo, 31, v28
	v_mov_b32_e32 v10, 2
	v_and_b32_e32 v9, 0xffff, v41
	v_lshlrev_b32_e64 v30, v28, -1
	v_add_co_ci_u32_e64 v8, null, 0, v28, vcc_lo
	v_cmp_eq_u16_sdwa s16, v29, v10 src0_sel:BYTE_0 src1_sel:DWORD
	v_lshlrev_b32_e32 v11, 2, v8
	v_and_or_b32 v8, s16, v30, 0x80000000
	s_mov_b32 s16, exec_lo
	ds_bpermute_b32 v10, v11, v9
	v_ffbl_b32_e32 v8, v8
	v_cmpx_lt_u32_e64 v28, v8
	s_cbranch_execz .LBB424_96
; %bb.93:
	s_waitcnt lgkmcnt(0)
	v_cvt_f32_f16_e32 v9, v10
	v_cvt_f32_f16_e32 v32, v41
	v_cmp_u_f16_e32 vcc_lo, v10, v10
	v_min_f32_e32 v31, v9, v32
	v_max_f32_e32 v33, v9, v32
	v_cndmask_b32_e32 v31, v31, v9, vcc_lo
	v_cndmask_b32_e32 v9, v33, v9, vcc_lo
	v_cmp_u_f16_e32 vcc_lo, v41, v41
	v_cndmask_b32_e32 v31, v31, v32, vcc_lo
	v_cndmask_b32_e32 v9, v9, v32, vcc_lo
	v_cmp_class_f32_e64 s17, v31, 0x1f8
	v_cmp_neq_f32_e32 vcc_lo, v31, v9
	s_or_b32 s37, vcc_lo, s17
	s_and_saveexec_b32 s17, s37
	s_cbranch_execz .LBB424_95
; %bb.94:
	v_sub_f32_e32 v10, v31, v9
	s_mov_b32 s37, 0x3e9b6dac
	v_mul_f32_e32 v31, 0x3fb8aa3b, v10
	v_cmp_ngt_f32_e32 vcc_lo, 0xc2ce8ed0, v10
	v_fma_f32 v32, 0x3fb8aa3b, v10, -v31
	v_rndne_f32_e32 v33, v31
	v_fmamk_f32 v32, v10, 0x32a5705f, v32
	v_sub_f32_e32 v31, v31, v33
	v_add_f32_e32 v31, v31, v32
	v_cvt_i32_f32_e32 v32, v33
	v_exp_f32_e32 v31, v31
	v_ldexp_f32 v31, v31, v32
	v_cndmask_b32_e32 v31, 0, v31, vcc_lo
	v_cmp_nlt_f32_e32 vcc_lo, 0x42b17218, v10
	v_cndmask_b32_e32 v10, 0x7f800000, v31, vcc_lo
	v_add_f32_e32 v33, 1.0, v10
	v_cvt_f64_f32_e32 v[31:32], v33
	v_frexp_exp_i32_f64_e32 v31, v[31:32]
	v_frexp_mant_f32_e32 v32, v33
	v_cmp_gt_f32_e32 vcc_lo, 0x3f2aaaab, v32
	v_add_f32_e32 v32, -1.0, v33
	v_sub_f32_e32 v35, v32, v33
	v_sub_f32_e32 v32, v10, v32
	v_add_f32_e32 v35, 1.0, v35
	v_add_f32_e32 v32, v32, v35
	v_subrev_co_ci_u32_e64 v31, null, 0, v31, vcc_lo
	v_cmp_neq_f32_e32 vcc_lo, 0x7f800000, v10
	v_sub_nc_u32_e32 v34, 0, v31
	v_cvt_f32_i32_e32 v31, v31
	v_ldexp_f32 v33, v33, v34
	v_ldexp_f32 v32, v32, v34
	v_add_f32_e32 v36, 1.0, v33
	v_add_f32_e32 v34, -1.0, v33
	v_add_f32_e32 v35, -1.0, v36
	v_add_f32_e32 v37, 1.0, v34
	v_sub_f32_e32 v35, v33, v35
	v_sub_f32_e32 v33, v33, v37
	v_add_f32_e32 v35, v32, v35
	v_add_f32_e32 v32, v32, v33
	;; [unrolled: 1-line block ×4, first 2 shown]
	v_rcp_f32_e32 v33, v37
	v_sub_f32_e32 v36, v36, v37
	v_sub_f32_e32 v34, v34, v38
	v_add_f32_e32 v35, v35, v36
	v_add_f32_e32 v32, v32, v34
	v_mul_f32_e32 v39, v38, v33
	v_mul_f32_e32 v40, v37, v39
	v_fma_f32 v36, v39, v37, -v40
	v_fmac_f32_e32 v36, v39, v35
	v_add_f32_e32 v41, v40, v36
	v_sub_f32_e32 v42, v38, v41
	v_sub_f32_e32 v34, v41, v40
	;; [unrolled: 1-line block ×5, first 2 shown]
	v_add_f32_e32 v32, v32, v38
	v_add_f32_e32 v32, v34, v32
	;; [unrolled: 1-line block ×3, first 2 shown]
	v_mul_f32_e32 v36, v33, v34
	v_sub_f32_e32 v41, v42, v34
	v_mul_f32_e32 v38, v37, v36
	v_add_f32_e32 v32, v32, v41
	v_fma_f32 v37, v36, v37, -v38
	v_fmac_f32_e32 v37, v36, v35
	v_add_f32_e32 v35, v38, v37
	v_sub_f32_e32 v40, v34, v35
	v_sub_f32_e32 v38, v35, v38
	;; [unrolled: 1-line block ×5, first 2 shown]
	v_add_f32_e32 v32, v32, v34
	v_add_f32_e32 v34, v39, v36
	;; [unrolled: 1-line block ×3, first 2 shown]
	v_sub_f32_e32 v35, v34, v39
	v_add_f32_e32 v32, v40, v32
	v_sub_f32_e32 v35, v36, v35
	v_mul_f32_e32 v32, v33, v32
	v_add_f32_e32 v32, v35, v32
	v_add_f32_e32 v33, v34, v32
	v_mul_f32_e32 v35, v33, v33
	v_fmaak_f32 v36, s37, v35, 0x3ecc95a3
	v_mul_f32_e32 v37, v33, v35
	v_fmaak_f32 v35, v35, v36, 0x3f2aaada
	v_ldexp_f32 v36, v33, 1
	v_sub_f32_e32 v33, v33, v34
	v_mul_f32_e32 v35, v37, v35
	v_mul_f32_e32 v37, 0x3f317218, v31
	v_sub_f32_e32 v32, v32, v33
	v_add_f32_e32 v34, v36, v35
	v_ldexp_f32 v32, v32, 1
	v_sub_f32_e32 v33, v34, v36
	v_fma_f32 v36, 0x3f317218, v31, -v37
	v_sub_f32_e32 v33, v35, v33
	v_fmamk_f32 v31, v31, 0xb102e308, v36
	v_add_f32_e32 v32, v32, v33
	v_add_f32_e32 v33, v37, v31
	;; [unrolled: 1-line block ×3, first 2 shown]
	v_sub_f32_e32 v37, v33, v37
	v_add_f32_e32 v36, v33, v35
	v_sub_f32_e32 v34, v35, v34
	v_sub_f32_e32 v31, v31, v37
	;; [unrolled: 1-line block ×6, first 2 shown]
	v_add_f32_e32 v35, v31, v32
	v_sub_f32_e32 v33, v33, v39
	v_add_f32_e32 v33, v34, v33
	v_sub_f32_e32 v34, v35, v31
	;; [unrolled: 2-line block ×3, first 2 shown]
	v_sub_f32_e32 v32, v32, v34
	v_add_f32_e32 v37, v36, v33
	v_sub_f32_e32 v31, v31, v35
	v_sub_f32_e32 v34, v37, v36
	v_add_f32_e32 v31, v32, v31
	v_sub_f32_e32 v32, v33, v34
	v_add_f32_e32 v31, v31, v32
	v_add_f32_e32 v31, v37, v31
	v_cndmask_b32_e32 v31, 0x7f800000, v31, vcc_lo
	v_cmp_gt_f32_e64 vcc_lo, 0x33800000, |v10|
	v_cndmask_b32_e32 v10, v31, v10, vcc_lo
	v_add_f32_e32 v9, v9, v10
	v_cvt_f16_f32_e32 v10, v9
.LBB424_95:
	s_or_b32 exec_lo, exec_lo, s17
	v_and_b32_e32 v9, 0xffff, v10
	v_mov_b32_e32 v41, v10
.LBB424_96:
	s_or_b32 exec_lo, exec_lo, s16
	v_cmp_gt_u32_e32 vcc_lo, 30, v28
	v_add_nc_u32_e32 v32, 2, v28
	s_mov_b32 s16, exec_lo
	s_waitcnt lgkmcnt(0)
	v_cndmask_b32_e64 v10, 0, 2, vcc_lo
	v_add_lshl_u32 v31, v10, v28, 2
	ds_bpermute_b32 v10, v31, v9
	v_cmpx_le_u32_e64 v32, v8
	s_cbranch_execz .LBB424_100
; %bb.97:
	s_waitcnt lgkmcnt(0)
	v_cvt_f32_f16_e32 v9, v10
	v_cvt_f32_f16_e32 v34, v41
	v_cmp_u_f16_e32 vcc_lo, v10, v10
	v_min_f32_e32 v33, v9, v34
	v_max_f32_e32 v35, v9, v34
	v_cndmask_b32_e32 v33, v33, v9, vcc_lo
	v_cndmask_b32_e32 v9, v35, v9, vcc_lo
	v_cmp_u_f16_e32 vcc_lo, v41, v41
	v_cndmask_b32_e32 v33, v33, v34, vcc_lo
	v_cndmask_b32_e32 v9, v9, v34, vcc_lo
	v_cmp_class_f32_e64 s17, v33, 0x1f8
	v_cmp_neq_f32_e32 vcc_lo, v33, v9
	s_or_b32 s37, vcc_lo, s17
	s_and_saveexec_b32 s17, s37
	s_cbranch_execz .LBB424_99
; %bb.98:
	v_sub_f32_e32 v10, v33, v9
	s_mov_b32 s37, 0x3e9b6dac
	v_mul_f32_e32 v33, 0x3fb8aa3b, v10
	v_cmp_ngt_f32_e32 vcc_lo, 0xc2ce8ed0, v10
	v_fma_f32 v34, 0x3fb8aa3b, v10, -v33
	v_rndne_f32_e32 v35, v33
	v_fmamk_f32 v34, v10, 0x32a5705f, v34
	v_sub_f32_e32 v33, v33, v35
	v_add_f32_e32 v33, v33, v34
	v_cvt_i32_f32_e32 v34, v35
	v_exp_f32_e32 v33, v33
	v_ldexp_f32 v33, v33, v34
	v_cndmask_b32_e32 v33, 0, v33, vcc_lo
	v_cmp_nlt_f32_e32 vcc_lo, 0x42b17218, v10
	v_cndmask_b32_e32 v10, 0x7f800000, v33, vcc_lo
	v_add_f32_e32 v35, 1.0, v10
	v_cvt_f64_f32_e32 v[33:34], v35
	v_frexp_exp_i32_f64_e32 v33, v[33:34]
	v_frexp_mant_f32_e32 v34, v35
	v_cmp_gt_f32_e32 vcc_lo, 0x3f2aaaab, v34
	v_add_f32_e32 v34, -1.0, v35
	v_sub_f32_e32 v37, v34, v35
	v_sub_f32_e32 v34, v10, v34
	v_add_f32_e32 v37, 1.0, v37
	v_add_f32_e32 v34, v34, v37
	v_subrev_co_ci_u32_e64 v33, null, 0, v33, vcc_lo
	v_cmp_neq_f32_e32 vcc_lo, 0x7f800000, v10
	v_sub_nc_u32_e32 v36, 0, v33
	v_cvt_f32_i32_e32 v33, v33
	v_ldexp_f32 v35, v35, v36
	v_ldexp_f32 v34, v34, v36
	v_add_f32_e32 v38, 1.0, v35
	v_add_f32_e32 v36, -1.0, v35
	v_add_f32_e32 v37, -1.0, v38
	v_add_f32_e32 v39, 1.0, v36
	v_sub_f32_e32 v37, v35, v37
	v_sub_f32_e32 v35, v35, v39
	v_add_f32_e32 v37, v34, v37
	v_add_f32_e32 v34, v34, v35
	;; [unrolled: 1-line block ×4, first 2 shown]
	v_rcp_f32_e32 v35, v39
	v_sub_f32_e32 v38, v38, v39
	v_sub_f32_e32 v36, v36, v40
	v_add_f32_e32 v37, v37, v38
	v_add_f32_e32 v34, v34, v36
	v_mul_f32_e32 v41, v40, v35
	v_mul_f32_e32 v42, v39, v41
	v_fma_f32 v38, v41, v39, -v42
	v_fmac_f32_e32 v38, v41, v37
	v_add_f32_e32 v43, v42, v38
	v_sub_f32_e32 v44, v40, v43
	v_sub_f32_e32 v36, v43, v42
	;; [unrolled: 1-line block ×5, first 2 shown]
	v_add_f32_e32 v34, v34, v40
	v_add_f32_e32 v34, v36, v34
	v_add_f32_e32 v36, v44, v34
	v_mul_f32_e32 v38, v35, v36
	v_sub_f32_e32 v43, v44, v36
	v_mul_f32_e32 v40, v39, v38
	v_add_f32_e32 v34, v34, v43
	v_fma_f32 v39, v38, v39, -v40
	v_fmac_f32_e32 v39, v38, v37
	v_add_f32_e32 v37, v40, v39
	v_sub_f32_e32 v42, v36, v37
	v_sub_f32_e32 v40, v37, v40
	;; [unrolled: 1-line block ×5, first 2 shown]
	v_add_f32_e32 v34, v34, v36
	v_add_f32_e32 v36, v41, v38
	v_add_f32_e32 v34, v37, v34
	v_sub_f32_e32 v37, v36, v41
	v_add_f32_e32 v34, v42, v34
	v_sub_f32_e32 v37, v38, v37
	v_mul_f32_e32 v34, v35, v34
	v_add_f32_e32 v34, v37, v34
	v_add_f32_e32 v35, v36, v34
	v_mul_f32_e32 v37, v35, v35
	v_fmaak_f32 v38, s37, v37, 0x3ecc95a3
	v_mul_f32_e32 v39, v35, v37
	v_fmaak_f32 v37, v37, v38, 0x3f2aaada
	v_ldexp_f32 v38, v35, 1
	v_sub_f32_e32 v35, v35, v36
	v_mul_f32_e32 v37, v39, v37
	v_mul_f32_e32 v39, 0x3f317218, v33
	v_sub_f32_e32 v34, v34, v35
	v_add_f32_e32 v36, v38, v37
	v_ldexp_f32 v34, v34, 1
	v_sub_f32_e32 v35, v36, v38
	v_fma_f32 v38, 0x3f317218, v33, -v39
	v_sub_f32_e32 v35, v37, v35
	v_fmamk_f32 v33, v33, 0xb102e308, v38
	v_add_f32_e32 v34, v34, v35
	v_add_f32_e32 v35, v39, v33
	;; [unrolled: 1-line block ×3, first 2 shown]
	v_sub_f32_e32 v39, v35, v39
	v_add_f32_e32 v38, v35, v37
	v_sub_f32_e32 v36, v37, v36
	v_sub_f32_e32 v33, v33, v39
	v_sub_f32_e32 v40, v38, v35
	v_sub_f32_e32 v34, v34, v36
	v_sub_f32_e32 v41, v38, v40
	v_sub_f32_e32 v36, v37, v40
	v_add_f32_e32 v37, v33, v34
	v_sub_f32_e32 v35, v35, v41
	v_add_f32_e32 v35, v36, v35
	v_sub_f32_e32 v36, v37, v33
	;; [unrolled: 2-line block ×3, first 2 shown]
	v_sub_f32_e32 v34, v34, v36
	v_add_f32_e32 v39, v38, v35
	v_sub_f32_e32 v33, v33, v37
	v_sub_f32_e32 v36, v39, v38
	v_add_f32_e32 v33, v34, v33
	v_sub_f32_e32 v34, v35, v36
	v_add_f32_e32 v33, v33, v34
	v_add_f32_e32 v33, v39, v33
	v_cndmask_b32_e32 v33, 0x7f800000, v33, vcc_lo
	v_cmp_gt_f32_e64 vcc_lo, 0x33800000, |v10|
	v_cndmask_b32_e32 v10, v33, v10, vcc_lo
	v_add_f32_e32 v9, v9, v10
	v_cvt_f16_f32_e32 v10, v9
.LBB424_99:
	s_or_b32 exec_lo, exec_lo, s17
	v_and_b32_e32 v9, 0xffff, v10
	v_mov_b32_e32 v41, v10
.LBB424_100:
	s_or_b32 exec_lo, exec_lo, s16
	v_cmp_gt_u32_e32 vcc_lo, 28, v28
	v_add_nc_u32_e32 v34, 4, v28
	s_mov_b32 s16, exec_lo
	s_waitcnt lgkmcnt(0)
	v_cndmask_b32_e64 v10, 0, 4, vcc_lo
	v_add_lshl_u32 v33, v10, v28, 2
	ds_bpermute_b32 v10, v33, v9
	v_cmpx_le_u32_e64 v34, v8
	s_cbranch_execz .LBB424_104
; %bb.101:
	s_waitcnt lgkmcnt(0)
	v_cvt_f32_f16_e32 v9, v10
	v_cvt_f32_f16_e32 v36, v41
	v_cmp_u_f16_e32 vcc_lo, v10, v10
	v_min_f32_e32 v35, v9, v36
	v_max_f32_e32 v37, v9, v36
	v_cndmask_b32_e32 v35, v35, v9, vcc_lo
	v_cndmask_b32_e32 v9, v37, v9, vcc_lo
	v_cmp_u_f16_e32 vcc_lo, v41, v41
	v_cndmask_b32_e32 v35, v35, v36, vcc_lo
	v_cndmask_b32_e32 v9, v9, v36, vcc_lo
	v_cmp_class_f32_e64 s17, v35, 0x1f8
	v_cmp_neq_f32_e32 vcc_lo, v35, v9
	s_or_b32 s37, vcc_lo, s17
	s_and_saveexec_b32 s17, s37
	s_cbranch_execz .LBB424_103
; %bb.102:
	v_sub_f32_e32 v10, v35, v9
	s_mov_b32 s37, 0x3e9b6dac
	v_mul_f32_e32 v35, 0x3fb8aa3b, v10
	v_cmp_ngt_f32_e32 vcc_lo, 0xc2ce8ed0, v10
	v_fma_f32 v36, 0x3fb8aa3b, v10, -v35
	v_rndne_f32_e32 v37, v35
	v_fmamk_f32 v36, v10, 0x32a5705f, v36
	v_sub_f32_e32 v35, v35, v37
	v_add_f32_e32 v35, v35, v36
	v_cvt_i32_f32_e32 v36, v37
	v_exp_f32_e32 v35, v35
	v_ldexp_f32 v35, v35, v36
	v_cndmask_b32_e32 v35, 0, v35, vcc_lo
	v_cmp_nlt_f32_e32 vcc_lo, 0x42b17218, v10
	v_cndmask_b32_e32 v10, 0x7f800000, v35, vcc_lo
	v_add_f32_e32 v37, 1.0, v10
	v_cvt_f64_f32_e32 v[35:36], v37
	v_frexp_exp_i32_f64_e32 v35, v[35:36]
	v_frexp_mant_f32_e32 v36, v37
	v_cmp_gt_f32_e32 vcc_lo, 0x3f2aaaab, v36
	v_add_f32_e32 v36, -1.0, v37
	v_sub_f32_e32 v39, v36, v37
	v_sub_f32_e32 v36, v10, v36
	v_add_f32_e32 v39, 1.0, v39
	v_add_f32_e32 v36, v36, v39
	v_subrev_co_ci_u32_e64 v35, null, 0, v35, vcc_lo
	v_cmp_neq_f32_e32 vcc_lo, 0x7f800000, v10
	v_sub_nc_u32_e32 v38, 0, v35
	v_cvt_f32_i32_e32 v35, v35
	v_ldexp_f32 v37, v37, v38
	v_ldexp_f32 v36, v36, v38
	v_add_f32_e32 v40, 1.0, v37
	v_add_f32_e32 v38, -1.0, v37
	v_add_f32_e32 v39, -1.0, v40
	v_add_f32_e32 v41, 1.0, v38
	v_sub_f32_e32 v39, v37, v39
	v_sub_f32_e32 v37, v37, v41
	v_add_f32_e32 v39, v36, v39
	v_add_f32_e32 v36, v36, v37
	;; [unrolled: 1-line block ×4, first 2 shown]
	v_rcp_f32_e32 v37, v41
	v_sub_f32_e32 v40, v40, v41
	v_sub_f32_e32 v38, v38, v42
	v_add_f32_e32 v39, v39, v40
	v_add_f32_e32 v36, v36, v38
	v_mul_f32_e32 v43, v42, v37
	v_mul_f32_e32 v44, v41, v43
	v_fma_f32 v40, v43, v41, -v44
	v_fmac_f32_e32 v40, v43, v39
	v_add_f32_e32 v45, v44, v40
	v_sub_f32_e32 v46, v42, v45
	v_sub_f32_e32 v38, v45, v44
	;; [unrolled: 1-line block ×5, first 2 shown]
	v_add_f32_e32 v36, v36, v42
	v_add_f32_e32 v36, v38, v36
	;; [unrolled: 1-line block ×3, first 2 shown]
	v_mul_f32_e32 v40, v37, v38
	v_sub_f32_e32 v45, v46, v38
	v_mul_f32_e32 v42, v41, v40
	v_add_f32_e32 v36, v36, v45
	v_fma_f32 v41, v40, v41, -v42
	v_fmac_f32_e32 v41, v40, v39
	v_add_f32_e32 v39, v42, v41
	v_sub_f32_e32 v44, v38, v39
	v_sub_f32_e32 v42, v39, v42
	;; [unrolled: 1-line block ×5, first 2 shown]
	v_add_f32_e32 v36, v36, v38
	v_add_f32_e32 v38, v43, v40
	;; [unrolled: 1-line block ×3, first 2 shown]
	v_sub_f32_e32 v39, v38, v43
	v_add_f32_e32 v36, v44, v36
	v_sub_f32_e32 v39, v40, v39
	v_mul_f32_e32 v36, v37, v36
	v_add_f32_e32 v36, v39, v36
	v_add_f32_e32 v37, v38, v36
	v_mul_f32_e32 v39, v37, v37
	v_fmaak_f32 v40, s37, v39, 0x3ecc95a3
	v_mul_f32_e32 v41, v37, v39
	v_fmaak_f32 v39, v39, v40, 0x3f2aaada
	v_ldexp_f32 v40, v37, 1
	v_sub_f32_e32 v37, v37, v38
	v_mul_f32_e32 v39, v41, v39
	v_mul_f32_e32 v41, 0x3f317218, v35
	v_sub_f32_e32 v36, v36, v37
	v_add_f32_e32 v38, v40, v39
	v_ldexp_f32 v36, v36, 1
	v_sub_f32_e32 v37, v38, v40
	v_fma_f32 v40, 0x3f317218, v35, -v41
	v_sub_f32_e32 v37, v39, v37
	v_fmamk_f32 v35, v35, 0xb102e308, v40
	v_add_f32_e32 v36, v36, v37
	v_add_f32_e32 v37, v41, v35
	;; [unrolled: 1-line block ×3, first 2 shown]
	v_sub_f32_e32 v41, v37, v41
	v_add_f32_e32 v40, v37, v39
	v_sub_f32_e32 v38, v39, v38
	v_sub_f32_e32 v35, v35, v41
	;; [unrolled: 1-line block ×6, first 2 shown]
	v_add_f32_e32 v39, v35, v36
	v_sub_f32_e32 v37, v37, v43
	v_add_f32_e32 v37, v38, v37
	v_sub_f32_e32 v38, v39, v35
	;; [unrolled: 2-line block ×3, first 2 shown]
	v_sub_f32_e32 v36, v36, v38
	v_add_f32_e32 v41, v40, v37
	v_sub_f32_e32 v35, v35, v39
	v_sub_f32_e32 v38, v41, v40
	v_add_f32_e32 v35, v36, v35
	v_sub_f32_e32 v36, v37, v38
	v_add_f32_e32 v35, v35, v36
	v_add_f32_e32 v35, v41, v35
	v_cndmask_b32_e32 v35, 0x7f800000, v35, vcc_lo
	v_cmp_gt_f32_e64 vcc_lo, 0x33800000, |v10|
	v_cndmask_b32_e32 v10, v35, v10, vcc_lo
	v_add_f32_e32 v9, v9, v10
	v_cvt_f16_f32_e32 v10, v9
.LBB424_103:
	s_or_b32 exec_lo, exec_lo, s17
	v_and_b32_e32 v9, 0xffff, v10
	v_mov_b32_e32 v41, v10
.LBB424_104:
	s_or_b32 exec_lo, exec_lo, s16
	v_cmp_gt_u32_e32 vcc_lo, 24, v28
	v_add_nc_u32_e32 v36, 8, v28
	s_mov_b32 s16, exec_lo
	s_waitcnt lgkmcnt(0)
	v_cndmask_b32_e64 v10, 0, 8, vcc_lo
	v_add_lshl_u32 v35, v10, v28, 2
	ds_bpermute_b32 v10, v35, v9
	v_cmpx_le_u32_e64 v36, v8
	s_cbranch_execz .LBB424_108
; %bb.105:
	s_waitcnt lgkmcnt(0)
	v_cvt_f32_f16_e32 v9, v10
	v_cvt_f32_f16_e32 v38, v41
	v_cmp_u_f16_e32 vcc_lo, v10, v10
	v_min_f32_e32 v37, v9, v38
	v_max_f32_e32 v39, v9, v38
	v_cndmask_b32_e32 v37, v37, v9, vcc_lo
	v_cndmask_b32_e32 v9, v39, v9, vcc_lo
	v_cmp_u_f16_e32 vcc_lo, v41, v41
	v_cndmask_b32_e32 v37, v37, v38, vcc_lo
	v_cndmask_b32_e32 v9, v9, v38, vcc_lo
	v_cmp_class_f32_e64 s17, v37, 0x1f8
	v_cmp_neq_f32_e32 vcc_lo, v37, v9
	s_or_b32 s37, vcc_lo, s17
	s_and_saveexec_b32 s17, s37
	s_cbranch_execz .LBB424_107
; %bb.106:
	v_sub_f32_e32 v10, v37, v9
	s_mov_b32 s37, 0x3e9b6dac
	v_mul_f32_e32 v37, 0x3fb8aa3b, v10
	v_cmp_ngt_f32_e32 vcc_lo, 0xc2ce8ed0, v10
	v_fma_f32 v38, 0x3fb8aa3b, v10, -v37
	v_rndne_f32_e32 v39, v37
	v_fmamk_f32 v38, v10, 0x32a5705f, v38
	v_sub_f32_e32 v37, v37, v39
	v_add_f32_e32 v37, v37, v38
	v_cvt_i32_f32_e32 v38, v39
	v_exp_f32_e32 v37, v37
	v_ldexp_f32 v37, v37, v38
	v_cndmask_b32_e32 v37, 0, v37, vcc_lo
	v_cmp_nlt_f32_e32 vcc_lo, 0x42b17218, v10
	v_cndmask_b32_e32 v10, 0x7f800000, v37, vcc_lo
	v_add_f32_e32 v39, 1.0, v10
	v_cvt_f64_f32_e32 v[37:38], v39
	v_frexp_exp_i32_f64_e32 v37, v[37:38]
	v_frexp_mant_f32_e32 v38, v39
	v_cmp_gt_f32_e32 vcc_lo, 0x3f2aaaab, v38
	v_add_f32_e32 v38, -1.0, v39
	v_sub_f32_e32 v41, v38, v39
	v_sub_f32_e32 v38, v10, v38
	v_add_f32_e32 v41, 1.0, v41
	v_add_f32_e32 v38, v38, v41
	v_subrev_co_ci_u32_e64 v37, null, 0, v37, vcc_lo
	v_cmp_neq_f32_e32 vcc_lo, 0x7f800000, v10
	v_sub_nc_u32_e32 v40, 0, v37
	v_cvt_f32_i32_e32 v37, v37
	v_ldexp_f32 v39, v39, v40
	v_ldexp_f32 v38, v38, v40
	v_add_f32_e32 v42, 1.0, v39
	v_add_f32_e32 v40, -1.0, v39
	v_add_f32_e32 v41, -1.0, v42
	v_add_f32_e32 v43, 1.0, v40
	v_sub_f32_e32 v41, v39, v41
	v_sub_f32_e32 v39, v39, v43
	v_add_f32_e32 v41, v38, v41
	v_add_f32_e32 v38, v38, v39
	;; [unrolled: 1-line block ×4, first 2 shown]
	v_rcp_f32_e32 v39, v43
	v_sub_f32_e32 v42, v42, v43
	v_sub_f32_e32 v40, v40, v44
	v_add_f32_e32 v41, v41, v42
	v_add_f32_e32 v38, v38, v40
	v_mul_f32_e32 v45, v44, v39
	v_mul_f32_e32 v46, v43, v45
	v_fma_f32 v42, v45, v43, -v46
	v_fmac_f32_e32 v42, v45, v41
	v_add_f32_e32 v47, v46, v42
	v_sub_f32_e32 v48, v44, v47
	v_sub_f32_e32 v40, v47, v46
	v_sub_f32_e32 v44, v44, v48
	v_sub_f32_e32 v40, v40, v42
	v_sub_f32_e32 v44, v44, v47
	v_add_f32_e32 v38, v38, v44
	v_add_f32_e32 v38, v40, v38
	;; [unrolled: 1-line block ×3, first 2 shown]
	v_mul_f32_e32 v42, v39, v40
	v_sub_f32_e32 v47, v48, v40
	v_mul_f32_e32 v44, v43, v42
	v_add_f32_e32 v38, v38, v47
	v_fma_f32 v43, v42, v43, -v44
	v_fmac_f32_e32 v43, v42, v41
	v_add_f32_e32 v41, v44, v43
	v_sub_f32_e32 v46, v40, v41
	v_sub_f32_e32 v44, v41, v44
	;; [unrolled: 1-line block ×5, first 2 shown]
	v_add_f32_e32 v38, v38, v40
	v_add_f32_e32 v40, v45, v42
	v_add_f32_e32 v38, v41, v38
	v_sub_f32_e32 v41, v40, v45
	v_add_f32_e32 v38, v46, v38
	v_sub_f32_e32 v41, v42, v41
	v_mul_f32_e32 v38, v39, v38
	v_add_f32_e32 v38, v41, v38
	v_add_f32_e32 v39, v40, v38
	v_mul_f32_e32 v41, v39, v39
	v_fmaak_f32 v42, s37, v41, 0x3ecc95a3
	v_mul_f32_e32 v43, v39, v41
	v_fmaak_f32 v41, v41, v42, 0x3f2aaada
	v_ldexp_f32 v42, v39, 1
	v_sub_f32_e32 v39, v39, v40
	v_mul_f32_e32 v41, v43, v41
	v_mul_f32_e32 v43, 0x3f317218, v37
	v_sub_f32_e32 v38, v38, v39
	v_add_f32_e32 v40, v42, v41
	v_ldexp_f32 v38, v38, 1
	v_sub_f32_e32 v39, v40, v42
	v_fma_f32 v42, 0x3f317218, v37, -v43
	v_sub_f32_e32 v39, v41, v39
	v_fmamk_f32 v37, v37, 0xb102e308, v42
	v_add_f32_e32 v38, v38, v39
	v_add_f32_e32 v39, v43, v37
	;; [unrolled: 1-line block ×3, first 2 shown]
	v_sub_f32_e32 v43, v39, v43
	v_add_f32_e32 v42, v39, v41
	v_sub_f32_e32 v40, v41, v40
	v_sub_f32_e32 v37, v37, v43
	;; [unrolled: 1-line block ×6, first 2 shown]
	v_add_f32_e32 v41, v37, v38
	v_sub_f32_e32 v39, v39, v45
	v_add_f32_e32 v39, v40, v39
	v_sub_f32_e32 v40, v41, v37
	;; [unrolled: 2-line block ×3, first 2 shown]
	v_sub_f32_e32 v38, v38, v40
	v_add_f32_e32 v43, v42, v39
	v_sub_f32_e32 v37, v37, v41
	v_sub_f32_e32 v40, v43, v42
	v_add_f32_e32 v37, v38, v37
	v_sub_f32_e32 v38, v39, v40
	v_add_f32_e32 v37, v37, v38
	v_add_f32_e32 v37, v43, v37
	v_cndmask_b32_e32 v37, 0x7f800000, v37, vcc_lo
	v_cmp_gt_f32_e64 vcc_lo, 0x33800000, |v10|
	v_cndmask_b32_e32 v10, v37, v10, vcc_lo
	v_add_f32_e32 v9, v9, v10
	v_cvt_f16_f32_e32 v10, v9
.LBB424_107:
	s_or_b32 exec_lo, exec_lo, s17
	v_and_b32_e32 v9, 0xffff, v10
	v_mov_b32_e32 v41, v10
.LBB424_108:
	s_or_b32 exec_lo, exec_lo, s16
	v_lshl_or_b32 v38, v28, 2, 64
	v_add_nc_u32_e32 v39, 16, v28
	s_mov_b32 s16, exec_lo
	ds_bpermute_b32 v9, v38, v9
	v_cmpx_le_u32_e64 v39, v8
	s_cbranch_execz .LBB424_112
; %bb.109:
	s_waitcnt lgkmcnt(0)
	v_cvt_f32_f16_e32 v8, v9
	v_cvt_f32_f16_e32 v37, v41
	v_cmp_u_f16_e32 vcc_lo, v9, v9
	v_min_f32_e32 v10, v8, v37
	v_max_f32_e32 v40, v8, v37
	v_cndmask_b32_e32 v10, v10, v8, vcc_lo
	v_cndmask_b32_e32 v8, v40, v8, vcc_lo
	v_cmp_u_f16_e32 vcc_lo, v41, v41
	v_cndmask_b32_e32 v10, v10, v37, vcc_lo
	v_cndmask_b32_e32 v8, v8, v37, vcc_lo
	v_cmp_class_f32_e64 s17, v10, 0x1f8
	v_cmp_neq_f32_e32 vcc_lo, v10, v8
	s_or_b32 s37, vcc_lo, s17
	s_and_saveexec_b32 s17, s37
	s_cbranch_execz .LBB424_111
; %bb.110:
	v_sub_f32_e32 v9, v10, v8
	s_mov_b32 s37, 0x3e9b6dac
	v_mul_f32_e32 v10, 0x3fb8aa3b, v9
	v_cmp_ngt_f32_e32 vcc_lo, 0xc2ce8ed0, v9
	v_fma_f32 v37, 0x3fb8aa3b, v9, -v10
	v_rndne_f32_e32 v40, v10
	v_fmamk_f32 v37, v9, 0x32a5705f, v37
	v_sub_f32_e32 v10, v10, v40
	v_add_f32_e32 v10, v10, v37
	v_cvt_i32_f32_e32 v37, v40
	v_exp_f32_e32 v10, v10
	v_ldexp_f32 v10, v10, v37
	v_cndmask_b32_e32 v10, 0, v10, vcc_lo
	v_cmp_nlt_f32_e32 vcc_lo, 0x42b17218, v9
	v_cndmask_b32_e32 v37, 0x7f800000, v10, vcc_lo
	v_add_f32_e32 v40, 1.0, v37
	v_cvt_f64_f32_e32 v[9:10], v40
	v_frexp_exp_i32_f64_e32 v9, v[9:10]
	v_frexp_mant_f32_e32 v10, v40
	v_cmp_gt_f32_e32 vcc_lo, 0x3f2aaaab, v10
	v_add_f32_e32 v10, -1.0, v40
	v_sub_f32_e32 v42, v10, v40
	v_sub_f32_e32 v10, v37, v10
	v_add_f32_e32 v42, 1.0, v42
	v_add_f32_e32 v10, v10, v42
	v_subrev_co_ci_u32_e64 v9, null, 0, v9, vcc_lo
	v_cmp_neq_f32_e32 vcc_lo, 0x7f800000, v37
	v_sub_nc_u32_e32 v41, 0, v9
	v_cvt_f32_i32_e32 v9, v9
	v_ldexp_f32 v40, v40, v41
	v_ldexp_f32 v10, v10, v41
	v_add_f32_e32 v43, 1.0, v40
	v_add_f32_e32 v41, -1.0, v40
	v_add_f32_e32 v42, -1.0, v43
	v_add_f32_e32 v44, 1.0, v41
	v_sub_f32_e32 v42, v40, v42
	v_sub_f32_e32 v40, v40, v44
	v_add_f32_e32 v42, v10, v42
	v_add_f32_e32 v10, v10, v40
	v_add_f32_e32 v44, v43, v42
	v_add_f32_e32 v45, v41, v10
	v_rcp_f32_e32 v40, v44
	v_sub_f32_e32 v43, v43, v44
	v_sub_f32_e32 v41, v41, v45
	v_add_f32_e32 v42, v42, v43
	v_add_f32_e32 v10, v10, v41
	v_mul_f32_e32 v46, v45, v40
	v_mul_f32_e32 v47, v44, v46
	v_fma_f32 v43, v46, v44, -v47
	v_fmac_f32_e32 v43, v46, v42
	v_add_f32_e32 v48, v47, v43
	v_sub_f32_e32 v49, v45, v48
	v_sub_f32_e32 v41, v48, v47
	v_sub_f32_e32 v45, v45, v49
	v_sub_f32_e32 v41, v41, v43
	v_sub_f32_e32 v45, v45, v48
	v_add_f32_e32 v10, v10, v45
	v_add_f32_e32 v10, v41, v10
	;; [unrolled: 1-line block ×3, first 2 shown]
	v_mul_f32_e32 v43, v40, v41
	v_sub_f32_e32 v48, v49, v41
	v_mul_f32_e32 v45, v44, v43
	v_add_f32_e32 v10, v10, v48
	v_fma_f32 v44, v43, v44, -v45
	v_fmac_f32_e32 v44, v43, v42
	v_add_f32_e32 v42, v45, v44
	v_sub_f32_e32 v47, v41, v42
	v_sub_f32_e32 v45, v42, v45
	;; [unrolled: 1-line block ×5, first 2 shown]
	v_add_f32_e32 v10, v10, v41
	v_add_f32_e32 v41, v46, v43
	;; [unrolled: 1-line block ×3, first 2 shown]
	v_sub_f32_e32 v42, v41, v46
	v_add_f32_e32 v10, v47, v10
	v_sub_f32_e32 v42, v43, v42
	v_mul_f32_e32 v10, v40, v10
	v_add_f32_e32 v10, v42, v10
	v_add_f32_e32 v40, v41, v10
	v_mul_f32_e32 v42, v40, v40
	v_fmaak_f32 v43, s37, v42, 0x3ecc95a3
	v_mul_f32_e32 v44, v40, v42
	v_fmaak_f32 v42, v42, v43, 0x3f2aaada
	v_ldexp_f32 v43, v40, 1
	v_sub_f32_e32 v40, v40, v41
	v_mul_f32_e32 v42, v44, v42
	v_mul_f32_e32 v44, 0x3f317218, v9
	v_sub_f32_e32 v10, v10, v40
	v_add_f32_e32 v41, v43, v42
	v_ldexp_f32 v10, v10, 1
	v_sub_f32_e32 v40, v41, v43
	v_fma_f32 v43, 0x3f317218, v9, -v44
	v_sub_f32_e32 v40, v42, v40
	v_fmamk_f32 v9, v9, 0xb102e308, v43
	v_add_f32_e32 v10, v10, v40
	v_add_f32_e32 v40, v44, v9
	;; [unrolled: 1-line block ×3, first 2 shown]
	v_sub_f32_e32 v44, v40, v44
	v_add_f32_e32 v43, v40, v42
	v_sub_f32_e32 v41, v42, v41
	v_sub_f32_e32 v9, v9, v44
	;; [unrolled: 1-line block ×6, first 2 shown]
	v_add_f32_e32 v42, v9, v10
	v_sub_f32_e32 v40, v40, v46
	v_add_f32_e32 v40, v41, v40
	v_sub_f32_e32 v41, v42, v9
	v_add_f32_e32 v40, v42, v40
	v_sub_f32_e32 v42, v42, v41
	v_sub_f32_e32 v10, v10, v41
	v_add_f32_e32 v44, v43, v40
	v_sub_f32_e32 v9, v9, v42
	v_sub_f32_e32 v41, v44, v43
	v_add_f32_e32 v9, v10, v9
	v_sub_f32_e32 v10, v40, v41
	v_add_f32_e32 v9, v9, v10
	v_add_f32_e32 v9, v44, v9
	v_cndmask_b32_e32 v9, 0x7f800000, v9, vcc_lo
	v_cmp_gt_f32_e64 vcc_lo, 0x33800000, |v37|
	v_cndmask_b32_e32 v9, v9, v37, vcc_lo
	v_add_f32_e32 v8, v8, v9
	v_cvt_f16_f32_e32 v9, v8
.LBB424_111:
	s_or_b32 exec_lo, exec_lo, s17
	v_mov_b32_e32 v41, v9
.LBB424_112:
	s_or_b32 exec_lo, exec_lo, s16
	v_mov_b32_e32 v8, 0
	v_mov_b32_e32 v40, 2
	s_mov_b32 s16, 0x3e9b6dac
	s_branch .LBB424_115
.LBB424_113:                            ;   in Loop: Header=BB424_115 Depth=1
	s_or_b32 exec_lo, exec_lo, s17
	v_subrev_nc_u32_e32 v7, 32, v7
	s_mov_b32 s17, 0
.LBB424_114:                            ;   in Loop: Header=BB424_115 Depth=1
	s_and_b32 vcc_lo, exec_lo, s17
	s_cbranch_vccnz .LBB424_143
.LBB424_115:                            ; =>This Loop Header: Depth=1
                                        ;     Child Loop BB424_118 Depth 2
	v_cmp_ne_u16_sdwa s17, v29, v40 src0_sel:BYTE_0 src1_sel:DWORD
	v_mov_b32_e32 v37, v41
                                        ; implicit-def: $vgpr41
                                        ; implicit-def: $vgpr29
	s_cmp_lg_u32 s17, exec_lo
	s_mov_b32 s17, -1
	s_cbranch_scc1 .LBB424_114
; %bb.116:                              ;   in Loop: Header=BB424_115 Depth=1
	s_waitcnt lgkmcnt(0)
	v_lshlrev_b64 v[9:10], 2, v[7:8]
	v_add_co_u32 v9, vcc_lo, s18, v9
	v_add_co_ci_u32_e64 v10, null, s19, v10, vcc_lo
	global_load_dword v41, v[9:10], off glc dlc
	s_waitcnt vmcnt(0)
	v_lshrrev_b32_e32 v29, 16, v41
	v_cmp_eq_u16_sdwa s37, v29, v8 src0_sel:BYTE_0 src1_sel:DWORD
	s_and_saveexec_b32 s17, s37
	s_cbranch_execz .LBB424_120
; %bb.117:                              ;   in Loop: Header=BB424_115 Depth=1
	s_mov_b32 s37, 0
.LBB424_118:                            ;   Parent Loop BB424_115 Depth=1
                                        ; =>  This Inner Loop Header: Depth=2
	global_load_dword v41, v[9:10], off glc dlc
	s_waitcnt vmcnt(0)
	v_lshrrev_b32_e32 v29, 16, v41
	v_cmp_ne_u16_sdwa s38, v29, v8 src0_sel:BYTE_0 src1_sel:DWORD
	s_or_b32 s37, s38, s37
	s_andn2_b32 exec_lo, exec_lo, s37
	s_cbranch_execnz .LBB424_118
; %bb.119:                              ;   in Loop: Header=BB424_115 Depth=1
	s_or_b32 exec_lo, exec_lo, s37
.LBB424_120:                            ;   in Loop: Header=BB424_115 Depth=1
	s_or_b32 exec_lo, exec_lo, s17
	v_and_b32_e32 v10, 0xffff, v41
	v_cmp_eq_u16_sdwa s17, v29, v40 src0_sel:BYTE_0 src1_sel:DWORD
	ds_bpermute_b32 v42, v11, v10
	v_and_or_b32 v9, s17, v30, 0x80000000
	s_mov_b32 s17, exec_lo
	v_ffbl_b32_e32 v9, v9
	v_cmpx_lt_u32_e64 v28, v9
	s_cbranch_execz .LBB424_124
; %bb.121:                              ;   in Loop: Header=BB424_115 Depth=1
	s_waitcnt lgkmcnt(0)
	v_cvt_f32_f16_e32 v10, v42
	v_cvt_f32_f16_e32 v43, v41
	v_cmp_u_f16_e32 vcc_lo, v42, v42
	v_min_f32_e32 v44, v10, v43
	v_max_f32_e32 v45, v10, v43
	v_cndmask_b32_e32 v44, v44, v10, vcc_lo
	v_cndmask_b32_e32 v10, v45, v10, vcc_lo
	v_cmp_u_f16_e32 vcc_lo, v41, v41
	v_cndmask_b32_e32 v41, v44, v43, vcc_lo
	v_cndmask_b32_e32 v10, v10, v43, vcc_lo
	v_cmp_class_f32_e64 s37, v41, 0x1f8
	v_cmp_neq_f32_e32 vcc_lo, v41, v10
	s_or_b32 s38, vcc_lo, s37
	s_and_saveexec_b32 s37, s38
	s_cbranch_execz .LBB424_123
; %bb.122:                              ;   in Loop: Header=BB424_115 Depth=1
	v_sub_f32_e32 v41, v41, v10
	v_mul_f32_e32 v42, 0x3fb8aa3b, v41
	v_cmp_ngt_f32_e32 vcc_lo, 0xc2ce8ed0, v41
	v_fma_f32 v43, 0x3fb8aa3b, v41, -v42
	v_rndne_f32_e32 v44, v42
	v_fmac_f32_e32 v43, 0x32a5705f, v41
	v_sub_f32_e32 v42, v42, v44
	v_add_f32_e32 v42, v42, v43
	v_cvt_i32_f32_e32 v43, v44
	v_exp_f32_e32 v42, v42
	v_ldexp_f32 v42, v42, v43
	v_cndmask_b32_e32 v42, 0, v42, vcc_lo
	v_cmp_nlt_f32_e32 vcc_lo, 0x42b17218, v41
	v_cndmask_b32_e32 v43, 0x7f800000, v42, vcc_lo
	v_add_f32_e32 v44, 1.0, v43
	v_cvt_f64_f32_e32 v[41:42], v44
	v_frexp_exp_i32_f64_e32 v41, v[41:42]
	v_frexp_mant_f32_e32 v42, v44
	v_cmp_gt_f32_e32 vcc_lo, 0x3f2aaaab, v42
	v_add_f32_e32 v42, -1.0, v44
	v_sub_f32_e32 v46, v42, v44
	v_sub_f32_e32 v42, v43, v42
	v_add_f32_e32 v46, 1.0, v46
	v_add_f32_e32 v42, v42, v46
	v_subrev_co_ci_u32_e64 v41, null, 0, v41, vcc_lo
	v_cmp_neq_f32_e32 vcc_lo, 0x7f800000, v43
	v_sub_nc_u32_e32 v45, 0, v41
	v_cvt_f32_i32_e32 v41, v41
	v_ldexp_f32 v44, v44, v45
	v_ldexp_f32 v42, v42, v45
	v_add_f32_e32 v47, 1.0, v44
	v_add_f32_e32 v45, -1.0, v44
	v_add_f32_e32 v46, -1.0, v47
	v_add_f32_e32 v48, 1.0, v45
	v_sub_f32_e32 v46, v44, v46
	v_sub_f32_e32 v44, v44, v48
	v_add_f32_e32 v46, v42, v46
	v_add_f32_e32 v42, v42, v44
	v_add_f32_e32 v48, v47, v46
	v_add_f32_e32 v49, v45, v42
	v_rcp_f32_e32 v44, v48
	v_sub_f32_e32 v47, v47, v48
	v_sub_f32_e32 v45, v45, v49
	v_add_f32_e32 v46, v46, v47
	v_add_f32_e32 v42, v42, v45
	v_mul_f32_e32 v50, v49, v44
	v_mul_f32_e32 v51, v48, v50
	v_fma_f32 v47, v50, v48, -v51
	v_fmac_f32_e32 v47, v50, v46
	v_add_f32_e32 v52, v51, v47
	v_sub_f32_e32 v53, v49, v52
	v_sub_f32_e32 v45, v52, v51
	;; [unrolled: 1-line block ×5, first 2 shown]
	v_add_f32_e32 v42, v42, v49
	v_add_f32_e32 v42, v45, v42
	;; [unrolled: 1-line block ×3, first 2 shown]
	v_mul_f32_e32 v47, v44, v45
	v_sub_f32_e32 v52, v53, v45
	v_mul_f32_e32 v49, v48, v47
	v_add_f32_e32 v42, v42, v52
	v_fma_f32 v48, v47, v48, -v49
	v_fmac_f32_e32 v48, v47, v46
	v_add_f32_e32 v46, v49, v48
	v_sub_f32_e32 v51, v45, v46
	v_sub_f32_e32 v49, v46, v49
	;; [unrolled: 1-line block ×5, first 2 shown]
	v_add_f32_e32 v42, v42, v45
	v_add_f32_e32 v45, v50, v47
	;; [unrolled: 1-line block ×3, first 2 shown]
	v_sub_f32_e32 v46, v45, v50
	v_add_f32_e32 v42, v51, v42
	v_sub_f32_e32 v46, v47, v46
	v_mul_f32_e32 v42, v44, v42
	v_add_f32_e32 v42, v46, v42
	v_add_f32_e32 v44, v45, v42
	v_mul_f32_e32 v46, v44, v44
	v_fmaak_f32 v47, s16, v46, 0x3ecc95a3
	v_mul_f32_e32 v48, v44, v46
	v_fmaak_f32 v46, v46, v47, 0x3f2aaada
	v_ldexp_f32 v47, v44, 1
	v_sub_f32_e32 v44, v44, v45
	v_mul_f32_e32 v46, v48, v46
	v_mul_f32_e32 v48, 0x3f317218, v41
	v_sub_f32_e32 v42, v42, v44
	v_add_f32_e32 v45, v47, v46
	v_ldexp_f32 v42, v42, 1
	v_sub_f32_e32 v44, v45, v47
	v_fma_f32 v47, 0x3f317218, v41, -v48
	v_sub_f32_e32 v44, v46, v44
	v_fmac_f32_e32 v47, 0xb102e308, v41
	v_add_f32_e32 v41, v42, v44
	v_add_f32_e32 v42, v48, v47
	;; [unrolled: 1-line block ×3, first 2 shown]
	v_sub_f32_e32 v48, v42, v48
	v_add_f32_e32 v46, v42, v44
	v_sub_f32_e32 v45, v44, v45
	v_sub_f32_e32 v47, v47, v48
	;; [unrolled: 1-line block ×6, first 2 shown]
	v_add_f32_e32 v45, v47, v41
	v_sub_f32_e32 v42, v42, v50
	v_add_f32_e32 v42, v44, v42
	v_sub_f32_e32 v44, v45, v47
	;; [unrolled: 2-line block ×3, first 2 shown]
	v_sub_f32_e32 v41, v41, v44
	v_add_f32_e32 v48, v46, v42
	v_sub_f32_e32 v45, v47, v45
	v_sub_f32_e32 v44, v48, v46
	v_add_f32_e32 v41, v41, v45
	v_sub_f32_e32 v42, v42, v44
	v_add_f32_e32 v41, v41, v42
	v_add_f32_e32 v41, v48, v41
	v_cndmask_b32_e32 v41, 0x7f800000, v41, vcc_lo
	v_cmp_gt_f32_e64 vcc_lo, 0x33800000, |v43|
	v_cndmask_b32_e32 v41, v41, v43, vcc_lo
	v_add_f32_e32 v10, v10, v41
	v_cvt_f16_f32_e32 v42, v10
.LBB424_123:                            ;   in Loop: Header=BB424_115 Depth=1
	s_or_b32 exec_lo, exec_lo, s37
	v_and_b32_e32 v10, 0xffff, v42
	v_mov_b32_e32 v41, v42
.LBB424_124:                            ;   in Loop: Header=BB424_115 Depth=1
	s_or_b32 exec_lo, exec_lo, s17
	s_waitcnt lgkmcnt(0)
	ds_bpermute_b32 v42, v31, v10
	s_mov_b32 s17, exec_lo
	v_cmpx_le_u32_e64 v32, v9
	s_cbranch_execz .LBB424_128
; %bb.125:                              ;   in Loop: Header=BB424_115 Depth=1
	s_waitcnt lgkmcnt(0)
	v_cvt_f32_f16_e32 v10, v42
	v_cvt_f32_f16_e32 v43, v41
	v_cmp_u_f16_e32 vcc_lo, v42, v42
	v_min_f32_e32 v44, v10, v43
	v_max_f32_e32 v45, v10, v43
	v_cndmask_b32_e32 v44, v44, v10, vcc_lo
	v_cndmask_b32_e32 v10, v45, v10, vcc_lo
	v_cmp_u_f16_e32 vcc_lo, v41, v41
	v_cndmask_b32_e32 v41, v44, v43, vcc_lo
	v_cndmask_b32_e32 v10, v10, v43, vcc_lo
	v_cmp_class_f32_e64 s37, v41, 0x1f8
	v_cmp_neq_f32_e32 vcc_lo, v41, v10
	s_or_b32 s38, vcc_lo, s37
	s_and_saveexec_b32 s37, s38
	s_cbranch_execz .LBB424_127
; %bb.126:                              ;   in Loop: Header=BB424_115 Depth=1
	v_sub_f32_e32 v41, v41, v10
	v_mul_f32_e32 v42, 0x3fb8aa3b, v41
	v_cmp_ngt_f32_e32 vcc_lo, 0xc2ce8ed0, v41
	v_fma_f32 v43, 0x3fb8aa3b, v41, -v42
	v_rndne_f32_e32 v44, v42
	v_fmac_f32_e32 v43, 0x32a5705f, v41
	v_sub_f32_e32 v42, v42, v44
	v_add_f32_e32 v42, v42, v43
	v_cvt_i32_f32_e32 v43, v44
	v_exp_f32_e32 v42, v42
	v_ldexp_f32 v42, v42, v43
	v_cndmask_b32_e32 v42, 0, v42, vcc_lo
	v_cmp_nlt_f32_e32 vcc_lo, 0x42b17218, v41
	v_cndmask_b32_e32 v43, 0x7f800000, v42, vcc_lo
	v_add_f32_e32 v44, 1.0, v43
	v_cvt_f64_f32_e32 v[41:42], v44
	v_frexp_exp_i32_f64_e32 v41, v[41:42]
	v_frexp_mant_f32_e32 v42, v44
	v_cmp_gt_f32_e32 vcc_lo, 0x3f2aaaab, v42
	v_add_f32_e32 v42, -1.0, v44
	v_sub_f32_e32 v46, v42, v44
	v_sub_f32_e32 v42, v43, v42
	v_add_f32_e32 v46, 1.0, v46
	v_add_f32_e32 v42, v42, v46
	v_subrev_co_ci_u32_e64 v41, null, 0, v41, vcc_lo
	v_cmp_neq_f32_e32 vcc_lo, 0x7f800000, v43
	v_sub_nc_u32_e32 v45, 0, v41
	v_cvt_f32_i32_e32 v41, v41
	v_ldexp_f32 v44, v44, v45
	v_ldexp_f32 v42, v42, v45
	v_add_f32_e32 v47, 1.0, v44
	v_add_f32_e32 v45, -1.0, v44
	v_add_f32_e32 v46, -1.0, v47
	v_add_f32_e32 v48, 1.0, v45
	v_sub_f32_e32 v46, v44, v46
	v_sub_f32_e32 v44, v44, v48
	v_add_f32_e32 v46, v42, v46
	v_add_f32_e32 v42, v42, v44
	;; [unrolled: 1-line block ×4, first 2 shown]
	v_rcp_f32_e32 v44, v48
	v_sub_f32_e32 v47, v47, v48
	v_sub_f32_e32 v45, v45, v49
	v_add_f32_e32 v46, v46, v47
	v_add_f32_e32 v42, v42, v45
	v_mul_f32_e32 v50, v49, v44
	v_mul_f32_e32 v51, v48, v50
	v_fma_f32 v47, v50, v48, -v51
	v_fmac_f32_e32 v47, v50, v46
	v_add_f32_e32 v52, v51, v47
	v_sub_f32_e32 v53, v49, v52
	v_sub_f32_e32 v45, v52, v51
	;; [unrolled: 1-line block ×5, first 2 shown]
	v_add_f32_e32 v42, v42, v49
	v_add_f32_e32 v42, v45, v42
	;; [unrolled: 1-line block ×3, first 2 shown]
	v_mul_f32_e32 v47, v44, v45
	v_sub_f32_e32 v52, v53, v45
	v_mul_f32_e32 v49, v48, v47
	v_add_f32_e32 v42, v42, v52
	v_fma_f32 v48, v47, v48, -v49
	v_fmac_f32_e32 v48, v47, v46
	v_add_f32_e32 v46, v49, v48
	v_sub_f32_e32 v51, v45, v46
	v_sub_f32_e32 v49, v46, v49
	;; [unrolled: 1-line block ×5, first 2 shown]
	v_add_f32_e32 v42, v42, v45
	v_add_f32_e32 v45, v50, v47
	v_add_f32_e32 v42, v46, v42
	v_sub_f32_e32 v46, v45, v50
	v_add_f32_e32 v42, v51, v42
	v_sub_f32_e32 v46, v47, v46
	v_mul_f32_e32 v42, v44, v42
	v_add_f32_e32 v42, v46, v42
	v_add_f32_e32 v44, v45, v42
	v_mul_f32_e32 v46, v44, v44
	v_fmaak_f32 v47, s16, v46, 0x3ecc95a3
	v_mul_f32_e32 v48, v44, v46
	v_fmaak_f32 v46, v46, v47, 0x3f2aaada
	v_ldexp_f32 v47, v44, 1
	v_sub_f32_e32 v44, v44, v45
	v_mul_f32_e32 v46, v48, v46
	v_mul_f32_e32 v48, 0x3f317218, v41
	v_sub_f32_e32 v42, v42, v44
	v_add_f32_e32 v45, v47, v46
	v_ldexp_f32 v42, v42, 1
	v_sub_f32_e32 v44, v45, v47
	v_fma_f32 v47, 0x3f317218, v41, -v48
	v_sub_f32_e32 v44, v46, v44
	v_fmac_f32_e32 v47, 0xb102e308, v41
	v_add_f32_e32 v41, v42, v44
	v_add_f32_e32 v42, v48, v47
	;; [unrolled: 1-line block ×3, first 2 shown]
	v_sub_f32_e32 v48, v42, v48
	v_add_f32_e32 v46, v42, v44
	v_sub_f32_e32 v45, v44, v45
	v_sub_f32_e32 v47, v47, v48
	;; [unrolled: 1-line block ×6, first 2 shown]
	v_add_f32_e32 v45, v47, v41
	v_sub_f32_e32 v42, v42, v50
	v_add_f32_e32 v42, v44, v42
	v_sub_f32_e32 v44, v45, v47
	;; [unrolled: 2-line block ×3, first 2 shown]
	v_sub_f32_e32 v41, v41, v44
	v_add_f32_e32 v48, v46, v42
	v_sub_f32_e32 v45, v47, v45
	v_sub_f32_e32 v44, v48, v46
	v_add_f32_e32 v41, v41, v45
	v_sub_f32_e32 v42, v42, v44
	v_add_f32_e32 v41, v41, v42
	v_add_f32_e32 v41, v48, v41
	v_cndmask_b32_e32 v41, 0x7f800000, v41, vcc_lo
	v_cmp_gt_f32_e64 vcc_lo, 0x33800000, |v43|
	v_cndmask_b32_e32 v41, v41, v43, vcc_lo
	v_add_f32_e32 v10, v10, v41
	v_cvt_f16_f32_e32 v42, v10
.LBB424_127:                            ;   in Loop: Header=BB424_115 Depth=1
	s_or_b32 exec_lo, exec_lo, s37
	v_and_b32_e32 v10, 0xffff, v42
	v_mov_b32_e32 v41, v42
.LBB424_128:                            ;   in Loop: Header=BB424_115 Depth=1
	s_or_b32 exec_lo, exec_lo, s17
	s_waitcnt lgkmcnt(0)
	ds_bpermute_b32 v42, v33, v10
	s_mov_b32 s17, exec_lo
	v_cmpx_le_u32_e64 v34, v9
	s_cbranch_execz .LBB424_132
; %bb.129:                              ;   in Loop: Header=BB424_115 Depth=1
	s_waitcnt lgkmcnt(0)
	v_cvt_f32_f16_e32 v10, v42
	v_cvt_f32_f16_e32 v43, v41
	v_cmp_u_f16_e32 vcc_lo, v42, v42
	v_min_f32_e32 v44, v10, v43
	v_max_f32_e32 v45, v10, v43
	v_cndmask_b32_e32 v44, v44, v10, vcc_lo
	v_cndmask_b32_e32 v10, v45, v10, vcc_lo
	v_cmp_u_f16_e32 vcc_lo, v41, v41
	v_cndmask_b32_e32 v41, v44, v43, vcc_lo
	v_cndmask_b32_e32 v10, v10, v43, vcc_lo
	v_cmp_class_f32_e64 s37, v41, 0x1f8
	v_cmp_neq_f32_e32 vcc_lo, v41, v10
	s_or_b32 s38, vcc_lo, s37
	s_and_saveexec_b32 s37, s38
	s_cbranch_execz .LBB424_131
; %bb.130:                              ;   in Loop: Header=BB424_115 Depth=1
	v_sub_f32_e32 v41, v41, v10
	v_mul_f32_e32 v42, 0x3fb8aa3b, v41
	v_cmp_ngt_f32_e32 vcc_lo, 0xc2ce8ed0, v41
	v_fma_f32 v43, 0x3fb8aa3b, v41, -v42
	v_rndne_f32_e32 v44, v42
	v_fmac_f32_e32 v43, 0x32a5705f, v41
	v_sub_f32_e32 v42, v42, v44
	v_add_f32_e32 v42, v42, v43
	v_cvt_i32_f32_e32 v43, v44
	v_exp_f32_e32 v42, v42
	v_ldexp_f32 v42, v42, v43
	v_cndmask_b32_e32 v42, 0, v42, vcc_lo
	v_cmp_nlt_f32_e32 vcc_lo, 0x42b17218, v41
	v_cndmask_b32_e32 v43, 0x7f800000, v42, vcc_lo
	v_add_f32_e32 v44, 1.0, v43
	v_cvt_f64_f32_e32 v[41:42], v44
	v_frexp_exp_i32_f64_e32 v41, v[41:42]
	v_frexp_mant_f32_e32 v42, v44
	v_cmp_gt_f32_e32 vcc_lo, 0x3f2aaaab, v42
	v_add_f32_e32 v42, -1.0, v44
	v_sub_f32_e32 v46, v42, v44
	v_sub_f32_e32 v42, v43, v42
	v_add_f32_e32 v46, 1.0, v46
	v_add_f32_e32 v42, v42, v46
	v_subrev_co_ci_u32_e64 v41, null, 0, v41, vcc_lo
	v_cmp_neq_f32_e32 vcc_lo, 0x7f800000, v43
	v_sub_nc_u32_e32 v45, 0, v41
	v_cvt_f32_i32_e32 v41, v41
	v_ldexp_f32 v44, v44, v45
	v_ldexp_f32 v42, v42, v45
	v_add_f32_e32 v47, 1.0, v44
	v_add_f32_e32 v45, -1.0, v44
	v_add_f32_e32 v46, -1.0, v47
	v_add_f32_e32 v48, 1.0, v45
	v_sub_f32_e32 v46, v44, v46
	v_sub_f32_e32 v44, v44, v48
	v_add_f32_e32 v46, v42, v46
	v_add_f32_e32 v42, v42, v44
	;; [unrolled: 1-line block ×4, first 2 shown]
	v_rcp_f32_e32 v44, v48
	v_sub_f32_e32 v47, v47, v48
	v_sub_f32_e32 v45, v45, v49
	v_add_f32_e32 v46, v46, v47
	v_add_f32_e32 v42, v42, v45
	v_mul_f32_e32 v50, v49, v44
	v_mul_f32_e32 v51, v48, v50
	v_fma_f32 v47, v50, v48, -v51
	v_fmac_f32_e32 v47, v50, v46
	v_add_f32_e32 v52, v51, v47
	v_sub_f32_e32 v53, v49, v52
	v_sub_f32_e32 v45, v52, v51
	v_sub_f32_e32 v49, v49, v53
	v_sub_f32_e32 v45, v45, v47
	v_sub_f32_e32 v49, v49, v52
	v_add_f32_e32 v42, v42, v49
	v_add_f32_e32 v42, v45, v42
	;; [unrolled: 1-line block ×3, first 2 shown]
	v_mul_f32_e32 v47, v44, v45
	v_sub_f32_e32 v52, v53, v45
	v_mul_f32_e32 v49, v48, v47
	v_add_f32_e32 v42, v42, v52
	v_fma_f32 v48, v47, v48, -v49
	v_fmac_f32_e32 v48, v47, v46
	v_add_f32_e32 v46, v49, v48
	v_sub_f32_e32 v51, v45, v46
	v_sub_f32_e32 v49, v46, v49
	;; [unrolled: 1-line block ×5, first 2 shown]
	v_add_f32_e32 v42, v42, v45
	v_add_f32_e32 v45, v50, v47
	;; [unrolled: 1-line block ×3, first 2 shown]
	v_sub_f32_e32 v46, v45, v50
	v_add_f32_e32 v42, v51, v42
	v_sub_f32_e32 v46, v47, v46
	v_mul_f32_e32 v42, v44, v42
	v_add_f32_e32 v42, v46, v42
	v_add_f32_e32 v44, v45, v42
	v_mul_f32_e32 v46, v44, v44
	v_fmaak_f32 v47, s16, v46, 0x3ecc95a3
	v_mul_f32_e32 v48, v44, v46
	v_fmaak_f32 v46, v46, v47, 0x3f2aaada
	v_ldexp_f32 v47, v44, 1
	v_sub_f32_e32 v44, v44, v45
	v_mul_f32_e32 v46, v48, v46
	v_mul_f32_e32 v48, 0x3f317218, v41
	v_sub_f32_e32 v42, v42, v44
	v_add_f32_e32 v45, v47, v46
	v_ldexp_f32 v42, v42, 1
	v_sub_f32_e32 v44, v45, v47
	v_fma_f32 v47, 0x3f317218, v41, -v48
	v_sub_f32_e32 v44, v46, v44
	v_fmac_f32_e32 v47, 0xb102e308, v41
	v_add_f32_e32 v41, v42, v44
	v_add_f32_e32 v42, v48, v47
	;; [unrolled: 1-line block ×3, first 2 shown]
	v_sub_f32_e32 v48, v42, v48
	v_add_f32_e32 v46, v42, v44
	v_sub_f32_e32 v45, v44, v45
	v_sub_f32_e32 v47, v47, v48
	;; [unrolled: 1-line block ×6, first 2 shown]
	v_add_f32_e32 v45, v47, v41
	v_sub_f32_e32 v42, v42, v50
	v_add_f32_e32 v42, v44, v42
	v_sub_f32_e32 v44, v45, v47
	;; [unrolled: 2-line block ×3, first 2 shown]
	v_sub_f32_e32 v41, v41, v44
	v_add_f32_e32 v48, v46, v42
	v_sub_f32_e32 v45, v47, v45
	v_sub_f32_e32 v44, v48, v46
	v_add_f32_e32 v41, v41, v45
	v_sub_f32_e32 v42, v42, v44
	v_add_f32_e32 v41, v41, v42
	v_add_f32_e32 v41, v48, v41
	v_cndmask_b32_e32 v41, 0x7f800000, v41, vcc_lo
	v_cmp_gt_f32_e64 vcc_lo, 0x33800000, |v43|
	v_cndmask_b32_e32 v41, v41, v43, vcc_lo
	v_add_f32_e32 v10, v10, v41
	v_cvt_f16_f32_e32 v42, v10
.LBB424_131:                            ;   in Loop: Header=BB424_115 Depth=1
	s_or_b32 exec_lo, exec_lo, s37
	v_and_b32_e32 v10, 0xffff, v42
	v_mov_b32_e32 v41, v42
.LBB424_132:                            ;   in Loop: Header=BB424_115 Depth=1
	s_or_b32 exec_lo, exec_lo, s17
	s_waitcnt lgkmcnt(0)
	ds_bpermute_b32 v42, v35, v10
	s_mov_b32 s17, exec_lo
	v_cmpx_le_u32_e64 v36, v9
	s_cbranch_execz .LBB424_136
; %bb.133:                              ;   in Loop: Header=BB424_115 Depth=1
	s_waitcnt lgkmcnt(0)
	v_cvt_f32_f16_e32 v10, v42
	v_cvt_f32_f16_e32 v43, v41
	v_cmp_u_f16_e32 vcc_lo, v42, v42
	v_min_f32_e32 v44, v10, v43
	v_max_f32_e32 v45, v10, v43
	v_cndmask_b32_e32 v44, v44, v10, vcc_lo
	v_cndmask_b32_e32 v10, v45, v10, vcc_lo
	v_cmp_u_f16_e32 vcc_lo, v41, v41
	v_cndmask_b32_e32 v41, v44, v43, vcc_lo
	v_cndmask_b32_e32 v10, v10, v43, vcc_lo
	v_cmp_class_f32_e64 s37, v41, 0x1f8
	v_cmp_neq_f32_e32 vcc_lo, v41, v10
	s_or_b32 s38, vcc_lo, s37
	s_and_saveexec_b32 s37, s38
	s_cbranch_execz .LBB424_135
; %bb.134:                              ;   in Loop: Header=BB424_115 Depth=1
	v_sub_f32_e32 v41, v41, v10
	v_mul_f32_e32 v42, 0x3fb8aa3b, v41
	v_cmp_ngt_f32_e32 vcc_lo, 0xc2ce8ed0, v41
	v_fma_f32 v43, 0x3fb8aa3b, v41, -v42
	v_rndne_f32_e32 v44, v42
	v_fmac_f32_e32 v43, 0x32a5705f, v41
	v_sub_f32_e32 v42, v42, v44
	v_add_f32_e32 v42, v42, v43
	v_cvt_i32_f32_e32 v43, v44
	v_exp_f32_e32 v42, v42
	v_ldexp_f32 v42, v42, v43
	v_cndmask_b32_e32 v42, 0, v42, vcc_lo
	v_cmp_nlt_f32_e32 vcc_lo, 0x42b17218, v41
	v_cndmask_b32_e32 v43, 0x7f800000, v42, vcc_lo
	v_add_f32_e32 v44, 1.0, v43
	v_cvt_f64_f32_e32 v[41:42], v44
	v_frexp_exp_i32_f64_e32 v41, v[41:42]
	v_frexp_mant_f32_e32 v42, v44
	v_cmp_gt_f32_e32 vcc_lo, 0x3f2aaaab, v42
	v_add_f32_e32 v42, -1.0, v44
	v_sub_f32_e32 v46, v42, v44
	v_sub_f32_e32 v42, v43, v42
	v_add_f32_e32 v46, 1.0, v46
	v_add_f32_e32 v42, v42, v46
	v_subrev_co_ci_u32_e64 v41, null, 0, v41, vcc_lo
	v_cmp_neq_f32_e32 vcc_lo, 0x7f800000, v43
	v_sub_nc_u32_e32 v45, 0, v41
	v_cvt_f32_i32_e32 v41, v41
	v_ldexp_f32 v44, v44, v45
	v_ldexp_f32 v42, v42, v45
	v_add_f32_e32 v47, 1.0, v44
	v_add_f32_e32 v45, -1.0, v44
	v_add_f32_e32 v46, -1.0, v47
	v_add_f32_e32 v48, 1.0, v45
	v_sub_f32_e32 v46, v44, v46
	v_sub_f32_e32 v44, v44, v48
	v_add_f32_e32 v46, v42, v46
	v_add_f32_e32 v42, v42, v44
	;; [unrolled: 1-line block ×4, first 2 shown]
	v_rcp_f32_e32 v44, v48
	v_sub_f32_e32 v47, v47, v48
	v_sub_f32_e32 v45, v45, v49
	v_add_f32_e32 v46, v46, v47
	v_add_f32_e32 v42, v42, v45
	v_mul_f32_e32 v50, v49, v44
	v_mul_f32_e32 v51, v48, v50
	v_fma_f32 v47, v50, v48, -v51
	v_fmac_f32_e32 v47, v50, v46
	v_add_f32_e32 v52, v51, v47
	v_sub_f32_e32 v53, v49, v52
	v_sub_f32_e32 v45, v52, v51
	;; [unrolled: 1-line block ×5, first 2 shown]
	v_add_f32_e32 v42, v42, v49
	v_add_f32_e32 v42, v45, v42
	;; [unrolled: 1-line block ×3, first 2 shown]
	v_mul_f32_e32 v47, v44, v45
	v_sub_f32_e32 v52, v53, v45
	v_mul_f32_e32 v49, v48, v47
	v_add_f32_e32 v42, v42, v52
	v_fma_f32 v48, v47, v48, -v49
	v_fmac_f32_e32 v48, v47, v46
	v_add_f32_e32 v46, v49, v48
	v_sub_f32_e32 v51, v45, v46
	v_sub_f32_e32 v49, v46, v49
	;; [unrolled: 1-line block ×5, first 2 shown]
	v_add_f32_e32 v42, v42, v45
	v_add_f32_e32 v45, v50, v47
	;; [unrolled: 1-line block ×3, first 2 shown]
	v_sub_f32_e32 v46, v45, v50
	v_add_f32_e32 v42, v51, v42
	v_sub_f32_e32 v46, v47, v46
	v_mul_f32_e32 v42, v44, v42
	v_add_f32_e32 v42, v46, v42
	v_add_f32_e32 v44, v45, v42
	v_mul_f32_e32 v46, v44, v44
	v_fmaak_f32 v47, s16, v46, 0x3ecc95a3
	v_mul_f32_e32 v48, v44, v46
	v_fmaak_f32 v46, v46, v47, 0x3f2aaada
	v_ldexp_f32 v47, v44, 1
	v_sub_f32_e32 v44, v44, v45
	v_mul_f32_e32 v46, v48, v46
	v_mul_f32_e32 v48, 0x3f317218, v41
	v_sub_f32_e32 v42, v42, v44
	v_add_f32_e32 v45, v47, v46
	v_ldexp_f32 v42, v42, 1
	v_sub_f32_e32 v44, v45, v47
	v_fma_f32 v47, 0x3f317218, v41, -v48
	v_sub_f32_e32 v44, v46, v44
	v_fmac_f32_e32 v47, 0xb102e308, v41
	v_add_f32_e32 v41, v42, v44
	v_add_f32_e32 v42, v48, v47
	;; [unrolled: 1-line block ×3, first 2 shown]
	v_sub_f32_e32 v48, v42, v48
	v_add_f32_e32 v46, v42, v44
	v_sub_f32_e32 v45, v44, v45
	v_sub_f32_e32 v47, v47, v48
	;; [unrolled: 1-line block ×6, first 2 shown]
	v_add_f32_e32 v45, v47, v41
	v_sub_f32_e32 v42, v42, v50
	v_add_f32_e32 v42, v44, v42
	v_sub_f32_e32 v44, v45, v47
	;; [unrolled: 2-line block ×3, first 2 shown]
	v_sub_f32_e32 v41, v41, v44
	v_add_f32_e32 v48, v46, v42
	v_sub_f32_e32 v45, v47, v45
	v_sub_f32_e32 v44, v48, v46
	v_add_f32_e32 v41, v41, v45
	v_sub_f32_e32 v42, v42, v44
	v_add_f32_e32 v41, v41, v42
	v_add_f32_e32 v41, v48, v41
	v_cndmask_b32_e32 v41, 0x7f800000, v41, vcc_lo
	v_cmp_gt_f32_e64 vcc_lo, 0x33800000, |v43|
	v_cndmask_b32_e32 v41, v41, v43, vcc_lo
	v_add_f32_e32 v10, v10, v41
	v_cvt_f16_f32_e32 v42, v10
.LBB424_135:                            ;   in Loop: Header=BB424_115 Depth=1
	s_or_b32 exec_lo, exec_lo, s37
	v_and_b32_e32 v10, 0xffff, v42
	v_mov_b32_e32 v41, v42
.LBB424_136:                            ;   in Loop: Header=BB424_115 Depth=1
	s_or_b32 exec_lo, exec_lo, s17
	ds_bpermute_b32 v10, v38, v10
	s_mov_b32 s17, exec_lo
	v_cmpx_le_u32_e64 v39, v9
	s_cbranch_execz .LBB424_140
; %bb.137:                              ;   in Loop: Header=BB424_115 Depth=1
	s_waitcnt lgkmcnt(0)
	v_cvt_f32_f16_e32 v9, v10
	v_cvt_f32_f16_e32 v42, v41
	v_cmp_u_f16_e32 vcc_lo, v10, v10
	v_min_f32_e32 v43, v9, v42
	v_max_f32_e32 v44, v9, v42
	v_cndmask_b32_e32 v43, v43, v9, vcc_lo
	v_cndmask_b32_e32 v9, v44, v9, vcc_lo
	v_cmp_u_f16_e32 vcc_lo, v41, v41
	v_cndmask_b32_e32 v41, v43, v42, vcc_lo
	v_cndmask_b32_e32 v9, v9, v42, vcc_lo
	v_cmp_class_f32_e64 s37, v41, 0x1f8
	v_cmp_neq_f32_e32 vcc_lo, v41, v9
	s_or_b32 s38, vcc_lo, s37
	s_and_saveexec_b32 s37, s38
	s_cbranch_execz .LBB424_139
; %bb.138:                              ;   in Loop: Header=BB424_115 Depth=1
	v_sub_f32_e32 v10, v41, v9
	v_mul_f32_e32 v41, 0x3fb8aa3b, v10
	v_cmp_ngt_f32_e32 vcc_lo, 0xc2ce8ed0, v10
	v_fma_f32 v42, 0x3fb8aa3b, v10, -v41
	v_rndne_f32_e32 v43, v41
	v_fmac_f32_e32 v42, 0x32a5705f, v10
	v_sub_f32_e32 v41, v41, v43
	v_add_f32_e32 v41, v41, v42
	v_cvt_i32_f32_e32 v42, v43
	v_exp_f32_e32 v41, v41
	v_ldexp_f32 v41, v41, v42
	v_cndmask_b32_e32 v41, 0, v41, vcc_lo
	v_cmp_nlt_f32_e32 vcc_lo, 0x42b17218, v10
	v_cndmask_b32_e32 v10, 0x7f800000, v41, vcc_lo
	v_add_f32_e32 v43, 1.0, v10
	v_cvt_f64_f32_e32 v[41:42], v43
	v_frexp_exp_i32_f64_e32 v41, v[41:42]
	v_frexp_mant_f32_e32 v42, v43
	v_cmp_gt_f32_e32 vcc_lo, 0x3f2aaaab, v42
	v_add_f32_e32 v42, -1.0, v43
	v_sub_f32_e32 v45, v42, v43
	v_sub_f32_e32 v42, v10, v42
	v_add_f32_e32 v45, 1.0, v45
	v_add_f32_e32 v42, v42, v45
	v_subrev_co_ci_u32_e64 v41, null, 0, v41, vcc_lo
	v_cmp_neq_f32_e32 vcc_lo, 0x7f800000, v10
	v_sub_nc_u32_e32 v44, 0, v41
	v_cvt_f32_i32_e32 v41, v41
	v_ldexp_f32 v43, v43, v44
	v_ldexp_f32 v42, v42, v44
	v_add_f32_e32 v46, 1.0, v43
	v_add_f32_e32 v44, -1.0, v43
	v_add_f32_e32 v45, -1.0, v46
	v_add_f32_e32 v47, 1.0, v44
	v_sub_f32_e32 v45, v43, v45
	v_sub_f32_e32 v43, v43, v47
	v_add_f32_e32 v45, v42, v45
	v_add_f32_e32 v42, v42, v43
	;; [unrolled: 1-line block ×4, first 2 shown]
	v_rcp_f32_e32 v43, v47
	v_sub_f32_e32 v46, v46, v47
	v_sub_f32_e32 v44, v44, v48
	v_add_f32_e32 v45, v45, v46
	v_add_f32_e32 v42, v42, v44
	v_mul_f32_e32 v49, v48, v43
	v_mul_f32_e32 v50, v47, v49
	v_fma_f32 v46, v49, v47, -v50
	v_fmac_f32_e32 v46, v49, v45
	v_add_f32_e32 v51, v50, v46
	v_sub_f32_e32 v52, v48, v51
	v_sub_f32_e32 v44, v51, v50
	;; [unrolled: 1-line block ×5, first 2 shown]
	v_add_f32_e32 v42, v42, v48
	v_add_f32_e32 v42, v44, v42
	;; [unrolled: 1-line block ×3, first 2 shown]
	v_mul_f32_e32 v46, v43, v44
	v_sub_f32_e32 v51, v52, v44
	v_mul_f32_e32 v48, v47, v46
	v_add_f32_e32 v42, v42, v51
	v_fma_f32 v47, v46, v47, -v48
	v_fmac_f32_e32 v47, v46, v45
	v_add_f32_e32 v45, v48, v47
	v_sub_f32_e32 v50, v44, v45
	v_sub_f32_e32 v48, v45, v48
	;; [unrolled: 1-line block ×5, first 2 shown]
	v_add_f32_e32 v42, v42, v44
	v_add_f32_e32 v44, v49, v46
	;; [unrolled: 1-line block ×3, first 2 shown]
	v_sub_f32_e32 v45, v44, v49
	v_add_f32_e32 v42, v50, v42
	v_sub_f32_e32 v45, v46, v45
	v_mul_f32_e32 v42, v43, v42
	v_add_f32_e32 v42, v45, v42
	v_add_f32_e32 v43, v44, v42
	v_mul_f32_e32 v45, v43, v43
	v_fmaak_f32 v46, s16, v45, 0x3ecc95a3
	v_mul_f32_e32 v47, v43, v45
	v_fmaak_f32 v45, v45, v46, 0x3f2aaada
	v_ldexp_f32 v46, v43, 1
	v_sub_f32_e32 v43, v43, v44
	v_mul_f32_e32 v45, v47, v45
	v_mul_f32_e32 v47, 0x3f317218, v41
	v_sub_f32_e32 v42, v42, v43
	v_add_f32_e32 v44, v46, v45
	v_ldexp_f32 v42, v42, 1
	v_sub_f32_e32 v43, v44, v46
	v_fma_f32 v46, 0x3f317218, v41, -v47
	v_sub_f32_e32 v43, v45, v43
	v_fmac_f32_e32 v46, 0xb102e308, v41
	v_add_f32_e32 v41, v42, v43
	v_add_f32_e32 v42, v47, v46
	v_add_f32_e32 v43, v44, v41
	v_sub_f32_e32 v47, v42, v47
	v_add_f32_e32 v45, v42, v43
	v_sub_f32_e32 v44, v43, v44
	v_sub_f32_e32 v46, v46, v47
	;; [unrolled: 1-line block ×6, first 2 shown]
	v_add_f32_e32 v44, v46, v41
	v_sub_f32_e32 v42, v42, v49
	v_add_f32_e32 v42, v43, v42
	v_sub_f32_e32 v43, v44, v46
	;; [unrolled: 2-line block ×3, first 2 shown]
	v_sub_f32_e32 v41, v41, v43
	v_add_f32_e32 v47, v45, v42
	v_sub_f32_e32 v44, v46, v44
	v_sub_f32_e32 v43, v47, v45
	v_add_f32_e32 v41, v41, v44
	v_sub_f32_e32 v42, v42, v43
	v_add_f32_e32 v41, v41, v42
	v_add_f32_e32 v41, v47, v41
	v_cndmask_b32_e32 v41, 0x7f800000, v41, vcc_lo
	v_cmp_gt_f32_e64 vcc_lo, 0x33800000, |v10|
	v_cndmask_b32_e32 v10, v41, v10, vcc_lo
	v_add_f32_e32 v9, v9, v10
	v_cvt_f16_f32_e32 v10, v9
.LBB424_139:                            ;   in Loop: Header=BB424_115 Depth=1
	s_or_b32 exec_lo, exec_lo, s37
	v_mov_b32_e32 v41, v10
.LBB424_140:                            ;   in Loop: Header=BB424_115 Depth=1
	s_or_b32 exec_lo, exec_lo, s17
	v_cvt_f32_f16_e32 v9, v41
	s_waitcnt lgkmcnt(1)
	v_cvt_f32_f16_e32 v42, v37
	v_cmp_u_f16_e32 vcc_lo, v41, v41
	s_waitcnt lgkmcnt(0)
	v_min_f32_e32 v10, v9, v42
	v_max_f32_e32 v43, v9, v42
	v_cndmask_b32_e32 v10, v10, v9, vcc_lo
	v_cndmask_b32_e32 v9, v43, v9, vcc_lo
	v_cmp_u_f16_e32 vcc_lo, v37, v37
	v_cndmask_b32_e32 v10, v10, v42, vcc_lo
	v_cndmask_b32_e32 v9, v9, v42, vcc_lo
	v_cmp_class_f32_e64 s17, v10, 0x1f8
	v_cmp_neq_f32_e32 vcc_lo, v10, v9
	s_or_b32 s17, vcc_lo, s17
	s_and_saveexec_b32 s37, s17
	s_xor_b32 s17, exec_lo, s37
	s_cbranch_execz .LBB424_113
; %bb.141:                              ;   in Loop: Header=BB424_115 Depth=1
	v_sub_f32_e32 v10, v10, v9
	v_mul_f32_e32 v41, 0x3fb8aa3b, v10
	v_cmp_ngt_f32_e32 vcc_lo, 0xc2ce8ed0, v10
	v_fma_f32 v42, 0x3fb8aa3b, v10, -v41
	v_rndne_f32_e32 v43, v41
	v_fmac_f32_e32 v42, 0x32a5705f, v10
	v_sub_f32_e32 v41, v41, v43
	v_add_f32_e32 v41, v41, v42
	v_cvt_i32_f32_e32 v42, v43
	v_exp_f32_e32 v41, v41
	v_ldexp_f32 v41, v41, v42
	v_cndmask_b32_e32 v41, 0, v41, vcc_lo
	v_cmp_nlt_f32_e32 vcc_lo, 0x42b17218, v10
	v_cndmask_b32_e32 v10, 0x7f800000, v41, vcc_lo
	v_add_f32_e32 v43, 1.0, v10
	v_cvt_f64_f32_e32 v[41:42], v43
	v_frexp_exp_i32_f64_e32 v41, v[41:42]
	v_frexp_mant_f32_e32 v42, v43
	v_cmp_gt_f32_e32 vcc_lo, 0x3f2aaaab, v42
	v_add_f32_e32 v42, -1.0, v43
	v_sub_f32_e32 v45, v42, v43
	v_sub_f32_e32 v42, v10, v42
	v_add_f32_e32 v45, 1.0, v45
	v_add_f32_e32 v42, v42, v45
	v_subrev_co_ci_u32_e64 v41, null, 0, v41, vcc_lo
	v_cmp_neq_f32_e32 vcc_lo, 0x7f800000, v10
	v_sub_nc_u32_e32 v44, 0, v41
	v_cvt_f32_i32_e32 v41, v41
	v_ldexp_f32 v43, v43, v44
	v_ldexp_f32 v42, v42, v44
	v_add_f32_e32 v46, 1.0, v43
	v_add_f32_e32 v44, -1.0, v43
	v_add_f32_e32 v45, -1.0, v46
	v_add_f32_e32 v47, 1.0, v44
	v_sub_f32_e32 v45, v43, v45
	v_sub_f32_e32 v43, v43, v47
	v_add_f32_e32 v45, v42, v45
	v_add_f32_e32 v42, v42, v43
	;; [unrolled: 1-line block ×4, first 2 shown]
	v_rcp_f32_e32 v43, v47
	v_sub_f32_e32 v46, v46, v47
	v_sub_f32_e32 v44, v44, v48
	v_add_f32_e32 v45, v45, v46
	v_add_f32_e32 v42, v42, v44
	v_mul_f32_e32 v49, v48, v43
	v_mul_f32_e32 v50, v47, v49
	v_fma_f32 v46, v49, v47, -v50
	v_fmac_f32_e32 v46, v49, v45
	v_add_f32_e32 v51, v50, v46
	v_sub_f32_e32 v52, v48, v51
	v_sub_f32_e32 v44, v51, v50
	;; [unrolled: 1-line block ×5, first 2 shown]
	v_add_f32_e32 v42, v42, v48
	v_add_f32_e32 v42, v44, v42
	;; [unrolled: 1-line block ×3, first 2 shown]
	v_mul_f32_e32 v46, v43, v44
	v_sub_f32_e32 v51, v52, v44
	v_mul_f32_e32 v48, v47, v46
	v_add_f32_e32 v42, v42, v51
	v_fma_f32 v47, v46, v47, -v48
	v_fmac_f32_e32 v47, v46, v45
	v_add_f32_e32 v45, v48, v47
	v_sub_f32_e32 v50, v44, v45
	v_sub_f32_e32 v48, v45, v48
	;; [unrolled: 1-line block ×5, first 2 shown]
	v_add_f32_e32 v42, v42, v44
	v_add_f32_e32 v44, v49, v46
	;; [unrolled: 1-line block ×3, first 2 shown]
	v_sub_f32_e32 v45, v44, v49
	v_add_f32_e32 v42, v50, v42
	v_sub_f32_e32 v45, v46, v45
	v_mul_f32_e32 v42, v43, v42
	v_add_f32_e32 v42, v45, v42
	v_add_f32_e32 v43, v44, v42
	v_mul_f32_e32 v45, v43, v43
	v_fmaak_f32 v46, s16, v45, 0x3ecc95a3
	v_mul_f32_e32 v47, v43, v45
	v_fmaak_f32 v45, v45, v46, 0x3f2aaada
	v_ldexp_f32 v46, v43, 1
	v_sub_f32_e32 v43, v43, v44
	v_mul_f32_e32 v45, v47, v45
	v_mul_f32_e32 v47, 0x3f317218, v41
	v_sub_f32_e32 v42, v42, v43
	v_add_f32_e32 v44, v46, v45
	v_ldexp_f32 v42, v42, 1
	v_sub_f32_e32 v43, v44, v46
	v_fma_f32 v46, 0x3f317218, v41, -v47
	v_sub_f32_e32 v43, v45, v43
	v_fmac_f32_e32 v46, 0xb102e308, v41
	v_add_f32_e32 v41, v42, v43
	v_add_f32_e32 v42, v47, v46
	;; [unrolled: 1-line block ×3, first 2 shown]
	v_sub_f32_e32 v47, v42, v47
	v_add_f32_e32 v45, v42, v43
	v_sub_f32_e32 v44, v43, v44
	v_sub_f32_e32 v46, v46, v47
	;; [unrolled: 1-line block ×6, first 2 shown]
	v_add_f32_e32 v44, v46, v41
	v_sub_f32_e32 v42, v42, v49
	v_add_f32_e32 v42, v43, v42
	v_sub_f32_e32 v43, v44, v46
	;; [unrolled: 2-line block ×3, first 2 shown]
	v_sub_f32_e32 v41, v41, v43
	v_add_f32_e32 v47, v45, v42
	v_sub_f32_e32 v44, v46, v44
	v_sub_f32_e32 v43, v47, v45
	v_add_f32_e32 v41, v41, v44
	v_sub_f32_e32 v42, v42, v43
	v_add_f32_e32 v41, v41, v42
	v_add_f32_e32 v41, v47, v41
	v_cndmask_b32_e32 v41, 0x7f800000, v41, vcc_lo
	v_cmp_gt_f32_e64 vcc_lo, 0x33800000, |v10|
	v_cndmask_b32_e32 v10, v41, v10, vcc_lo
	v_add_f32_e32 v9, v9, v10
	v_cvt_f16_f32_e32 v41, v9
	s_branch .LBB424_113
.LBB424_142:
                                        ; implicit-def: $vgpr7
                                        ; implicit-def: $vgpr25
                                        ; implicit-def: $vgpr26
                                        ; implicit-def: $vgpr9
                                        ; implicit-def: $vgpr17
                                        ; implicit-def: $vgpr10
                                        ; implicit-def: $vgpr18
                                        ; implicit-def: $vgpr11
                                        ; implicit-def: $vgpr19
                                        ; implicit-def: $vgpr15
                                        ; implicit-def: $vgpr20
                                        ; implicit-def: $vgpr16
	s_cbranch_execnz .LBB424_178
	s_branch .LBB424_261
.LBB424_143:
	s_and_saveexec_b32 s16, s15
	s_cbranch_execz .LBB424_147
; %bb.144:
	v_cvt_f32_f16_e32 v7, v37
	v_cvt_f32_f16_e32 v8, v27
	v_cmp_u_f16_e32 vcc_lo, v37, v37
	s_waitcnt lgkmcnt(0)
	v_min_f32_e32 v9, v7, v8
	v_max_f32_e32 v10, v7, v8
	v_cndmask_b32_e32 v9, v9, v7, vcc_lo
	v_cndmask_b32_e32 v7, v10, v7, vcc_lo
	v_cmp_u_f16_e32 vcc_lo, v27, v27
	v_cndmask_b32_e32 v9, v9, v8, vcc_lo
	v_cndmask_b32_e32 v7, v7, v8, vcc_lo
	v_mov_b32_e32 v8, v37
	v_cmp_class_f32_e64 s15, v9, 0x1f8
	v_cmp_neq_f32_e32 vcc_lo, v9, v7
	s_or_b32 s17, vcc_lo, s15
	s_and_saveexec_b32 s15, s17
	s_cbranch_execz .LBB424_146
; %bb.145:
	v_sub_f32_e32 v8, v9, v7
	s_mov_b32 s17, 0x3e9b6dac
	v_mul_f32_e32 v9, 0x3fb8aa3b, v8
	v_cmp_ngt_f32_e32 vcc_lo, 0xc2ce8ed0, v8
	v_fma_f32 v10, 0x3fb8aa3b, v8, -v9
	v_rndne_f32_e32 v11, v9
	v_fmamk_f32 v10, v8, 0x32a5705f, v10
	v_sub_f32_e32 v9, v9, v11
	v_add_f32_e32 v9, v9, v10
	v_cvt_i32_f32_e32 v10, v11
	v_exp_f32_e32 v9, v9
	v_ldexp_f32 v9, v9, v10
	v_cndmask_b32_e32 v9, 0, v9, vcc_lo
	v_cmp_nlt_f32_e32 vcc_lo, 0x42b17218, v8
	v_cndmask_b32_e32 v10, 0x7f800000, v9, vcc_lo
	v_add_f32_e32 v11, 1.0, v10
	v_cvt_f64_f32_e32 v[8:9], v11
	v_frexp_exp_i32_f64_e32 v8, v[8:9]
	v_frexp_mant_f32_e32 v9, v11
	v_cmp_gt_f32_e32 vcc_lo, 0x3f2aaaab, v9
	v_add_f32_e32 v9, -1.0, v11
	v_sub_f32_e32 v28, v9, v11
	v_sub_f32_e32 v9, v10, v9
	v_add_f32_e32 v28, 1.0, v28
	v_add_f32_e32 v9, v9, v28
	v_subrev_co_ci_u32_e64 v8, null, 0, v8, vcc_lo
	v_cmp_neq_f32_e32 vcc_lo, 0x7f800000, v10
	v_sub_nc_u32_e32 v27, 0, v8
	v_cvt_f32_i32_e32 v8, v8
	v_ldexp_f32 v11, v11, v27
	v_ldexp_f32 v9, v9, v27
	v_add_f32_e32 v29, 1.0, v11
	v_add_f32_e32 v27, -1.0, v11
	v_add_f32_e32 v28, -1.0, v29
	v_add_f32_e32 v30, 1.0, v27
	v_sub_f32_e32 v28, v11, v28
	v_sub_f32_e32 v11, v11, v30
	v_add_f32_e32 v28, v9, v28
	v_add_f32_e32 v9, v9, v11
	;; [unrolled: 1-line block ×4, first 2 shown]
	v_rcp_f32_e32 v11, v30
	v_sub_f32_e32 v29, v29, v30
	v_sub_f32_e32 v27, v27, v31
	v_add_f32_e32 v28, v28, v29
	v_add_f32_e32 v9, v9, v27
	v_mul_f32_e32 v32, v31, v11
	v_mul_f32_e32 v33, v30, v32
	v_fma_f32 v29, v32, v30, -v33
	v_fmac_f32_e32 v29, v32, v28
	v_add_f32_e32 v34, v33, v29
	v_sub_f32_e32 v35, v31, v34
	v_sub_f32_e32 v27, v34, v33
	;; [unrolled: 1-line block ×5, first 2 shown]
	v_add_f32_e32 v9, v9, v31
	v_add_f32_e32 v9, v27, v9
	;; [unrolled: 1-line block ×3, first 2 shown]
	v_mul_f32_e32 v29, v11, v27
	v_sub_f32_e32 v34, v35, v27
	v_mul_f32_e32 v31, v30, v29
	v_add_f32_e32 v9, v9, v34
	v_fma_f32 v30, v29, v30, -v31
	v_fmac_f32_e32 v30, v29, v28
	v_add_f32_e32 v28, v31, v30
	v_sub_f32_e32 v33, v27, v28
	v_sub_f32_e32 v31, v28, v31
	v_sub_f32_e32 v27, v27, v33
	v_sub_f32_e32 v27, v27, v28
	v_sub_f32_e32 v28, v31, v30
	v_add_f32_e32 v9, v9, v27
	v_add_f32_e32 v27, v32, v29
	;; [unrolled: 1-line block ×3, first 2 shown]
	v_sub_f32_e32 v28, v27, v32
	v_add_f32_e32 v9, v33, v9
	v_sub_f32_e32 v28, v29, v28
	v_mul_f32_e32 v9, v11, v9
	v_add_f32_e32 v9, v28, v9
	v_add_f32_e32 v11, v27, v9
	v_mul_f32_e32 v28, v11, v11
	v_fmaak_f32 v29, s17, v28, 0x3ecc95a3
	v_mul_f32_e32 v30, v11, v28
	v_fmaak_f32 v28, v28, v29, 0x3f2aaada
	v_ldexp_f32 v29, v11, 1
	v_sub_f32_e32 v11, v11, v27
	v_mul_f32_e32 v28, v30, v28
	v_mul_f32_e32 v30, 0x3f317218, v8
	v_sub_f32_e32 v9, v9, v11
	v_add_f32_e32 v27, v29, v28
	v_ldexp_f32 v9, v9, 1
	v_sub_f32_e32 v11, v27, v29
	v_fma_f32 v29, 0x3f317218, v8, -v30
	v_sub_f32_e32 v11, v28, v11
	v_fmamk_f32 v8, v8, 0xb102e308, v29
	v_add_f32_e32 v9, v9, v11
	v_add_f32_e32 v11, v30, v8
	;; [unrolled: 1-line block ×3, first 2 shown]
	v_sub_f32_e32 v30, v11, v30
	v_add_f32_e32 v29, v11, v28
	v_sub_f32_e32 v27, v28, v27
	v_sub_f32_e32 v8, v8, v30
	;; [unrolled: 1-line block ×6, first 2 shown]
	v_add_f32_e32 v28, v8, v9
	v_sub_f32_e32 v11, v11, v32
	v_add_f32_e32 v11, v27, v11
	v_sub_f32_e32 v27, v28, v8
	;; [unrolled: 2-line block ×3, first 2 shown]
	v_sub_f32_e32 v9, v9, v27
	v_add_f32_e32 v30, v29, v11
	v_sub_f32_e32 v8, v8, v28
	v_sub_f32_e32 v27, v30, v29
	v_add_f32_e32 v8, v9, v8
	v_sub_f32_e32 v9, v11, v27
	v_add_f32_e32 v8, v8, v9
	v_add_f32_e32 v8, v30, v8
	v_cndmask_b32_e32 v8, 0x7f800000, v8, vcc_lo
	v_cmp_gt_f32_e64 vcc_lo, 0x33800000, |v10|
	v_cndmask_b32_e32 v8, v8, v10, vcc_lo
	v_add_f32_e32 v7, v7, v8
	v_cvt_f16_f32_e32 v8, v7
.LBB424_146:
	s_or_b32 exec_lo, exec_lo, s15
	v_mov_b32_e32 v7, 0x20000
	s_add_i32 s38, s35, 32
	s_mov_b32 s39, 0
	v_mov_b32_e32 v9, 0
	s_lshl_b64 s[38:39], s[38:39], 2
	v_or_b32_sdwa v7, v8, v7 dst_sel:DWORD dst_unused:UNUSED_PAD src0_sel:WORD_0 src1_sel:DWORD
	s_add_u32 s38, s18, s38
	s_addc_u32 s39, s19, s39
	global_store_dword v9, v7, s[38:39]
.LBB424_147:
	s_or_b32 exec_lo, exec_lo, s16
	s_and_b32 exec_lo, exec_lo, s2
; %bb.148:
	v_mov_b32_e32 v7, 0
	ds_write_b16 v7, v37
.LBB424_149:
	s_or_b32 exec_lo, exec_lo, s36
	v_mov_b32_e32 v7, 0
	s_waitcnt lgkmcnt(0)
	s_waitcnt_vscnt null, 0x0
	s_barrier
	buffer_gl0_inv
	v_mov_b32_e32 v9, v1
	ds_read_u16 v7, v7
	s_and_saveexec_b32 s15, s1
	s_cbranch_execz .LBB424_153
; %bb.150:
	v_cvt_f32_f16_e32 v9, v26
	v_max_f32_e32 v8, v25, v25
	v_cmp_u_f16_e32 vcc_lo, v26, v26
	v_min_f32_e32 v10, v9, v8
	v_max_f32_e32 v8, v9, v8
	v_cndmask_b32_e32 v10, v10, v9, vcc_lo
	v_cndmask_b32_e32 v8, v8, v9, vcc_lo
	v_cndmask_b32_e64 v10, v10, v25, s14
	v_cndmask_b32_e64 v8, v8, v25, s14
	v_cmp_class_f32_e64 s14, v10, 0x1f8
	v_cmp_neq_f32_e32 vcc_lo, v10, v8
	s_or_b32 s16, vcc_lo, s14
	s_and_saveexec_b32 s14, s16
	s_cbranch_execz .LBB424_152
; %bb.151:
	v_sub_f32_e32 v9, v10, v8
	s_mov_b32 s16, 0x3e9b6dac
	v_mul_f32_e32 v10, 0x3fb8aa3b, v9
	v_cmp_ngt_f32_e32 vcc_lo, 0xc2ce8ed0, v9
	v_fma_f32 v11, 0x3fb8aa3b, v9, -v10
	v_rndne_f32_e32 v25, v10
	v_fmamk_f32 v11, v9, 0x32a5705f, v11
	v_sub_f32_e32 v10, v10, v25
	v_add_f32_e32 v10, v10, v11
	v_cvt_i32_f32_e32 v11, v25
	v_exp_f32_e32 v10, v10
	v_ldexp_f32 v10, v10, v11
	v_cndmask_b32_e32 v10, 0, v10, vcc_lo
	v_cmp_nlt_f32_e32 vcc_lo, 0x42b17218, v9
	v_cndmask_b32_e32 v11, 0x7f800000, v10, vcc_lo
	v_add_f32_e32 v25, 1.0, v11
	v_cvt_f64_f32_e32 v[9:10], v25
	v_frexp_exp_i32_f64_e32 v9, v[9:10]
	v_frexp_mant_f32_e32 v10, v25
	v_cmp_gt_f32_e32 vcc_lo, 0x3f2aaaab, v10
	v_add_f32_e32 v10, -1.0, v25
	v_sub_f32_e32 v27, v10, v25
	v_sub_f32_e32 v10, v11, v10
	v_add_f32_e32 v27, 1.0, v27
	v_add_f32_e32 v10, v10, v27
	v_subrev_co_ci_u32_e64 v9, null, 0, v9, vcc_lo
	v_cmp_neq_f32_e32 vcc_lo, 0x7f800000, v11
	v_sub_nc_u32_e32 v26, 0, v9
	v_cvt_f32_i32_e32 v9, v9
	v_ldexp_f32 v25, v25, v26
	v_ldexp_f32 v10, v10, v26
	v_add_f32_e32 v28, 1.0, v25
	v_add_f32_e32 v26, -1.0, v25
	v_add_f32_e32 v27, -1.0, v28
	v_add_f32_e32 v29, 1.0, v26
	v_sub_f32_e32 v27, v25, v27
	v_sub_f32_e32 v25, v25, v29
	v_add_f32_e32 v27, v10, v27
	v_add_f32_e32 v10, v10, v25
	;; [unrolled: 1-line block ×4, first 2 shown]
	v_rcp_f32_e32 v25, v29
	v_sub_f32_e32 v28, v28, v29
	v_sub_f32_e32 v26, v26, v30
	v_add_f32_e32 v27, v27, v28
	v_add_f32_e32 v10, v10, v26
	v_mul_f32_e32 v31, v30, v25
	v_mul_f32_e32 v32, v29, v31
	v_fma_f32 v28, v31, v29, -v32
	v_fmac_f32_e32 v28, v31, v27
	v_add_f32_e32 v33, v32, v28
	v_sub_f32_e32 v34, v30, v33
	v_sub_f32_e32 v26, v33, v32
	;; [unrolled: 1-line block ×5, first 2 shown]
	v_add_f32_e32 v10, v10, v30
	v_add_f32_e32 v10, v26, v10
	;; [unrolled: 1-line block ×3, first 2 shown]
	v_mul_f32_e32 v28, v25, v26
	v_sub_f32_e32 v33, v34, v26
	v_mul_f32_e32 v30, v29, v28
	v_add_f32_e32 v10, v10, v33
	v_fma_f32 v29, v28, v29, -v30
	v_fmac_f32_e32 v29, v28, v27
	v_add_f32_e32 v27, v30, v29
	v_sub_f32_e32 v32, v26, v27
	v_sub_f32_e32 v30, v27, v30
	;; [unrolled: 1-line block ×5, first 2 shown]
	v_add_f32_e32 v10, v10, v26
	v_add_f32_e32 v26, v31, v28
	;; [unrolled: 1-line block ×3, first 2 shown]
	v_sub_f32_e32 v27, v26, v31
	v_add_f32_e32 v10, v32, v10
	v_sub_f32_e32 v27, v28, v27
	v_mul_f32_e32 v10, v25, v10
	v_add_f32_e32 v10, v27, v10
	v_add_f32_e32 v25, v26, v10
	v_mul_f32_e32 v27, v25, v25
	v_fmaak_f32 v28, s16, v27, 0x3ecc95a3
	v_mul_f32_e32 v29, v25, v27
	v_fmaak_f32 v27, v27, v28, 0x3f2aaada
	v_ldexp_f32 v28, v25, 1
	v_sub_f32_e32 v25, v25, v26
	v_mul_f32_e32 v27, v29, v27
	v_mul_f32_e32 v29, 0x3f317218, v9
	v_sub_f32_e32 v10, v10, v25
	v_add_f32_e32 v26, v28, v27
	v_ldexp_f32 v10, v10, 1
	v_sub_f32_e32 v25, v26, v28
	v_fma_f32 v28, 0x3f317218, v9, -v29
	v_sub_f32_e32 v25, v27, v25
	v_fmamk_f32 v9, v9, 0xb102e308, v28
	v_add_f32_e32 v10, v10, v25
	v_add_f32_e32 v25, v29, v9
	v_add_f32_e32 v27, v26, v10
	v_sub_f32_e32 v29, v25, v29
	v_add_f32_e32 v28, v25, v27
	v_sub_f32_e32 v26, v27, v26
	v_sub_f32_e32 v9, v9, v29
	;; [unrolled: 1-line block ×6, first 2 shown]
	v_add_f32_e32 v27, v9, v10
	v_sub_f32_e32 v25, v25, v31
	v_add_f32_e32 v25, v26, v25
	v_sub_f32_e32 v26, v27, v9
	;; [unrolled: 2-line block ×3, first 2 shown]
	v_sub_f32_e32 v10, v10, v26
	v_add_f32_e32 v29, v28, v25
	v_sub_f32_e32 v9, v9, v27
	v_sub_f32_e32 v26, v29, v28
	v_add_f32_e32 v9, v10, v9
	v_sub_f32_e32 v10, v25, v26
	v_add_f32_e32 v9, v9, v10
	v_add_f32_e32 v9, v29, v9
	v_cndmask_b32_e32 v9, 0x7f800000, v9, vcc_lo
	v_cmp_gt_f32_e64 vcc_lo, 0x33800000, |v11|
	v_cndmask_b32_e32 v9, v9, v11, vcc_lo
	v_add_f32_e32 v8, v8, v9
	v_cvt_f16_f32_e32 v26, v8
	v_cvt_f32_f16_e32 v9, v26
.LBB424_152:
	s_or_b32 exec_lo, exec_lo, s14
	v_mov_b32_e32 v25, v9
	v_mov_b32_e32 v9, v26
.LBB424_153:
	s_or_b32 exec_lo, exec_lo, s15
	s_waitcnt lgkmcnt(0)
	v_cvt_f32_f16_e32 v8, v7
	v_max_f32_e32 v10, v25, v25
	v_cmp_u_f16_e32 vcc_lo, v7, v7
	v_min_f32_e32 v11, v8, v10
	v_max_f32_e32 v10, v8, v10
	v_cndmask_b32_e32 v11, v11, v8, vcc_lo
	v_cndmask_b32_e32 v26, v10, v8, vcc_lo
	v_cmp_u_f16_e32 vcc_lo, v9, v9
	v_cndmask_b32_e32 v10, v11, v25, vcc_lo
	v_cndmask_b32_e32 v9, v26, v25, vcc_lo
	v_cmp_class_f32_e64 s14, v10, 0x1f8
	v_cmp_neq_f32_e32 vcc_lo, v10, v9
	s_or_b32 s15, vcc_lo, s14
	s_and_saveexec_b32 s14, s15
	s_cbranch_execz .LBB424_155
; %bb.154:
	v_sub_f32_e32 v7, v10, v9
	s_mov_b32 s15, 0x3e9b6dac
	v_mul_f32_e32 v8, 0x3fb8aa3b, v7
	v_cmp_ngt_f32_e32 vcc_lo, 0xc2ce8ed0, v7
	v_fma_f32 v10, 0x3fb8aa3b, v7, -v8
	v_rndne_f32_e32 v11, v8
	v_fmamk_f32 v10, v7, 0x32a5705f, v10
	v_sub_f32_e32 v8, v8, v11
	v_add_f32_e32 v8, v8, v10
	v_cvt_i32_f32_e32 v10, v11
	v_exp_f32_e32 v8, v8
	v_ldexp_f32 v8, v8, v10
	v_cndmask_b32_e32 v8, 0, v8, vcc_lo
	v_cmp_nlt_f32_e32 vcc_lo, 0x42b17218, v7
	v_cndmask_b32_e32 v10, 0x7f800000, v8, vcc_lo
	v_add_f32_e32 v11, 1.0, v10
	v_cvt_f64_f32_e32 v[7:8], v11
	v_frexp_exp_i32_f64_e32 v7, v[7:8]
	v_frexp_mant_f32_e32 v8, v11
	v_cmp_gt_f32_e32 vcc_lo, 0x3f2aaaab, v8
	v_add_f32_e32 v8, -1.0, v11
	v_sub_f32_e32 v26, v8, v11
	v_sub_f32_e32 v8, v10, v8
	v_add_f32_e32 v26, 1.0, v26
	v_add_f32_e32 v8, v8, v26
	v_subrev_co_ci_u32_e64 v7, null, 0, v7, vcc_lo
	v_cmp_neq_f32_e32 vcc_lo, 0x7f800000, v10
	v_sub_nc_u32_e32 v25, 0, v7
	v_cvt_f32_i32_e32 v7, v7
	v_ldexp_f32 v11, v11, v25
	v_ldexp_f32 v8, v8, v25
	v_add_f32_e32 v27, 1.0, v11
	v_add_f32_e32 v25, -1.0, v11
	v_add_f32_e32 v26, -1.0, v27
	v_add_f32_e32 v28, 1.0, v25
	v_sub_f32_e32 v26, v11, v26
	v_sub_f32_e32 v11, v11, v28
	v_add_f32_e32 v26, v8, v26
	v_add_f32_e32 v8, v8, v11
	;; [unrolled: 1-line block ×4, first 2 shown]
	v_rcp_f32_e32 v11, v28
	v_sub_f32_e32 v27, v27, v28
	v_sub_f32_e32 v25, v25, v29
	v_add_f32_e32 v26, v26, v27
	v_add_f32_e32 v8, v8, v25
	v_mul_f32_e32 v30, v29, v11
	v_mul_f32_e32 v31, v28, v30
	v_fma_f32 v27, v30, v28, -v31
	v_fmac_f32_e32 v27, v30, v26
	v_add_f32_e32 v32, v31, v27
	v_sub_f32_e32 v33, v29, v32
	v_sub_f32_e32 v25, v32, v31
	v_sub_f32_e32 v29, v29, v33
	v_sub_f32_e32 v25, v25, v27
	v_sub_f32_e32 v29, v29, v32
	v_add_f32_e32 v8, v8, v29
	v_add_f32_e32 v8, v25, v8
	;; [unrolled: 1-line block ×3, first 2 shown]
	v_mul_f32_e32 v27, v11, v25
	v_sub_f32_e32 v32, v33, v25
	v_mul_f32_e32 v29, v28, v27
	v_add_f32_e32 v8, v8, v32
	v_fma_f32 v28, v27, v28, -v29
	v_fmac_f32_e32 v28, v27, v26
	v_add_f32_e32 v26, v29, v28
	v_sub_f32_e32 v31, v25, v26
	v_sub_f32_e32 v29, v26, v29
	v_sub_f32_e32 v25, v25, v31
	v_sub_f32_e32 v25, v25, v26
	v_sub_f32_e32 v26, v29, v28
	v_add_f32_e32 v8, v8, v25
	v_add_f32_e32 v25, v30, v27
	;; [unrolled: 1-line block ×3, first 2 shown]
	v_sub_f32_e32 v26, v25, v30
	v_add_f32_e32 v8, v31, v8
	v_sub_f32_e32 v26, v27, v26
	v_mul_f32_e32 v8, v11, v8
	v_add_f32_e32 v8, v26, v8
	v_add_f32_e32 v11, v25, v8
	v_mul_f32_e32 v26, v11, v11
	v_fmaak_f32 v27, s15, v26, 0x3ecc95a3
	v_mul_f32_e32 v28, v11, v26
	v_fmaak_f32 v26, v26, v27, 0x3f2aaada
	v_ldexp_f32 v27, v11, 1
	v_sub_f32_e32 v11, v11, v25
	v_mul_f32_e32 v26, v28, v26
	v_mul_f32_e32 v28, 0x3f317218, v7
	v_sub_f32_e32 v8, v8, v11
	v_add_f32_e32 v25, v27, v26
	v_ldexp_f32 v8, v8, 1
	v_sub_f32_e32 v11, v25, v27
	v_fma_f32 v27, 0x3f317218, v7, -v28
	v_sub_f32_e32 v11, v26, v11
	v_fmamk_f32 v7, v7, 0xb102e308, v27
	v_add_f32_e32 v8, v8, v11
	v_add_f32_e32 v11, v28, v7
	;; [unrolled: 1-line block ×3, first 2 shown]
	v_sub_f32_e32 v28, v11, v28
	v_add_f32_e32 v27, v11, v26
	v_sub_f32_e32 v25, v26, v25
	v_sub_f32_e32 v7, v7, v28
	;; [unrolled: 1-line block ×6, first 2 shown]
	v_add_f32_e32 v26, v7, v8
	v_sub_f32_e32 v11, v11, v30
	v_add_f32_e32 v11, v25, v11
	v_sub_f32_e32 v25, v26, v7
	;; [unrolled: 2-line block ×3, first 2 shown]
	v_sub_f32_e32 v8, v8, v25
	v_add_f32_e32 v28, v27, v11
	v_sub_f32_e32 v7, v7, v26
	v_sub_f32_e32 v25, v28, v27
	v_add_f32_e32 v7, v8, v7
	v_sub_f32_e32 v8, v11, v25
	v_add_f32_e32 v7, v7, v8
	v_add_f32_e32 v7, v28, v7
	v_cndmask_b32_e32 v7, 0x7f800000, v7, vcc_lo
	v_cmp_gt_f32_e64 vcc_lo, 0x33800000, |v10|
	v_cndmask_b32_e32 v7, v7, v10, vcc_lo
	v_add_f32_e32 v7, v9, v7
	v_cvt_f16_f32_e32 v7, v7
	v_cvt_f32_f16_e32 v8, v7
.LBB424_155:
	s_or_b32 exec_lo, exec_lo, s14
	v_max_f32_e32 v9, v14, v14
	v_max_f32_e32 v10, v8, v8
	v_cmp_u_f16_e32 vcc_lo, v7, v7
	v_mov_b32_e32 v27, v7
	v_mov_b32_e32 v25, v7
	v_min_f32_e32 v11, v10, v9
	v_max_f32_e32 v9, v10, v9
	v_cndmask_b32_e32 v10, v11, v8, vcc_lo
	v_cndmask_b32_e32 v9, v9, v8, vcc_lo
	v_cndmask_b32_e64 v10, v10, v14, s3
	v_cndmask_b32_e64 v9, v9, v14, s3
	v_cmp_class_f32_e64 s3, v10, 0x1f8
	v_cmp_neq_f32_e32 vcc_lo, v10, v9
	s_or_b32 s14, vcc_lo, s3
	s_and_saveexec_b32 s3, s14
	s_cbranch_execz .LBB424_157
; %bb.156:
	v_sub_f32_e32 v8, v10, v9
	s_mov_b32 s14, 0x3e9b6dac
	v_mul_f32_e32 v10, 0x3fb8aa3b, v8
	v_cmp_ngt_f32_e32 vcc_lo, 0xc2ce8ed0, v8
	v_fma_f32 v11, 0x3fb8aa3b, v8, -v10
	v_rndne_f32_e32 v25, v10
	v_fmamk_f32 v11, v8, 0x32a5705f, v11
	v_sub_f32_e32 v10, v10, v25
	v_add_f32_e32 v10, v10, v11
	v_cvt_i32_f32_e32 v11, v25
	v_exp_f32_e32 v10, v10
	v_ldexp_f32 v10, v10, v11
	v_cndmask_b32_e32 v10, 0, v10, vcc_lo
	v_cmp_nlt_f32_e32 vcc_lo, 0x42b17218, v8
	v_cndmask_b32_e32 v8, 0x7f800000, v10, vcc_lo
	v_add_f32_e32 v25, 1.0, v8
	v_cvt_f64_f32_e32 v[10:11], v25
	v_frexp_exp_i32_f64_e32 v10, v[10:11]
	v_frexp_mant_f32_e32 v11, v25
	v_cmp_gt_f32_e32 vcc_lo, 0x3f2aaaab, v11
	v_add_f32_e32 v11, -1.0, v25
	v_sub_f32_e32 v27, v11, v25
	v_sub_f32_e32 v11, v8, v11
	v_add_f32_e32 v27, 1.0, v27
	v_add_f32_e32 v11, v11, v27
	v_subrev_co_ci_u32_e64 v10, null, 0, v10, vcc_lo
	v_cmp_neq_f32_e32 vcc_lo, 0x7f800000, v8
	v_sub_nc_u32_e32 v26, 0, v10
	v_cvt_f32_i32_e32 v10, v10
	v_ldexp_f32 v25, v25, v26
	v_ldexp_f32 v11, v11, v26
	v_add_f32_e32 v28, 1.0, v25
	v_add_f32_e32 v26, -1.0, v25
	v_add_f32_e32 v27, -1.0, v28
	v_add_f32_e32 v29, 1.0, v26
	v_sub_f32_e32 v27, v25, v27
	v_sub_f32_e32 v25, v25, v29
	v_add_f32_e32 v27, v11, v27
	v_add_f32_e32 v11, v11, v25
	;; [unrolled: 1-line block ×4, first 2 shown]
	v_rcp_f32_e32 v25, v29
	v_sub_f32_e32 v28, v28, v29
	v_sub_f32_e32 v26, v26, v30
	v_add_f32_e32 v27, v27, v28
	v_add_f32_e32 v11, v11, v26
	v_mul_f32_e32 v31, v30, v25
	v_mul_f32_e32 v32, v29, v31
	v_fma_f32 v28, v31, v29, -v32
	v_fmac_f32_e32 v28, v31, v27
	v_add_f32_e32 v33, v32, v28
	v_sub_f32_e32 v34, v30, v33
	v_sub_f32_e32 v26, v33, v32
	;; [unrolled: 1-line block ×5, first 2 shown]
	v_add_f32_e32 v11, v11, v30
	v_add_f32_e32 v11, v26, v11
	;; [unrolled: 1-line block ×3, first 2 shown]
	v_mul_f32_e32 v28, v25, v26
	v_sub_f32_e32 v33, v34, v26
	v_mul_f32_e32 v30, v29, v28
	v_add_f32_e32 v11, v11, v33
	v_fma_f32 v29, v28, v29, -v30
	v_fmac_f32_e32 v29, v28, v27
	v_add_f32_e32 v27, v30, v29
	v_sub_f32_e32 v32, v26, v27
	v_sub_f32_e32 v30, v27, v30
	;; [unrolled: 1-line block ×5, first 2 shown]
	v_add_f32_e32 v11, v11, v26
	v_add_f32_e32 v26, v31, v28
	;; [unrolled: 1-line block ×3, first 2 shown]
	v_sub_f32_e32 v27, v26, v31
	v_add_f32_e32 v11, v32, v11
	v_sub_f32_e32 v27, v28, v27
	v_mul_f32_e32 v11, v25, v11
	v_add_f32_e32 v11, v27, v11
	v_add_f32_e32 v25, v26, v11
	v_mul_f32_e32 v27, v25, v25
	v_fmaak_f32 v28, s14, v27, 0x3ecc95a3
	v_mul_f32_e32 v29, v25, v27
	v_fmaak_f32 v27, v27, v28, 0x3f2aaada
	v_ldexp_f32 v28, v25, 1
	v_sub_f32_e32 v25, v25, v26
	v_mul_f32_e32 v27, v29, v27
	v_mul_f32_e32 v29, 0x3f317218, v10
	v_sub_f32_e32 v11, v11, v25
	v_add_f32_e32 v26, v28, v27
	v_ldexp_f32 v11, v11, 1
	v_sub_f32_e32 v25, v26, v28
	v_fma_f32 v28, 0x3f317218, v10, -v29
	v_sub_f32_e32 v25, v27, v25
	v_fmamk_f32 v10, v10, 0xb102e308, v28
	v_add_f32_e32 v11, v11, v25
	v_add_f32_e32 v25, v29, v10
	;; [unrolled: 1-line block ×3, first 2 shown]
	v_sub_f32_e32 v29, v25, v29
	v_add_f32_e32 v28, v25, v27
	v_sub_f32_e32 v26, v27, v26
	v_sub_f32_e32 v10, v10, v29
	;; [unrolled: 1-line block ×6, first 2 shown]
	v_add_f32_e32 v27, v10, v11
	v_sub_f32_e32 v25, v25, v31
	v_add_f32_e32 v25, v26, v25
	v_sub_f32_e32 v26, v27, v10
	;; [unrolled: 2-line block ×3, first 2 shown]
	v_sub_f32_e32 v11, v11, v26
	v_add_f32_e32 v29, v28, v25
	v_sub_f32_e32 v10, v10, v27
	v_sub_f32_e32 v26, v29, v28
	v_add_f32_e32 v10, v11, v10
	v_sub_f32_e32 v11, v25, v26
	v_add_f32_e32 v10, v10, v11
	v_add_f32_e32 v10, v29, v10
	v_cndmask_b32_e32 v10, 0x7f800000, v10, vcc_lo
	v_cmp_gt_f32_e64 vcc_lo, 0x33800000, |v8|
	v_cndmask_b32_e32 v8, v10, v8, vcc_lo
	v_add_f32_e32 v8, v9, v8
	v_cvt_f16_f32_e32 v27, v8
	v_cvt_f32_f16_e32 v8, v27
	v_mov_b32_e32 v25, v27
.LBB424_157:
	s_or_b32 exec_lo, exec_lo, s3
	v_max_f32_e32 v9, v15, v15
	v_max_f32_e32 v10, v8, v8
	v_cmp_u_f16_e32 vcc_lo, v27, v27
	v_mov_b32_e32 v26, v25
	v_min_f32_e32 v11, v10, v9
	v_max_f32_e32 v9, v10, v9
	v_cndmask_b32_e32 v10, v11, v8, vcc_lo
	v_cndmask_b32_e32 v9, v9, v8, vcc_lo
	v_cndmask_b32_e64 v10, v10, v15, s4
	v_cndmask_b32_e64 v9, v9, v15, s4
	v_cmp_class_f32_e64 s3, v10, 0x1f8
	v_cmp_neq_f32_e32 vcc_lo, v10, v9
	s_or_b32 s4, vcc_lo, s3
	s_and_saveexec_b32 s3, s4
	s_cbranch_execz .LBB424_159
; %bb.158:
	v_sub_f32_e32 v8, v10, v9
	s_mov_b32 s4, 0x3e9b6dac
	v_mul_f32_e32 v10, 0x3fb8aa3b, v8
	v_cmp_ngt_f32_e32 vcc_lo, 0xc2ce8ed0, v8
	v_fma_f32 v11, 0x3fb8aa3b, v8, -v10
	v_rndne_f32_e32 v15, v10
	v_fmamk_f32 v11, v8, 0x32a5705f, v11
	v_sub_f32_e32 v10, v10, v15
	v_add_f32_e32 v10, v10, v11
	v_cvt_i32_f32_e32 v11, v15
	v_exp_f32_e32 v10, v10
	v_ldexp_f32 v10, v10, v11
	v_cndmask_b32_e32 v10, 0, v10, vcc_lo
	v_cmp_nlt_f32_e32 vcc_lo, 0x42b17218, v8
	v_cndmask_b32_e32 v8, 0x7f800000, v10, vcc_lo
	v_add_f32_e32 v15, 1.0, v8
	v_cvt_f64_f32_e32 v[10:11], v15
	v_frexp_exp_i32_f64_e32 v10, v[10:11]
	v_frexp_mant_f32_e32 v11, v15
	v_cmp_gt_f32_e32 vcc_lo, 0x3f2aaaab, v11
	v_add_f32_e32 v11, -1.0, v15
	v_sub_f32_e32 v27, v11, v15
	v_sub_f32_e32 v11, v8, v11
	v_add_f32_e32 v27, 1.0, v27
	v_add_f32_e32 v11, v11, v27
	v_subrev_co_ci_u32_e64 v10, null, 0, v10, vcc_lo
	v_cmp_neq_f32_e32 vcc_lo, 0x7f800000, v8
	v_sub_nc_u32_e32 v26, 0, v10
	v_cvt_f32_i32_e32 v10, v10
	v_ldexp_f32 v15, v15, v26
	v_ldexp_f32 v11, v11, v26
	v_add_f32_e32 v28, 1.0, v15
	v_add_f32_e32 v26, -1.0, v15
	v_add_f32_e32 v27, -1.0, v28
	v_add_f32_e32 v29, 1.0, v26
	v_sub_f32_e32 v27, v15, v27
	v_sub_f32_e32 v15, v15, v29
	v_add_f32_e32 v27, v11, v27
	v_add_f32_e32 v11, v11, v15
	;; [unrolled: 1-line block ×4, first 2 shown]
	v_rcp_f32_e32 v15, v29
	v_sub_f32_e32 v28, v28, v29
	v_sub_f32_e32 v26, v26, v30
	v_add_f32_e32 v27, v27, v28
	v_add_f32_e32 v11, v11, v26
	v_mul_f32_e32 v31, v30, v15
	v_mul_f32_e32 v32, v29, v31
	v_fma_f32 v28, v31, v29, -v32
	v_fmac_f32_e32 v28, v31, v27
	v_add_f32_e32 v33, v32, v28
	v_sub_f32_e32 v34, v30, v33
	v_sub_f32_e32 v26, v33, v32
	;; [unrolled: 1-line block ×5, first 2 shown]
	v_add_f32_e32 v11, v11, v30
	v_add_f32_e32 v11, v26, v11
	;; [unrolled: 1-line block ×3, first 2 shown]
	v_mul_f32_e32 v28, v15, v26
	v_sub_f32_e32 v33, v34, v26
	v_mul_f32_e32 v30, v29, v28
	v_add_f32_e32 v11, v11, v33
	v_fma_f32 v29, v28, v29, -v30
	v_fmac_f32_e32 v29, v28, v27
	v_add_f32_e32 v27, v30, v29
	v_sub_f32_e32 v32, v26, v27
	v_sub_f32_e32 v30, v27, v30
	;; [unrolled: 1-line block ×5, first 2 shown]
	v_add_f32_e32 v11, v11, v26
	v_add_f32_e32 v26, v31, v28
	;; [unrolled: 1-line block ×3, first 2 shown]
	v_sub_f32_e32 v27, v26, v31
	v_add_f32_e32 v11, v32, v11
	v_sub_f32_e32 v27, v28, v27
	v_mul_f32_e32 v11, v15, v11
	v_add_f32_e32 v11, v27, v11
	v_add_f32_e32 v15, v26, v11
	v_mul_f32_e32 v27, v15, v15
	v_fmaak_f32 v28, s4, v27, 0x3ecc95a3
	v_mul_f32_e32 v29, v15, v27
	v_fmaak_f32 v27, v27, v28, 0x3f2aaada
	v_ldexp_f32 v28, v15, 1
	v_sub_f32_e32 v15, v15, v26
	v_mul_f32_e32 v27, v29, v27
	v_mul_f32_e32 v29, 0x3f317218, v10
	v_sub_f32_e32 v11, v11, v15
	v_add_f32_e32 v26, v28, v27
	v_ldexp_f32 v11, v11, 1
	v_sub_f32_e32 v15, v26, v28
	v_fma_f32 v28, 0x3f317218, v10, -v29
	v_sub_f32_e32 v15, v27, v15
	v_fmamk_f32 v10, v10, 0xb102e308, v28
	v_add_f32_e32 v11, v11, v15
	v_add_f32_e32 v15, v29, v10
	;; [unrolled: 1-line block ×3, first 2 shown]
	v_sub_f32_e32 v29, v15, v29
	v_add_f32_e32 v28, v15, v27
	v_sub_f32_e32 v26, v27, v26
	v_sub_f32_e32 v10, v10, v29
	;; [unrolled: 1-line block ×6, first 2 shown]
	v_add_f32_e32 v27, v10, v11
	v_sub_f32_e32 v15, v15, v31
	v_add_f32_e32 v15, v26, v15
	v_sub_f32_e32 v26, v27, v10
	;; [unrolled: 2-line block ×3, first 2 shown]
	v_sub_f32_e32 v11, v11, v26
	v_add_f32_e32 v29, v28, v15
	v_sub_f32_e32 v10, v10, v27
	v_sub_f32_e32 v26, v29, v28
	v_add_f32_e32 v10, v11, v10
	v_sub_f32_e32 v11, v15, v26
	v_add_f32_e32 v10, v10, v11
	v_add_f32_e32 v10, v29, v10
	v_cndmask_b32_e32 v10, 0x7f800000, v10, vcc_lo
	v_cmp_gt_f32_e64 vcc_lo, 0x33800000, |v8|
	v_cndmask_b32_e32 v8, v10, v8, vcc_lo
	v_add_f32_e32 v8, v9, v8
	v_cvt_f16_f32_e32 v27, v8
	v_cvt_f32_f16_e32 v8, v27
	v_mov_b32_e32 v26, v27
.LBB424_159:
	s_or_b32 exec_lo, exec_lo, s3
	v_max_f32_e32 v9, v16, v16
	v_max_f32_e32 v10, v8, v8
	v_cmp_u_f16_e32 vcc_lo, v27, v27
	v_min_f32_e32 v11, v10, v9
	v_max_f32_e32 v9, v10, v9
	v_cndmask_b32_e32 v10, v11, v8, vcc_lo
	v_cndmask_b32_e32 v9, v9, v8, vcc_lo
	v_cndmask_b32_e64 v11, v10, v16, s5
	v_cndmask_b32_e64 v10, v9, v16, s5
	v_mov_b32_e32 v9, v26
	v_cmp_class_f32_e64 s3, v11, 0x1f8
	v_cmp_neq_f32_e32 vcc_lo, v11, v10
	s_or_b32 s4, vcc_lo, s3
	s_and_saveexec_b32 s3, s4
	s_cbranch_execz .LBB424_161
; %bb.160:
	v_sub_f32_e32 v8, v11, v10
	s_mov_b32 s4, 0x3e9b6dac
	v_mul_f32_e32 v9, 0x3fb8aa3b, v8
	v_cmp_ngt_f32_e32 vcc_lo, 0xc2ce8ed0, v8
	v_fma_f32 v11, 0x3fb8aa3b, v8, -v9
	v_rndne_f32_e32 v15, v9
	v_fmamk_f32 v11, v8, 0x32a5705f, v11
	v_sub_f32_e32 v9, v9, v15
	v_add_f32_e32 v9, v9, v11
	v_cvt_i32_f32_e32 v11, v15
	v_exp_f32_e32 v9, v9
	v_ldexp_f32 v9, v9, v11
	v_cndmask_b32_e32 v9, 0, v9, vcc_lo
	v_cmp_nlt_f32_e32 vcc_lo, 0x42b17218, v8
	v_cndmask_b32_e32 v11, 0x7f800000, v9, vcc_lo
	v_add_f32_e32 v15, 1.0, v11
	v_cvt_f64_f32_e32 v[8:9], v15
	v_frexp_exp_i32_f64_e32 v8, v[8:9]
	v_frexp_mant_f32_e32 v9, v15
	v_cmp_gt_f32_e32 vcc_lo, 0x3f2aaaab, v9
	v_add_f32_e32 v9, -1.0, v15
	v_sub_f32_e32 v27, v9, v15
	v_sub_f32_e32 v9, v11, v9
	v_add_f32_e32 v27, 1.0, v27
	v_add_f32_e32 v9, v9, v27
	v_subrev_co_ci_u32_e64 v8, null, 0, v8, vcc_lo
	v_cmp_neq_f32_e32 vcc_lo, 0x7f800000, v11
	v_sub_nc_u32_e32 v16, 0, v8
	v_cvt_f32_i32_e32 v8, v8
	v_ldexp_f32 v15, v15, v16
	v_ldexp_f32 v9, v9, v16
	v_add_f32_e32 v28, 1.0, v15
	v_add_f32_e32 v16, -1.0, v15
	v_add_f32_e32 v27, -1.0, v28
	v_add_f32_e32 v29, 1.0, v16
	v_sub_f32_e32 v27, v15, v27
	v_sub_f32_e32 v15, v15, v29
	v_add_f32_e32 v27, v9, v27
	v_add_f32_e32 v9, v9, v15
	;; [unrolled: 1-line block ×4, first 2 shown]
	v_rcp_f32_e32 v15, v29
	v_sub_f32_e32 v28, v28, v29
	v_sub_f32_e32 v16, v16, v30
	v_add_f32_e32 v27, v27, v28
	v_add_f32_e32 v9, v9, v16
	v_mul_f32_e32 v31, v30, v15
	v_mul_f32_e32 v32, v29, v31
	v_fma_f32 v28, v31, v29, -v32
	v_fmac_f32_e32 v28, v31, v27
	v_add_f32_e32 v33, v32, v28
	v_sub_f32_e32 v34, v30, v33
	v_sub_f32_e32 v16, v33, v32
	;; [unrolled: 1-line block ×5, first 2 shown]
	v_add_f32_e32 v9, v9, v30
	v_add_f32_e32 v9, v16, v9
	;; [unrolled: 1-line block ×3, first 2 shown]
	v_mul_f32_e32 v28, v15, v16
	v_sub_f32_e32 v33, v34, v16
	v_mul_f32_e32 v30, v29, v28
	v_add_f32_e32 v9, v9, v33
	v_fma_f32 v29, v28, v29, -v30
	v_fmac_f32_e32 v29, v28, v27
	v_add_f32_e32 v27, v30, v29
	v_sub_f32_e32 v32, v16, v27
	v_sub_f32_e32 v30, v27, v30
	;; [unrolled: 1-line block ×5, first 2 shown]
	v_add_f32_e32 v9, v9, v16
	v_add_f32_e32 v16, v31, v28
	;; [unrolled: 1-line block ×3, first 2 shown]
	v_sub_f32_e32 v27, v16, v31
	v_add_f32_e32 v9, v32, v9
	v_sub_f32_e32 v27, v28, v27
	v_mul_f32_e32 v9, v15, v9
	v_add_f32_e32 v9, v27, v9
	v_add_f32_e32 v15, v16, v9
	v_mul_f32_e32 v27, v15, v15
	v_fmaak_f32 v28, s4, v27, 0x3ecc95a3
	v_mul_f32_e32 v29, v15, v27
	v_fmaak_f32 v27, v27, v28, 0x3f2aaada
	v_ldexp_f32 v28, v15, 1
	v_sub_f32_e32 v15, v15, v16
	v_mul_f32_e32 v27, v29, v27
	v_mul_f32_e32 v29, 0x3f317218, v8
	v_sub_f32_e32 v9, v9, v15
	v_add_f32_e32 v16, v28, v27
	v_ldexp_f32 v9, v9, 1
	v_sub_f32_e32 v15, v16, v28
	v_fma_f32 v28, 0x3f317218, v8, -v29
	v_sub_f32_e32 v15, v27, v15
	v_fmamk_f32 v8, v8, 0xb102e308, v28
	v_add_f32_e32 v9, v9, v15
	v_add_f32_e32 v15, v29, v8
	;; [unrolled: 1-line block ×3, first 2 shown]
	v_sub_f32_e32 v29, v15, v29
	v_add_f32_e32 v28, v15, v27
	v_sub_f32_e32 v16, v27, v16
	v_sub_f32_e32 v8, v8, v29
	;; [unrolled: 1-line block ×6, first 2 shown]
	v_add_f32_e32 v27, v8, v9
	v_sub_f32_e32 v15, v15, v31
	v_add_f32_e32 v15, v16, v15
	v_sub_f32_e32 v16, v27, v8
	;; [unrolled: 2-line block ×3, first 2 shown]
	v_sub_f32_e32 v9, v9, v16
	v_add_f32_e32 v29, v28, v15
	v_sub_f32_e32 v8, v8, v27
	v_sub_f32_e32 v16, v29, v28
	v_add_f32_e32 v8, v9, v8
	v_sub_f32_e32 v9, v15, v16
	v_add_f32_e32 v8, v8, v9
	v_add_f32_e32 v8, v29, v8
	v_cndmask_b32_e32 v8, 0x7f800000, v8, vcc_lo
	v_cmp_gt_f32_e64 vcc_lo, 0x33800000, |v11|
	v_cndmask_b32_e32 v8, v8, v11, vcc_lo
	v_add_f32_e32 v8, v10, v8
	v_cvt_f16_f32_e32 v27, v8
	v_cvt_f32_f16_e32 v8, v27
	v_mov_b32_e32 v9, v27
.LBB424_161:
	s_or_b32 exec_lo, exec_lo, s3
	v_max_f32_e32 v10, v17, v17
	v_max_f32_e32 v11, v8, v8
	v_cmp_u_f16_e32 vcc_lo, v27, v27
	v_min_f32_e32 v15, v11, v10
	v_max_f32_e32 v10, v11, v10
	v_cndmask_b32_e32 v11, v15, v8, vcc_lo
	v_cndmask_b32_e32 v10, v10, v8, vcc_lo
	v_cndmask_b32_e64 v11, v11, v17, s6
	v_cndmask_b32_e64 v10, v10, v17, s6
	v_mov_b32_e32 v17, v9
	v_cmp_class_f32_e64 s3, v11, 0x1f8
	v_cmp_neq_f32_e32 vcc_lo, v11, v10
	s_or_b32 s4, vcc_lo, s3
	s_and_saveexec_b32 s3, s4
	s_cbranch_execz .LBB424_163
; %bb.162:
	v_sub_f32_e32 v8, v11, v10
	s_mov_b32 s4, 0x3e9b6dac
	v_mul_f32_e32 v11, 0x3fb8aa3b, v8
	v_cmp_ngt_f32_e32 vcc_lo, 0xc2ce8ed0, v8
	v_fma_f32 v15, 0x3fb8aa3b, v8, -v11
	v_rndne_f32_e32 v16, v11
	v_fmamk_f32 v15, v8, 0x32a5705f, v15
	v_sub_f32_e32 v11, v11, v16
	v_add_f32_e32 v11, v11, v15
	v_cvt_i32_f32_e32 v15, v16
	v_exp_f32_e32 v11, v11
	v_ldexp_f32 v11, v11, v15
	v_cndmask_b32_e32 v11, 0, v11, vcc_lo
	v_cmp_nlt_f32_e32 vcc_lo, 0x42b17218, v8
	v_cndmask_b32_e32 v8, 0x7f800000, v11, vcc_lo
	v_add_f32_e32 v11, 1.0, v8
	v_cvt_f64_f32_e32 v[15:16], v11
	v_frexp_exp_i32_f64_e32 v15, v[15:16]
	v_frexp_mant_f32_e32 v16, v11
	v_cmp_gt_f32_e32 vcc_lo, 0x3f2aaaab, v16
	v_add_f32_e32 v16, -1.0, v11
	v_sub_f32_e32 v27, v16, v11
	v_sub_f32_e32 v16, v8, v16
	v_add_f32_e32 v27, 1.0, v27
	v_add_f32_e32 v16, v16, v27
	v_subrev_co_ci_u32_e64 v15, null, 0, v15, vcc_lo
	v_cmp_neq_f32_e32 vcc_lo, 0x7f800000, v8
	v_sub_nc_u32_e32 v17, 0, v15
	v_cvt_f32_i32_e32 v15, v15
	v_ldexp_f32 v11, v11, v17
	v_ldexp_f32 v16, v16, v17
	v_add_f32_e32 v28, 1.0, v11
	v_add_f32_e32 v17, -1.0, v11
	v_add_f32_e32 v27, -1.0, v28
	v_add_f32_e32 v29, 1.0, v17
	v_sub_f32_e32 v27, v11, v27
	v_sub_f32_e32 v11, v11, v29
	v_add_f32_e32 v27, v16, v27
	v_add_f32_e32 v11, v16, v11
	;; [unrolled: 1-line block ×4, first 2 shown]
	v_rcp_f32_e32 v16, v29
	v_sub_f32_e32 v28, v28, v29
	v_sub_f32_e32 v17, v17, v30
	v_add_f32_e32 v27, v27, v28
	v_add_f32_e32 v11, v11, v17
	v_mul_f32_e32 v31, v30, v16
	v_mul_f32_e32 v32, v29, v31
	v_fma_f32 v28, v31, v29, -v32
	v_fmac_f32_e32 v28, v31, v27
	v_add_f32_e32 v33, v32, v28
	v_sub_f32_e32 v34, v30, v33
	v_sub_f32_e32 v17, v33, v32
	;; [unrolled: 1-line block ×5, first 2 shown]
	v_add_f32_e32 v11, v11, v30
	v_add_f32_e32 v11, v17, v11
	;; [unrolled: 1-line block ×3, first 2 shown]
	v_mul_f32_e32 v28, v16, v17
	v_sub_f32_e32 v33, v34, v17
	v_mul_f32_e32 v30, v29, v28
	v_add_f32_e32 v11, v11, v33
	v_fma_f32 v29, v28, v29, -v30
	v_fmac_f32_e32 v29, v28, v27
	v_add_f32_e32 v27, v30, v29
	v_sub_f32_e32 v32, v17, v27
	v_sub_f32_e32 v30, v27, v30
	;; [unrolled: 1-line block ×5, first 2 shown]
	v_add_f32_e32 v11, v11, v17
	v_add_f32_e32 v17, v31, v28
	;; [unrolled: 1-line block ×3, first 2 shown]
	v_sub_f32_e32 v27, v17, v31
	v_add_f32_e32 v11, v32, v11
	v_sub_f32_e32 v27, v28, v27
	v_mul_f32_e32 v11, v16, v11
	v_add_f32_e32 v11, v27, v11
	v_add_f32_e32 v16, v17, v11
	v_mul_f32_e32 v27, v16, v16
	v_fmaak_f32 v28, s4, v27, 0x3ecc95a3
	v_mul_f32_e32 v29, v16, v27
	v_fmaak_f32 v27, v27, v28, 0x3f2aaada
	v_ldexp_f32 v28, v16, 1
	v_sub_f32_e32 v16, v16, v17
	v_mul_f32_e32 v27, v29, v27
	v_mul_f32_e32 v29, 0x3f317218, v15
	v_sub_f32_e32 v11, v11, v16
	v_add_f32_e32 v17, v28, v27
	v_ldexp_f32 v11, v11, 1
	v_sub_f32_e32 v16, v17, v28
	v_fma_f32 v28, 0x3f317218, v15, -v29
	v_sub_f32_e32 v16, v27, v16
	v_fmamk_f32 v15, v15, 0xb102e308, v28
	v_add_f32_e32 v11, v11, v16
	v_add_f32_e32 v16, v29, v15
	;; [unrolled: 1-line block ×3, first 2 shown]
	v_sub_f32_e32 v29, v16, v29
	v_add_f32_e32 v28, v16, v27
	v_sub_f32_e32 v17, v27, v17
	v_sub_f32_e32 v15, v15, v29
	;; [unrolled: 1-line block ×6, first 2 shown]
	v_add_f32_e32 v27, v15, v11
	v_sub_f32_e32 v16, v16, v31
	v_add_f32_e32 v16, v17, v16
	v_sub_f32_e32 v17, v27, v15
	v_add_f32_e32 v16, v27, v16
	v_sub_f32_e32 v27, v27, v17
	v_sub_f32_e32 v11, v11, v17
	v_add_f32_e32 v29, v28, v16
	v_sub_f32_e32 v15, v15, v27
	v_sub_f32_e32 v17, v29, v28
	v_add_f32_e32 v11, v11, v15
	v_sub_f32_e32 v15, v16, v17
	v_add_f32_e32 v11, v11, v15
	v_add_f32_e32 v11, v29, v11
	v_cndmask_b32_e32 v11, 0x7f800000, v11, vcc_lo
	v_cmp_gt_f32_e64 vcc_lo, 0x33800000, |v8|
	v_cndmask_b32_e32 v8, v11, v8, vcc_lo
	v_add_f32_e32 v8, v10, v8
	v_cvt_f16_f32_e32 v27, v8
	v_cvt_f32_f16_e32 v8, v27
	v_mov_b32_e32 v17, v27
.LBB424_163:
	s_or_b32 exec_lo, exec_lo, s3
	v_max_f32_e32 v10, v18, v18
	v_max_f32_e32 v11, v8, v8
	v_cmp_u_f16_e32 vcc_lo, v27, v27
	v_min_f32_e32 v15, v11, v10
	v_max_f32_e32 v10, v11, v10
	v_cndmask_b32_e32 v11, v15, v8, vcc_lo
	v_cndmask_b32_e32 v10, v10, v8, vcc_lo
	v_cndmask_b32_e64 v15, v11, v18, s7
	v_cndmask_b32_e64 v11, v10, v18, s7
	v_mov_b32_e32 v10, v17
	v_cmp_class_f32_e64 s3, v15, 0x1f8
	v_cmp_neq_f32_e32 vcc_lo, v15, v11
	s_or_b32 s4, vcc_lo, s3
	s_and_saveexec_b32 s3, s4
	s_cbranch_execz .LBB424_165
; %bb.164:
	v_sub_f32_e32 v8, v15, v11
	s_mov_b32 s4, 0x3e9b6dac
	v_mul_f32_e32 v10, 0x3fb8aa3b, v8
	v_cmp_ngt_f32_e32 vcc_lo, 0xc2ce8ed0, v8
	v_fma_f32 v15, 0x3fb8aa3b, v8, -v10
	v_rndne_f32_e32 v16, v10
	v_fmamk_f32 v15, v8, 0x32a5705f, v15
	v_sub_f32_e32 v10, v10, v16
	v_add_f32_e32 v10, v10, v15
	v_cvt_i32_f32_e32 v15, v16
	v_exp_f32_e32 v10, v10
	v_ldexp_f32 v10, v10, v15
	v_cndmask_b32_e32 v10, 0, v10, vcc_lo
	v_cmp_nlt_f32_e32 vcc_lo, 0x42b17218, v8
	v_cndmask_b32_e32 v8, 0x7f800000, v10, vcc_lo
	v_add_f32_e32 v10, 1.0, v8
	v_cvt_f64_f32_e32 v[15:16], v10
	v_frexp_exp_i32_f64_e32 v15, v[15:16]
	v_frexp_mant_f32_e32 v16, v10
	v_cmp_gt_f32_e32 vcc_lo, 0x3f2aaaab, v16
	v_add_f32_e32 v16, -1.0, v10
	v_sub_f32_e32 v27, v16, v10
	v_sub_f32_e32 v16, v8, v16
	v_add_f32_e32 v27, 1.0, v27
	v_add_f32_e32 v16, v16, v27
	v_subrev_co_ci_u32_e64 v15, null, 0, v15, vcc_lo
	v_cmp_neq_f32_e32 vcc_lo, 0x7f800000, v8
	v_sub_nc_u32_e32 v18, 0, v15
	v_cvt_f32_i32_e32 v15, v15
	v_ldexp_f32 v10, v10, v18
	v_ldexp_f32 v16, v16, v18
	v_add_f32_e32 v28, 1.0, v10
	v_add_f32_e32 v18, -1.0, v10
	v_add_f32_e32 v27, -1.0, v28
	v_add_f32_e32 v29, 1.0, v18
	v_sub_f32_e32 v27, v10, v27
	v_sub_f32_e32 v10, v10, v29
	v_add_f32_e32 v27, v16, v27
	v_add_f32_e32 v10, v16, v10
	;; [unrolled: 1-line block ×4, first 2 shown]
	v_rcp_f32_e32 v16, v29
	v_sub_f32_e32 v28, v28, v29
	v_sub_f32_e32 v18, v18, v30
	v_add_f32_e32 v27, v27, v28
	v_add_f32_e32 v10, v10, v18
	v_mul_f32_e32 v31, v30, v16
	v_mul_f32_e32 v32, v29, v31
	v_fma_f32 v28, v31, v29, -v32
	v_fmac_f32_e32 v28, v31, v27
	v_add_f32_e32 v33, v32, v28
	v_sub_f32_e32 v34, v30, v33
	v_sub_f32_e32 v18, v33, v32
	;; [unrolled: 1-line block ×5, first 2 shown]
	v_add_f32_e32 v10, v10, v30
	v_add_f32_e32 v10, v18, v10
	;; [unrolled: 1-line block ×3, first 2 shown]
	v_mul_f32_e32 v28, v16, v18
	v_sub_f32_e32 v33, v34, v18
	v_mul_f32_e32 v30, v29, v28
	v_add_f32_e32 v10, v10, v33
	v_fma_f32 v29, v28, v29, -v30
	v_fmac_f32_e32 v29, v28, v27
	v_add_f32_e32 v27, v30, v29
	v_sub_f32_e32 v32, v18, v27
	v_sub_f32_e32 v30, v27, v30
	;; [unrolled: 1-line block ×5, first 2 shown]
	v_add_f32_e32 v10, v10, v18
	v_add_f32_e32 v18, v31, v28
	v_add_f32_e32 v10, v27, v10
	v_sub_f32_e32 v27, v18, v31
	v_add_f32_e32 v10, v32, v10
	v_sub_f32_e32 v27, v28, v27
	v_mul_f32_e32 v10, v16, v10
	v_add_f32_e32 v10, v27, v10
	v_add_f32_e32 v16, v18, v10
	v_mul_f32_e32 v27, v16, v16
	v_fmaak_f32 v28, s4, v27, 0x3ecc95a3
	v_mul_f32_e32 v29, v16, v27
	v_fmaak_f32 v27, v27, v28, 0x3f2aaada
	v_ldexp_f32 v28, v16, 1
	v_sub_f32_e32 v16, v16, v18
	v_mul_f32_e32 v27, v29, v27
	v_mul_f32_e32 v29, 0x3f317218, v15
	v_sub_f32_e32 v10, v10, v16
	v_add_f32_e32 v18, v28, v27
	v_ldexp_f32 v10, v10, 1
	v_sub_f32_e32 v16, v18, v28
	v_fma_f32 v28, 0x3f317218, v15, -v29
	v_sub_f32_e32 v16, v27, v16
	v_fmamk_f32 v15, v15, 0xb102e308, v28
	v_add_f32_e32 v10, v10, v16
	v_add_f32_e32 v16, v29, v15
	;; [unrolled: 1-line block ×3, first 2 shown]
	v_sub_f32_e32 v29, v16, v29
	v_add_f32_e32 v28, v16, v27
	v_sub_f32_e32 v18, v27, v18
	v_sub_f32_e32 v15, v15, v29
	;; [unrolled: 1-line block ×6, first 2 shown]
	v_add_f32_e32 v27, v15, v10
	v_sub_f32_e32 v16, v16, v31
	v_add_f32_e32 v16, v18, v16
	v_sub_f32_e32 v18, v27, v15
	v_add_f32_e32 v16, v27, v16
	v_sub_f32_e32 v27, v27, v18
	v_sub_f32_e32 v10, v10, v18
	v_add_f32_e32 v29, v28, v16
	v_sub_f32_e32 v15, v15, v27
	v_sub_f32_e32 v18, v29, v28
	v_add_f32_e32 v10, v10, v15
	v_sub_f32_e32 v15, v16, v18
	v_add_f32_e32 v10, v10, v15
	v_add_f32_e32 v10, v29, v10
	v_cndmask_b32_e32 v10, 0x7f800000, v10, vcc_lo
	v_cmp_gt_f32_e64 vcc_lo, 0x33800000, |v8|
	v_cndmask_b32_e32 v8, v10, v8, vcc_lo
	v_add_f32_e32 v8, v11, v8
	v_cvt_f16_f32_e32 v27, v8
	v_cvt_f32_f16_e32 v8, v27
	v_mov_b32_e32 v10, v27
.LBB424_165:
	s_or_b32 exec_lo, exec_lo, s3
	v_max_f32_e32 v11, v19, v19
	v_max_f32_e32 v15, v8, v8
	v_cmp_u_f16_e32 vcc_lo, v27, v27
	v_mov_b32_e32 v18, v10
	v_min_f32_e32 v16, v15, v11
	v_max_f32_e32 v11, v15, v11
	v_cndmask_b32_e32 v15, v16, v8, vcc_lo
	v_cndmask_b32_e32 v11, v11, v8, vcc_lo
	v_cndmask_b32_e64 v15, v15, v19, s8
	v_cndmask_b32_e64 v11, v11, v19, s8
	v_cmp_class_f32_e64 s3, v15, 0x1f8
	v_cmp_neq_f32_e32 vcc_lo, v15, v11
	s_or_b32 s4, vcc_lo, s3
	s_and_saveexec_b32 s3, s4
	s_cbranch_execz .LBB424_167
; %bb.166:
	v_sub_f32_e32 v8, v15, v11
	s_mov_b32 s4, 0x3e9b6dac
	v_mul_f32_e32 v15, 0x3fb8aa3b, v8
	v_cmp_ngt_f32_e32 vcc_lo, 0xc2ce8ed0, v8
	v_fma_f32 v16, 0x3fb8aa3b, v8, -v15
	v_rndne_f32_e32 v18, v15
	v_fmamk_f32 v16, v8, 0x32a5705f, v16
	v_sub_f32_e32 v15, v15, v18
	v_add_f32_e32 v15, v15, v16
	v_cvt_i32_f32_e32 v16, v18
	v_exp_f32_e32 v15, v15
	v_ldexp_f32 v15, v15, v16
	v_cndmask_b32_e32 v15, 0, v15, vcc_lo
	v_cmp_nlt_f32_e32 vcc_lo, 0x42b17218, v8
	v_cndmask_b32_e32 v8, 0x7f800000, v15, vcc_lo
	v_add_f32_e32 v18, 1.0, v8
	v_cvt_f64_f32_e32 v[15:16], v18
	v_frexp_exp_i32_f64_e32 v15, v[15:16]
	v_frexp_mant_f32_e32 v16, v18
	v_cmp_gt_f32_e32 vcc_lo, 0x3f2aaaab, v16
	v_add_f32_e32 v16, -1.0, v18
	v_sub_f32_e32 v27, v16, v18
	v_sub_f32_e32 v16, v8, v16
	v_add_f32_e32 v27, 1.0, v27
	v_add_f32_e32 v16, v16, v27
	v_subrev_co_ci_u32_e64 v15, null, 0, v15, vcc_lo
	v_cmp_neq_f32_e32 vcc_lo, 0x7f800000, v8
	v_sub_nc_u32_e32 v19, 0, v15
	v_cvt_f32_i32_e32 v15, v15
	v_ldexp_f32 v18, v18, v19
	v_ldexp_f32 v16, v16, v19
	v_add_f32_e32 v28, 1.0, v18
	v_add_f32_e32 v19, -1.0, v18
	v_add_f32_e32 v27, -1.0, v28
	v_add_f32_e32 v29, 1.0, v19
	v_sub_f32_e32 v27, v18, v27
	v_sub_f32_e32 v18, v18, v29
	v_add_f32_e32 v27, v16, v27
	v_add_f32_e32 v16, v16, v18
	;; [unrolled: 1-line block ×4, first 2 shown]
	v_rcp_f32_e32 v18, v29
	v_sub_f32_e32 v28, v28, v29
	v_sub_f32_e32 v19, v19, v30
	v_add_f32_e32 v27, v27, v28
	v_add_f32_e32 v16, v16, v19
	v_mul_f32_e32 v31, v30, v18
	v_mul_f32_e32 v32, v29, v31
	v_fma_f32 v28, v31, v29, -v32
	v_fmac_f32_e32 v28, v31, v27
	v_add_f32_e32 v33, v32, v28
	v_sub_f32_e32 v34, v30, v33
	v_sub_f32_e32 v19, v33, v32
	;; [unrolled: 1-line block ×5, first 2 shown]
	v_add_f32_e32 v16, v16, v30
	v_add_f32_e32 v16, v19, v16
	;; [unrolled: 1-line block ×3, first 2 shown]
	v_mul_f32_e32 v28, v18, v19
	v_sub_f32_e32 v33, v34, v19
	v_mul_f32_e32 v30, v29, v28
	v_add_f32_e32 v16, v16, v33
	v_fma_f32 v29, v28, v29, -v30
	v_fmac_f32_e32 v29, v28, v27
	v_add_f32_e32 v27, v30, v29
	v_sub_f32_e32 v32, v19, v27
	v_sub_f32_e32 v30, v27, v30
	;; [unrolled: 1-line block ×5, first 2 shown]
	v_add_f32_e32 v16, v16, v19
	v_add_f32_e32 v19, v31, v28
	;; [unrolled: 1-line block ×3, first 2 shown]
	v_sub_f32_e32 v27, v19, v31
	v_add_f32_e32 v16, v32, v16
	v_sub_f32_e32 v27, v28, v27
	v_mul_f32_e32 v16, v18, v16
	v_add_f32_e32 v16, v27, v16
	v_add_f32_e32 v18, v19, v16
	v_mul_f32_e32 v27, v18, v18
	v_fmaak_f32 v28, s4, v27, 0x3ecc95a3
	v_mul_f32_e32 v29, v18, v27
	v_fmaak_f32 v27, v27, v28, 0x3f2aaada
	v_ldexp_f32 v28, v18, 1
	v_sub_f32_e32 v18, v18, v19
	v_mul_f32_e32 v27, v29, v27
	v_mul_f32_e32 v29, 0x3f317218, v15
	v_sub_f32_e32 v16, v16, v18
	v_add_f32_e32 v19, v28, v27
	v_ldexp_f32 v16, v16, 1
	v_sub_f32_e32 v18, v19, v28
	v_fma_f32 v28, 0x3f317218, v15, -v29
	v_sub_f32_e32 v18, v27, v18
	v_fmamk_f32 v15, v15, 0xb102e308, v28
	v_add_f32_e32 v16, v16, v18
	v_add_f32_e32 v18, v29, v15
	;; [unrolled: 1-line block ×3, first 2 shown]
	v_sub_f32_e32 v29, v18, v29
	v_add_f32_e32 v28, v18, v27
	v_sub_f32_e32 v19, v27, v19
	v_sub_f32_e32 v15, v15, v29
	;; [unrolled: 1-line block ×6, first 2 shown]
	v_add_f32_e32 v27, v15, v16
	v_sub_f32_e32 v18, v18, v31
	v_add_f32_e32 v18, v19, v18
	v_sub_f32_e32 v19, v27, v15
	;; [unrolled: 2-line block ×3, first 2 shown]
	v_sub_f32_e32 v16, v16, v19
	v_add_f32_e32 v29, v28, v18
	v_sub_f32_e32 v15, v15, v27
	v_sub_f32_e32 v19, v29, v28
	v_add_f32_e32 v15, v16, v15
	v_sub_f32_e32 v16, v18, v19
	v_add_f32_e32 v15, v15, v16
	v_add_f32_e32 v15, v29, v15
	v_cndmask_b32_e32 v15, 0x7f800000, v15, vcc_lo
	v_cmp_gt_f32_e64 vcc_lo, 0x33800000, |v8|
	v_cndmask_b32_e32 v8, v15, v8, vcc_lo
	v_add_f32_e32 v8, v11, v8
	v_cvt_f16_f32_e32 v27, v8
	v_cvt_f32_f16_e32 v8, v27
	v_mov_b32_e32 v18, v27
.LBB424_167:
	s_or_b32 exec_lo, exec_lo, s3
	v_max_f32_e32 v11, v20, v20
	v_max_f32_e32 v15, v8, v8
	v_cmp_u_f16_e32 vcc_lo, v27, v27
	v_min_f32_e32 v16, v15, v11
	v_max_f32_e32 v11, v15, v11
	v_cndmask_b32_e32 v15, v16, v8, vcc_lo
	v_cndmask_b32_e32 v11, v11, v8, vcc_lo
	v_cndmask_b32_e64 v16, v15, v20, s9
	v_cndmask_b32_e64 v15, v11, v20, s9
	v_mov_b32_e32 v11, v18
	v_cmp_class_f32_e64 s3, v16, 0x1f8
	v_cmp_neq_f32_e32 vcc_lo, v16, v15
	s_or_b32 s4, vcc_lo, s3
	s_and_saveexec_b32 s3, s4
	s_cbranch_execz .LBB424_169
; %bb.168:
	v_sub_f32_e32 v8, v16, v15
	s_mov_b32 s4, 0x3e9b6dac
	v_mul_f32_e32 v11, 0x3fb8aa3b, v8
	v_cmp_ngt_f32_e32 vcc_lo, 0xc2ce8ed0, v8
	v_fma_f32 v16, 0x3fb8aa3b, v8, -v11
	v_rndne_f32_e32 v19, v11
	v_fmamk_f32 v16, v8, 0x32a5705f, v16
	v_sub_f32_e32 v11, v11, v19
	v_add_f32_e32 v11, v11, v16
	v_cvt_i32_f32_e32 v16, v19
	v_exp_f32_e32 v11, v11
	v_ldexp_f32 v11, v11, v16
	v_cndmask_b32_e32 v11, 0, v11, vcc_lo
	v_cmp_nlt_f32_e32 vcc_lo, 0x42b17218, v8
	v_cndmask_b32_e32 v8, 0x7f800000, v11, vcc_lo
	v_add_f32_e32 v11, 1.0, v8
	v_cvt_f64_f32_e32 v[19:20], v11
	v_frexp_exp_i32_f64_e32 v16, v[19:20]
	v_frexp_mant_f32_e32 v19, v11
	v_cmp_gt_f32_e32 vcc_lo, 0x3f2aaaab, v19
	v_add_f32_e32 v19, -1.0, v11
	v_sub_f32_e32 v27, v19, v11
	v_sub_f32_e32 v19, v8, v19
	v_add_f32_e32 v27, 1.0, v27
	v_add_f32_e32 v19, v19, v27
	v_subrev_co_ci_u32_e64 v16, null, 0, v16, vcc_lo
	v_cmp_neq_f32_e32 vcc_lo, 0x7f800000, v8
	v_sub_nc_u32_e32 v20, 0, v16
	v_cvt_f32_i32_e32 v16, v16
	v_ldexp_f32 v11, v11, v20
	v_ldexp_f32 v19, v19, v20
	v_add_f32_e32 v28, 1.0, v11
	v_add_f32_e32 v20, -1.0, v11
	v_add_f32_e32 v27, -1.0, v28
	v_add_f32_e32 v29, 1.0, v20
	v_sub_f32_e32 v27, v11, v27
	v_sub_f32_e32 v11, v11, v29
	v_add_f32_e32 v27, v19, v27
	v_add_f32_e32 v11, v19, v11
	;; [unrolled: 1-line block ×4, first 2 shown]
	v_rcp_f32_e32 v19, v29
	v_sub_f32_e32 v28, v28, v29
	v_sub_f32_e32 v20, v20, v30
	v_add_f32_e32 v27, v27, v28
	v_add_f32_e32 v11, v11, v20
	v_mul_f32_e32 v31, v30, v19
	v_mul_f32_e32 v32, v29, v31
	v_fma_f32 v28, v31, v29, -v32
	v_fmac_f32_e32 v28, v31, v27
	v_add_f32_e32 v33, v32, v28
	v_sub_f32_e32 v34, v30, v33
	v_sub_f32_e32 v20, v33, v32
	;; [unrolled: 1-line block ×5, first 2 shown]
	v_add_f32_e32 v11, v11, v30
	v_add_f32_e32 v11, v20, v11
	;; [unrolled: 1-line block ×3, first 2 shown]
	v_mul_f32_e32 v28, v19, v20
	v_sub_f32_e32 v33, v34, v20
	v_mul_f32_e32 v30, v29, v28
	v_add_f32_e32 v11, v11, v33
	v_fma_f32 v29, v28, v29, -v30
	v_fmac_f32_e32 v29, v28, v27
	v_add_f32_e32 v27, v30, v29
	v_sub_f32_e32 v32, v20, v27
	v_sub_f32_e32 v30, v27, v30
	v_sub_f32_e32 v20, v20, v32
	v_sub_f32_e32 v20, v20, v27
	v_sub_f32_e32 v27, v30, v29
	v_add_f32_e32 v11, v11, v20
	v_add_f32_e32 v20, v31, v28
	;; [unrolled: 1-line block ×3, first 2 shown]
	v_sub_f32_e32 v27, v20, v31
	v_add_f32_e32 v11, v32, v11
	v_sub_f32_e32 v27, v28, v27
	v_mul_f32_e32 v11, v19, v11
	v_add_f32_e32 v11, v27, v11
	v_add_f32_e32 v19, v20, v11
	v_mul_f32_e32 v27, v19, v19
	v_fmaak_f32 v28, s4, v27, 0x3ecc95a3
	v_mul_f32_e32 v29, v19, v27
	v_fmaak_f32 v27, v27, v28, 0x3f2aaada
	v_ldexp_f32 v28, v19, 1
	v_sub_f32_e32 v19, v19, v20
	v_mul_f32_e32 v27, v29, v27
	v_mul_f32_e32 v29, 0x3f317218, v16
	v_sub_f32_e32 v11, v11, v19
	v_add_f32_e32 v20, v28, v27
	v_ldexp_f32 v11, v11, 1
	v_sub_f32_e32 v19, v20, v28
	v_fma_f32 v28, 0x3f317218, v16, -v29
	v_sub_f32_e32 v19, v27, v19
	v_fmamk_f32 v16, v16, 0xb102e308, v28
	v_add_f32_e32 v11, v11, v19
	v_add_f32_e32 v19, v29, v16
	;; [unrolled: 1-line block ×3, first 2 shown]
	v_sub_f32_e32 v29, v19, v29
	v_add_f32_e32 v28, v19, v27
	v_sub_f32_e32 v20, v27, v20
	v_sub_f32_e32 v16, v16, v29
	;; [unrolled: 1-line block ×6, first 2 shown]
	v_add_f32_e32 v27, v16, v11
	v_sub_f32_e32 v19, v19, v31
	v_add_f32_e32 v19, v20, v19
	v_sub_f32_e32 v20, v27, v16
	;; [unrolled: 2-line block ×3, first 2 shown]
	v_sub_f32_e32 v11, v11, v20
	v_add_f32_e32 v29, v28, v19
	v_sub_f32_e32 v16, v16, v27
	v_sub_f32_e32 v20, v29, v28
	v_add_f32_e32 v11, v11, v16
	v_sub_f32_e32 v16, v19, v20
	v_add_f32_e32 v11, v11, v16
	v_add_f32_e32 v11, v29, v11
	v_cndmask_b32_e32 v11, 0x7f800000, v11, vcc_lo
	v_cmp_gt_f32_e64 vcc_lo, 0x33800000, |v8|
	v_cndmask_b32_e32 v8, v11, v8, vcc_lo
	v_add_f32_e32 v8, v15, v8
	v_cvt_f16_f32_e32 v27, v8
	v_cvt_f32_f16_e32 v8, v27
	v_mov_b32_e32 v11, v27
.LBB424_169:
	s_or_b32 exec_lo, exec_lo, s3
	v_max_f32_e32 v15, v21, v21
	v_max_f32_e32 v16, v8, v8
	v_cmp_u_f16_e32 vcc_lo, v27, v27
	v_min_f32_e32 v19, v16, v15
	v_max_f32_e32 v15, v16, v15
	v_cndmask_b32_e32 v16, v19, v8, vcc_lo
	v_cndmask_b32_e32 v15, v15, v8, vcc_lo
	v_mov_b32_e32 v19, v11
	v_cndmask_b32_e64 v16, v16, v21, s10
	v_cndmask_b32_e64 v15, v15, v21, s10
	v_cmp_class_f32_e64 s3, v16, 0x1f8
	v_cmp_neq_f32_e32 vcc_lo, v16, v15
	s_or_b32 s4, vcc_lo, s3
	s_and_saveexec_b32 s3, s4
	s_cbranch_execz .LBB424_171
; %bb.170:
	v_sub_f32_e32 v8, v16, v15
	s_mov_b32 s4, 0x3e9b6dac
	v_mul_f32_e32 v16, 0x3fb8aa3b, v8
	v_cmp_ngt_f32_e32 vcc_lo, 0xc2ce8ed0, v8
	v_fma_f32 v19, 0x3fb8aa3b, v8, -v16
	v_rndne_f32_e32 v20, v16
	v_fmamk_f32 v19, v8, 0x32a5705f, v19
	v_sub_f32_e32 v16, v16, v20
	v_add_f32_e32 v16, v16, v19
	v_cvt_i32_f32_e32 v19, v20
	v_exp_f32_e32 v16, v16
	v_ldexp_f32 v16, v16, v19
	v_cndmask_b32_e32 v16, 0, v16, vcc_lo
	v_cmp_nlt_f32_e32 vcc_lo, 0x42b17218, v8
	v_cndmask_b32_e32 v8, 0x7f800000, v16, vcc_lo
	v_add_f32_e32 v16, 1.0, v8
	v_cvt_f64_f32_e32 v[19:20], v16
	v_frexp_exp_i32_f64_e32 v19, v[19:20]
	v_frexp_mant_f32_e32 v20, v16
	v_cmp_gt_f32_e32 vcc_lo, 0x3f2aaaab, v20
	v_add_f32_e32 v20, -1.0, v16
	v_sub_f32_e32 v27, v20, v16
	v_sub_f32_e32 v20, v8, v20
	v_add_f32_e32 v27, 1.0, v27
	v_add_f32_e32 v20, v20, v27
	v_subrev_co_ci_u32_e64 v19, null, 0, v19, vcc_lo
	v_cmp_neq_f32_e32 vcc_lo, 0x7f800000, v8
	v_sub_nc_u32_e32 v21, 0, v19
	v_cvt_f32_i32_e32 v19, v19
	v_ldexp_f32 v16, v16, v21
	v_ldexp_f32 v20, v20, v21
	v_add_f32_e32 v28, 1.0, v16
	v_add_f32_e32 v21, -1.0, v16
	v_add_f32_e32 v27, -1.0, v28
	v_add_f32_e32 v29, 1.0, v21
	v_sub_f32_e32 v27, v16, v27
	v_sub_f32_e32 v16, v16, v29
	v_add_f32_e32 v27, v20, v27
	v_add_f32_e32 v16, v20, v16
	;; [unrolled: 1-line block ×4, first 2 shown]
	v_rcp_f32_e32 v20, v29
	v_sub_f32_e32 v28, v28, v29
	v_sub_f32_e32 v21, v21, v30
	v_add_f32_e32 v27, v27, v28
	v_add_f32_e32 v16, v16, v21
	v_mul_f32_e32 v31, v30, v20
	v_mul_f32_e32 v32, v29, v31
	v_fma_f32 v28, v31, v29, -v32
	v_fmac_f32_e32 v28, v31, v27
	v_add_f32_e32 v33, v32, v28
	v_sub_f32_e32 v34, v30, v33
	v_sub_f32_e32 v21, v33, v32
	;; [unrolled: 1-line block ×5, first 2 shown]
	v_add_f32_e32 v16, v16, v30
	v_add_f32_e32 v16, v21, v16
	;; [unrolled: 1-line block ×3, first 2 shown]
	v_mul_f32_e32 v28, v20, v21
	v_sub_f32_e32 v33, v34, v21
	v_mul_f32_e32 v30, v29, v28
	v_add_f32_e32 v16, v16, v33
	v_fma_f32 v29, v28, v29, -v30
	v_fmac_f32_e32 v29, v28, v27
	v_add_f32_e32 v27, v30, v29
	v_sub_f32_e32 v32, v21, v27
	v_sub_f32_e32 v30, v27, v30
	;; [unrolled: 1-line block ×5, first 2 shown]
	v_add_f32_e32 v16, v16, v21
	v_add_f32_e32 v21, v31, v28
	;; [unrolled: 1-line block ×3, first 2 shown]
	v_sub_f32_e32 v27, v21, v31
	v_add_f32_e32 v16, v32, v16
	v_sub_f32_e32 v27, v28, v27
	v_mul_f32_e32 v16, v20, v16
	v_add_f32_e32 v16, v27, v16
	v_add_f32_e32 v20, v21, v16
	v_mul_f32_e32 v27, v20, v20
	v_fmaak_f32 v28, s4, v27, 0x3ecc95a3
	v_mul_f32_e32 v29, v20, v27
	v_fmaak_f32 v27, v27, v28, 0x3f2aaada
	v_ldexp_f32 v28, v20, 1
	v_sub_f32_e32 v20, v20, v21
	v_mul_f32_e32 v27, v29, v27
	v_mul_f32_e32 v29, 0x3f317218, v19
	v_sub_f32_e32 v16, v16, v20
	v_add_f32_e32 v21, v28, v27
	v_ldexp_f32 v16, v16, 1
	v_sub_f32_e32 v20, v21, v28
	v_fma_f32 v28, 0x3f317218, v19, -v29
	v_sub_f32_e32 v20, v27, v20
	v_fmamk_f32 v19, v19, 0xb102e308, v28
	v_add_f32_e32 v16, v16, v20
	v_add_f32_e32 v20, v29, v19
	;; [unrolled: 1-line block ×3, first 2 shown]
	v_sub_f32_e32 v29, v20, v29
	v_add_f32_e32 v28, v20, v27
	v_sub_f32_e32 v21, v27, v21
	v_sub_f32_e32 v19, v19, v29
	;; [unrolled: 1-line block ×6, first 2 shown]
	v_add_f32_e32 v27, v19, v16
	v_sub_f32_e32 v20, v20, v31
	v_add_f32_e32 v20, v21, v20
	v_sub_f32_e32 v21, v27, v19
	;; [unrolled: 2-line block ×3, first 2 shown]
	v_sub_f32_e32 v16, v16, v21
	v_add_f32_e32 v29, v28, v20
	v_sub_f32_e32 v19, v19, v27
	v_sub_f32_e32 v21, v29, v28
	v_add_f32_e32 v16, v16, v19
	v_sub_f32_e32 v19, v20, v21
	v_add_f32_e32 v16, v16, v19
	v_add_f32_e32 v16, v29, v16
	v_cndmask_b32_e32 v16, 0x7f800000, v16, vcc_lo
	v_cmp_gt_f32_e64 vcc_lo, 0x33800000, |v8|
	v_cndmask_b32_e32 v8, v16, v8, vcc_lo
	v_add_f32_e32 v8, v15, v8
	v_cvt_f16_f32_e32 v27, v8
	v_cvt_f32_f16_e32 v8, v27
	v_mov_b32_e32 v19, v27
.LBB424_171:
	s_or_b32 exec_lo, exec_lo, s3
	v_max_f32_e32 v15, v22, v22
	v_max_f32_e32 v16, v8, v8
	v_cmp_u_f16_e32 vcc_lo, v27, v27
	v_min_f32_e32 v20, v16, v15
	v_max_f32_e32 v15, v16, v15
	v_cndmask_b32_e32 v16, v20, v8, vcc_lo
	v_cndmask_b32_e32 v15, v15, v8, vcc_lo
	v_cndmask_b32_e64 v20, v16, v22, s11
	v_cndmask_b32_e64 v16, v15, v22, s11
	v_mov_b32_e32 v15, v19
	v_cmp_class_f32_e64 s3, v20, 0x1f8
	v_cmp_neq_f32_e32 vcc_lo, v20, v16
	s_or_b32 s4, vcc_lo, s3
	s_and_saveexec_b32 s3, s4
	s_cbranch_execz .LBB424_173
; %bb.172:
	v_sub_f32_e32 v8, v20, v16
	s_mov_b32 s4, 0x3e9b6dac
	v_mul_f32_e32 v15, 0x3fb8aa3b, v8
	v_cmp_ngt_f32_e32 vcc_lo, 0xc2ce8ed0, v8
	v_fma_f32 v20, 0x3fb8aa3b, v8, -v15
	v_rndne_f32_e32 v21, v15
	v_fmamk_f32 v20, v8, 0x32a5705f, v20
	v_sub_f32_e32 v15, v15, v21
	v_add_f32_e32 v15, v15, v20
	v_cvt_i32_f32_e32 v20, v21
	v_exp_f32_e32 v15, v15
	v_ldexp_f32 v15, v15, v20
	v_cndmask_b32_e32 v15, 0, v15, vcc_lo
	v_cmp_nlt_f32_e32 vcc_lo, 0x42b17218, v8
	v_cndmask_b32_e32 v8, 0x7f800000, v15, vcc_lo
	v_add_f32_e32 v15, 1.0, v8
	v_cvt_f64_f32_e32 v[20:21], v15
	v_frexp_exp_i32_f64_e32 v20, v[20:21]
	v_frexp_mant_f32_e32 v21, v15
	v_cmp_gt_f32_e32 vcc_lo, 0x3f2aaaab, v21
	v_add_f32_e32 v21, -1.0, v15
	v_sub_f32_e32 v27, v21, v15
	v_sub_f32_e32 v21, v8, v21
	v_add_f32_e32 v27, 1.0, v27
	v_add_f32_e32 v21, v21, v27
	v_subrev_co_ci_u32_e64 v20, null, 0, v20, vcc_lo
	v_cmp_neq_f32_e32 vcc_lo, 0x7f800000, v8
	v_sub_nc_u32_e32 v22, 0, v20
	v_cvt_f32_i32_e32 v20, v20
	v_ldexp_f32 v15, v15, v22
	v_ldexp_f32 v21, v21, v22
	v_add_f32_e32 v28, 1.0, v15
	v_add_f32_e32 v22, -1.0, v15
	v_add_f32_e32 v27, -1.0, v28
	v_add_f32_e32 v29, 1.0, v22
	v_sub_f32_e32 v27, v15, v27
	v_sub_f32_e32 v15, v15, v29
	v_add_f32_e32 v27, v21, v27
	v_add_f32_e32 v15, v21, v15
	;; [unrolled: 1-line block ×4, first 2 shown]
	v_rcp_f32_e32 v21, v29
	v_sub_f32_e32 v28, v28, v29
	v_sub_f32_e32 v22, v22, v30
	v_add_f32_e32 v27, v27, v28
	v_add_f32_e32 v15, v15, v22
	v_mul_f32_e32 v31, v30, v21
	v_mul_f32_e32 v32, v29, v31
	v_fma_f32 v28, v31, v29, -v32
	v_fmac_f32_e32 v28, v31, v27
	v_add_f32_e32 v33, v32, v28
	v_sub_f32_e32 v34, v30, v33
	v_sub_f32_e32 v22, v33, v32
	;; [unrolled: 1-line block ×5, first 2 shown]
	v_add_f32_e32 v15, v15, v30
	v_add_f32_e32 v15, v22, v15
	;; [unrolled: 1-line block ×3, first 2 shown]
	v_mul_f32_e32 v28, v21, v22
	v_sub_f32_e32 v33, v34, v22
	v_mul_f32_e32 v30, v29, v28
	v_add_f32_e32 v15, v15, v33
	v_fma_f32 v29, v28, v29, -v30
	v_fmac_f32_e32 v29, v28, v27
	v_add_f32_e32 v27, v30, v29
	v_sub_f32_e32 v32, v22, v27
	v_sub_f32_e32 v30, v27, v30
	;; [unrolled: 1-line block ×5, first 2 shown]
	v_add_f32_e32 v15, v15, v22
	v_add_f32_e32 v22, v31, v28
	;; [unrolled: 1-line block ×3, first 2 shown]
	v_sub_f32_e32 v27, v22, v31
	v_add_f32_e32 v15, v32, v15
	v_sub_f32_e32 v27, v28, v27
	v_mul_f32_e32 v15, v21, v15
	v_add_f32_e32 v15, v27, v15
	v_add_f32_e32 v21, v22, v15
	v_mul_f32_e32 v27, v21, v21
	v_fmaak_f32 v28, s4, v27, 0x3ecc95a3
	v_mul_f32_e32 v29, v21, v27
	v_fmaak_f32 v27, v27, v28, 0x3f2aaada
	v_ldexp_f32 v28, v21, 1
	v_sub_f32_e32 v21, v21, v22
	v_mul_f32_e32 v27, v29, v27
	v_mul_f32_e32 v29, 0x3f317218, v20
	v_sub_f32_e32 v15, v15, v21
	v_add_f32_e32 v22, v28, v27
	v_ldexp_f32 v15, v15, 1
	v_sub_f32_e32 v21, v22, v28
	v_fma_f32 v28, 0x3f317218, v20, -v29
	v_sub_f32_e32 v21, v27, v21
	v_fmamk_f32 v20, v20, 0xb102e308, v28
	v_add_f32_e32 v15, v15, v21
	v_add_f32_e32 v21, v29, v20
	;; [unrolled: 1-line block ×3, first 2 shown]
	v_sub_f32_e32 v29, v21, v29
	v_add_f32_e32 v28, v21, v27
	v_sub_f32_e32 v22, v27, v22
	v_sub_f32_e32 v20, v20, v29
	;; [unrolled: 1-line block ×6, first 2 shown]
	v_add_f32_e32 v27, v20, v15
	v_sub_f32_e32 v21, v21, v31
	v_add_f32_e32 v21, v22, v21
	v_sub_f32_e32 v22, v27, v20
	;; [unrolled: 2-line block ×3, first 2 shown]
	v_sub_f32_e32 v15, v15, v22
	v_add_f32_e32 v29, v28, v21
	v_sub_f32_e32 v20, v20, v27
	v_sub_f32_e32 v22, v29, v28
	v_add_f32_e32 v15, v15, v20
	v_sub_f32_e32 v20, v21, v22
	v_add_f32_e32 v15, v15, v20
	v_add_f32_e32 v15, v29, v15
	v_cndmask_b32_e32 v15, 0x7f800000, v15, vcc_lo
	v_cmp_gt_f32_e64 vcc_lo, 0x33800000, |v8|
	v_cndmask_b32_e32 v8, v15, v8, vcc_lo
	v_add_f32_e32 v8, v16, v8
	v_cvt_f16_f32_e32 v27, v8
	v_cvt_f32_f16_e32 v8, v27
	v_mov_b32_e32 v15, v27
.LBB424_173:
	s_or_b32 exec_lo, exec_lo, s3
	v_max_f32_e32 v16, v23, v23
	v_max_f32_e32 v20, v8, v8
	v_cmp_u_f16_e32 vcc_lo, v27, v27
	v_min_f32_e32 v21, v20, v16
	v_max_f32_e32 v16, v20, v16
	v_cndmask_b32_e32 v20, v21, v8, vcc_lo
	v_cndmask_b32_e32 v16, v16, v8, vcc_lo
	v_cndmask_b32_e64 v21, v20, v23, s12
	v_cndmask_b32_e64 v16, v16, v23, s12
	v_mov_b32_e32 v20, v15
	v_cmp_class_f32_e64 s3, v21, 0x1f8
	v_cmp_neq_f32_e32 vcc_lo, v21, v16
	s_or_b32 s4, vcc_lo, s3
	s_and_saveexec_b32 s3, s4
	s_cbranch_execz .LBB424_175
; %bb.174:
	v_sub_f32_e32 v8, v21, v16
	s_mov_b32 s4, 0x3e9b6dac
	v_mul_f32_e32 v20, 0x3fb8aa3b, v8
	v_cmp_ngt_f32_e32 vcc_lo, 0xc2ce8ed0, v8
	v_fma_f32 v21, 0x3fb8aa3b, v8, -v20
	v_rndne_f32_e32 v22, v20
	v_fmamk_f32 v21, v8, 0x32a5705f, v21
	v_sub_f32_e32 v20, v20, v22
	v_add_f32_e32 v20, v20, v21
	v_cvt_i32_f32_e32 v21, v22
	v_exp_f32_e32 v20, v20
	v_ldexp_f32 v20, v20, v21
	v_cndmask_b32_e32 v20, 0, v20, vcc_lo
	v_cmp_nlt_f32_e32 vcc_lo, 0x42b17218, v8
	v_cndmask_b32_e32 v8, 0x7f800000, v20, vcc_lo
	v_add_f32_e32 v22, 1.0, v8
	v_cvt_f64_f32_e32 v[20:21], v22
	v_frexp_exp_i32_f64_e32 v20, v[20:21]
	v_frexp_mant_f32_e32 v21, v22
	v_cmp_gt_f32_e32 vcc_lo, 0x3f2aaaab, v21
	v_add_f32_e32 v21, -1.0, v22
	v_sub_f32_e32 v27, v21, v22
	v_sub_f32_e32 v21, v8, v21
	v_add_f32_e32 v27, 1.0, v27
	v_add_f32_e32 v21, v21, v27
	v_subrev_co_ci_u32_e64 v20, null, 0, v20, vcc_lo
	v_cmp_neq_f32_e32 vcc_lo, 0x7f800000, v8
	v_sub_nc_u32_e32 v23, 0, v20
	v_cvt_f32_i32_e32 v20, v20
	v_ldexp_f32 v22, v22, v23
	v_ldexp_f32 v21, v21, v23
	v_add_f32_e32 v28, 1.0, v22
	v_add_f32_e32 v23, -1.0, v22
	v_add_f32_e32 v27, -1.0, v28
	v_add_f32_e32 v29, 1.0, v23
	v_sub_f32_e32 v27, v22, v27
	v_sub_f32_e32 v22, v22, v29
	v_add_f32_e32 v27, v21, v27
	v_add_f32_e32 v21, v21, v22
	;; [unrolled: 1-line block ×4, first 2 shown]
	v_rcp_f32_e32 v22, v29
	v_sub_f32_e32 v28, v28, v29
	v_sub_f32_e32 v23, v23, v30
	v_add_f32_e32 v27, v27, v28
	v_add_f32_e32 v21, v21, v23
	v_mul_f32_e32 v31, v30, v22
	v_mul_f32_e32 v32, v29, v31
	v_fma_f32 v28, v31, v29, -v32
	v_fmac_f32_e32 v28, v31, v27
	v_add_f32_e32 v33, v32, v28
	v_sub_f32_e32 v34, v30, v33
	v_sub_f32_e32 v23, v33, v32
	;; [unrolled: 1-line block ×5, first 2 shown]
	v_add_f32_e32 v21, v21, v30
	v_add_f32_e32 v21, v23, v21
	;; [unrolled: 1-line block ×3, first 2 shown]
	v_mul_f32_e32 v28, v22, v23
	v_sub_f32_e32 v33, v34, v23
	v_mul_f32_e32 v30, v29, v28
	v_add_f32_e32 v21, v21, v33
	v_fma_f32 v29, v28, v29, -v30
	v_fmac_f32_e32 v29, v28, v27
	v_add_f32_e32 v27, v30, v29
	v_sub_f32_e32 v32, v23, v27
	v_sub_f32_e32 v30, v27, v30
	;; [unrolled: 1-line block ×5, first 2 shown]
	v_add_f32_e32 v21, v21, v23
	v_add_f32_e32 v23, v31, v28
	;; [unrolled: 1-line block ×3, first 2 shown]
	v_sub_f32_e32 v27, v23, v31
	v_add_f32_e32 v21, v32, v21
	v_sub_f32_e32 v27, v28, v27
	v_mul_f32_e32 v21, v22, v21
	v_add_f32_e32 v21, v27, v21
	v_add_f32_e32 v22, v23, v21
	v_mul_f32_e32 v27, v22, v22
	v_fmaak_f32 v28, s4, v27, 0x3ecc95a3
	v_mul_f32_e32 v29, v22, v27
	v_fmaak_f32 v27, v27, v28, 0x3f2aaada
	v_ldexp_f32 v28, v22, 1
	v_sub_f32_e32 v22, v22, v23
	v_mul_f32_e32 v27, v29, v27
	v_mul_f32_e32 v29, 0x3f317218, v20
	v_sub_f32_e32 v21, v21, v22
	v_add_f32_e32 v23, v28, v27
	v_ldexp_f32 v21, v21, 1
	v_sub_f32_e32 v22, v23, v28
	v_fma_f32 v28, 0x3f317218, v20, -v29
	v_sub_f32_e32 v22, v27, v22
	v_fmamk_f32 v20, v20, 0xb102e308, v28
	v_add_f32_e32 v21, v21, v22
	v_add_f32_e32 v22, v29, v20
	;; [unrolled: 1-line block ×3, first 2 shown]
	v_sub_f32_e32 v29, v22, v29
	v_add_f32_e32 v28, v22, v27
	v_sub_f32_e32 v23, v27, v23
	v_sub_f32_e32 v20, v20, v29
	;; [unrolled: 1-line block ×6, first 2 shown]
	v_add_f32_e32 v27, v20, v21
	v_sub_f32_e32 v22, v22, v31
	v_add_f32_e32 v22, v23, v22
	v_sub_f32_e32 v23, v27, v20
	v_add_f32_e32 v22, v27, v22
	v_sub_f32_e32 v27, v27, v23
	v_sub_f32_e32 v21, v21, v23
	v_add_f32_e32 v29, v28, v22
	v_sub_f32_e32 v20, v20, v27
	v_sub_f32_e32 v23, v29, v28
	v_add_f32_e32 v20, v21, v20
	v_sub_f32_e32 v21, v22, v23
	v_add_f32_e32 v20, v20, v21
	v_add_f32_e32 v20, v29, v20
	v_cndmask_b32_e32 v20, 0x7f800000, v20, vcc_lo
	v_cmp_gt_f32_e64 vcc_lo, 0x33800000, |v8|
	v_cndmask_b32_e32 v8, v20, v8, vcc_lo
	v_add_f32_e32 v8, v16, v8
	v_cvt_f16_f32_e32 v27, v8
	v_cvt_f32_f16_e32 v8, v27
	v_mov_b32_e32 v20, v27
.LBB424_175:
	s_or_b32 exec_lo, exec_lo, s3
	v_max_f32_e32 v16, v24, v24
	v_max_f32_e32 v21, v8, v8
	v_cmp_u_f16_e32 vcc_lo, v27, v27
	v_min_f32_e32 v22, v21, v16
	v_max_f32_e32 v16, v21, v16
	v_cndmask_b32_e32 v21, v22, v8, vcc_lo
	v_cndmask_b32_e32 v8, v16, v8, vcc_lo
	v_mov_b32_e32 v16, v20
	v_cndmask_b32_e64 v21, v21, v24, s13
	v_cndmask_b32_e64 v8, v8, v24, s13
	v_cmp_class_f32_e64 s3, v21, 0x1f8
	v_cmp_neq_f32_e32 vcc_lo, v21, v8
	s_or_b32 s4, vcc_lo, s3
	s_and_saveexec_b32 s3, s4
	s_cbranch_execz .LBB424_177
; %bb.176:
	v_sub_f32_e32 v16, v21, v8
	s_mov_b32 s4, 0x3e9b6dac
	v_mul_f32_e32 v21, 0x3fb8aa3b, v16
	v_cmp_ngt_f32_e32 vcc_lo, 0xc2ce8ed0, v16
	v_fma_f32 v22, 0x3fb8aa3b, v16, -v21
	v_rndne_f32_e32 v23, v21
	v_fmamk_f32 v22, v16, 0x32a5705f, v22
	v_sub_f32_e32 v21, v21, v23
	v_add_f32_e32 v21, v21, v22
	v_cvt_i32_f32_e32 v22, v23
	v_exp_f32_e32 v21, v21
	v_ldexp_f32 v21, v21, v22
	v_cndmask_b32_e32 v21, 0, v21, vcc_lo
	v_cmp_nlt_f32_e32 vcc_lo, 0x42b17218, v16
	v_cndmask_b32_e32 v16, 0x7f800000, v21, vcc_lo
	v_add_f32_e32 v23, 1.0, v16
	v_cvt_f64_f32_e32 v[21:22], v23
	v_frexp_exp_i32_f64_e32 v21, v[21:22]
	v_frexp_mant_f32_e32 v22, v23
	v_cmp_gt_f32_e32 vcc_lo, 0x3f2aaaab, v22
	v_add_f32_e32 v22, -1.0, v23
	v_sub_f32_e32 v27, v22, v23
	v_sub_f32_e32 v22, v16, v22
	v_add_f32_e32 v27, 1.0, v27
	v_add_f32_e32 v22, v22, v27
	v_subrev_co_ci_u32_e64 v21, null, 0, v21, vcc_lo
	v_cmp_neq_f32_e32 vcc_lo, 0x7f800000, v16
	v_sub_nc_u32_e32 v24, 0, v21
	v_cvt_f32_i32_e32 v21, v21
	v_ldexp_f32 v23, v23, v24
	v_ldexp_f32 v22, v22, v24
	v_add_f32_e32 v28, 1.0, v23
	v_add_f32_e32 v24, -1.0, v23
	v_add_f32_e32 v27, -1.0, v28
	v_add_f32_e32 v29, 1.0, v24
	v_sub_f32_e32 v27, v23, v27
	v_sub_f32_e32 v23, v23, v29
	v_add_f32_e32 v27, v22, v27
	v_add_f32_e32 v22, v22, v23
	;; [unrolled: 1-line block ×4, first 2 shown]
	v_rcp_f32_e32 v23, v29
	v_sub_f32_e32 v28, v28, v29
	v_sub_f32_e32 v24, v24, v30
	v_add_f32_e32 v27, v27, v28
	v_add_f32_e32 v22, v22, v24
	v_mul_f32_e32 v31, v30, v23
	v_mul_f32_e32 v32, v29, v31
	v_fma_f32 v28, v31, v29, -v32
	v_fmac_f32_e32 v28, v31, v27
	v_add_f32_e32 v33, v32, v28
	v_sub_f32_e32 v34, v30, v33
	v_sub_f32_e32 v24, v33, v32
	;; [unrolled: 1-line block ×5, first 2 shown]
	v_add_f32_e32 v22, v22, v30
	v_add_f32_e32 v22, v24, v22
	v_add_f32_e32 v24, v34, v22
	v_mul_f32_e32 v28, v23, v24
	v_sub_f32_e32 v33, v34, v24
	v_mul_f32_e32 v30, v29, v28
	v_add_f32_e32 v22, v22, v33
	v_fma_f32 v29, v28, v29, -v30
	v_fmac_f32_e32 v29, v28, v27
	v_add_f32_e32 v27, v30, v29
	v_sub_f32_e32 v32, v24, v27
	v_sub_f32_e32 v30, v27, v30
	;; [unrolled: 1-line block ×5, first 2 shown]
	v_add_f32_e32 v22, v22, v24
	v_add_f32_e32 v24, v31, v28
	;; [unrolled: 1-line block ×3, first 2 shown]
	v_sub_f32_e32 v27, v24, v31
	v_add_f32_e32 v22, v32, v22
	v_sub_f32_e32 v27, v28, v27
	v_mul_f32_e32 v22, v23, v22
	v_add_f32_e32 v22, v27, v22
	v_add_f32_e32 v23, v24, v22
	v_mul_f32_e32 v27, v23, v23
	v_fmaak_f32 v28, s4, v27, 0x3ecc95a3
	v_mul_f32_e32 v29, v23, v27
	v_fmaak_f32 v27, v27, v28, 0x3f2aaada
	v_ldexp_f32 v28, v23, 1
	v_sub_f32_e32 v23, v23, v24
	v_mul_f32_e32 v27, v29, v27
	v_mul_f32_e32 v29, 0x3f317218, v21
	v_sub_f32_e32 v22, v22, v23
	v_add_f32_e32 v24, v28, v27
	v_ldexp_f32 v22, v22, 1
	v_sub_f32_e32 v23, v24, v28
	v_fma_f32 v28, 0x3f317218, v21, -v29
	v_sub_f32_e32 v23, v27, v23
	v_fmamk_f32 v21, v21, 0xb102e308, v28
	v_add_f32_e32 v22, v22, v23
	v_add_f32_e32 v23, v29, v21
	v_add_f32_e32 v27, v24, v22
	v_sub_f32_e32 v29, v23, v29
	v_add_f32_e32 v28, v23, v27
	v_sub_f32_e32 v24, v27, v24
	v_sub_f32_e32 v21, v21, v29
	;; [unrolled: 1-line block ×6, first 2 shown]
	v_add_f32_e32 v27, v21, v22
	v_sub_f32_e32 v23, v23, v31
	v_add_f32_e32 v23, v24, v23
	v_sub_f32_e32 v24, v27, v21
	;; [unrolled: 2-line block ×3, first 2 shown]
	v_sub_f32_e32 v22, v22, v24
	v_add_f32_e32 v29, v28, v23
	v_sub_f32_e32 v21, v21, v27
	v_sub_f32_e32 v24, v29, v28
	v_add_f32_e32 v21, v22, v21
	v_sub_f32_e32 v22, v23, v24
	v_add_f32_e32 v21, v21, v22
	v_add_f32_e32 v21, v29, v21
	v_cndmask_b32_e32 v21, 0x7f800000, v21, vcc_lo
	v_cmp_gt_f32_e64 vcc_lo, 0x33800000, |v16|
	v_cndmask_b32_e32 v16, v21, v16, vcc_lo
	v_add_f32_e32 v8, v8, v16
	v_cvt_f16_f32_e32 v16, v8
.LBB424_177:
	s_or_b32 exec_lo, exec_lo, s3
	s_branch .LBB424_261
.LBB424_178:
	s_cmp_lg_u64 s[24:25], 0
	v_mov_b32_e32 v7, v1
	s_cselect_b32 s3, -1, 0
	s_and_b32 s4, s2, s3
	s_and_saveexec_b32 s3, s4
	s_cbranch_execz .LBB424_182
; %bb.179:
	v_mov_b32_e32 v7, 0
	v_cvt_f32_f16_e32 v8, v1
	global_load_ushort v7, v7, s[20:21]
	s_waitcnt vmcnt(0)
	v_cvt_f32_f16_e32 v9, v7
	v_cmp_u_f16_e32 vcc_lo, v7, v7
	v_min_f32_e32 v10, v9, v8
	v_max_f32_e32 v11, v9, v8
	v_cndmask_b32_e32 v10, v10, v9, vcc_lo
	v_cndmask_b32_e32 v11, v11, v9, vcc_lo
	v_cmp_u_f16_e32 vcc_lo, v1, v1
	v_cndmask_b32_e32 v9, v10, v8, vcc_lo
	v_cndmask_b32_e32 v8, v11, v8, vcc_lo
	v_cmp_class_f32_e64 s4, v9, 0x1f8
	v_cmp_neq_f32_e32 vcc_lo, v9, v8
	s_or_b32 s5, vcc_lo, s4
	s_and_saveexec_b32 s4, s5
	s_cbranch_execz .LBB424_181
; %bb.180:
	v_sub_f32_e32 v7, v9, v8
	s_mov_b32 s5, 0x3e9b6dac
	v_mul_f32_e32 v9, 0x3fb8aa3b, v7
	v_cmp_ngt_f32_e32 vcc_lo, 0xc2ce8ed0, v7
	v_fma_f32 v10, 0x3fb8aa3b, v7, -v9
	v_rndne_f32_e32 v11, v9
	v_fmamk_f32 v10, v7, 0x32a5705f, v10
	v_sub_f32_e32 v9, v9, v11
	v_add_f32_e32 v9, v9, v10
	v_cvt_i32_f32_e32 v10, v11
	v_exp_f32_e32 v9, v9
	v_ldexp_f32 v9, v9, v10
	v_cndmask_b32_e32 v9, 0, v9, vcc_lo
	v_cmp_nlt_f32_e32 vcc_lo, 0x42b17218, v7
	v_cndmask_b32_e32 v7, 0x7f800000, v9, vcc_lo
	v_add_f32_e32 v11, 1.0, v7
	v_cvt_f64_f32_e32 v[9:10], v11
	v_frexp_exp_i32_f64_e32 v9, v[9:10]
	v_frexp_mant_f32_e32 v10, v11
	v_cmp_gt_f32_e32 vcc_lo, 0x3f2aaaab, v10
	v_add_f32_e32 v10, -1.0, v11
	v_sub_f32_e32 v16, v10, v11
	v_sub_f32_e32 v10, v7, v10
	v_add_f32_e32 v16, 1.0, v16
	v_add_f32_e32 v10, v10, v16
	v_subrev_co_ci_u32_e64 v9, null, 0, v9, vcc_lo
	v_cmp_neq_f32_e32 vcc_lo, 0x7f800000, v7
	v_sub_nc_u32_e32 v15, 0, v9
	v_cvt_f32_i32_e32 v9, v9
	v_ldexp_f32 v11, v11, v15
	v_ldexp_f32 v10, v10, v15
	v_add_f32_e32 v17, 1.0, v11
	v_add_f32_e32 v15, -1.0, v11
	v_add_f32_e32 v16, -1.0, v17
	v_add_f32_e32 v18, 1.0, v15
	v_sub_f32_e32 v16, v11, v16
	v_sub_f32_e32 v11, v11, v18
	v_add_f32_e32 v16, v10, v16
	v_add_f32_e32 v10, v10, v11
	v_add_f32_e32 v18, v17, v16
	v_add_f32_e32 v19, v15, v10
	v_rcp_f32_e32 v11, v18
	v_sub_f32_e32 v17, v17, v18
	v_sub_f32_e32 v15, v15, v19
	v_add_f32_e32 v16, v16, v17
	v_add_f32_e32 v10, v10, v15
	v_mul_f32_e32 v20, v19, v11
	v_mul_f32_e32 v21, v18, v20
	v_fma_f32 v17, v20, v18, -v21
	v_fmac_f32_e32 v17, v20, v16
	v_add_f32_e32 v22, v21, v17
	v_sub_f32_e32 v23, v19, v22
	v_sub_f32_e32 v15, v22, v21
	;; [unrolled: 1-line block ×5, first 2 shown]
	v_add_f32_e32 v10, v10, v19
	v_add_f32_e32 v10, v15, v10
	;; [unrolled: 1-line block ×3, first 2 shown]
	v_mul_f32_e32 v17, v11, v15
	v_sub_f32_e32 v22, v23, v15
	v_mul_f32_e32 v19, v18, v17
	v_add_f32_e32 v10, v10, v22
	v_fma_f32 v18, v17, v18, -v19
	v_fmac_f32_e32 v18, v17, v16
	v_add_f32_e32 v16, v19, v18
	v_sub_f32_e32 v21, v15, v16
	v_sub_f32_e32 v19, v16, v19
	;; [unrolled: 1-line block ×5, first 2 shown]
	v_add_f32_e32 v10, v10, v15
	v_add_f32_e32 v15, v20, v17
	;; [unrolled: 1-line block ×3, first 2 shown]
	v_sub_f32_e32 v16, v15, v20
	v_add_f32_e32 v10, v21, v10
	v_sub_f32_e32 v16, v17, v16
	v_mul_f32_e32 v10, v11, v10
	v_add_f32_e32 v10, v16, v10
	v_add_f32_e32 v11, v15, v10
	v_mul_f32_e32 v16, v11, v11
	v_fmaak_f32 v17, s5, v16, 0x3ecc95a3
	v_mul_f32_e32 v18, v11, v16
	v_fmaak_f32 v16, v16, v17, 0x3f2aaada
	v_ldexp_f32 v17, v11, 1
	v_sub_f32_e32 v11, v11, v15
	v_mul_f32_e32 v16, v18, v16
	v_mul_f32_e32 v18, 0x3f317218, v9
	v_sub_f32_e32 v10, v10, v11
	v_add_f32_e32 v15, v17, v16
	v_ldexp_f32 v10, v10, 1
	v_sub_f32_e32 v11, v15, v17
	v_fma_f32 v17, 0x3f317218, v9, -v18
	v_sub_f32_e32 v11, v16, v11
	v_fmamk_f32 v9, v9, 0xb102e308, v17
	v_add_f32_e32 v10, v10, v11
	v_add_f32_e32 v11, v18, v9
	;; [unrolled: 1-line block ×3, first 2 shown]
	v_sub_f32_e32 v18, v11, v18
	v_add_f32_e32 v17, v11, v16
	v_sub_f32_e32 v15, v16, v15
	v_sub_f32_e32 v9, v9, v18
	;; [unrolled: 1-line block ×6, first 2 shown]
	v_add_f32_e32 v16, v9, v10
	v_sub_f32_e32 v11, v11, v20
	v_add_f32_e32 v11, v15, v11
	v_sub_f32_e32 v15, v16, v9
	;; [unrolled: 2-line block ×3, first 2 shown]
	v_sub_f32_e32 v10, v10, v15
	v_add_f32_e32 v18, v17, v11
	v_sub_f32_e32 v9, v9, v16
	v_sub_f32_e32 v15, v18, v17
	v_add_f32_e32 v9, v10, v9
	v_sub_f32_e32 v10, v11, v15
	v_add_f32_e32 v9, v9, v10
	v_add_f32_e32 v9, v18, v9
	v_cndmask_b32_e32 v9, 0x7f800000, v9, vcc_lo
	v_cmp_gt_f32_e64 vcc_lo, 0x33800000, |v7|
	v_cndmask_b32_e32 v7, v9, v7, vcc_lo
	v_add_f32_e32 v7, v8, v7
	v_cvt_f16_f32_e32 v7, v7
.LBB424_181:
	s_or_b32 exec_lo, exec_lo, s4
.LBB424_182:
	s_or_b32 exec_lo, exec_lo, s3
	v_cvt_f32_f16_e32 v8, v7
	v_cmp_u_f16_e64 s13, v7, v7
	v_cmp_u_f16_sdwa vcc_lo, v1, v1 src0_sel:WORD_1 src1_sel:WORD_1
	v_mov_b32_e32 v19, v7
	v_min_f32_e32 v17, v8, v14
	v_max_f32_e32 v18, v8, v14
	v_mov_b32_e32 v20, v8
	v_cndmask_b32_e64 v9, v17, v8, s13
	v_cndmask_b32_e64 v10, v18, v8, s13
	v_cndmask_b32_e32 v9, v9, v14, vcc_lo
	v_cndmask_b32_e32 v1, v10, v14, vcc_lo
	v_cmp_class_f32_e64 s4, v9, 0x1f8
	v_cmp_neq_f32_e64 s3, v9, v1
	s_or_b32 s3, s3, s4
	s_and_saveexec_b32 s4, s3
	s_cbranch_execz .LBB424_184
; %bb.183:
	v_sub_f32_e32 v9, v9, v1
	v_mul_f32_e32 v10, 0x3fb8aa3b, v9
	v_cmp_ngt_f32_e64 s3, 0xc2ce8ed0, v9
	v_fma_f32 v11, 0x3fb8aa3b, v9, -v10
	v_rndne_f32_e32 v15, v10
	v_fmamk_f32 v11, v9, 0x32a5705f, v11
	v_sub_f32_e32 v10, v10, v15
	v_add_f32_e32 v10, v10, v11
	v_cvt_i32_f32_e32 v11, v15
	v_exp_f32_e32 v10, v10
	v_ldexp_f32 v10, v10, v11
	v_cndmask_b32_e64 v10, 0, v10, s3
	v_cmp_nlt_f32_e64 s3, 0x42b17218, v9
	v_cndmask_b32_e64 v11, 0x7f800000, v10, s3
	v_add_f32_e32 v15, 1.0, v11
	v_cvt_f64_f32_e32 v[9:10], v15
	v_frexp_exp_i32_f64_e32 v9, v[9:10]
	v_frexp_mant_f32_e32 v10, v15
	v_cmp_gt_f32_e64 s3, 0x3f2aaaab, v10
	v_add_f32_e32 v10, -1.0, v15
	v_sub_f32_e32 v19, v10, v15
	v_sub_f32_e32 v10, v11, v10
	v_add_f32_e32 v19, 1.0, v19
	v_add_f32_e32 v10, v10, v19
	v_subrev_co_ci_u32_e64 v9, null, 0, v9, s3
	s_mov_b32 s3, 0x3e9b6dac
	v_sub_nc_u32_e32 v16, 0, v9
	v_cvt_f32_i32_e32 v9, v9
	v_ldexp_f32 v15, v15, v16
	v_ldexp_f32 v10, v10, v16
	v_add_f32_e32 v20, 1.0, v15
	v_add_f32_e32 v16, -1.0, v15
	v_add_f32_e32 v19, -1.0, v20
	v_add_f32_e32 v21, 1.0, v16
	v_sub_f32_e32 v19, v15, v19
	v_sub_f32_e32 v15, v15, v21
	v_add_f32_e32 v19, v10, v19
	v_add_f32_e32 v10, v10, v15
	;; [unrolled: 1-line block ×4, first 2 shown]
	v_rcp_f32_e32 v15, v21
	v_sub_f32_e32 v20, v20, v21
	v_sub_f32_e32 v16, v16, v22
	v_add_f32_e32 v19, v19, v20
	v_add_f32_e32 v10, v10, v16
	v_mul_f32_e32 v23, v22, v15
	v_mul_f32_e32 v24, v21, v23
	v_fma_f32 v20, v23, v21, -v24
	v_fmac_f32_e32 v20, v23, v19
	v_add_f32_e32 v25, v24, v20
	v_sub_f32_e32 v26, v22, v25
	v_sub_f32_e32 v16, v25, v24
	v_sub_f32_e32 v22, v22, v26
	v_sub_f32_e32 v16, v16, v20
	v_sub_f32_e32 v22, v22, v25
	v_add_f32_e32 v10, v10, v22
	v_add_f32_e32 v10, v16, v10
	;; [unrolled: 1-line block ×3, first 2 shown]
	v_mul_f32_e32 v20, v15, v16
	v_sub_f32_e32 v25, v26, v16
	v_mul_f32_e32 v22, v21, v20
	v_add_f32_e32 v10, v10, v25
	v_fma_f32 v21, v20, v21, -v22
	v_fmac_f32_e32 v21, v20, v19
	v_add_f32_e32 v19, v22, v21
	v_sub_f32_e32 v24, v16, v19
	v_sub_f32_e32 v22, v19, v22
	;; [unrolled: 1-line block ×5, first 2 shown]
	v_add_f32_e32 v10, v10, v16
	v_add_f32_e32 v16, v23, v20
	;; [unrolled: 1-line block ×3, first 2 shown]
	v_sub_f32_e32 v19, v16, v23
	v_add_f32_e32 v10, v24, v10
	v_sub_f32_e32 v19, v20, v19
	v_mul_f32_e32 v10, v15, v10
	v_add_f32_e32 v10, v19, v10
	v_add_f32_e32 v15, v16, v10
	v_mul_f32_e32 v19, v15, v15
	v_fmaak_f32 v20, s3, v19, 0x3ecc95a3
	v_mul_f32_e32 v21, v15, v19
	v_cmp_neq_f32_e64 s3, 0x7f800000, v11
	v_fmaak_f32 v19, v19, v20, 0x3f2aaada
	v_ldexp_f32 v20, v15, 1
	v_sub_f32_e32 v15, v15, v16
	v_mul_f32_e32 v19, v21, v19
	v_mul_f32_e32 v21, 0x3f317218, v9
	v_sub_f32_e32 v10, v10, v15
	v_add_f32_e32 v16, v20, v19
	v_ldexp_f32 v10, v10, 1
	v_sub_f32_e32 v15, v16, v20
	v_fma_f32 v20, 0x3f317218, v9, -v21
	v_sub_f32_e32 v15, v19, v15
	v_fmamk_f32 v9, v9, 0xb102e308, v20
	v_add_f32_e32 v10, v10, v15
	v_add_f32_e32 v15, v21, v9
	;; [unrolled: 1-line block ×3, first 2 shown]
	v_sub_f32_e32 v21, v15, v21
	v_add_f32_e32 v20, v15, v19
	v_sub_f32_e32 v16, v19, v16
	v_sub_f32_e32 v9, v9, v21
	;; [unrolled: 1-line block ×6, first 2 shown]
	v_add_f32_e32 v19, v9, v10
	v_sub_f32_e32 v15, v15, v23
	v_add_f32_e32 v15, v16, v15
	v_sub_f32_e32 v16, v19, v9
	;; [unrolled: 2-line block ×3, first 2 shown]
	v_sub_f32_e32 v10, v10, v16
	v_add_f32_e32 v21, v20, v15
	v_sub_f32_e32 v9, v9, v19
	v_sub_f32_e32 v16, v21, v20
	v_add_f32_e32 v9, v10, v9
	v_sub_f32_e32 v10, v15, v16
	v_add_f32_e32 v9, v9, v10
	v_add_f32_e32 v9, v21, v9
	v_cndmask_b32_e64 v9, 0x7f800000, v9, s3
	v_cmp_gt_f32_e64 s3, 0x33800000, |v11|
	v_cndmask_b32_e64 v9, v9, v11, s3
	v_add_f32_e32 v1, v1, v9
	v_cvt_f16_f32_e32 v19, v1
	v_cvt_f32_f16_e32 v20, v19
.LBB424_184:
	s_or_b32 exec_lo, exec_lo, s4
	v_cvt_f32_f16_e32 v1, v2
	v_max_f32_e32 v9, v20, v20
	v_cmp_u_f16_e64 s3, v19, v19
	v_min_f32_e32 v10, v9, v1
	v_max_f32_e32 v9, v9, v1
	v_cndmask_b32_e64 v10, v10, v20, s3
	v_cndmask_b32_e64 v9, v9, v20, s3
	v_cmp_u_f16_e64 s3, v2, v2
	v_cndmask_b32_e64 v10, v10, v1, s3
	v_cndmask_b32_e64 v9, v9, v1, s3
	v_cmp_class_f32_e64 s5, v10, 0x1f8
	v_cmp_neq_f32_e64 s4, v10, v9
	s_or_b32 s4, s4, s5
	s_and_saveexec_b32 s5, s4
	s_cbranch_execz .LBB424_186
; %bb.185:
	v_sub_f32_e32 v10, v10, v9
	v_mul_f32_e32 v11, 0x3fb8aa3b, v10
	v_cmp_ngt_f32_e64 s4, 0xc2ce8ed0, v10
	v_fma_f32 v15, 0x3fb8aa3b, v10, -v11
	v_rndne_f32_e32 v16, v11
	v_fmamk_f32 v15, v10, 0x32a5705f, v15
	v_sub_f32_e32 v11, v11, v16
	v_add_f32_e32 v11, v11, v15
	v_cvt_i32_f32_e32 v15, v16
	v_exp_f32_e32 v11, v11
	v_ldexp_f32 v11, v11, v15
	v_cndmask_b32_e64 v11, 0, v11, s4
	v_cmp_nlt_f32_e64 s4, 0x42b17218, v10
	v_cndmask_b32_e64 v15, 0x7f800000, v11, s4
	v_add_f32_e32 v16, 1.0, v15
	v_cvt_f64_f32_e32 v[10:11], v16
	v_frexp_exp_i32_f64_e32 v10, v[10:11]
	v_frexp_mant_f32_e32 v11, v16
	v_cmp_gt_f32_e64 s4, 0x3f2aaaab, v11
	v_add_f32_e32 v11, -1.0, v16
	v_sub_f32_e32 v20, v11, v16
	v_sub_f32_e32 v11, v15, v11
	v_add_f32_e32 v20, 1.0, v20
	v_add_f32_e32 v11, v11, v20
	v_subrev_co_ci_u32_e64 v10, null, 0, v10, s4
	s_mov_b32 s4, 0x3e9b6dac
	v_sub_nc_u32_e32 v19, 0, v10
	v_cvt_f32_i32_e32 v10, v10
	v_ldexp_f32 v16, v16, v19
	v_ldexp_f32 v11, v11, v19
	v_add_f32_e32 v21, 1.0, v16
	v_add_f32_e32 v19, -1.0, v16
	v_add_f32_e32 v20, -1.0, v21
	v_add_f32_e32 v22, 1.0, v19
	v_sub_f32_e32 v20, v16, v20
	v_sub_f32_e32 v16, v16, v22
	v_add_f32_e32 v20, v11, v20
	v_add_f32_e32 v11, v11, v16
	;; [unrolled: 1-line block ×4, first 2 shown]
	v_rcp_f32_e32 v16, v22
	v_sub_f32_e32 v21, v21, v22
	v_sub_f32_e32 v19, v19, v23
	v_add_f32_e32 v20, v20, v21
	v_add_f32_e32 v11, v11, v19
	v_mul_f32_e32 v24, v23, v16
	v_mul_f32_e32 v25, v22, v24
	v_fma_f32 v21, v24, v22, -v25
	v_fmac_f32_e32 v21, v24, v20
	v_add_f32_e32 v26, v25, v21
	v_sub_f32_e32 v27, v23, v26
	v_sub_f32_e32 v19, v26, v25
	;; [unrolled: 1-line block ×5, first 2 shown]
	v_add_f32_e32 v11, v11, v23
	v_add_f32_e32 v11, v19, v11
	;; [unrolled: 1-line block ×3, first 2 shown]
	v_mul_f32_e32 v21, v16, v19
	v_sub_f32_e32 v26, v27, v19
	v_mul_f32_e32 v23, v22, v21
	v_add_f32_e32 v11, v11, v26
	v_fma_f32 v22, v21, v22, -v23
	v_fmac_f32_e32 v22, v21, v20
	v_add_f32_e32 v20, v23, v22
	v_sub_f32_e32 v25, v19, v20
	v_sub_f32_e32 v23, v20, v23
	;; [unrolled: 1-line block ×5, first 2 shown]
	v_add_f32_e32 v11, v11, v19
	v_add_f32_e32 v19, v24, v21
	v_add_f32_e32 v11, v20, v11
	v_sub_f32_e32 v20, v19, v24
	v_add_f32_e32 v11, v25, v11
	v_sub_f32_e32 v20, v21, v20
	v_mul_f32_e32 v11, v16, v11
	v_add_f32_e32 v11, v20, v11
	v_add_f32_e32 v16, v19, v11
	v_mul_f32_e32 v20, v16, v16
	v_fmaak_f32 v21, s4, v20, 0x3ecc95a3
	v_mul_f32_e32 v22, v16, v20
	v_cmp_neq_f32_e64 s4, 0x7f800000, v15
	v_fmaak_f32 v20, v20, v21, 0x3f2aaada
	v_ldexp_f32 v21, v16, 1
	v_sub_f32_e32 v16, v16, v19
	v_mul_f32_e32 v20, v22, v20
	v_mul_f32_e32 v22, 0x3f317218, v10
	v_sub_f32_e32 v11, v11, v16
	v_add_f32_e32 v19, v21, v20
	v_ldexp_f32 v11, v11, 1
	v_sub_f32_e32 v16, v19, v21
	v_fma_f32 v21, 0x3f317218, v10, -v22
	v_sub_f32_e32 v16, v20, v16
	v_fmamk_f32 v10, v10, 0xb102e308, v21
	v_add_f32_e32 v11, v11, v16
	v_add_f32_e32 v16, v22, v10
	;; [unrolled: 1-line block ×3, first 2 shown]
	v_sub_f32_e32 v22, v16, v22
	v_add_f32_e32 v21, v16, v20
	v_sub_f32_e32 v19, v20, v19
	v_sub_f32_e32 v10, v10, v22
	;; [unrolled: 1-line block ×6, first 2 shown]
	v_add_f32_e32 v20, v10, v11
	v_sub_f32_e32 v16, v16, v24
	v_add_f32_e32 v16, v19, v16
	v_sub_f32_e32 v19, v20, v10
	v_add_f32_e32 v16, v20, v16
	v_sub_f32_e32 v20, v20, v19
	v_sub_f32_e32 v11, v11, v19
	v_add_f32_e32 v22, v21, v16
	v_sub_f32_e32 v10, v10, v20
	v_sub_f32_e32 v19, v22, v21
	v_add_f32_e32 v10, v11, v10
	v_sub_f32_e32 v11, v16, v19
	v_add_f32_e32 v10, v10, v11
	v_add_f32_e32 v10, v22, v10
	v_cndmask_b32_e64 v10, 0x7f800000, v10, s4
	v_cmp_gt_f32_e64 s4, 0x33800000, |v15|
	v_cndmask_b32_e64 v10, v10, v15, s4
	v_add_f32_e32 v9, v9, v10
	v_cvt_f16_f32_e32 v19, v9
	v_cvt_f32_f16_e32 v20, v19
.LBB424_186:
	s_or_b32 exec_lo, exec_lo, s5
	v_cvt_f32_f16_sdwa v9, v2 dst_sel:DWORD dst_unused:UNUSED_PAD src0_sel:WORD_1
	v_max_f32_e32 v10, v20, v20
	v_cmp_u_f16_e64 s4, v19, v19
	v_min_f32_e32 v11, v10, v9
	v_max_f32_e32 v10, v10, v9
	v_cndmask_b32_e64 v11, v11, v20, s4
	v_cndmask_b32_e64 v15, v10, v20, s4
	v_cmp_u_f16_sdwa s4, v2, v2 src0_sel:WORD_1 src1_sel:WORD_1
	v_cndmask_b32_e64 v10, v11, v9, s4
	v_cndmask_b32_e64 v2, v15, v9, s4
	v_cmp_class_f32_e64 s6, v10, 0x1f8
	v_cmp_neq_f32_e64 s5, v10, v2
	s_or_b32 s5, s5, s6
	s_and_saveexec_b32 s6, s5
	s_cbranch_execz .LBB424_188
; %bb.187:
	v_sub_f32_e32 v10, v10, v2
	v_mul_f32_e32 v11, 0x3fb8aa3b, v10
	v_cmp_ngt_f32_e64 s5, 0xc2ce8ed0, v10
	v_fma_f32 v15, 0x3fb8aa3b, v10, -v11
	v_rndne_f32_e32 v16, v11
	v_fmamk_f32 v15, v10, 0x32a5705f, v15
	v_sub_f32_e32 v11, v11, v16
	v_add_f32_e32 v11, v11, v15
	v_cvt_i32_f32_e32 v15, v16
	v_exp_f32_e32 v11, v11
	v_ldexp_f32 v11, v11, v15
	v_cndmask_b32_e64 v11, 0, v11, s5
	v_cmp_nlt_f32_e64 s5, 0x42b17218, v10
	v_cndmask_b32_e64 v15, 0x7f800000, v11, s5
	v_add_f32_e32 v16, 1.0, v15
	v_cvt_f64_f32_e32 v[10:11], v16
	v_frexp_exp_i32_f64_e32 v10, v[10:11]
	v_frexp_mant_f32_e32 v11, v16
	v_cmp_gt_f32_e64 s5, 0x3f2aaaab, v11
	v_add_f32_e32 v11, -1.0, v16
	v_sub_f32_e32 v20, v11, v16
	v_sub_f32_e32 v11, v15, v11
	v_add_f32_e32 v20, 1.0, v20
	v_add_f32_e32 v11, v11, v20
	v_subrev_co_ci_u32_e64 v10, null, 0, v10, s5
	s_mov_b32 s5, 0x3e9b6dac
	v_sub_nc_u32_e32 v19, 0, v10
	v_cvt_f32_i32_e32 v10, v10
	v_ldexp_f32 v16, v16, v19
	v_ldexp_f32 v11, v11, v19
	v_add_f32_e32 v21, 1.0, v16
	v_add_f32_e32 v19, -1.0, v16
	v_add_f32_e32 v20, -1.0, v21
	v_add_f32_e32 v22, 1.0, v19
	v_sub_f32_e32 v20, v16, v20
	v_sub_f32_e32 v16, v16, v22
	v_add_f32_e32 v20, v11, v20
	v_add_f32_e32 v11, v11, v16
	;; [unrolled: 1-line block ×4, first 2 shown]
	v_rcp_f32_e32 v16, v22
	v_sub_f32_e32 v21, v21, v22
	v_sub_f32_e32 v19, v19, v23
	v_add_f32_e32 v20, v20, v21
	v_add_f32_e32 v11, v11, v19
	v_mul_f32_e32 v24, v23, v16
	v_mul_f32_e32 v25, v22, v24
	v_fma_f32 v21, v24, v22, -v25
	v_fmac_f32_e32 v21, v24, v20
	v_add_f32_e32 v26, v25, v21
	v_sub_f32_e32 v27, v23, v26
	v_sub_f32_e32 v19, v26, v25
	;; [unrolled: 1-line block ×5, first 2 shown]
	v_add_f32_e32 v11, v11, v23
	v_add_f32_e32 v11, v19, v11
	;; [unrolled: 1-line block ×3, first 2 shown]
	v_mul_f32_e32 v21, v16, v19
	v_sub_f32_e32 v26, v27, v19
	v_mul_f32_e32 v23, v22, v21
	v_add_f32_e32 v11, v11, v26
	v_fma_f32 v22, v21, v22, -v23
	v_fmac_f32_e32 v22, v21, v20
	v_add_f32_e32 v20, v23, v22
	v_sub_f32_e32 v25, v19, v20
	v_sub_f32_e32 v23, v20, v23
	;; [unrolled: 1-line block ×5, first 2 shown]
	v_add_f32_e32 v11, v11, v19
	v_add_f32_e32 v19, v24, v21
	;; [unrolled: 1-line block ×3, first 2 shown]
	v_sub_f32_e32 v20, v19, v24
	v_add_f32_e32 v11, v25, v11
	v_sub_f32_e32 v20, v21, v20
	v_mul_f32_e32 v11, v16, v11
	v_add_f32_e32 v11, v20, v11
	v_add_f32_e32 v16, v19, v11
	v_mul_f32_e32 v20, v16, v16
	v_fmaak_f32 v21, s5, v20, 0x3ecc95a3
	v_mul_f32_e32 v22, v16, v20
	v_cmp_neq_f32_e64 s5, 0x7f800000, v15
	v_fmaak_f32 v20, v20, v21, 0x3f2aaada
	v_ldexp_f32 v21, v16, 1
	v_sub_f32_e32 v16, v16, v19
	v_mul_f32_e32 v20, v22, v20
	v_mul_f32_e32 v22, 0x3f317218, v10
	v_sub_f32_e32 v11, v11, v16
	v_add_f32_e32 v19, v21, v20
	v_ldexp_f32 v11, v11, 1
	v_sub_f32_e32 v16, v19, v21
	v_fma_f32 v21, 0x3f317218, v10, -v22
	v_sub_f32_e32 v16, v20, v16
	v_fmamk_f32 v10, v10, 0xb102e308, v21
	v_add_f32_e32 v11, v11, v16
	v_add_f32_e32 v16, v22, v10
	;; [unrolled: 1-line block ×3, first 2 shown]
	v_sub_f32_e32 v22, v16, v22
	v_add_f32_e32 v21, v16, v20
	v_sub_f32_e32 v19, v20, v19
	v_sub_f32_e32 v10, v10, v22
	;; [unrolled: 1-line block ×6, first 2 shown]
	v_add_f32_e32 v20, v10, v11
	v_sub_f32_e32 v16, v16, v24
	v_add_f32_e32 v16, v19, v16
	v_sub_f32_e32 v19, v20, v10
	;; [unrolled: 2-line block ×3, first 2 shown]
	v_sub_f32_e32 v11, v11, v19
	v_add_f32_e32 v22, v21, v16
	v_sub_f32_e32 v10, v10, v20
	v_sub_f32_e32 v19, v22, v21
	v_add_f32_e32 v10, v11, v10
	v_sub_f32_e32 v11, v16, v19
	v_add_f32_e32 v10, v10, v11
	v_add_f32_e32 v10, v22, v10
	v_cndmask_b32_e64 v10, 0x7f800000, v10, s5
	v_cmp_gt_f32_e64 s5, 0x33800000, |v15|
	v_cndmask_b32_e64 v10, v10, v15, s5
	v_add_f32_e32 v2, v2, v10
	v_cvt_f16_f32_e32 v19, v2
	v_cvt_f32_f16_e32 v20, v19
.LBB424_188:
	s_or_b32 exec_lo, exec_lo, s6
	v_cvt_f32_f16_e32 v2, v3
	v_max_f32_e32 v10, v20, v20
	v_cmp_u_f16_e64 s5, v19, v19
	v_min_f32_e32 v11, v10, v2
	v_max_f32_e32 v10, v10, v2
	v_cndmask_b32_e64 v11, v11, v20, s5
	v_cndmask_b32_e64 v10, v10, v20, s5
	v_cmp_u_f16_e64 s5, v3, v3
	v_cndmask_b32_e64 v11, v11, v2, s5
	v_cndmask_b32_e64 v10, v10, v2, s5
	v_cmp_class_f32_e64 s7, v11, 0x1f8
	v_cmp_neq_f32_e64 s6, v11, v10
	s_or_b32 s6, s6, s7
	s_and_saveexec_b32 s7, s6
	s_cbranch_execz .LBB424_190
; %bb.189:
	v_sub_f32_e32 v11, v11, v10
	v_mul_f32_e32 v15, 0x3fb8aa3b, v11
	v_cmp_ngt_f32_e64 s6, 0xc2ce8ed0, v11
	v_fma_f32 v16, 0x3fb8aa3b, v11, -v15
	v_rndne_f32_e32 v19, v15
	v_fmamk_f32 v16, v11, 0x32a5705f, v16
	v_sub_f32_e32 v15, v15, v19
	v_add_f32_e32 v15, v15, v16
	v_cvt_i32_f32_e32 v16, v19
	v_exp_f32_e32 v15, v15
	v_ldexp_f32 v15, v15, v16
	v_cndmask_b32_e64 v15, 0, v15, s6
	v_cmp_nlt_f32_e64 s6, 0x42b17218, v11
	v_cndmask_b32_e64 v11, 0x7f800000, v15, s6
	v_add_f32_e32 v19, 1.0, v11
	v_cvt_f64_f32_e32 v[15:16], v19
	v_frexp_exp_i32_f64_e32 v15, v[15:16]
	v_frexp_mant_f32_e32 v16, v19
	v_cmp_gt_f32_e64 s6, 0x3f2aaaab, v16
	v_add_f32_e32 v16, -1.0, v19
	v_sub_f32_e32 v21, v16, v19
	v_sub_f32_e32 v16, v11, v16
	v_add_f32_e32 v21, 1.0, v21
	v_add_f32_e32 v16, v16, v21
	v_subrev_co_ci_u32_e64 v15, null, 0, v15, s6
	s_mov_b32 s6, 0x3e9b6dac
	v_sub_nc_u32_e32 v20, 0, v15
	v_cvt_f32_i32_e32 v15, v15
	v_ldexp_f32 v19, v19, v20
	v_ldexp_f32 v16, v16, v20
	v_add_f32_e32 v22, 1.0, v19
	v_add_f32_e32 v20, -1.0, v19
	v_add_f32_e32 v21, -1.0, v22
	v_add_f32_e32 v23, 1.0, v20
	v_sub_f32_e32 v21, v19, v21
	v_sub_f32_e32 v19, v19, v23
	v_add_f32_e32 v21, v16, v21
	v_add_f32_e32 v16, v16, v19
	;; [unrolled: 1-line block ×4, first 2 shown]
	v_rcp_f32_e32 v19, v23
	v_sub_f32_e32 v22, v22, v23
	v_sub_f32_e32 v20, v20, v24
	v_add_f32_e32 v21, v21, v22
	v_add_f32_e32 v16, v16, v20
	v_mul_f32_e32 v25, v24, v19
	v_mul_f32_e32 v26, v23, v25
	v_fma_f32 v22, v25, v23, -v26
	v_fmac_f32_e32 v22, v25, v21
	v_add_f32_e32 v27, v26, v22
	v_sub_f32_e32 v28, v24, v27
	v_sub_f32_e32 v20, v27, v26
	;; [unrolled: 1-line block ×5, first 2 shown]
	v_add_f32_e32 v16, v16, v24
	v_add_f32_e32 v16, v20, v16
	;; [unrolled: 1-line block ×3, first 2 shown]
	v_mul_f32_e32 v22, v19, v20
	v_sub_f32_e32 v27, v28, v20
	v_mul_f32_e32 v24, v23, v22
	v_add_f32_e32 v16, v16, v27
	v_fma_f32 v23, v22, v23, -v24
	v_fmac_f32_e32 v23, v22, v21
	v_add_f32_e32 v21, v24, v23
	v_sub_f32_e32 v26, v20, v21
	v_sub_f32_e32 v24, v21, v24
	;; [unrolled: 1-line block ×5, first 2 shown]
	v_add_f32_e32 v16, v16, v20
	v_add_f32_e32 v20, v25, v22
	;; [unrolled: 1-line block ×3, first 2 shown]
	v_sub_f32_e32 v21, v20, v25
	v_add_f32_e32 v16, v26, v16
	v_sub_f32_e32 v21, v22, v21
	v_mul_f32_e32 v16, v19, v16
	v_add_f32_e32 v16, v21, v16
	v_add_f32_e32 v19, v20, v16
	v_mul_f32_e32 v21, v19, v19
	v_fmaak_f32 v22, s6, v21, 0x3ecc95a3
	v_mul_f32_e32 v23, v19, v21
	v_cmp_neq_f32_e64 s6, 0x7f800000, v11
	v_fmaak_f32 v21, v21, v22, 0x3f2aaada
	v_ldexp_f32 v22, v19, 1
	v_sub_f32_e32 v19, v19, v20
	v_mul_f32_e32 v21, v23, v21
	v_mul_f32_e32 v23, 0x3f317218, v15
	v_sub_f32_e32 v16, v16, v19
	v_add_f32_e32 v20, v22, v21
	v_ldexp_f32 v16, v16, 1
	v_sub_f32_e32 v19, v20, v22
	v_fma_f32 v22, 0x3f317218, v15, -v23
	v_sub_f32_e32 v19, v21, v19
	v_fmamk_f32 v15, v15, 0xb102e308, v22
	v_add_f32_e32 v16, v16, v19
	v_add_f32_e32 v19, v23, v15
	;; [unrolled: 1-line block ×3, first 2 shown]
	v_sub_f32_e32 v23, v19, v23
	v_add_f32_e32 v22, v19, v21
	v_sub_f32_e32 v20, v21, v20
	v_sub_f32_e32 v15, v15, v23
	;; [unrolled: 1-line block ×6, first 2 shown]
	v_add_f32_e32 v21, v15, v16
	v_sub_f32_e32 v19, v19, v25
	v_add_f32_e32 v19, v20, v19
	v_sub_f32_e32 v20, v21, v15
	;; [unrolled: 2-line block ×3, first 2 shown]
	v_sub_f32_e32 v16, v16, v20
	v_add_f32_e32 v23, v22, v19
	v_sub_f32_e32 v15, v15, v21
	v_sub_f32_e32 v20, v23, v22
	v_add_f32_e32 v15, v16, v15
	v_sub_f32_e32 v16, v19, v20
	v_add_f32_e32 v15, v15, v16
	v_add_f32_e32 v15, v23, v15
	v_cndmask_b32_e64 v15, 0x7f800000, v15, s6
	v_cmp_gt_f32_e64 s6, 0x33800000, |v11|
	v_cndmask_b32_e64 v11, v15, v11, s6
	v_add_f32_e32 v10, v10, v11
	v_cvt_f16_f32_e32 v19, v10
	v_cvt_f32_f16_e32 v20, v19
.LBB424_190:
	s_or_b32 exec_lo, exec_lo, s7
	v_cvt_f32_f16_sdwa v10, v3 dst_sel:DWORD dst_unused:UNUSED_PAD src0_sel:WORD_1
	v_max_f32_e32 v11, v20, v20
	v_cmp_u_f16_e64 s6, v19, v19
	v_min_f32_e32 v15, v11, v10
	v_max_f32_e32 v11, v11, v10
	v_cndmask_b32_e64 v15, v15, v20, s6
	v_cndmask_b32_e64 v16, v11, v20, s6
	v_cmp_u_f16_sdwa s6, v3, v3 src0_sel:WORD_1 src1_sel:WORD_1
	v_cndmask_b32_e64 v11, v15, v10, s6
	v_cndmask_b32_e64 v3, v16, v10, s6
	v_cmp_class_f32_e64 s8, v11, 0x1f8
	v_cmp_neq_f32_e64 s7, v11, v3
	s_or_b32 s7, s7, s8
	s_and_saveexec_b32 s8, s7
	s_cbranch_execz .LBB424_192
; %bb.191:
	v_sub_f32_e32 v11, v11, v3
	v_mul_f32_e32 v15, 0x3fb8aa3b, v11
	v_cmp_ngt_f32_e64 s7, 0xc2ce8ed0, v11
	v_fma_f32 v16, 0x3fb8aa3b, v11, -v15
	v_rndne_f32_e32 v19, v15
	v_fmamk_f32 v16, v11, 0x32a5705f, v16
	v_sub_f32_e32 v15, v15, v19
	v_add_f32_e32 v15, v15, v16
	v_cvt_i32_f32_e32 v16, v19
	v_exp_f32_e32 v15, v15
	v_ldexp_f32 v15, v15, v16
	v_cndmask_b32_e64 v15, 0, v15, s7
	v_cmp_nlt_f32_e64 s7, 0x42b17218, v11
	v_cndmask_b32_e64 v11, 0x7f800000, v15, s7
	v_add_f32_e32 v19, 1.0, v11
	v_cvt_f64_f32_e32 v[15:16], v19
	v_frexp_exp_i32_f64_e32 v15, v[15:16]
	v_frexp_mant_f32_e32 v16, v19
	v_cmp_gt_f32_e64 s7, 0x3f2aaaab, v16
	v_add_f32_e32 v16, -1.0, v19
	v_sub_f32_e32 v21, v16, v19
	v_sub_f32_e32 v16, v11, v16
	v_add_f32_e32 v21, 1.0, v21
	v_add_f32_e32 v16, v16, v21
	v_subrev_co_ci_u32_e64 v15, null, 0, v15, s7
	s_mov_b32 s7, 0x3e9b6dac
	v_sub_nc_u32_e32 v20, 0, v15
	v_cvt_f32_i32_e32 v15, v15
	v_ldexp_f32 v19, v19, v20
	v_ldexp_f32 v16, v16, v20
	v_add_f32_e32 v22, 1.0, v19
	v_add_f32_e32 v20, -1.0, v19
	v_add_f32_e32 v21, -1.0, v22
	v_add_f32_e32 v23, 1.0, v20
	v_sub_f32_e32 v21, v19, v21
	v_sub_f32_e32 v19, v19, v23
	v_add_f32_e32 v21, v16, v21
	v_add_f32_e32 v16, v16, v19
	;; [unrolled: 1-line block ×4, first 2 shown]
	v_rcp_f32_e32 v19, v23
	v_sub_f32_e32 v22, v22, v23
	v_sub_f32_e32 v20, v20, v24
	v_add_f32_e32 v21, v21, v22
	v_add_f32_e32 v16, v16, v20
	v_mul_f32_e32 v25, v24, v19
	v_mul_f32_e32 v26, v23, v25
	v_fma_f32 v22, v25, v23, -v26
	v_fmac_f32_e32 v22, v25, v21
	v_add_f32_e32 v27, v26, v22
	v_sub_f32_e32 v28, v24, v27
	v_sub_f32_e32 v20, v27, v26
	;; [unrolled: 1-line block ×5, first 2 shown]
	v_add_f32_e32 v16, v16, v24
	v_add_f32_e32 v16, v20, v16
	;; [unrolled: 1-line block ×3, first 2 shown]
	v_mul_f32_e32 v22, v19, v20
	v_sub_f32_e32 v27, v28, v20
	v_mul_f32_e32 v24, v23, v22
	v_add_f32_e32 v16, v16, v27
	v_fma_f32 v23, v22, v23, -v24
	v_fmac_f32_e32 v23, v22, v21
	v_add_f32_e32 v21, v24, v23
	v_sub_f32_e32 v26, v20, v21
	v_sub_f32_e32 v24, v21, v24
	;; [unrolled: 1-line block ×5, first 2 shown]
	v_add_f32_e32 v16, v16, v20
	v_add_f32_e32 v20, v25, v22
	;; [unrolled: 1-line block ×3, first 2 shown]
	v_sub_f32_e32 v21, v20, v25
	v_add_f32_e32 v16, v26, v16
	v_sub_f32_e32 v21, v22, v21
	v_mul_f32_e32 v16, v19, v16
	v_add_f32_e32 v16, v21, v16
	v_add_f32_e32 v19, v20, v16
	v_mul_f32_e32 v21, v19, v19
	v_fmaak_f32 v22, s7, v21, 0x3ecc95a3
	v_mul_f32_e32 v23, v19, v21
	v_cmp_neq_f32_e64 s7, 0x7f800000, v11
	v_fmaak_f32 v21, v21, v22, 0x3f2aaada
	v_ldexp_f32 v22, v19, 1
	v_sub_f32_e32 v19, v19, v20
	v_mul_f32_e32 v21, v23, v21
	v_mul_f32_e32 v23, 0x3f317218, v15
	v_sub_f32_e32 v16, v16, v19
	v_add_f32_e32 v20, v22, v21
	v_ldexp_f32 v16, v16, 1
	v_sub_f32_e32 v19, v20, v22
	v_fma_f32 v22, 0x3f317218, v15, -v23
	v_sub_f32_e32 v19, v21, v19
	v_fmamk_f32 v15, v15, 0xb102e308, v22
	v_add_f32_e32 v16, v16, v19
	v_add_f32_e32 v19, v23, v15
	v_add_f32_e32 v21, v20, v16
	v_sub_f32_e32 v23, v19, v23
	v_add_f32_e32 v22, v19, v21
	v_sub_f32_e32 v20, v21, v20
	v_sub_f32_e32 v15, v15, v23
	;; [unrolled: 1-line block ×6, first 2 shown]
	v_add_f32_e32 v21, v15, v16
	v_sub_f32_e32 v19, v19, v25
	v_add_f32_e32 v19, v20, v19
	v_sub_f32_e32 v20, v21, v15
	;; [unrolled: 2-line block ×3, first 2 shown]
	v_sub_f32_e32 v16, v16, v20
	v_add_f32_e32 v23, v22, v19
	v_sub_f32_e32 v15, v15, v21
	v_sub_f32_e32 v20, v23, v22
	v_add_f32_e32 v15, v16, v15
	v_sub_f32_e32 v16, v19, v20
	v_add_f32_e32 v15, v15, v16
	v_add_f32_e32 v15, v23, v15
	v_cndmask_b32_e64 v15, 0x7f800000, v15, s7
	v_cmp_gt_f32_e64 s7, 0x33800000, |v11|
	v_cndmask_b32_e64 v11, v15, v11, s7
	v_add_f32_e32 v3, v3, v11
	v_cvt_f16_f32_e32 v19, v3
	v_cvt_f32_f16_e32 v20, v19
.LBB424_192:
	s_or_b32 exec_lo, exec_lo, s8
	v_cvt_f32_f16_e32 v3, v4
	v_max_f32_e32 v11, v20, v20
	v_cmp_u_f16_e64 s7, v19, v19
	v_min_f32_e32 v15, v11, v3
	v_max_f32_e32 v11, v11, v3
	v_cndmask_b32_e64 v15, v15, v20, s7
	v_cndmask_b32_e64 v11, v11, v20, s7
	v_cmp_u_f16_e64 s7, v4, v4
	v_cndmask_b32_e64 v15, v15, v3, s7
	v_cndmask_b32_e64 v11, v11, v3, s7
	v_cmp_class_f32_e64 s9, v15, 0x1f8
	v_cmp_neq_f32_e64 s8, v15, v11
	s_or_b32 s8, s8, s9
	s_and_saveexec_b32 s9, s8
	s_cbranch_execz .LBB424_194
; %bb.193:
	v_sub_f32_e32 v15, v15, v11
	v_mul_f32_e32 v16, 0x3fb8aa3b, v15
	v_cmp_ngt_f32_e64 s8, 0xc2ce8ed0, v15
	v_fma_f32 v19, 0x3fb8aa3b, v15, -v16
	v_rndne_f32_e32 v20, v16
	v_fmamk_f32 v19, v15, 0x32a5705f, v19
	v_sub_f32_e32 v16, v16, v20
	v_add_f32_e32 v16, v16, v19
	v_cvt_i32_f32_e32 v19, v20
	v_exp_f32_e32 v16, v16
	v_ldexp_f32 v16, v16, v19
	v_cndmask_b32_e64 v16, 0, v16, s8
	v_cmp_nlt_f32_e64 s8, 0x42b17218, v15
	v_cndmask_b32_e64 v19, 0x7f800000, v16, s8
	v_add_f32_e32 v20, 1.0, v19
	v_cvt_f64_f32_e32 v[15:16], v20
	v_frexp_exp_i32_f64_e32 v15, v[15:16]
	v_frexp_mant_f32_e32 v16, v20
	v_cmp_gt_f32_e64 s8, 0x3f2aaaab, v16
	v_add_f32_e32 v16, -1.0, v20
	v_sub_f32_e32 v22, v16, v20
	v_sub_f32_e32 v16, v19, v16
	v_add_f32_e32 v22, 1.0, v22
	v_add_f32_e32 v16, v16, v22
	v_subrev_co_ci_u32_e64 v15, null, 0, v15, s8
	s_mov_b32 s8, 0x3e9b6dac
	v_sub_nc_u32_e32 v21, 0, v15
	v_cvt_f32_i32_e32 v15, v15
	v_ldexp_f32 v20, v20, v21
	v_ldexp_f32 v16, v16, v21
	v_add_f32_e32 v23, 1.0, v20
	v_add_f32_e32 v21, -1.0, v20
	v_add_f32_e32 v22, -1.0, v23
	v_add_f32_e32 v24, 1.0, v21
	v_sub_f32_e32 v22, v20, v22
	v_sub_f32_e32 v20, v20, v24
	v_add_f32_e32 v22, v16, v22
	v_add_f32_e32 v16, v16, v20
	;; [unrolled: 1-line block ×4, first 2 shown]
	v_rcp_f32_e32 v20, v24
	v_sub_f32_e32 v23, v23, v24
	v_sub_f32_e32 v21, v21, v25
	v_add_f32_e32 v22, v22, v23
	v_add_f32_e32 v16, v16, v21
	v_mul_f32_e32 v26, v25, v20
	v_mul_f32_e32 v27, v24, v26
	v_fma_f32 v23, v26, v24, -v27
	v_fmac_f32_e32 v23, v26, v22
	v_add_f32_e32 v28, v27, v23
	v_sub_f32_e32 v29, v25, v28
	v_sub_f32_e32 v21, v28, v27
	;; [unrolled: 1-line block ×5, first 2 shown]
	v_add_f32_e32 v16, v16, v25
	v_add_f32_e32 v16, v21, v16
	;; [unrolled: 1-line block ×3, first 2 shown]
	v_mul_f32_e32 v23, v20, v21
	v_sub_f32_e32 v28, v29, v21
	v_mul_f32_e32 v25, v24, v23
	v_add_f32_e32 v16, v16, v28
	v_fma_f32 v24, v23, v24, -v25
	v_fmac_f32_e32 v24, v23, v22
	v_add_f32_e32 v22, v25, v24
	v_sub_f32_e32 v27, v21, v22
	v_sub_f32_e32 v25, v22, v25
	;; [unrolled: 1-line block ×5, first 2 shown]
	v_add_f32_e32 v16, v16, v21
	v_add_f32_e32 v21, v26, v23
	;; [unrolled: 1-line block ×3, first 2 shown]
	v_sub_f32_e32 v22, v21, v26
	v_add_f32_e32 v16, v27, v16
	v_sub_f32_e32 v22, v23, v22
	v_mul_f32_e32 v16, v20, v16
	v_add_f32_e32 v16, v22, v16
	v_add_f32_e32 v20, v21, v16
	v_mul_f32_e32 v22, v20, v20
	v_fmaak_f32 v23, s8, v22, 0x3ecc95a3
	v_mul_f32_e32 v24, v20, v22
	v_cmp_neq_f32_e64 s8, 0x7f800000, v19
	v_fmaak_f32 v22, v22, v23, 0x3f2aaada
	v_ldexp_f32 v23, v20, 1
	v_sub_f32_e32 v20, v20, v21
	v_mul_f32_e32 v22, v24, v22
	v_mul_f32_e32 v24, 0x3f317218, v15
	v_sub_f32_e32 v16, v16, v20
	v_add_f32_e32 v21, v23, v22
	v_ldexp_f32 v16, v16, 1
	v_sub_f32_e32 v20, v21, v23
	v_fma_f32 v23, 0x3f317218, v15, -v24
	v_sub_f32_e32 v20, v22, v20
	v_fmamk_f32 v15, v15, 0xb102e308, v23
	v_add_f32_e32 v16, v16, v20
	v_add_f32_e32 v20, v24, v15
	;; [unrolled: 1-line block ×3, first 2 shown]
	v_sub_f32_e32 v24, v20, v24
	v_add_f32_e32 v23, v20, v22
	v_sub_f32_e32 v21, v22, v21
	v_sub_f32_e32 v15, v15, v24
	;; [unrolled: 1-line block ×6, first 2 shown]
	v_add_f32_e32 v22, v15, v16
	v_sub_f32_e32 v20, v20, v26
	v_add_f32_e32 v20, v21, v20
	v_sub_f32_e32 v21, v22, v15
	;; [unrolled: 2-line block ×3, first 2 shown]
	v_sub_f32_e32 v16, v16, v21
	v_add_f32_e32 v24, v23, v20
	v_sub_f32_e32 v15, v15, v22
	v_sub_f32_e32 v21, v24, v23
	v_add_f32_e32 v15, v16, v15
	v_sub_f32_e32 v16, v20, v21
	v_add_f32_e32 v15, v15, v16
	v_add_f32_e32 v15, v24, v15
	v_cndmask_b32_e64 v15, 0x7f800000, v15, s8
	v_cmp_gt_f32_e64 s8, 0x33800000, |v19|
	v_cndmask_b32_e64 v15, v15, v19, s8
	v_add_f32_e32 v11, v11, v15
	v_cvt_f16_f32_e32 v19, v11
	v_cvt_f32_f16_e32 v20, v19
.LBB424_194:
	s_or_b32 exec_lo, exec_lo, s9
	v_cvt_f32_f16_sdwa v11, v4 dst_sel:DWORD dst_unused:UNUSED_PAD src0_sel:WORD_1
	v_max_f32_e32 v15, v20, v20
	v_cmp_u_f16_e64 s8, v19, v19
	v_min_f32_e32 v16, v15, v11
	v_max_f32_e32 v15, v15, v11
	v_cndmask_b32_e64 v16, v16, v20, s8
	v_cndmask_b32_e64 v21, v15, v20, s8
	v_cmp_u_f16_sdwa s8, v4, v4 src0_sel:WORD_1 src1_sel:WORD_1
	v_cndmask_b32_e64 v15, v16, v11, s8
	v_cndmask_b32_e64 v4, v21, v11, s8
	v_cmp_class_f32_e64 s10, v15, 0x1f8
	v_cmp_neq_f32_e64 s9, v15, v4
	s_or_b32 s9, s9, s10
	s_and_saveexec_b32 s10, s9
	s_cbranch_execz .LBB424_196
; %bb.195:
	v_sub_f32_e32 v15, v15, v4
	v_mul_f32_e32 v16, 0x3fb8aa3b, v15
	v_cmp_ngt_f32_e64 s9, 0xc2ce8ed0, v15
	v_fma_f32 v19, 0x3fb8aa3b, v15, -v16
	v_rndne_f32_e32 v20, v16
	v_fmamk_f32 v19, v15, 0x32a5705f, v19
	v_sub_f32_e32 v16, v16, v20
	v_add_f32_e32 v16, v16, v19
	v_cvt_i32_f32_e32 v19, v20
	v_exp_f32_e32 v16, v16
	v_ldexp_f32 v16, v16, v19
	v_cndmask_b32_e64 v16, 0, v16, s9
	v_cmp_nlt_f32_e64 s9, 0x42b17218, v15
	v_cndmask_b32_e64 v19, 0x7f800000, v16, s9
	v_add_f32_e32 v20, 1.0, v19
	v_cvt_f64_f32_e32 v[15:16], v20
	v_frexp_exp_i32_f64_e32 v15, v[15:16]
	v_frexp_mant_f32_e32 v16, v20
	v_cmp_gt_f32_e64 s9, 0x3f2aaaab, v16
	v_add_f32_e32 v16, -1.0, v20
	v_sub_f32_e32 v22, v16, v20
	v_sub_f32_e32 v16, v19, v16
	v_add_f32_e32 v22, 1.0, v22
	v_add_f32_e32 v16, v16, v22
	v_subrev_co_ci_u32_e64 v15, null, 0, v15, s9
	s_mov_b32 s9, 0x3e9b6dac
	v_sub_nc_u32_e32 v21, 0, v15
	v_cvt_f32_i32_e32 v15, v15
	v_ldexp_f32 v20, v20, v21
	v_ldexp_f32 v16, v16, v21
	v_add_f32_e32 v23, 1.0, v20
	v_add_f32_e32 v21, -1.0, v20
	v_add_f32_e32 v22, -1.0, v23
	v_add_f32_e32 v24, 1.0, v21
	v_sub_f32_e32 v22, v20, v22
	v_sub_f32_e32 v20, v20, v24
	v_add_f32_e32 v22, v16, v22
	v_add_f32_e32 v16, v16, v20
	;; [unrolled: 1-line block ×4, first 2 shown]
	v_rcp_f32_e32 v20, v24
	v_sub_f32_e32 v23, v23, v24
	v_sub_f32_e32 v21, v21, v25
	v_add_f32_e32 v22, v22, v23
	v_add_f32_e32 v16, v16, v21
	v_mul_f32_e32 v26, v25, v20
	v_mul_f32_e32 v27, v24, v26
	v_fma_f32 v23, v26, v24, -v27
	v_fmac_f32_e32 v23, v26, v22
	v_add_f32_e32 v28, v27, v23
	v_sub_f32_e32 v29, v25, v28
	v_sub_f32_e32 v21, v28, v27
	v_sub_f32_e32 v25, v25, v29
	v_sub_f32_e32 v21, v21, v23
	v_sub_f32_e32 v25, v25, v28
	v_add_f32_e32 v16, v16, v25
	v_add_f32_e32 v16, v21, v16
	;; [unrolled: 1-line block ×3, first 2 shown]
	v_mul_f32_e32 v23, v20, v21
	v_sub_f32_e32 v28, v29, v21
	v_mul_f32_e32 v25, v24, v23
	v_add_f32_e32 v16, v16, v28
	v_fma_f32 v24, v23, v24, -v25
	v_fmac_f32_e32 v24, v23, v22
	v_add_f32_e32 v22, v25, v24
	v_sub_f32_e32 v27, v21, v22
	v_sub_f32_e32 v25, v22, v25
	;; [unrolled: 1-line block ×5, first 2 shown]
	v_add_f32_e32 v16, v16, v21
	v_add_f32_e32 v21, v26, v23
	;; [unrolled: 1-line block ×3, first 2 shown]
	v_sub_f32_e32 v22, v21, v26
	v_add_f32_e32 v16, v27, v16
	v_sub_f32_e32 v22, v23, v22
	v_mul_f32_e32 v16, v20, v16
	v_add_f32_e32 v16, v22, v16
	v_add_f32_e32 v20, v21, v16
	v_mul_f32_e32 v22, v20, v20
	v_fmaak_f32 v23, s9, v22, 0x3ecc95a3
	v_mul_f32_e32 v24, v20, v22
	v_cmp_neq_f32_e64 s9, 0x7f800000, v19
	v_fmaak_f32 v22, v22, v23, 0x3f2aaada
	v_ldexp_f32 v23, v20, 1
	v_sub_f32_e32 v20, v20, v21
	v_mul_f32_e32 v22, v24, v22
	v_mul_f32_e32 v24, 0x3f317218, v15
	v_sub_f32_e32 v16, v16, v20
	v_add_f32_e32 v21, v23, v22
	v_ldexp_f32 v16, v16, 1
	v_sub_f32_e32 v20, v21, v23
	v_fma_f32 v23, 0x3f317218, v15, -v24
	v_sub_f32_e32 v20, v22, v20
	v_fmamk_f32 v15, v15, 0xb102e308, v23
	v_add_f32_e32 v16, v16, v20
	v_add_f32_e32 v20, v24, v15
	;; [unrolled: 1-line block ×3, first 2 shown]
	v_sub_f32_e32 v24, v20, v24
	v_add_f32_e32 v23, v20, v22
	v_sub_f32_e32 v21, v22, v21
	v_sub_f32_e32 v15, v15, v24
	;; [unrolled: 1-line block ×6, first 2 shown]
	v_add_f32_e32 v22, v15, v16
	v_sub_f32_e32 v20, v20, v26
	v_add_f32_e32 v20, v21, v20
	v_sub_f32_e32 v21, v22, v15
	;; [unrolled: 2-line block ×3, first 2 shown]
	v_sub_f32_e32 v16, v16, v21
	v_add_f32_e32 v24, v23, v20
	v_sub_f32_e32 v15, v15, v22
	v_sub_f32_e32 v21, v24, v23
	v_add_f32_e32 v15, v16, v15
	v_sub_f32_e32 v16, v20, v21
	v_add_f32_e32 v15, v15, v16
	v_add_f32_e32 v15, v24, v15
	v_cndmask_b32_e64 v15, 0x7f800000, v15, s9
	v_cmp_gt_f32_e64 s9, 0x33800000, |v19|
	v_cndmask_b32_e64 v15, v15, v19, s9
	v_add_f32_e32 v4, v4, v15
	v_cvt_f16_f32_e32 v19, v4
	v_cvt_f32_f16_e32 v20, v19
.LBB424_196:
	s_or_b32 exec_lo, exec_lo, s10
	v_cvt_f32_f16_e32 v4, v5
	v_max_f32_e32 v15, v20, v20
	v_cmp_u_f16_e64 s9, v19, v19
	v_min_f32_e32 v16, v15, v4
	v_max_f32_e32 v15, v15, v4
	v_cndmask_b32_e64 v16, v16, v20, s9
	v_cndmask_b32_e64 v15, v15, v20, s9
	v_cmp_u_f16_e64 s9, v5, v5
	v_cndmask_b32_e64 v16, v16, v4, s9
	v_cndmask_b32_e64 v15, v15, v4, s9
	v_cmp_class_f32_e64 s11, v16, 0x1f8
	v_cmp_neq_f32_e64 s10, v16, v15
	s_or_b32 s10, s10, s11
	s_and_saveexec_b32 s11, s10
	s_cbranch_execz .LBB424_198
; %bb.197:
	v_sub_f32_e32 v16, v16, v15
	v_mul_f32_e32 v19, 0x3fb8aa3b, v16
	v_cmp_ngt_f32_e64 s10, 0xc2ce8ed0, v16
	v_fma_f32 v20, 0x3fb8aa3b, v16, -v19
	v_rndne_f32_e32 v21, v19
	v_fmamk_f32 v20, v16, 0x32a5705f, v20
	v_sub_f32_e32 v19, v19, v21
	v_add_f32_e32 v19, v19, v20
	v_cvt_i32_f32_e32 v20, v21
	v_exp_f32_e32 v19, v19
	v_ldexp_f32 v19, v19, v20
	v_cndmask_b32_e64 v19, 0, v19, s10
	v_cmp_nlt_f32_e64 s10, 0x42b17218, v16
	v_cndmask_b32_e64 v16, 0x7f800000, v19, s10
	v_add_f32_e32 v21, 1.0, v16
	v_cvt_f64_f32_e32 v[19:20], v21
	v_frexp_exp_i32_f64_e32 v19, v[19:20]
	v_frexp_mant_f32_e32 v20, v21
	v_cmp_gt_f32_e64 s10, 0x3f2aaaab, v20
	v_add_f32_e32 v20, -1.0, v21
	v_sub_f32_e32 v23, v20, v21
	v_sub_f32_e32 v20, v16, v20
	v_add_f32_e32 v23, 1.0, v23
	v_add_f32_e32 v20, v20, v23
	v_subrev_co_ci_u32_e64 v19, null, 0, v19, s10
	s_mov_b32 s10, 0x3e9b6dac
	v_sub_nc_u32_e32 v22, 0, v19
	v_cvt_f32_i32_e32 v19, v19
	v_ldexp_f32 v21, v21, v22
	v_ldexp_f32 v20, v20, v22
	v_add_f32_e32 v24, 1.0, v21
	v_add_f32_e32 v22, -1.0, v21
	v_add_f32_e32 v23, -1.0, v24
	v_add_f32_e32 v25, 1.0, v22
	v_sub_f32_e32 v23, v21, v23
	v_sub_f32_e32 v21, v21, v25
	v_add_f32_e32 v23, v20, v23
	v_add_f32_e32 v20, v20, v21
	;; [unrolled: 1-line block ×4, first 2 shown]
	v_rcp_f32_e32 v21, v25
	v_sub_f32_e32 v24, v24, v25
	v_sub_f32_e32 v22, v22, v26
	v_add_f32_e32 v23, v23, v24
	v_add_f32_e32 v20, v20, v22
	v_mul_f32_e32 v27, v26, v21
	v_mul_f32_e32 v28, v25, v27
	v_fma_f32 v24, v27, v25, -v28
	v_fmac_f32_e32 v24, v27, v23
	v_add_f32_e32 v29, v28, v24
	v_sub_f32_e32 v30, v26, v29
	v_sub_f32_e32 v22, v29, v28
	;; [unrolled: 1-line block ×5, first 2 shown]
	v_add_f32_e32 v20, v20, v26
	v_add_f32_e32 v20, v22, v20
	;; [unrolled: 1-line block ×3, first 2 shown]
	v_mul_f32_e32 v24, v21, v22
	v_sub_f32_e32 v29, v30, v22
	v_mul_f32_e32 v26, v25, v24
	v_add_f32_e32 v20, v20, v29
	v_fma_f32 v25, v24, v25, -v26
	v_fmac_f32_e32 v25, v24, v23
	v_add_f32_e32 v23, v26, v25
	v_sub_f32_e32 v28, v22, v23
	v_sub_f32_e32 v26, v23, v26
	;; [unrolled: 1-line block ×5, first 2 shown]
	v_add_f32_e32 v20, v20, v22
	v_add_f32_e32 v22, v27, v24
	;; [unrolled: 1-line block ×3, first 2 shown]
	v_sub_f32_e32 v23, v22, v27
	v_add_f32_e32 v20, v28, v20
	v_sub_f32_e32 v23, v24, v23
	v_mul_f32_e32 v20, v21, v20
	v_add_f32_e32 v20, v23, v20
	v_add_f32_e32 v21, v22, v20
	v_mul_f32_e32 v23, v21, v21
	v_fmaak_f32 v24, s10, v23, 0x3ecc95a3
	v_mul_f32_e32 v25, v21, v23
	v_cmp_neq_f32_e64 s10, 0x7f800000, v16
	v_fmaak_f32 v23, v23, v24, 0x3f2aaada
	v_ldexp_f32 v24, v21, 1
	v_sub_f32_e32 v21, v21, v22
	v_mul_f32_e32 v23, v25, v23
	v_mul_f32_e32 v25, 0x3f317218, v19
	v_sub_f32_e32 v20, v20, v21
	v_add_f32_e32 v22, v24, v23
	v_ldexp_f32 v20, v20, 1
	v_sub_f32_e32 v21, v22, v24
	v_fma_f32 v24, 0x3f317218, v19, -v25
	v_sub_f32_e32 v21, v23, v21
	v_fmamk_f32 v19, v19, 0xb102e308, v24
	v_add_f32_e32 v20, v20, v21
	v_add_f32_e32 v21, v25, v19
	;; [unrolled: 1-line block ×3, first 2 shown]
	v_sub_f32_e32 v25, v21, v25
	v_add_f32_e32 v24, v21, v23
	v_sub_f32_e32 v22, v23, v22
	v_sub_f32_e32 v19, v19, v25
	;; [unrolled: 1-line block ×6, first 2 shown]
	v_add_f32_e32 v23, v19, v20
	v_sub_f32_e32 v21, v21, v27
	v_add_f32_e32 v21, v22, v21
	v_sub_f32_e32 v22, v23, v19
	;; [unrolled: 2-line block ×3, first 2 shown]
	v_sub_f32_e32 v20, v20, v22
	v_add_f32_e32 v25, v24, v21
	v_sub_f32_e32 v19, v19, v23
	v_sub_f32_e32 v22, v25, v24
	v_add_f32_e32 v19, v20, v19
	v_sub_f32_e32 v20, v21, v22
	v_add_f32_e32 v19, v19, v20
	v_add_f32_e32 v19, v25, v19
	v_cndmask_b32_e64 v19, 0x7f800000, v19, s10
	v_cmp_gt_f32_e64 s10, 0x33800000, |v16|
	v_cndmask_b32_e64 v16, v19, v16, s10
	v_add_f32_e32 v15, v15, v16
	v_cvt_f16_f32_e32 v19, v15
	v_cvt_f32_f16_e32 v20, v19
.LBB424_198:
	s_or_b32 exec_lo, exec_lo, s11
	v_cvt_f32_f16_sdwa v15, v5 dst_sel:DWORD dst_unused:UNUSED_PAD src0_sel:WORD_1
	v_max_f32_e32 v16, v20, v20
	v_cmp_u_f16_e64 s10, v19, v19
	v_min_f32_e32 v21, v16, v15
	v_max_f32_e32 v16, v16, v15
	v_cndmask_b32_e64 v21, v21, v20, s10
	v_cndmask_b32_e64 v22, v16, v20, s10
	v_cmp_u_f16_sdwa s10, v5, v5 src0_sel:WORD_1 src1_sel:WORD_1
	v_cndmask_b32_e64 v16, v21, v15, s10
	v_cndmask_b32_e64 v5, v22, v15, s10
	v_cmp_class_f32_e64 s12, v16, 0x1f8
	v_cmp_neq_f32_e64 s11, v16, v5
	s_or_b32 s11, s11, s12
	s_and_saveexec_b32 s12, s11
	s_cbranch_execz .LBB424_200
; %bb.199:
	v_sub_f32_e32 v16, v16, v5
	v_mul_f32_e32 v19, 0x3fb8aa3b, v16
	v_cmp_ngt_f32_e64 s11, 0xc2ce8ed0, v16
	v_fma_f32 v20, 0x3fb8aa3b, v16, -v19
	v_rndne_f32_e32 v21, v19
	v_fmamk_f32 v20, v16, 0x32a5705f, v20
	v_sub_f32_e32 v19, v19, v21
	v_add_f32_e32 v19, v19, v20
	v_cvt_i32_f32_e32 v20, v21
	v_exp_f32_e32 v19, v19
	v_ldexp_f32 v19, v19, v20
	v_cndmask_b32_e64 v19, 0, v19, s11
	v_cmp_nlt_f32_e64 s11, 0x42b17218, v16
	v_cndmask_b32_e64 v16, 0x7f800000, v19, s11
	v_add_f32_e32 v21, 1.0, v16
	v_cvt_f64_f32_e32 v[19:20], v21
	v_frexp_exp_i32_f64_e32 v19, v[19:20]
	v_frexp_mant_f32_e32 v20, v21
	v_cmp_gt_f32_e64 s11, 0x3f2aaaab, v20
	v_add_f32_e32 v20, -1.0, v21
	v_sub_f32_e32 v23, v20, v21
	v_sub_f32_e32 v20, v16, v20
	v_add_f32_e32 v23, 1.0, v23
	v_add_f32_e32 v20, v20, v23
	v_subrev_co_ci_u32_e64 v19, null, 0, v19, s11
	s_mov_b32 s11, 0x3e9b6dac
	v_sub_nc_u32_e32 v22, 0, v19
	v_cvt_f32_i32_e32 v19, v19
	v_ldexp_f32 v21, v21, v22
	v_ldexp_f32 v20, v20, v22
	v_add_f32_e32 v24, 1.0, v21
	v_add_f32_e32 v22, -1.0, v21
	v_add_f32_e32 v23, -1.0, v24
	v_add_f32_e32 v25, 1.0, v22
	v_sub_f32_e32 v23, v21, v23
	v_sub_f32_e32 v21, v21, v25
	v_add_f32_e32 v23, v20, v23
	v_add_f32_e32 v20, v20, v21
	;; [unrolled: 1-line block ×4, first 2 shown]
	v_rcp_f32_e32 v21, v25
	v_sub_f32_e32 v24, v24, v25
	v_sub_f32_e32 v22, v22, v26
	v_add_f32_e32 v23, v23, v24
	v_add_f32_e32 v20, v20, v22
	v_mul_f32_e32 v27, v26, v21
	v_mul_f32_e32 v28, v25, v27
	v_fma_f32 v24, v27, v25, -v28
	v_fmac_f32_e32 v24, v27, v23
	v_add_f32_e32 v29, v28, v24
	v_sub_f32_e32 v30, v26, v29
	v_sub_f32_e32 v22, v29, v28
	;; [unrolled: 1-line block ×5, first 2 shown]
	v_add_f32_e32 v20, v20, v26
	v_add_f32_e32 v20, v22, v20
	v_add_f32_e32 v22, v30, v20
	v_mul_f32_e32 v24, v21, v22
	v_sub_f32_e32 v29, v30, v22
	v_mul_f32_e32 v26, v25, v24
	v_add_f32_e32 v20, v20, v29
	v_fma_f32 v25, v24, v25, -v26
	v_fmac_f32_e32 v25, v24, v23
	v_add_f32_e32 v23, v26, v25
	v_sub_f32_e32 v28, v22, v23
	v_sub_f32_e32 v26, v23, v26
	;; [unrolled: 1-line block ×5, first 2 shown]
	v_add_f32_e32 v20, v20, v22
	v_add_f32_e32 v22, v27, v24
	;; [unrolled: 1-line block ×3, first 2 shown]
	v_sub_f32_e32 v23, v22, v27
	v_add_f32_e32 v20, v28, v20
	v_sub_f32_e32 v23, v24, v23
	v_mul_f32_e32 v20, v21, v20
	v_add_f32_e32 v20, v23, v20
	v_add_f32_e32 v21, v22, v20
	v_mul_f32_e32 v23, v21, v21
	v_fmaak_f32 v24, s11, v23, 0x3ecc95a3
	v_mul_f32_e32 v25, v21, v23
	v_cmp_neq_f32_e64 s11, 0x7f800000, v16
	v_fmaak_f32 v23, v23, v24, 0x3f2aaada
	v_ldexp_f32 v24, v21, 1
	v_sub_f32_e32 v21, v21, v22
	v_mul_f32_e32 v23, v25, v23
	v_mul_f32_e32 v25, 0x3f317218, v19
	v_sub_f32_e32 v20, v20, v21
	v_add_f32_e32 v22, v24, v23
	v_ldexp_f32 v20, v20, 1
	v_sub_f32_e32 v21, v22, v24
	v_fma_f32 v24, 0x3f317218, v19, -v25
	v_sub_f32_e32 v21, v23, v21
	v_fmamk_f32 v19, v19, 0xb102e308, v24
	v_add_f32_e32 v20, v20, v21
	v_add_f32_e32 v21, v25, v19
	;; [unrolled: 1-line block ×3, first 2 shown]
	v_sub_f32_e32 v25, v21, v25
	v_add_f32_e32 v24, v21, v23
	v_sub_f32_e32 v22, v23, v22
	v_sub_f32_e32 v19, v19, v25
	;; [unrolled: 1-line block ×6, first 2 shown]
	v_add_f32_e32 v23, v19, v20
	v_sub_f32_e32 v21, v21, v27
	v_add_f32_e32 v21, v22, v21
	v_sub_f32_e32 v22, v23, v19
	;; [unrolled: 2-line block ×3, first 2 shown]
	v_sub_f32_e32 v20, v20, v22
	v_add_f32_e32 v25, v24, v21
	v_sub_f32_e32 v19, v19, v23
	v_sub_f32_e32 v22, v25, v24
	v_add_f32_e32 v19, v20, v19
	v_sub_f32_e32 v20, v21, v22
	v_add_f32_e32 v19, v19, v20
	v_add_f32_e32 v19, v25, v19
	v_cndmask_b32_e64 v19, 0x7f800000, v19, s11
	v_cmp_gt_f32_e64 s11, 0x33800000, |v16|
	v_cndmask_b32_e64 v16, v19, v16, s11
	v_add_f32_e32 v5, v5, v16
	v_cvt_f16_f32_e32 v19, v5
	v_cvt_f32_f16_e32 v20, v19
.LBB424_200:
	s_or_b32 exec_lo, exec_lo, s12
	v_cvt_f32_f16_e32 v5, v6
	v_max_f32_e32 v16, v20, v20
	v_cmp_u_f16_e64 s11, v19, v19
	v_min_f32_e32 v21, v16, v5
	v_max_f32_e32 v16, v16, v5
	v_cndmask_b32_e64 v21, v21, v20, s11
	v_cndmask_b32_e64 v16, v16, v20, s11
	v_cmp_u_f16_e64 s11, v6, v6
	v_cndmask_b32_e64 v21, v21, v5, s11
	v_cndmask_b32_e64 v16, v16, v5, s11
	v_cmp_class_f32_e64 s14, v21, 0x1f8
	v_cmp_neq_f32_e64 s12, v21, v16
	s_or_b32 s12, s12, s14
	s_and_saveexec_b32 s14, s12
	s_cbranch_execz .LBB424_202
; %bb.201:
	v_sub_f32_e32 v19, v21, v16
	v_mul_f32_e32 v20, 0x3fb8aa3b, v19
	v_cmp_ngt_f32_e64 s12, 0xc2ce8ed0, v19
	v_fma_f32 v21, 0x3fb8aa3b, v19, -v20
	v_rndne_f32_e32 v22, v20
	v_fmamk_f32 v21, v19, 0x32a5705f, v21
	v_sub_f32_e32 v20, v20, v22
	v_add_f32_e32 v20, v20, v21
	v_cvt_i32_f32_e32 v21, v22
	v_exp_f32_e32 v20, v20
	v_ldexp_f32 v20, v20, v21
	v_cndmask_b32_e64 v20, 0, v20, s12
	v_cmp_nlt_f32_e64 s12, 0x42b17218, v19
	v_cndmask_b32_e64 v21, 0x7f800000, v20, s12
	v_add_f32_e32 v22, 1.0, v21
	v_cvt_f64_f32_e32 v[19:20], v22
	v_frexp_exp_i32_f64_e32 v19, v[19:20]
	v_frexp_mant_f32_e32 v20, v22
	v_cmp_gt_f32_e64 s12, 0x3f2aaaab, v20
	v_add_f32_e32 v20, -1.0, v22
	v_sub_f32_e32 v24, v20, v22
	v_sub_f32_e32 v20, v21, v20
	v_add_f32_e32 v24, 1.0, v24
	v_add_f32_e32 v20, v20, v24
	v_subrev_co_ci_u32_e64 v19, null, 0, v19, s12
	s_mov_b32 s12, 0x3e9b6dac
	v_sub_nc_u32_e32 v23, 0, v19
	v_cvt_f32_i32_e32 v19, v19
	v_ldexp_f32 v22, v22, v23
	v_ldexp_f32 v20, v20, v23
	v_add_f32_e32 v25, 1.0, v22
	v_add_f32_e32 v23, -1.0, v22
	v_add_f32_e32 v24, -1.0, v25
	v_add_f32_e32 v26, 1.0, v23
	v_sub_f32_e32 v24, v22, v24
	v_sub_f32_e32 v22, v22, v26
	v_add_f32_e32 v24, v20, v24
	v_add_f32_e32 v20, v20, v22
	;; [unrolled: 1-line block ×4, first 2 shown]
	v_rcp_f32_e32 v22, v26
	v_sub_f32_e32 v25, v25, v26
	v_sub_f32_e32 v23, v23, v27
	v_add_f32_e32 v24, v24, v25
	v_add_f32_e32 v20, v20, v23
	v_mul_f32_e32 v28, v27, v22
	v_mul_f32_e32 v29, v26, v28
	v_fma_f32 v25, v28, v26, -v29
	v_fmac_f32_e32 v25, v28, v24
	v_add_f32_e32 v30, v29, v25
	v_sub_f32_e32 v31, v27, v30
	v_sub_f32_e32 v23, v30, v29
	;; [unrolled: 1-line block ×5, first 2 shown]
	v_add_f32_e32 v20, v20, v27
	v_add_f32_e32 v20, v23, v20
	;; [unrolled: 1-line block ×3, first 2 shown]
	v_mul_f32_e32 v25, v22, v23
	v_sub_f32_e32 v30, v31, v23
	v_mul_f32_e32 v27, v26, v25
	v_add_f32_e32 v20, v20, v30
	v_fma_f32 v26, v25, v26, -v27
	v_fmac_f32_e32 v26, v25, v24
	v_add_f32_e32 v24, v27, v26
	v_sub_f32_e32 v29, v23, v24
	v_sub_f32_e32 v27, v24, v27
	;; [unrolled: 1-line block ×5, first 2 shown]
	v_add_f32_e32 v20, v20, v23
	v_add_f32_e32 v23, v28, v25
	;; [unrolled: 1-line block ×3, first 2 shown]
	v_sub_f32_e32 v24, v23, v28
	v_add_f32_e32 v20, v29, v20
	v_sub_f32_e32 v24, v25, v24
	v_mul_f32_e32 v20, v22, v20
	v_add_f32_e32 v20, v24, v20
	v_add_f32_e32 v22, v23, v20
	v_mul_f32_e32 v24, v22, v22
	v_fmaak_f32 v25, s12, v24, 0x3ecc95a3
	v_mul_f32_e32 v26, v22, v24
	v_cmp_neq_f32_e64 s12, 0x7f800000, v21
	v_fmaak_f32 v24, v24, v25, 0x3f2aaada
	v_ldexp_f32 v25, v22, 1
	v_sub_f32_e32 v22, v22, v23
	v_mul_f32_e32 v24, v26, v24
	v_mul_f32_e32 v26, 0x3f317218, v19
	v_sub_f32_e32 v20, v20, v22
	v_add_f32_e32 v23, v25, v24
	v_ldexp_f32 v20, v20, 1
	v_sub_f32_e32 v22, v23, v25
	v_fma_f32 v25, 0x3f317218, v19, -v26
	v_sub_f32_e32 v22, v24, v22
	v_fmamk_f32 v19, v19, 0xb102e308, v25
	v_add_f32_e32 v20, v20, v22
	v_add_f32_e32 v22, v26, v19
	;; [unrolled: 1-line block ×3, first 2 shown]
	v_sub_f32_e32 v26, v22, v26
	v_add_f32_e32 v25, v22, v24
	v_sub_f32_e32 v23, v24, v23
	v_sub_f32_e32 v19, v19, v26
	;; [unrolled: 1-line block ×6, first 2 shown]
	v_add_f32_e32 v24, v19, v20
	v_sub_f32_e32 v22, v22, v28
	v_add_f32_e32 v22, v23, v22
	v_sub_f32_e32 v23, v24, v19
	v_add_f32_e32 v22, v24, v22
	v_sub_f32_e32 v24, v24, v23
	v_sub_f32_e32 v20, v20, v23
	v_add_f32_e32 v26, v25, v22
	v_sub_f32_e32 v19, v19, v24
	v_sub_f32_e32 v23, v26, v25
	v_add_f32_e32 v19, v20, v19
	v_sub_f32_e32 v20, v22, v23
	v_add_f32_e32 v19, v19, v20
	v_add_f32_e32 v19, v26, v19
	v_cndmask_b32_e64 v19, 0x7f800000, v19, s12
	v_cmp_gt_f32_e64 s12, 0x33800000, |v21|
	v_cndmask_b32_e64 v19, v19, v21, s12
	v_add_f32_e32 v16, v16, v19
	v_cvt_f16_f32_e32 v19, v16
	v_cvt_f32_f16_e32 v20, v19
.LBB424_202:
	s_or_b32 exec_lo, exec_lo, s14
	v_cvt_f32_f16_sdwa v16, v6 dst_sel:DWORD dst_unused:UNUSED_PAD src0_sel:WORD_1
	v_max_f32_e32 v21, v20, v20
	v_cmp_u_f16_e64 s12, v19, v19
	v_min_f32_e32 v22, v21, v16
	v_max_f32_e32 v21, v21, v16
	v_cndmask_b32_e64 v22, v22, v20, s12
	v_cndmask_b32_e64 v21, v21, v20, s12
	v_cmp_u_f16_sdwa s12, v6, v6 src0_sel:WORD_1 src1_sel:WORD_1
	v_cndmask_b32_e64 v20, v22, v16, s12
	v_cndmask_b32_e64 v6, v21, v16, s12
	v_cmp_class_f32_e64 s15, v20, 0x1f8
	v_cmp_neq_f32_e64 s14, v20, v6
	s_or_b32 s14, s14, s15
	s_and_saveexec_b32 s15, s14
	s_cbranch_execz .LBB424_204
; %bb.203:
	v_sub_f32_e32 v19, v20, v6
	v_mul_f32_e32 v20, 0x3fb8aa3b, v19
	v_cmp_ngt_f32_e64 s14, 0xc2ce8ed0, v19
	v_fma_f32 v21, 0x3fb8aa3b, v19, -v20
	v_rndne_f32_e32 v22, v20
	v_fmamk_f32 v21, v19, 0x32a5705f, v21
	v_sub_f32_e32 v20, v20, v22
	v_add_f32_e32 v20, v20, v21
	v_cvt_i32_f32_e32 v21, v22
	v_exp_f32_e32 v20, v20
	v_ldexp_f32 v20, v20, v21
	v_cndmask_b32_e64 v20, 0, v20, s14
	v_cmp_nlt_f32_e64 s14, 0x42b17218, v19
	v_cndmask_b32_e64 v21, 0x7f800000, v20, s14
	v_add_f32_e32 v22, 1.0, v21
	v_cvt_f64_f32_e32 v[19:20], v22
	v_frexp_exp_i32_f64_e32 v19, v[19:20]
	v_frexp_mant_f32_e32 v20, v22
	v_cmp_gt_f32_e64 s14, 0x3f2aaaab, v20
	v_add_f32_e32 v20, -1.0, v22
	v_sub_f32_e32 v24, v20, v22
	v_sub_f32_e32 v20, v21, v20
	v_add_f32_e32 v24, 1.0, v24
	v_add_f32_e32 v20, v20, v24
	v_subrev_co_ci_u32_e64 v19, null, 0, v19, s14
	s_mov_b32 s14, 0x3e9b6dac
	v_sub_nc_u32_e32 v23, 0, v19
	v_cvt_f32_i32_e32 v19, v19
	v_ldexp_f32 v22, v22, v23
	v_ldexp_f32 v20, v20, v23
	v_add_f32_e32 v25, 1.0, v22
	v_add_f32_e32 v23, -1.0, v22
	v_add_f32_e32 v24, -1.0, v25
	v_add_f32_e32 v26, 1.0, v23
	v_sub_f32_e32 v24, v22, v24
	v_sub_f32_e32 v22, v22, v26
	v_add_f32_e32 v24, v20, v24
	v_add_f32_e32 v20, v20, v22
	;; [unrolled: 1-line block ×4, first 2 shown]
	v_rcp_f32_e32 v22, v26
	v_sub_f32_e32 v25, v25, v26
	v_sub_f32_e32 v23, v23, v27
	v_add_f32_e32 v24, v24, v25
	v_add_f32_e32 v20, v20, v23
	v_mul_f32_e32 v28, v27, v22
	v_mul_f32_e32 v29, v26, v28
	v_fma_f32 v25, v28, v26, -v29
	v_fmac_f32_e32 v25, v28, v24
	v_add_f32_e32 v30, v29, v25
	v_sub_f32_e32 v31, v27, v30
	v_sub_f32_e32 v23, v30, v29
	;; [unrolled: 1-line block ×5, first 2 shown]
	v_add_f32_e32 v20, v20, v27
	v_add_f32_e32 v20, v23, v20
	;; [unrolled: 1-line block ×3, first 2 shown]
	v_mul_f32_e32 v25, v22, v23
	v_sub_f32_e32 v30, v31, v23
	v_mul_f32_e32 v27, v26, v25
	v_add_f32_e32 v20, v20, v30
	v_fma_f32 v26, v25, v26, -v27
	v_fmac_f32_e32 v26, v25, v24
	v_add_f32_e32 v24, v27, v26
	v_sub_f32_e32 v29, v23, v24
	v_sub_f32_e32 v27, v24, v27
	;; [unrolled: 1-line block ×5, first 2 shown]
	v_add_f32_e32 v20, v20, v23
	v_add_f32_e32 v23, v28, v25
	;; [unrolled: 1-line block ×3, first 2 shown]
	v_sub_f32_e32 v24, v23, v28
	v_add_f32_e32 v20, v29, v20
	v_sub_f32_e32 v24, v25, v24
	v_mul_f32_e32 v20, v22, v20
	v_add_f32_e32 v20, v24, v20
	v_add_f32_e32 v22, v23, v20
	v_mul_f32_e32 v24, v22, v22
	v_fmaak_f32 v25, s14, v24, 0x3ecc95a3
	v_mul_f32_e32 v26, v22, v24
	v_cmp_neq_f32_e64 s14, 0x7f800000, v21
	v_fmaak_f32 v24, v24, v25, 0x3f2aaada
	v_ldexp_f32 v25, v22, 1
	v_sub_f32_e32 v22, v22, v23
	v_mul_f32_e32 v24, v26, v24
	v_mul_f32_e32 v26, 0x3f317218, v19
	v_sub_f32_e32 v20, v20, v22
	v_add_f32_e32 v23, v25, v24
	v_ldexp_f32 v20, v20, 1
	v_sub_f32_e32 v22, v23, v25
	v_fma_f32 v25, 0x3f317218, v19, -v26
	v_sub_f32_e32 v22, v24, v22
	v_fmamk_f32 v19, v19, 0xb102e308, v25
	v_add_f32_e32 v20, v20, v22
	v_add_f32_e32 v22, v26, v19
	;; [unrolled: 1-line block ×3, first 2 shown]
	v_sub_f32_e32 v26, v22, v26
	v_add_f32_e32 v25, v22, v24
	v_sub_f32_e32 v23, v24, v23
	v_sub_f32_e32 v19, v19, v26
	;; [unrolled: 1-line block ×6, first 2 shown]
	v_add_f32_e32 v24, v19, v20
	v_sub_f32_e32 v22, v22, v28
	v_add_f32_e32 v22, v23, v22
	v_sub_f32_e32 v23, v24, v19
	;; [unrolled: 2-line block ×3, first 2 shown]
	v_sub_f32_e32 v20, v20, v23
	v_add_f32_e32 v26, v25, v22
	v_sub_f32_e32 v19, v19, v24
	v_sub_f32_e32 v23, v26, v25
	v_add_f32_e32 v19, v20, v19
	v_sub_f32_e32 v20, v22, v23
	v_add_f32_e32 v19, v19, v20
	v_add_f32_e32 v19, v26, v19
	v_cndmask_b32_e64 v19, 0x7f800000, v19, s14
	v_cmp_gt_f32_e64 s14, 0x33800000, |v21|
	v_cndmask_b32_e64 v19, v19, v21, s14
	v_add_f32_e32 v6, v6, v19
	v_cvt_f16_f32_e32 v19, v6
.LBB424_204:
	s_or_b32 exec_lo, exec_lo, s15
	v_lshrrev_b32_e32 v6, 4, v0
	s_mov_b32 s16, exec_lo
	v_and_b32_e32 v6, 2, v6
	v_lshl_add_u32 v6, v0, 1, v6
	ds_write_b16 v6, v19
	s_waitcnt lgkmcnt(0)
	s_barrier
	buffer_gl0_inv
	v_cmpx_gt_u32_e32 32, v0
	s_cbranch_execz .LBB424_232
; %bb.205:
	v_lshrrev_b32_e32 v6, 3, v0
	v_lshlrev_b32_e32 v20, 2, v0
	v_and_b32_e32 v6, 6, v6
	v_add_nc_u32_e32 v6, v6, v20
	ds_read_u16 v21, v6 offset:2
	ds_read_u16 v23, v6
	s_waitcnt lgkmcnt(1)
	v_cvt_f32_f16_e32 v24, v21
	s_waitcnt lgkmcnt(0)
	v_cvt_f32_f16_e32 v20, v23
	v_cmp_u_f16_e64 s14, v23, v23
	v_cmp_u_f16_e64 s15, v21, v21
	v_min_f32_e32 v22, v20, v24
	v_max_f32_e32 v25, v20, v24
	v_cndmask_b32_e64 v22, v22, v20, s14
	v_cndmask_b32_e64 v25, v25, v20, s14
	v_cndmask_b32_e64 v22, v22, v24, s15
	v_cndmask_b32_e64 v21, v25, v24, s15
	v_cmp_class_f32_e64 s17, v22, 0x1f8
	v_cmp_neq_f32_e64 s15, v22, v21
	s_or_b32 s15, s15, s17
	s_and_saveexec_b32 s17, s15
	s_cbranch_execz .LBB424_207
; %bb.206:
	v_sub_f32_e32 v22, v22, v21
	v_mul_f32_e32 v23, 0x3fb8aa3b, v22
	v_cmp_ngt_f32_e64 s15, 0xc2ce8ed0, v22
	v_fma_f32 v24, 0x3fb8aa3b, v22, -v23
	v_rndne_f32_e32 v25, v23
	v_fmamk_f32 v24, v22, 0x32a5705f, v24
	v_sub_f32_e32 v23, v23, v25
	v_add_f32_e32 v23, v23, v24
	v_cvt_i32_f32_e32 v24, v25
	v_exp_f32_e32 v23, v23
	v_ldexp_f32 v23, v23, v24
	v_cndmask_b32_e64 v23, 0, v23, s15
	v_cmp_nlt_f32_e64 s15, 0x42b17218, v22
	v_cndmask_b32_e64 v24, 0x7f800000, v23, s15
	v_add_f32_e32 v25, 1.0, v24
	v_cvt_f64_f32_e32 v[22:23], v25
	v_frexp_exp_i32_f64_e32 v22, v[22:23]
	v_frexp_mant_f32_e32 v23, v25
	v_cmp_gt_f32_e64 s15, 0x3f2aaaab, v23
	v_add_f32_e32 v23, -1.0, v25
	v_sub_f32_e32 v27, v23, v25
	v_sub_f32_e32 v23, v24, v23
	v_add_f32_e32 v27, 1.0, v27
	v_add_f32_e32 v23, v23, v27
	v_subrev_co_ci_u32_e64 v22, null, 0, v22, s15
	s_mov_b32 s15, 0x3e9b6dac
	v_sub_nc_u32_e32 v26, 0, v22
	v_cvt_f32_i32_e32 v22, v22
	v_ldexp_f32 v25, v25, v26
	v_ldexp_f32 v23, v23, v26
	v_add_f32_e32 v28, 1.0, v25
	v_add_f32_e32 v26, -1.0, v25
	v_add_f32_e32 v27, -1.0, v28
	v_add_f32_e32 v29, 1.0, v26
	v_sub_f32_e32 v27, v25, v27
	v_sub_f32_e32 v25, v25, v29
	v_add_f32_e32 v27, v23, v27
	v_add_f32_e32 v23, v23, v25
	;; [unrolled: 1-line block ×4, first 2 shown]
	v_rcp_f32_e32 v25, v29
	v_sub_f32_e32 v28, v28, v29
	v_sub_f32_e32 v26, v26, v30
	v_add_f32_e32 v27, v27, v28
	v_add_f32_e32 v23, v23, v26
	v_mul_f32_e32 v31, v30, v25
	v_mul_f32_e32 v32, v29, v31
	v_fma_f32 v28, v31, v29, -v32
	v_fmac_f32_e32 v28, v31, v27
	v_add_f32_e32 v33, v32, v28
	v_sub_f32_e32 v34, v30, v33
	v_sub_f32_e32 v26, v33, v32
	;; [unrolled: 1-line block ×5, first 2 shown]
	v_add_f32_e32 v23, v23, v30
	v_add_f32_e32 v23, v26, v23
	;; [unrolled: 1-line block ×3, first 2 shown]
	v_mul_f32_e32 v28, v25, v26
	v_sub_f32_e32 v33, v34, v26
	v_mul_f32_e32 v30, v29, v28
	v_add_f32_e32 v23, v23, v33
	v_fma_f32 v29, v28, v29, -v30
	v_fmac_f32_e32 v29, v28, v27
	v_add_f32_e32 v27, v30, v29
	v_sub_f32_e32 v32, v26, v27
	v_sub_f32_e32 v30, v27, v30
	;; [unrolled: 1-line block ×5, first 2 shown]
	v_add_f32_e32 v23, v23, v26
	v_add_f32_e32 v26, v31, v28
	;; [unrolled: 1-line block ×3, first 2 shown]
	v_sub_f32_e32 v27, v26, v31
	v_add_f32_e32 v23, v32, v23
	v_sub_f32_e32 v27, v28, v27
	v_mul_f32_e32 v23, v25, v23
	v_add_f32_e32 v23, v27, v23
	v_add_f32_e32 v25, v26, v23
	v_mul_f32_e32 v27, v25, v25
	v_fmaak_f32 v28, s15, v27, 0x3ecc95a3
	v_mul_f32_e32 v29, v25, v27
	v_cmp_neq_f32_e64 s15, 0x7f800000, v24
	v_fmaak_f32 v27, v27, v28, 0x3f2aaada
	v_ldexp_f32 v28, v25, 1
	v_sub_f32_e32 v25, v25, v26
	v_mul_f32_e32 v27, v29, v27
	v_mul_f32_e32 v29, 0x3f317218, v22
	v_sub_f32_e32 v23, v23, v25
	v_add_f32_e32 v26, v28, v27
	v_ldexp_f32 v23, v23, 1
	v_sub_f32_e32 v25, v26, v28
	v_fma_f32 v28, 0x3f317218, v22, -v29
	v_sub_f32_e32 v25, v27, v25
	v_fmamk_f32 v22, v22, 0xb102e308, v28
	v_add_f32_e32 v23, v23, v25
	v_add_f32_e32 v25, v29, v22
	;; [unrolled: 1-line block ×3, first 2 shown]
	v_sub_f32_e32 v29, v25, v29
	v_add_f32_e32 v28, v25, v27
	v_sub_f32_e32 v26, v27, v26
	v_sub_f32_e32 v22, v22, v29
	;; [unrolled: 1-line block ×6, first 2 shown]
	v_add_f32_e32 v27, v22, v23
	v_sub_f32_e32 v25, v25, v31
	v_add_f32_e32 v25, v26, v25
	v_sub_f32_e32 v26, v27, v22
	;; [unrolled: 2-line block ×3, first 2 shown]
	v_sub_f32_e32 v23, v23, v26
	v_add_f32_e32 v29, v28, v25
	v_sub_f32_e32 v22, v22, v27
	v_sub_f32_e32 v26, v29, v28
	v_add_f32_e32 v22, v23, v22
	v_sub_f32_e32 v23, v25, v26
	v_add_f32_e32 v22, v22, v23
	v_add_f32_e32 v22, v29, v22
	v_cndmask_b32_e64 v22, 0x7f800000, v22, s15
	v_cmp_gt_f32_e64 s15, 0x33800000, |v24|
	v_cndmask_b32_e64 v22, v22, v24, s15
	v_add_f32_e32 v21, v21, v22
	v_cvt_f16_f32_e32 v23, v21
.LBB424_207:
	s_or_b32 exec_lo, exec_lo, s17
	v_mbcnt_lo_u32_b32 v21, -1, 0
	v_and_b32_e32 v24, 0xffff, v23
	s_mov_b32 s17, exec_lo
	v_and_b32_e32 v22, 15, v21
	v_mov_b32_dpp v25, v24 row_shr:1 row_mask:0xf bank_mask:0xf
	v_cmpx_ne_u32_e32 0, v22
	s_xor_b32 s17, exec_lo, s17
	s_cbranch_execz .LBB424_211
; %bb.208:
	v_cvt_f32_f16_e32 v24, v25
	v_cvt_f32_f16_e32 v26, v23
	v_cmp_u_f16_e64 s15, v25, v25
	v_min_f32_e32 v27, v24, v26
	v_max_f32_e32 v28, v24, v26
	v_cndmask_b32_e64 v27, v27, v24, s15
	v_cndmask_b32_e64 v28, v28, v24, s15
	v_cmp_u_f16_e64 s15, v23, v23
	v_cndmask_b32_e64 v24, v27, v26, s15
	v_cndmask_b32_e64 v23, v28, v26, s15
	v_cmp_class_f32_e64 s20, v24, 0x1f8
	v_cmp_neq_f32_e64 s15, v24, v23
	s_or_b32 s15, s15, s20
	s_and_saveexec_b32 s20, s15
	s_cbranch_execz .LBB424_210
; %bb.209:
	v_sub_f32_e32 v24, v24, v23
	v_mul_f32_e32 v25, 0x3fb8aa3b, v24
	v_cmp_ngt_f32_e64 s15, 0xc2ce8ed0, v24
	v_fma_f32 v26, 0x3fb8aa3b, v24, -v25
	v_rndne_f32_e32 v27, v25
	v_fmamk_f32 v26, v24, 0x32a5705f, v26
	v_sub_f32_e32 v25, v25, v27
	v_add_f32_e32 v25, v25, v26
	v_cvt_i32_f32_e32 v26, v27
	v_exp_f32_e32 v25, v25
	v_ldexp_f32 v25, v25, v26
	v_cndmask_b32_e64 v25, 0, v25, s15
	v_cmp_nlt_f32_e64 s15, 0x42b17218, v24
	v_cndmask_b32_e64 v26, 0x7f800000, v25, s15
	v_add_f32_e32 v27, 1.0, v26
	v_cvt_f64_f32_e32 v[24:25], v27
	v_frexp_exp_i32_f64_e32 v24, v[24:25]
	v_frexp_mant_f32_e32 v25, v27
	v_cmp_gt_f32_e64 s15, 0x3f2aaaab, v25
	v_add_f32_e32 v25, -1.0, v27
	v_sub_f32_e32 v29, v25, v27
	v_sub_f32_e32 v25, v26, v25
	v_add_f32_e32 v29, 1.0, v29
	v_add_f32_e32 v25, v25, v29
	v_subrev_co_ci_u32_e64 v24, null, 0, v24, s15
	s_mov_b32 s15, 0x3e9b6dac
	v_sub_nc_u32_e32 v28, 0, v24
	v_cvt_f32_i32_e32 v24, v24
	v_ldexp_f32 v27, v27, v28
	v_ldexp_f32 v25, v25, v28
	v_add_f32_e32 v30, 1.0, v27
	v_add_f32_e32 v28, -1.0, v27
	v_add_f32_e32 v29, -1.0, v30
	v_add_f32_e32 v31, 1.0, v28
	v_sub_f32_e32 v29, v27, v29
	v_sub_f32_e32 v27, v27, v31
	v_add_f32_e32 v29, v25, v29
	v_add_f32_e32 v25, v25, v27
	;; [unrolled: 1-line block ×4, first 2 shown]
	v_rcp_f32_e32 v27, v31
	v_sub_f32_e32 v30, v30, v31
	v_sub_f32_e32 v28, v28, v32
	v_add_f32_e32 v29, v29, v30
	v_add_f32_e32 v25, v25, v28
	v_mul_f32_e32 v33, v32, v27
	v_mul_f32_e32 v34, v31, v33
	v_fma_f32 v30, v33, v31, -v34
	v_fmac_f32_e32 v30, v33, v29
	v_add_f32_e32 v35, v34, v30
	v_sub_f32_e32 v36, v32, v35
	v_sub_f32_e32 v28, v35, v34
	;; [unrolled: 1-line block ×5, first 2 shown]
	v_add_f32_e32 v25, v25, v32
	v_add_f32_e32 v25, v28, v25
	;; [unrolled: 1-line block ×3, first 2 shown]
	v_mul_f32_e32 v30, v27, v28
	v_sub_f32_e32 v35, v36, v28
	v_mul_f32_e32 v32, v31, v30
	v_add_f32_e32 v25, v25, v35
	v_fma_f32 v31, v30, v31, -v32
	v_fmac_f32_e32 v31, v30, v29
	v_add_f32_e32 v29, v32, v31
	v_sub_f32_e32 v34, v28, v29
	v_sub_f32_e32 v32, v29, v32
	;; [unrolled: 1-line block ×5, first 2 shown]
	v_add_f32_e32 v25, v25, v28
	v_add_f32_e32 v28, v33, v30
	;; [unrolled: 1-line block ×3, first 2 shown]
	v_sub_f32_e32 v29, v28, v33
	v_add_f32_e32 v25, v34, v25
	v_sub_f32_e32 v29, v30, v29
	v_mul_f32_e32 v25, v27, v25
	v_add_f32_e32 v25, v29, v25
	v_add_f32_e32 v27, v28, v25
	v_mul_f32_e32 v29, v27, v27
	v_fmaak_f32 v30, s15, v29, 0x3ecc95a3
	v_mul_f32_e32 v31, v27, v29
	v_cmp_neq_f32_e64 s15, 0x7f800000, v26
	v_fmaak_f32 v29, v29, v30, 0x3f2aaada
	v_ldexp_f32 v30, v27, 1
	v_sub_f32_e32 v27, v27, v28
	v_mul_f32_e32 v29, v31, v29
	v_mul_f32_e32 v31, 0x3f317218, v24
	v_sub_f32_e32 v25, v25, v27
	v_add_f32_e32 v28, v30, v29
	v_ldexp_f32 v25, v25, 1
	v_sub_f32_e32 v27, v28, v30
	v_fma_f32 v30, 0x3f317218, v24, -v31
	v_sub_f32_e32 v27, v29, v27
	v_fmamk_f32 v24, v24, 0xb102e308, v30
	v_add_f32_e32 v25, v25, v27
	v_add_f32_e32 v27, v31, v24
	;; [unrolled: 1-line block ×3, first 2 shown]
	v_sub_f32_e32 v31, v27, v31
	v_add_f32_e32 v30, v27, v29
	v_sub_f32_e32 v28, v29, v28
	v_sub_f32_e32 v24, v24, v31
	;; [unrolled: 1-line block ×6, first 2 shown]
	v_add_f32_e32 v29, v24, v25
	v_sub_f32_e32 v27, v27, v33
	v_add_f32_e32 v27, v28, v27
	v_sub_f32_e32 v28, v29, v24
	;; [unrolled: 2-line block ×3, first 2 shown]
	v_sub_f32_e32 v25, v25, v28
	v_add_f32_e32 v31, v30, v27
	v_sub_f32_e32 v24, v24, v29
	v_sub_f32_e32 v28, v31, v30
	v_add_f32_e32 v24, v25, v24
	v_sub_f32_e32 v25, v27, v28
	v_add_f32_e32 v24, v24, v25
	v_add_f32_e32 v24, v31, v24
	v_cndmask_b32_e64 v24, 0x7f800000, v24, s15
	v_cmp_gt_f32_e64 s15, 0x33800000, |v26|
	v_cndmask_b32_e64 v24, v24, v26, s15
	v_add_f32_e32 v23, v23, v24
	v_cvt_f16_f32_e32 v25, v23
.LBB424_210:
	s_or_b32 exec_lo, exec_lo, s20
	v_and_b32_e32 v24, 0xffff, v25
	v_mov_b32_e32 v23, v25
.LBB424_211:
	s_or_b32 exec_lo, exec_lo, s17
	v_mov_b32_dpp v25, v24 row_shr:2 row_mask:0xf bank_mask:0xf
	s_mov_b32 s17, exec_lo
	v_cmpx_lt_u32_e32 1, v22
	s_cbranch_execz .LBB424_215
; %bb.212:
	v_cvt_f32_f16_e32 v24, v25
	v_cvt_f32_f16_e32 v26, v23
	v_cmp_u_f16_e64 s15, v25, v25
	v_min_f32_e32 v27, v24, v26
	v_max_f32_e32 v28, v24, v26
	v_cndmask_b32_e64 v27, v27, v24, s15
	v_cndmask_b32_e64 v28, v28, v24, s15
	v_cmp_u_f16_e64 s15, v23, v23
	v_cndmask_b32_e64 v24, v27, v26, s15
	v_cndmask_b32_e64 v23, v28, v26, s15
	v_cmp_class_f32_e64 s20, v24, 0x1f8
	v_cmp_neq_f32_e64 s15, v24, v23
	s_or_b32 s15, s15, s20
	s_and_saveexec_b32 s20, s15
	s_cbranch_execz .LBB424_214
; %bb.213:
	v_sub_f32_e32 v24, v24, v23
	v_mul_f32_e32 v25, 0x3fb8aa3b, v24
	v_cmp_ngt_f32_e64 s15, 0xc2ce8ed0, v24
	v_fma_f32 v26, 0x3fb8aa3b, v24, -v25
	v_rndne_f32_e32 v27, v25
	v_fmamk_f32 v26, v24, 0x32a5705f, v26
	v_sub_f32_e32 v25, v25, v27
	v_add_f32_e32 v25, v25, v26
	v_cvt_i32_f32_e32 v26, v27
	v_exp_f32_e32 v25, v25
	v_ldexp_f32 v25, v25, v26
	v_cndmask_b32_e64 v25, 0, v25, s15
	v_cmp_nlt_f32_e64 s15, 0x42b17218, v24
	v_cndmask_b32_e64 v26, 0x7f800000, v25, s15
	v_add_f32_e32 v27, 1.0, v26
	v_cvt_f64_f32_e32 v[24:25], v27
	v_frexp_exp_i32_f64_e32 v24, v[24:25]
	v_frexp_mant_f32_e32 v25, v27
	v_cmp_gt_f32_e64 s15, 0x3f2aaaab, v25
	v_add_f32_e32 v25, -1.0, v27
	v_sub_f32_e32 v29, v25, v27
	v_sub_f32_e32 v25, v26, v25
	v_add_f32_e32 v29, 1.0, v29
	v_add_f32_e32 v25, v25, v29
	v_subrev_co_ci_u32_e64 v24, null, 0, v24, s15
	s_mov_b32 s15, 0x3e9b6dac
	v_sub_nc_u32_e32 v28, 0, v24
	v_cvt_f32_i32_e32 v24, v24
	v_ldexp_f32 v27, v27, v28
	v_ldexp_f32 v25, v25, v28
	v_add_f32_e32 v30, 1.0, v27
	v_add_f32_e32 v28, -1.0, v27
	v_add_f32_e32 v29, -1.0, v30
	v_add_f32_e32 v31, 1.0, v28
	v_sub_f32_e32 v29, v27, v29
	v_sub_f32_e32 v27, v27, v31
	v_add_f32_e32 v29, v25, v29
	v_add_f32_e32 v25, v25, v27
	;; [unrolled: 1-line block ×4, first 2 shown]
	v_rcp_f32_e32 v27, v31
	v_sub_f32_e32 v30, v30, v31
	v_sub_f32_e32 v28, v28, v32
	v_add_f32_e32 v29, v29, v30
	v_add_f32_e32 v25, v25, v28
	v_mul_f32_e32 v33, v32, v27
	v_mul_f32_e32 v34, v31, v33
	v_fma_f32 v30, v33, v31, -v34
	v_fmac_f32_e32 v30, v33, v29
	v_add_f32_e32 v35, v34, v30
	v_sub_f32_e32 v36, v32, v35
	v_sub_f32_e32 v28, v35, v34
	;; [unrolled: 1-line block ×5, first 2 shown]
	v_add_f32_e32 v25, v25, v32
	v_add_f32_e32 v25, v28, v25
	;; [unrolled: 1-line block ×3, first 2 shown]
	v_mul_f32_e32 v30, v27, v28
	v_sub_f32_e32 v35, v36, v28
	v_mul_f32_e32 v32, v31, v30
	v_add_f32_e32 v25, v25, v35
	v_fma_f32 v31, v30, v31, -v32
	v_fmac_f32_e32 v31, v30, v29
	v_add_f32_e32 v29, v32, v31
	v_sub_f32_e32 v34, v28, v29
	v_sub_f32_e32 v32, v29, v32
	;; [unrolled: 1-line block ×5, first 2 shown]
	v_add_f32_e32 v25, v25, v28
	v_add_f32_e32 v28, v33, v30
	;; [unrolled: 1-line block ×3, first 2 shown]
	v_sub_f32_e32 v29, v28, v33
	v_add_f32_e32 v25, v34, v25
	v_sub_f32_e32 v29, v30, v29
	v_mul_f32_e32 v25, v27, v25
	v_add_f32_e32 v25, v29, v25
	v_add_f32_e32 v27, v28, v25
	v_mul_f32_e32 v29, v27, v27
	v_fmaak_f32 v30, s15, v29, 0x3ecc95a3
	v_mul_f32_e32 v31, v27, v29
	v_cmp_neq_f32_e64 s15, 0x7f800000, v26
	v_fmaak_f32 v29, v29, v30, 0x3f2aaada
	v_ldexp_f32 v30, v27, 1
	v_sub_f32_e32 v27, v27, v28
	v_mul_f32_e32 v29, v31, v29
	v_mul_f32_e32 v31, 0x3f317218, v24
	v_sub_f32_e32 v25, v25, v27
	v_add_f32_e32 v28, v30, v29
	v_ldexp_f32 v25, v25, 1
	v_sub_f32_e32 v27, v28, v30
	v_fma_f32 v30, 0x3f317218, v24, -v31
	v_sub_f32_e32 v27, v29, v27
	v_fmamk_f32 v24, v24, 0xb102e308, v30
	v_add_f32_e32 v25, v25, v27
	v_add_f32_e32 v27, v31, v24
	;; [unrolled: 1-line block ×3, first 2 shown]
	v_sub_f32_e32 v31, v27, v31
	v_add_f32_e32 v30, v27, v29
	v_sub_f32_e32 v28, v29, v28
	v_sub_f32_e32 v24, v24, v31
	;; [unrolled: 1-line block ×6, first 2 shown]
	v_add_f32_e32 v29, v24, v25
	v_sub_f32_e32 v27, v27, v33
	v_add_f32_e32 v27, v28, v27
	v_sub_f32_e32 v28, v29, v24
	;; [unrolled: 2-line block ×3, first 2 shown]
	v_sub_f32_e32 v25, v25, v28
	v_add_f32_e32 v31, v30, v27
	v_sub_f32_e32 v24, v24, v29
	v_sub_f32_e32 v28, v31, v30
	v_add_f32_e32 v24, v25, v24
	v_sub_f32_e32 v25, v27, v28
	v_add_f32_e32 v24, v24, v25
	v_add_f32_e32 v24, v31, v24
	v_cndmask_b32_e64 v24, 0x7f800000, v24, s15
	v_cmp_gt_f32_e64 s15, 0x33800000, |v26|
	v_cndmask_b32_e64 v24, v24, v26, s15
	v_add_f32_e32 v23, v23, v24
	v_cvt_f16_f32_e32 v25, v23
.LBB424_214:
	s_or_b32 exec_lo, exec_lo, s20
	v_and_b32_e32 v24, 0xffff, v25
	v_mov_b32_e32 v23, v25
.LBB424_215:
	s_or_b32 exec_lo, exec_lo, s17
	v_mov_b32_dpp v25, v24 row_shr:4 row_mask:0xf bank_mask:0xf
	s_mov_b32 s17, exec_lo
	v_cmpx_lt_u32_e32 3, v22
	s_cbranch_execz .LBB424_219
; %bb.216:
	v_cvt_f32_f16_e32 v24, v25
	v_cvt_f32_f16_e32 v26, v23
	v_cmp_u_f16_e64 s15, v25, v25
	v_min_f32_e32 v27, v24, v26
	v_max_f32_e32 v28, v24, v26
	v_cndmask_b32_e64 v27, v27, v24, s15
	v_cndmask_b32_e64 v28, v28, v24, s15
	v_cmp_u_f16_e64 s15, v23, v23
	v_cndmask_b32_e64 v24, v27, v26, s15
	v_cndmask_b32_e64 v23, v28, v26, s15
	v_cmp_class_f32_e64 s20, v24, 0x1f8
	v_cmp_neq_f32_e64 s15, v24, v23
	s_or_b32 s15, s15, s20
	s_and_saveexec_b32 s20, s15
	s_cbranch_execz .LBB424_218
; %bb.217:
	v_sub_f32_e32 v24, v24, v23
	v_mul_f32_e32 v25, 0x3fb8aa3b, v24
	v_cmp_ngt_f32_e64 s15, 0xc2ce8ed0, v24
	v_fma_f32 v26, 0x3fb8aa3b, v24, -v25
	v_rndne_f32_e32 v27, v25
	v_fmamk_f32 v26, v24, 0x32a5705f, v26
	v_sub_f32_e32 v25, v25, v27
	v_add_f32_e32 v25, v25, v26
	v_cvt_i32_f32_e32 v26, v27
	v_exp_f32_e32 v25, v25
	v_ldexp_f32 v25, v25, v26
	v_cndmask_b32_e64 v25, 0, v25, s15
	v_cmp_nlt_f32_e64 s15, 0x42b17218, v24
	v_cndmask_b32_e64 v26, 0x7f800000, v25, s15
	v_add_f32_e32 v27, 1.0, v26
	v_cvt_f64_f32_e32 v[24:25], v27
	v_frexp_exp_i32_f64_e32 v24, v[24:25]
	v_frexp_mant_f32_e32 v25, v27
	v_cmp_gt_f32_e64 s15, 0x3f2aaaab, v25
	v_add_f32_e32 v25, -1.0, v27
	v_sub_f32_e32 v29, v25, v27
	v_sub_f32_e32 v25, v26, v25
	v_add_f32_e32 v29, 1.0, v29
	v_add_f32_e32 v25, v25, v29
	v_subrev_co_ci_u32_e64 v24, null, 0, v24, s15
	s_mov_b32 s15, 0x3e9b6dac
	v_sub_nc_u32_e32 v28, 0, v24
	v_cvt_f32_i32_e32 v24, v24
	v_ldexp_f32 v27, v27, v28
	v_ldexp_f32 v25, v25, v28
	v_add_f32_e32 v30, 1.0, v27
	v_add_f32_e32 v28, -1.0, v27
	v_add_f32_e32 v29, -1.0, v30
	v_add_f32_e32 v31, 1.0, v28
	v_sub_f32_e32 v29, v27, v29
	v_sub_f32_e32 v27, v27, v31
	v_add_f32_e32 v29, v25, v29
	v_add_f32_e32 v25, v25, v27
	;; [unrolled: 1-line block ×4, first 2 shown]
	v_rcp_f32_e32 v27, v31
	v_sub_f32_e32 v30, v30, v31
	v_sub_f32_e32 v28, v28, v32
	v_add_f32_e32 v29, v29, v30
	v_add_f32_e32 v25, v25, v28
	v_mul_f32_e32 v33, v32, v27
	v_mul_f32_e32 v34, v31, v33
	v_fma_f32 v30, v33, v31, -v34
	v_fmac_f32_e32 v30, v33, v29
	v_add_f32_e32 v35, v34, v30
	v_sub_f32_e32 v36, v32, v35
	v_sub_f32_e32 v28, v35, v34
	;; [unrolled: 1-line block ×5, first 2 shown]
	v_add_f32_e32 v25, v25, v32
	v_add_f32_e32 v25, v28, v25
	;; [unrolled: 1-line block ×3, first 2 shown]
	v_mul_f32_e32 v30, v27, v28
	v_sub_f32_e32 v35, v36, v28
	v_mul_f32_e32 v32, v31, v30
	v_add_f32_e32 v25, v25, v35
	v_fma_f32 v31, v30, v31, -v32
	v_fmac_f32_e32 v31, v30, v29
	v_add_f32_e32 v29, v32, v31
	v_sub_f32_e32 v34, v28, v29
	v_sub_f32_e32 v32, v29, v32
	;; [unrolled: 1-line block ×5, first 2 shown]
	v_add_f32_e32 v25, v25, v28
	v_add_f32_e32 v28, v33, v30
	;; [unrolled: 1-line block ×3, first 2 shown]
	v_sub_f32_e32 v29, v28, v33
	v_add_f32_e32 v25, v34, v25
	v_sub_f32_e32 v29, v30, v29
	v_mul_f32_e32 v25, v27, v25
	v_add_f32_e32 v25, v29, v25
	v_add_f32_e32 v27, v28, v25
	v_mul_f32_e32 v29, v27, v27
	v_fmaak_f32 v30, s15, v29, 0x3ecc95a3
	v_mul_f32_e32 v31, v27, v29
	v_cmp_neq_f32_e64 s15, 0x7f800000, v26
	v_fmaak_f32 v29, v29, v30, 0x3f2aaada
	v_ldexp_f32 v30, v27, 1
	v_sub_f32_e32 v27, v27, v28
	v_mul_f32_e32 v29, v31, v29
	v_mul_f32_e32 v31, 0x3f317218, v24
	v_sub_f32_e32 v25, v25, v27
	v_add_f32_e32 v28, v30, v29
	v_ldexp_f32 v25, v25, 1
	v_sub_f32_e32 v27, v28, v30
	v_fma_f32 v30, 0x3f317218, v24, -v31
	v_sub_f32_e32 v27, v29, v27
	v_fmamk_f32 v24, v24, 0xb102e308, v30
	v_add_f32_e32 v25, v25, v27
	v_add_f32_e32 v27, v31, v24
	;; [unrolled: 1-line block ×3, first 2 shown]
	v_sub_f32_e32 v31, v27, v31
	v_add_f32_e32 v30, v27, v29
	v_sub_f32_e32 v28, v29, v28
	v_sub_f32_e32 v24, v24, v31
	;; [unrolled: 1-line block ×6, first 2 shown]
	v_add_f32_e32 v29, v24, v25
	v_sub_f32_e32 v27, v27, v33
	v_add_f32_e32 v27, v28, v27
	v_sub_f32_e32 v28, v29, v24
	;; [unrolled: 2-line block ×3, first 2 shown]
	v_sub_f32_e32 v25, v25, v28
	v_add_f32_e32 v31, v30, v27
	v_sub_f32_e32 v24, v24, v29
	v_sub_f32_e32 v28, v31, v30
	v_add_f32_e32 v24, v25, v24
	v_sub_f32_e32 v25, v27, v28
	v_add_f32_e32 v24, v24, v25
	v_add_f32_e32 v24, v31, v24
	v_cndmask_b32_e64 v24, 0x7f800000, v24, s15
	v_cmp_gt_f32_e64 s15, 0x33800000, |v26|
	v_cndmask_b32_e64 v24, v24, v26, s15
	v_add_f32_e32 v23, v23, v24
	v_cvt_f16_f32_e32 v25, v23
.LBB424_218:
	s_or_b32 exec_lo, exec_lo, s20
	v_and_b32_e32 v24, 0xffff, v25
	v_mov_b32_e32 v23, v25
.LBB424_219:
	s_or_b32 exec_lo, exec_lo, s17
	v_mov_b32_dpp v25, v24 row_shr:8 row_mask:0xf bank_mask:0xf
	s_mov_b32 s17, exec_lo
	v_cmpx_lt_u32_e32 7, v22
	s_cbranch_execz .LBB424_223
; %bb.220:
	v_cvt_f32_f16_e32 v22, v25
	v_cvt_f32_f16_e32 v24, v23
	v_cmp_u_f16_e64 s15, v25, v25
	v_min_f32_e32 v26, v22, v24
	v_max_f32_e32 v27, v22, v24
	v_cndmask_b32_e64 v26, v26, v22, s15
	v_cndmask_b32_e64 v22, v27, v22, s15
	v_cmp_u_f16_e64 s15, v23, v23
	v_cndmask_b32_e64 v23, v26, v24, s15
	v_cndmask_b32_e64 v22, v22, v24, s15
	v_cmp_class_f32_e64 s20, v23, 0x1f8
	v_cmp_neq_f32_e64 s15, v23, v22
	s_or_b32 s15, s15, s20
	s_and_saveexec_b32 s20, s15
	s_cbranch_execz .LBB424_222
; %bb.221:
	v_sub_f32_e32 v23, v23, v22
	v_mul_f32_e32 v24, 0x3fb8aa3b, v23
	v_cmp_ngt_f32_e64 s15, 0xc2ce8ed0, v23
	v_fma_f32 v25, 0x3fb8aa3b, v23, -v24
	v_rndne_f32_e32 v26, v24
	v_fmamk_f32 v25, v23, 0x32a5705f, v25
	v_sub_f32_e32 v24, v24, v26
	v_add_f32_e32 v24, v24, v25
	v_cvt_i32_f32_e32 v25, v26
	v_exp_f32_e32 v24, v24
	v_ldexp_f32 v24, v24, v25
	v_cndmask_b32_e64 v24, 0, v24, s15
	v_cmp_nlt_f32_e64 s15, 0x42b17218, v23
	v_cndmask_b32_e64 v25, 0x7f800000, v24, s15
	v_add_f32_e32 v26, 1.0, v25
	v_cvt_f64_f32_e32 v[23:24], v26
	v_frexp_exp_i32_f64_e32 v23, v[23:24]
	v_frexp_mant_f32_e32 v24, v26
	v_cmp_gt_f32_e64 s15, 0x3f2aaaab, v24
	v_add_f32_e32 v24, -1.0, v26
	v_sub_f32_e32 v28, v24, v26
	v_sub_f32_e32 v24, v25, v24
	v_add_f32_e32 v28, 1.0, v28
	v_add_f32_e32 v24, v24, v28
	v_subrev_co_ci_u32_e64 v23, null, 0, v23, s15
	s_mov_b32 s15, 0x3e9b6dac
	v_sub_nc_u32_e32 v27, 0, v23
	v_cvt_f32_i32_e32 v23, v23
	v_ldexp_f32 v26, v26, v27
	v_ldexp_f32 v24, v24, v27
	v_add_f32_e32 v29, 1.0, v26
	v_add_f32_e32 v27, -1.0, v26
	v_add_f32_e32 v28, -1.0, v29
	v_add_f32_e32 v30, 1.0, v27
	v_sub_f32_e32 v28, v26, v28
	v_sub_f32_e32 v26, v26, v30
	v_add_f32_e32 v28, v24, v28
	v_add_f32_e32 v24, v24, v26
	v_add_f32_e32 v30, v29, v28
	v_add_f32_e32 v31, v27, v24
	v_rcp_f32_e32 v26, v30
	v_sub_f32_e32 v29, v29, v30
	v_sub_f32_e32 v27, v27, v31
	v_add_f32_e32 v28, v28, v29
	v_add_f32_e32 v24, v24, v27
	v_mul_f32_e32 v32, v31, v26
	v_mul_f32_e32 v33, v30, v32
	v_fma_f32 v29, v32, v30, -v33
	v_fmac_f32_e32 v29, v32, v28
	v_add_f32_e32 v34, v33, v29
	v_sub_f32_e32 v35, v31, v34
	v_sub_f32_e32 v27, v34, v33
	;; [unrolled: 1-line block ×5, first 2 shown]
	v_add_f32_e32 v24, v24, v31
	v_add_f32_e32 v24, v27, v24
	;; [unrolled: 1-line block ×3, first 2 shown]
	v_mul_f32_e32 v29, v26, v27
	v_sub_f32_e32 v34, v35, v27
	v_mul_f32_e32 v31, v30, v29
	v_add_f32_e32 v24, v24, v34
	v_fma_f32 v30, v29, v30, -v31
	v_fmac_f32_e32 v30, v29, v28
	v_add_f32_e32 v28, v31, v30
	v_sub_f32_e32 v33, v27, v28
	v_sub_f32_e32 v31, v28, v31
	v_sub_f32_e32 v27, v27, v33
	v_sub_f32_e32 v27, v27, v28
	v_sub_f32_e32 v28, v31, v30
	v_add_f32_e32 v24, v24, v27
	v_add_f32_e32 v27, v32, v29
	;; [unrolled: 1-line block ×3, first 2 shown]
	v_sub_f32_e32 v28, v27, v32
	v_add_f32_e32 v24, v33, v24
	v_sub_f32_e32 v28, v29, v28
	v_mul_f32_e32 v24, v26, v24
	v_add_f32_e32 v24, v28, v24
	v_add_f32_e32 v26, v27, v24
	v_mul_f32_e32 v28, v26, v26
	v_fmaak_f32 v29, s15, v28, 0x3ecc95a3
	v_mul_f32_e32 v30, v26, v28
	v_cmp_neq_f32_e64 s15, 0x7f800000, v25
	v_fmaak_f32 v28, v28, v29, 0x3f2aaada
	v_ldexp_f32 v29, v26, 1
	v_sub_f32_e32 v26, v26, v27
	v_mul_f32_e32 v28, v30, v28
	v_mul_f32_e32 v30, 0x3f317218, v23
	v_sub_f32_e32 v24, v24, v26
	v_add_f32_e32 v27, v29, v28
	v_ldexp_f32 v24, v24, 1
	v_sub_f32_e32 v26, v27, v29
	v_fma_f32 v29, 0x3f317218, v23, -v30
	v_sub_f32_e32 v26, v28, v26
	v_fmamk_f32 v23, v23, 0xb102e308, v29
	v_add_f32_e32 v24, v24, v26
	v_add_f32_e32 v26, v30, v23
	;; [unrolled: 1-line block ×3, first 2 shown]
	v_sub_f32_e32 v30, v26, v30
	v_add_f32_e32 v29, v26, v28
	v_sub_f32_e32 v27, v28, v27
	v_sub_f32_e32 v23, v23, v30
	;; [unrolled: 1-line block ×6, first 2 shown]
	v_add_f32_e32 v28, v23, v24
	v_sub_f32_e32 v26, v26, v32
	v_add_f32_e32 v26, v27, v26
	v_sub_f32_e32 v27, v28, v23
	;; [unrolled: 2-line block ×3, first 2 shown]
	v_sub_f32_e32 v24, v24, v27
	v_add_f32_e32 v30, v29, v26
	v_sub_f32_e32 v23, v23, v28
	v_sub_f32_e32 v27, v30, v29
	v_add_f32_e32 v23, v24, v23
	v_sub_f32_e32 v24, v26, v27
	v_add_f32_e32 v23, v23, v24
	v_add_f32_e32 v23, v30, v23
	v_cndmask_b32_e64 v23, 0x7f800000, v23, s15
	v_cmp_gt_f32_e64 s15, 0x33800000, |v25|
	v_cndmask_b32_e64 v23, v23, v25, s15
	v_add_f32_e32 v22, v22, v23
	v_cvt_f16_f32_e32 v25, v22
.LBB424_222:
	s_or_b32 exec_lo, exec_lo, s20
	v_and_b32_e32 v24, 0xffff, v25
	v_mov_b32_e32 v23, v25
.LBB424_223:
	s_or_b32 exec_lo, exec_lo, s17
	ds_swizzle_b32 v24, v24 offset:swizzle(BROADCAST,32,15)
	v_and_b32_e32 v22, 16, v21
	s_mov_b32 s17, exec_lo
	v_cmpx_ne_u32_e32 0, v22
	s_cbranch_execz .LBB424_227
; %bb.224:
	s_waitcnt lgkmcnt(0)
	v_cvt_f32_f16_e32 v22, v24
	v_cvt_f32_f16_e32 v25, v23
	v_cmp_u_f16_e64 s15, v24, v24
	v_min_f32_e32 v26, v22, v25
	v_max_f32_e32 v27, v22, v25
	v_cndmask_b32_e64 v26, v26, v22, s15
	v_cndmask_b32_e64 v22, v27, v22, s15
	v_cmp_u_f16_e64 s15, v23, v23
	v_cndmask_b32_e64 v23, v26, v25, s15
	v_cndmask_b32_e64 v22, v22, v25, s15
	v_cmp_class_f32_e64 s20, v23, 0x1f8
	v_cmp_neq_f32_e64 s15, v23, v22
	s_or_b32 s15, s15, s20
	s_and_saveexec_b32 s20, s15
	s_cbranch_execz .LBB424_226
; %bb.225:
	v_sub_f32_e32 v23, v23, v22
	v_mul_f32_e32 v24, 0x3fb8aa3b, v23
	v_cmp_ngt_f32_e64 s15, 0xc2ce8ed0, v23
	v_fma_f32 v25, 0x3fb8aa3b, v23, -v24
	v_rndne_f32_e32 v26, v24
	v_fmamk_f32 v25, v23, 0x32a5705f, v25
	v_sub_f32_e32 v24, v24, v26
	v_add_f32_e32 v24, v24, v25
	v_cvt_i32_f32_e32 v25, v26
	v_exp_f32_e32 v24, v24
	v_ldexp_f32 v24, v24, v25
	v_cndmask_b32_e64 v24, 0, v24, s15
	v_cmp_nlt_f32_e64 s15, 0x42b17218, v23
	v_cndmask_b32_e64 v25, 0x7f800000, v24, s15
	v_add_f32_e32 v26, 1.0, v25
	v_cvt_f64_f32_e32 v[23:24], v26
	v_frexp_exp_i32_f64_e32 v23, v[23:24]
	v_frexp_mant_f32_e32 v24, v26
	v_cmp_gt_f32_e64 s15, 0x3f2aaaab, v24
	v_add_f32_e32 v24, -1.0, v26
	v_sub_f32_e32 v28, v24, v26
	v_sub_f32_e32 v24, v25, v24
	v_add_f32_e32 v28, 1.0, v28
	v_add_f32_e32 v24, v24, v28
	v_subrev_co_ci_u32_e64 v23, null, 0, v23, s15
	s_mov_b32 s15, 0x3e9b6dac
	v_sub_nc_u32_e32 v27, 0, v23
	v_cvt_f32_i32_e32 v23, v23
	v_ldexp_f32 v26, v26, v27
	v_ldexp_f32 v24, v24, v27
	v_add_f32_e32 v29, 1.0, v26
	v_add_f32_e32 v27, -1.0, v26
	v_add_f32_e32 v28, -1.0, v29
	v_add_f32_e32 v30, 1.0, v27
	v_sub_f32_e32 v28, v26, v28
	v_sub_f32_e32 v26, v26, v30
	v_add_f32_e32 v28, v24, v28
	v_add_f32_e32 v24, v24, v26
	;; [unrolled: 1-line block ×4, first 2 shown]
	v_rcp_f32_e32 v26, v30
	v_sub_f32_e32 v29, v29, v30
	v_sub_f32_e32 v27, v27, v31
	v_add_f32_e32 v28, v28, v29
	v_add_f32_e32 v24, v24, v27
	v_mul_f32_e32 v32, v31, v26
	v_mul_f32_e32 v33, v30, v32
	v_fma_f32 v29, v32, v30, -v33
	v_fmac_f32_e32 v29, v32, v28
	v_add_f32_e32 v34, v33, v29
	v_sub_f32_e32 v35, v31, v34
	v_sub_f32_e32 v27, v34, v33
	;; [unrolled: 1-line block ×5, first 2 shown]
	v_add_f32_e32 v24, v24, v31
	v_add_f32_e32 v24, v27, v24
	;; [unrolled: 1-line block ×3, first 2 shown]
	v_mul_f32_e32 v29, v26, v27
	v_sub_f32_e32 v34, v35, v27
	v_mul_f32_e32 v31, v30, v29
	v_add_f32_e32 v24, v24, v34
	v_fma_f32 v30, v29, v30, -v31
	v_fmac_f32_e32 v30, v29, v28
	v_add_f32_e32 v28, v31, v30
	v_sub_f32_e32 v33, v27, v28
	v_sub_f32_e32 v31, v28, v31
	;; [unrolled: 1-line block ×5, first 2 shown]
	v_add_f32_e32 v24, v24, v27
	v_add_f32_e32 v27, v32, v29
	;; [unrolled: 1-line block ×3, first 2 shown]
	v_sub_f32_e32 v28, v27, v32
	v_add_f32_e32 v24, v33, v24
	v_sub_f32_e32 v28, v29, v28
	v_mul_f32_e32 v24, v26, v24
	v_add_f32_e32 v24, v28, v24
	v_add_f32_e32 v26, v27, v24
	v_mul_f32_e32 v28, v26, v26
	v_fmaak_f32 v29, s15, v28, 0x3ecc95a3
	v_mul_f32_e32 v30, v26, v28
	v_cmp_neq_f32_e64 s15, 0x7f800000, v25
	v_fmaak_f32 v28, v28, v29, 0x3f2aaada
	v_ldexp_f32 v29, v26, 1
	v_sub_f32_e32 v26, v26, v27
	v_mul_f32_e32 v28, v30, v28
	v_mul_f32_e32 v30, 0x3f317218, v23
	v_sub_f32_e32 v24, v24, v26
	v_add_f32_e32 v27, v29, v28
	v_ldexp_f32 v24, v24, 1
	v_sub_f32_e32 v26, v27, v29
	v_fma_f32 v29, 0x3f317218, v23, -v30
	v_sub_f32_e32 v26, v28, v26
	v_fmamk_f32 v23, v23, 0xb102e308, v29
	v_add_f32_e32 v24, v24, v26
	v_add_f32_e32 v26, v30, v23
	;; [unrolled: 1-line block ×3, first 2 shown]
	v_sub_f32_e32 v30, v26, v30
	v_add_f32_e32 v29, v26, v28
	v_sub_f32_e32 v27, v28, v27
	v_sub_f32_e32 v23, v23, v30
	;; [unrolled: 1-line block ×6, first 2 shown]
	v_add_f32_e32 v28, v23, v24
	v_sub_f32_e32 v26, v26, v32
	v_add_f32_e32 v26, v27, v26
	v_sub_f32_e32 v27, v28, v23
	;; [unrolled: 2-line block ×3, first 2 shown]
	v_sub_f32_e32 v24, v24, v27
	v_add_f32_e32 v30, v29, v26
	v_sub_f32_e32 v23, v23, v28
	v_sub_f32_e32 v27, v30, v29
	v_add_f32_e32 v23, v24, v23
	v_sub_f32_e32 v24, v26, v27
	v_add_f32_e32 v23, v23, v24
	v_add_f32_e32 v23, v30, v23
	v_cndmask_b32_e64 v23, 0x7f800000, v23, s15
	v_cmp_gt_f32_e64 s15, 0x33800000, |v25|
	v_cndmask_b32_e64 v23, v23, v25, s15
	v_add_f32_e32 v22, v22, v23
	v_cvt_f16_f32_e32 v24, v22
.LBB424_226:
	s_or_b32 exec_lo, exec_lo, s20
	v_mov_b32_e32 v23, v24
.LBB424_227:
	s_or_b32 exec_lo, exec_lo, s17
	v_add_nc_u32_e32 v22, -1, v21
	v_cmp_gt_i32_e64 s15, 0, v22
	v_cndmask_b32_e64 v21, v22, v21, s15
	v_and_b32_e32 v22, 0xffff, v23
	v_lshlrev_b32_e32 v21, 2, v21
	ds_bpermute_b32 v21, v21, v22
	v_max_f32_e32 v22, v20, v20
	s_waitcnt lgkmcnt(0)
	v_cvt_f32_f16_e32 v23, v21
	v_cmp_u_f16_e64 s15, v21, v21
	v_min_f32_e32 v24, v23, v22
	v_max_f32_e32 v22, v23, v22
	v_cndmask_b32_e64 v24, v24, v23, s15
	v_cndmask_b32_e64 v23, v22, v23, s15
	;; [unrolled: 1-line block ×4, first 2 shown]
	v_cmp_class_f32_e64 s15, v22, 0x1f8
	v_cmp_neq_f32_e64 s14, v22, v20
	s_or_b32 s14, s14, s15
	s_and_saveexec_b32 s15, s14
	s_cbranch_execz .LBB424_229
; %bb.228:
	v_sub_f32_e32 v21, v22, v20
	v_mul_f32_e32 v22, 0x3fb8aa3b, v21
	v_cmp_ngt_f32_e64 s14, 0xc2ce8ed0, v21
	v_fma_f32 v23, 0x3fb8aa3b, v21, -v22
	v_rndne_f32_e32 v24, v22
	v_fmamk_f32 v23, v21, 0x32a5705f, v23
	v_sub_f32_e32 v22, v22, v24
	v_add_f32_e32 v22, v22, v23
	v_cvt_i32_f32_e32 v23, v24
	v_exp_f32_e32 v22, v22
	v_ldexp_f32 v22, v22, v23
	v_cndmask_b32_e64 v22, 0, v22, s14
	v_cmp_nlt_f32_e64 s14, 0x42b17218, v21
	v_cndmask_b32_e64 v23, 0x7f800000, v22, s14
	v_add_f32_e32 v24, 1.0, v23
	v_cvt_f64_f32_e32 v[21:22], v24
	v_frexp_exp_i32_f64_e32 v21, v[21:22]
	v_frexp_mant_f32_e32 v22, v24
	v_cmp_gt_f32_e64 s14, 0x3f2aaaab, v22
	v_add_f32_e32 v22, -1.0, v24
	v_sub_f32_e32 v26, v22, v24
	v_sub_f32_e32 v22, v23, v22
	v_add_f32_e32 v26, 1.0, v26
	v_add_f32_e32 v22, v22, v26
	v_subrev_co_ci_u32_e64 v21, null, 0, v21, s14
	s_mov_b32 s14, 0x3e9b6dac
	v_sub_nc_u32_e32 v25, 0, v21
	v_cvt_f32_i32_e32 v21, v21
	v_ldexp_f32 v24, v24, v25
	v_ldexp_f32 v22, v22, v25
	v_add_f32_e32 v27, 1.0, v24
	v_add_f32_e32 v25, -1.0, v24
	v_add_f32_e32 v26, -1.0, v27
	v_add_f32_e32 v28, 1.0, v25
	v_sub_f32_e32 v26, v24, v26
	v_sub_f32_e32 v24, v24, v28
	v_add_f32_e32 v26, v22, v26
	v_add_f32_e32 v22, v22, v24
	;; [unrolled: 1-line block ×4, first 2 shown]
	v_rcp_f32_e32 v24, v28
	v_sub_f32_e32 v27, v27, v28
	v_sub_f32_e32 v25, v25, v29
	v_add_f32_e32 v26, v26, v27
	v_add_f32_e32 v22, v22, v25
	v_mul_f32_e32 v30, v29, v24
	v_mul_f32_e32 v31, v28, v30
	v_fma_f32 v27, v30, v28, -v31
	v_fmac_f32_e32 v27, v30, v26
	v_add_f32_e32 v32, v31, v27
	v_sub_f32_e32 v33, v29, v32
	v_sub_f32_e32 v25, v32, v31
	;; [unrolled: 1-line block ×5, first 2 shown]
	v_add_f32_e32 v22, v22, v29
	v_add_f32_e32 v22, v25, v22
	;; [unrolled: 1-line block ×3, first 2 shown]
	v_mul_f32_e32 v27, v24, v25
	v_sub_f32_e32 v32, v33, v25
	v_mul_f32_e32 v29, v28, v27
	v_add_f32_e32 v22, v22, v32
	v_fma_f32 v28, v27, v28, -v29
	v_fmac_f32_e32 v28, v27, v26
	v_add_f32_e32 v26, v29, v28
	v_sub_f32_e32 v31, v25, v26
	v_sub_f32_e32 v29, v26, v29
	;; [unrolled: 1-line block ×5, first 2 shown]
	v_add_f32_e32 v22, v22, v25
	v_add_f32_e32 v25, v30, v27
	;; [unrolled: 1-line block ×3, first 2 shown]
	v_sub_f32_e32 v26, v25, v30
	v_add_f32_e32 v22, v31, v22
	v_sub_f32_e32 v26, v27, v26
	v_mul_f32_e32 v22, v24, v22
	v_add_f32_e32 v22, v26, v22
	v_add_f32_e32 v24, v25, v22
	v_mul_f32_e32 v26, v24, v24
	v_fmaak_f32 v27, s14, v26, 0x3ecc95a3
	v_mul_f32_e32 v28, v24, v26
	v_cmp_neq_f32_e64 s14, 0x7f800000, v23
	v_fmaak_f32 v26, v26, v27, 0x3f2aaada
	v_ldexp_f32 v27, v24, 1
	v_sub_f32_e32 v24, v24, v25
	v_mul_f32_e32 v26, v28, v26
	v_mul_f32_e32 v28, 0x3f317218, v21
	v_sub_f32_e32 v22, v22, v24
	v_add_f32_e32 v25, v27, v26
	v_ldexp_f32 v22, v22, 1
	v_sub_f32_e32 v24, v25, v27
	v_fma_f32 v27, 0x3f317218, v21, -v28
	v_sub_f32_e32 v24, v26, v24
	v_fmamk_f32 v21, v21, 0xb102e308, v27
	v_add_f32_e32 v22, v22, v24
	v_add_f32_e32 v24, v28, v21
	;; [unrolled: 1-line block ×3, first 2 shown]
	v_sub_f32_e32 v28, v24, v28
	v_add_f32_e32 v27, v24, v26
	v_sub_f32_e32 v25, v26, v25
	v_sub_f32_e32 v21, v21, v28
	;; [unrolled: 1-line block ×6, first 2 shown]
	v_add_f32_e32 v26, v21, v22
	v_sub_f32_e32 v24, v24, v30
	v_add_f32_e32 v24, v25, v24
	v_sub_f32_e32 v25, v26, v21
	;; [unrolled: 2-line block ×3, first 2 shown]
	v_sub_f32_e32 v22, v22, v25
	v_add_f32_e32 v28, v27, v24
	v_sub_f32_e32 v21, v21, v26
	v_sub_f32_e32 v25, v28, v27
	v_add_f32_e32 v21, v22, v21
	v_sub_f32_e32 v22, v24, v25
	v_add_f32_e32 v21, v21, v22
	v_add_f32_e32 v21, v28, v21
	v_cndmask_b32_e64 v21, 0x7f800000, v21, s14
	v_cmp_gt_f32_e64 s14, 0x33800000, |v23|
	v_cndmask_b32_e64 v21, v21, v23, s14
	v_add_f32_e32 v20, v20, v21
	v_cvt_f16_f32_e32 v21, v20
.LBB424_229:
	s_or_b32 exec_lo, exec_lo, s15
	v_cndmask_b32_e64 v20, v21, v19, s2
	; wave barrier
	ds_write_b16 v6, v20
	; wave barrier
	ds_read_u16 v19, v6 offset:2
	v_cvt_f32_f16_e32 v21, v20
	v_cmp_u_f16_e64 s2, v20, v20
	s_waitcnt lgkmcnt(0)
	v_cvt_f32_f16_e32 v22, v19
	v_min_f32_e32 v23, v21, v22
	v_max_f32_e32 v24, v21, v22
	v_cndmask_b32_e64 v23, v23, v21, s2
	v_cndmask_b32_e64 v24, v24, v21, s2
	v_cmp_u_f16_e64 s2, v19, v19
	v_cndmask_b32_e64 v21, v23, v22, s2
	v_cndmask_b32_e64 v19, v24, v22, s2
	v_cmp_class_f32_e64 s14, v21, 0x1f8
	v_cmp_neq_f32_e64 s2, v21, v19
	s_or_b32 s2, s2, s14
	s_and_saveexec_b32 s14, s2
	s_cbranch_execz .LBB424_231
; %bb.230:
	v_sub_f32_e32 v20, v21, v19
	v_mul_f32_e32 v21, 0x3fb8aa3b, v20
	v_cmp_ngt_f32_e64 s2, 0xc2ce8ed0, v20
	v_fma_f32 v22, 0x3fb8aa3b, v20, -v21
	v_rndne_f32_e32 v23, v21
	v_fmamk_f32 v22, v20, 0x32a5705f, v22
	v_sub_f32_e32 v21, v21, v23
	v_add_f32_e32 v21, v21, v22
	v_cvt_i32_f32_e32 v22, v23
	v_exp_f32_e32 v21, v21
	v_ldexp_f32 v21, v21, v22
	v_cndmask_b32_e64 v21, 0, v21, s2
	v_cmp_nlt_f32_e64 s2, 0x42b17218, v20
	v_cndmask_b32_e64 v22, 0x7f800000, v21, s2
	v_add_f32_e32 v23, 1.0, v22
	v_cvt_f64_f32_e32 v[20:21], v23
	v_frexp_exp_i32_f64_e32 v20, v[20:21]
	v_frexp_mant_f32_e32 v21, v23
	v_cmp_gt_f32_e64 s2, 0x3f2aaaab, v21
	v_add_f32_e32 v21, -1.0, v23
	v_sub_f32_e32 v25, v21, v23
	v_sub_f32_e32 v21, v22, v21
	v_add_f32_e32 v25, 1.0, v25
	v_add_f32_e32 v21, v21, v25
	v_subrev_co_ci_u32_e64 v20, null, 0, v20, s2
	s_mov_b32 s2, 0x3e9b6dac
	v_sub_nc_u32_e32 v24, 0, v20
	v_cvt_f32_i32_e32 v20, v20
	v_ldexp_f32 v23, v23, v24
	v_ldexp_f32 v21, v21, v24
	v_add_f32_e32 v26, 1.0, v23
	v_add_f32_e32 v24, -1.0, v23
	v_add_f32_e32 v25, -1.0, v26
	v_add_f32_e32 v27, 1.0, v24
	v_sub_f32_e32 v25, v23, v25
	v_sub_f32_e32 v23, v23, v27
	v_add_f32_e32 v25, v21, v25
	v_add_f32_e32 v21, v21, v23
	;; [unrolled: 1-line block ×4, first 2 shown]
	v_rcp_f32_e32 v23, v27
	v_sub_f32_e32 v26, v26, v27
	v_sub_f32_e32 v24, v24, v28
	v_add_f32_e32 v25, v25, v26
	v_add_f32_e32 v21, v21, v24
	v_mul_f32_e32 v29, v28, v23
	v_mul_f32_e32 v30, v27, v29
	v_fma_f32 v26, v29, v27, -v30
	v_fmac_f32_e32 v26, v29, v25
	v_add_f32_e32 v31, v30, v26
	v_sub_f32_e32 v32, v28, v31
	v_sub_f32_e32 v24, v31, v30
	;; [unrolled: 1-line block ×5, first 2 shown]
	v_add_f32_e32 v21, v21, v28
	v_add_f32_e32 v21, v24, v21
	;; [unrolled: 1-line block ×3, first 2 shown]
	v_mul_f32_e32 v26, v23, v24
	v_sub_f32_e32 v31, v32, v24
	v_mul_f32_e32 v28, v27, v26
	v_add_f32_e32 v21, v21, v31
	v_fma_f32 v27, v26, v27, -v28
	v_fmac_f32_e32 v27, v26, v25
	v_add_f32_e32 v25, v28, v27
	v_sub_f32_e32 v30, v24, v25
	v_sub_f32_e32 v28, v25, v28
	;; [unrolled: 1-line block ×5, first 2 shown]
	v_add_f32_e32 v21, v21, v24
	v_add_f32_e32 v24, v29, v26
	;; [unrolled: 1-line block ×3, first 2 shown]
	v_sub_f32_e32 v25, v24, v29
	v_add_f32_e32 v21, v30, v21
	v_sub_f32_e32 v25, v26, v25
	v_mul_f32_e32 v21, v23, v21
	v_add_f32_e32 v21, v25, v21
	v_add_f32_e32 v23, v24, v21
	v_mul_f32_e32 v25, v23, v23
	v_fmaak_f32 v26, s2, v25, 0x3ecc95a3
	v_mul_f32_e32 v27, v23, v25
	v_cmp_neq_f32_e64 s2, 0x7f800000, v22
	v_fmaak_f32 v25, v25, v26, 0x3f2aaada
	v_ldexp_f32 v26, v23, 1
	v_sub_f32_e32 v23, v23, v24
	v_mul_f32_e32 v25, v27, v25
	v_mul_f32_e32 v27, 0x3f317218, v20
	v_sub_f32_e32 v21, v21, v23
	v_add_f32_e32 v24, v26, v25
	v_ldexp_f32 v21, v21, 1
	v_sub_f32_e32 v23, v24, v26
	v_fma_f32 v26, 0x3f317218, v20, -v27
	v_sub_f32_e32 v23, v25, v23
	v_fmamk_f32 v20, v20, 0xb102e308, v26
	v_add_f32_e32 v21, v21, v23
	v_add_f32_e32 v23, v27, v20
	;; [unrolled: 1-line block ×3, first 2 shown]
	v_sub_f32_e32 v27, v23, v27
	v_add_f32_e32 v26, v23, v25
	v_sub_f32_e32 v24, v25, v24
	v_sub_f32_e32 v20, v20, v27
	;; [unrolled: 1-line block ×6, first 2 shown]
	v_add_f32_e32 v25, v20, v21
	v_sub_f32_e32 v23, v23, v29
	v_add_f32_e32 v23, v24, v23
	v_sub_f32_e32 v24, v25, v20
	;; [unrolled: 2-line block ×3, first 2 shown]
	v_sub_f32_e32 v21, v21, v24
	v_add_f32_e32 v27, v26, v23
	v_sub_f32_e32 v20, v20, v25
	v_sub_f32_e32 v24, v27, v26
	v_add_f32_e32 v20, v21, v20
	v_sub_f32_e32 v21, v23, v24
	v_add_f32_e32 v20, v20, v21
	v_add_f32_e32 v20, v27, v20
	v_cndmask_b32_e64 v20, 0x7f800000, v20, s2
	v_cmp_gt_f32_e64 s2, 0x33800000, |v22|
	v_cndmask_b32_e64 v20, v20, v22, s2
	v_add_f32_e32 v19, v19, v20
	v_cvt_f16_f32_e32 v20, v19
.LBB424_231:
	s_or_b32 exec_lo, exec_lo, s14
	ds_write_b16 v6, v20 offset:2
.LBB424_232:
	s_or_b32 exec_lo, exec_lo, s16
	v_mov_b32_e32 v6, v7
	s_waitcnt lgkmcnt(0)
	s_barrier
	buffer_gl0_inv
	s_and_saveexec_b32 s2, s1
	s_cbranch_execz .LBB424_236
; %bb.233:
	v_add_nc_u32_e32 v6, -1, v0
	v_lshrrev_b32_e32 v7, 4, v6
	v_and_b32_e32 v7, 0xffffffe, v7
	v_lshl_add_u32 v6, v6, 1, v7
	ds_read_u16 v7, v6
	v_max_f32_e32 v6, v8, v8
	s_waitcnt lgkmcnt(0)
	v_cvt_f32_f16_e32 v19, v7
	v_cmp_u_f16_e64 s1, v7, v7
	v_min_f32_e32 v17, v19, v6
	v_max_f32_e32 v6, v19, v6
	v_cndmask_b32_e64 v17, v17, v19, s1
	v_cndmask_b32_e64 v6, v6, v19, s1
	;; [unrolled: 1-line block ×4, first 2 shown]
	v_cmp_class_f32_e64 s13, v17, 0x1f8
	v_cmp_neq_f32_e64 s1, v17, v6
	s_or_b32 s1, s1, s13
	s_and_saveexec_b32 s13, s1
	s_cbranch_execz .LBB424_235
; %bb.234:
	v_sub_f32_e32 v7, v17, v6
	v_mul_f32_e32 v8, 0x3fb8aa3b, v7
	v_cmp_ngt_f32_e64 s1, 0xc2ce8ed0, v7
	v_fma_f32 v17, 0x3fb8aa3b, v7, -v8
	v_rndne_f32_e32 v18, v8
	v_fmamk_f32 v17, v7, 0x32a5705f, v17
	v_sub_f32_e32 v8, v8, v18
	v_add_f32_e32 v8, v8, v17
	v_cvt_i32_f32_e32 v17, v18
	v_exp_f32_e32 v8, v8
	v_ldexp_f32 v8, v8, v17
	v_cndmask_b32_e64 v8, 0, v8, s1
	v_cmp_nlt_f32_e64 s1, 0x42b17218, v7
	v_cndmask_b32_e64 v17, 0x7f800000, v8, s1
	v_add_f32_e32 v18, 1.0, v17
	v_cvt_f64_f32_e32 v[7:8], v18
	v_frexp_exp_i32_f64_e32 v7, v[7:8]
	v_frexp_mant_f32_e32 v8, v18
	v_cmp_gt_f32_e64 s1, 0x3f2aaaab, v8
	v_add_f32_e32 v8, -1.0, v18
	v_sub_f32_e32 v20, v8, v18
	v_sub_f32_e32 v8, v17, v8
	v_add_f32_e32 v20, 1.0, v20
	v_add_f32_e32 v8, v8, v20
	v_subrev_co_ci_u32_e64 v7, null, 0, v7, s1
	s_mov_b32 s1, 0x3e9b6dac
	v_sub_nc_u32_e32 v19, 0, v7
	v_cvt_f32_i32_e32 v7, v7
	v_ldexp_f32 v18, v18, v19
	v_ldexp_f32 v8, v8, v19
	v_add_f32_e32 v21, 1.0, v18
	v_add_f32_e32 v19, -1.0, v18
	v_add_f32_e32 v20, -1.0, v21
	v_add_f32_e32 v22, 1.0, v19
	v_sub_f32_e32 v20, v18, v20
	v_sub_f32_e32 v18, v18, v22
	v_add_f32_e32 v20, v8, v20
	v_add_f32_e32 v8, v8, v18
	v_add_f32_e32 v22, v21, v20
	v_add_f32_e32 v23, v19, v8
	v_rcp_f32_e32 v18, v22
	v_sub_f32_e32 v21, v21, v22
	v_sub_f32_e32 v19, v19, v23
	v_add_f32_e32 v20, v20, v21
	v_add_f32_e32 v8, v8, v19
	v_mul_f32_e32 v24, v23, v18
	v_mul_f32_e32 v25, v22, v24
	v_fma_f32 v21, v24, v22, -v25
	v_fmac_f32_e32 v21, v24, v20
	v_add_f32_e32 v26, v25, v21
	v_sub_f32_e32 v27, v23, v26
	v_sub_f32_e32 v19, v26, v25
	;; [unrolled: 1-line block ×5, first 2 shown]
	v_add_f32_e32 v8, v8, v23
	v_add_f32_e32 v8, v19, v8
	;; [unrolled: 1-line block ×3, first 2 shown]
	v_mul_f32_e32 v21, v18, v19
	v_sub_f32_e32 v26, v27, v19
	v_mul_f32_e32 v23, v22, v21
	v_add_f32_e32 v8, v8, v26
	v_fma_f32 v22, v21, v22, -v23
	v_fmac_f32_e32 v22, v21, v20
	v_add_f32_e32 v20, v23, v22
	v_sub_f32_e32 v25, v19, v20
	v_sub_f32_e32 v23, v20, v23
	;; [unrolled: 1-line block ×5, first 2 shown]
	v_add_f32_e32 v8, v8, v19
	v_add_f32_e32 v19, v24, v21
	;; [unrolled: 1-line block ×3, first 2 shown]
	v_sub_f32_e32 v20, v19, v24
	v_add_f32_e32 v8, v25, v8
	v_sub_f32_e32 v20, v21, v20
	v_mul_f32_e32 v8, v18, v8
	v_add_f32_e32 v8, v20, v8
	v_add_f32_e32 v18, v19, v8
	v_mul_f32_e32 v20, v18, v18
	v_fmaak_f32 v21, s1, v20, 0x3ecc95a3
	v_mul_f32_e32 v22, v18, v20
	v_cmp_neq_f32_e64 s1, 0x7f800000, v17
	v_fmaak_f32 v20, v20, v21, 0x3f2aaada
	v_ldexp_f32 v21, v18, 1
	v_sub_f32_e32 v18, v18, v19
	v_mul_f32_e32 v20, v22, v20
	v_mul_f32_e32 v22, 0x3f317218, v7
	v_sub_f32_e32 v8, v8, v18
	v_add_f32_e32 v19, v21, v20
	v_ldexp_f32 v8, v8, 1
	v_sub_f32_e32 v18, v19, v21
	v_fma_f32 v21, 0x3f317218, v7, -v22
	v_sub_f32_e32 v18, v20, v18
	v_fmamk_f32 v7, v7, 0xb102e308, v21
	v_add_f32_e32 v8, v8, v18
	v_add_f32_e32 v18, v22, v7
	;; [unrolled: 1-line block ×3, first 2 shown]
	v_sub_f32_e32 v22, v18, v22
	v_add_f32_e32 v21, v18, v20
	v_sub_f32_e32 v19, v20, v19
	v_sub_f32_e32 v7, v7, v22
	;; [unrolled: 1-line block ×6, first 2 shown]
	v_add_f32_e32 v20, v7, v8
	v_sub_f32_e32 v18, v18, v24
	v_add_f32_e32 v18, v19, v18
	v_sub_f32_e32 v19, v20, v7
	;; [unrolled: 2-line block ×3, first 2 shown]
	v_sub_f32_e32 v8, v8, v19
	v_add_f32_e32 v22, v21, v18
	v_sub_f32_e32 v7, v7, v20
	v_sub_f32_e32 v19, v22, v21
	v_add_f32_e32 v7, v8, v7
	v_sub_f32_e32 v8, v18, v19
	v_add_f32_e32 v7, v7, v8
	v_add_f32_e32 v7, v22, v7
	v_cndmask_b32_e64 v7, 0x7f800000, v7, s1
	v_cmp_gt_f32_e64 s1, 0x33800000, |v17|
	v_cndmask_b32_e64 v7, v7, v17, s1
	v_add_f32_e32 v6, v6, v7
	v_cvt_f16_f32_e32 v7, v6
	v_cvt_f32_f16_e32 v19, v7
.LBB424_235:
	s_or_b32 exec_lo, exec_lo, s13
	v_max_f32_e32 v8, v14, v14
	v_max_f32_e32 v18, v19, v19
	v_mov_b32_e32 v6, v7
	;;#ASMSTART
	;;#ASMEND
	v_min_f32_e32 v17, v18, v8
	v_max_f32_e32 v18, v18, v8
	v_mov_b32_e32 v8, v19
.LBB424_236:
	s_or_b32 exec_lo, exec_lo, s2
	v_cmp_u_f16_e64 s1, v6, v6
	v_mov_b32_e32 v25, v7
	v_cndmask_b32_e64 v17, v17, v8, s1
	v_cndmask_b32_e64 v18, v18, v8, s1
	v_cndmask_b32_e32 v17, v17, v14, vcc_lo
	v_cndmask_b32_e32 v14, v18, v14, vcc_lo
	v_cmp_class_f32_e64 s1, v17, 0x1f8
	v_cmp_neq_f32_e32 vcc_lo, v17, v14
	s_or_b32 s2, vcc_lo, s1
	s_and_saveexec_b32 s1, s2
	s_cbranch_execz .LBB424_238
; %bb.237:
	v_sub_f32_e32 v6, v17, v14
	s_mov_b32 s2, 0x3e9b6dac
	v_mul_f32_e32 v8, 0x3fb8aa3b, v6
	v_cmp_ngt_f32_e32 vcc_lo, 0xc2ce8ed0, v6
	v_fma_f32 v17, 0x3fb8aa3b, v6, -v8
	v_rndne_f32_e32 v18, v8
	v_fmamk_f32 v17, v6, 0x32a5705f, v17
	v_sub_f32_e32 v8, v8, v18
	v_add_f32_e32 v8, v8, v17
	v_cvt_i32_f32_e32 v17, v18
	v_exp_f32_e32 v8, v8
	v_ldexp_f32 v8, v8, v17
	v_cndmask_b32_e32 v8, 0, v8, vcc_lo
	v_cmp_nlt_f32_e32 vcc_lo, 0x42b17218, v6
	v_cndmask_b32_e32 v6, 0x7f800000, v8, vcc_lo
	v_add_f32_e32 v8, 1.0, v6
	v_cvt_f64_f32_e32 v[17:18], v8
	v_frexp_exp_i32_f64_e32 v17, v[17:18]
	v_frexp_mant_f32_e32 v18, v8
	v_cmp_gt_f32_e32 vcc_lo, 0x3f2aaaab, v18
	v_add_f32_e32 v18, -1.0, v8
	v_sub_f32_e32 v20, v18, v8
	v_sub_f32_e32 v18, v6, v18
	v_add_f32_e32 v20, 1.0, v20
	v_add_f32_e32 v18, v18, v20
	v_subrev_co_ci_u32_e64 v17, null, 0, v17, vcc_lo
	v_cmp_neq_f32_e32 vcc_lo, 0x7f800000, v6
	v_sub_nc_u32_e32 v19, 0, v17
	v_cvt_f32_i32_e32 v17, v17
	v_ldexp_f32 v8, v8, v19
	v_ldexp_f32 v18, v18, v19
	v_add_f32_e32 v21, 1.0, v8
	v_add_f32_e32 v19, -1.0, v8
	v_add_f32_e32 v20, -1.0, v21
	v_add_f32_e32 v22, 1.0, v19
	v_sub_f32_e32 v20, v8, v20
	v_sub_f32_e32 v8, v8, v22
	v_add_f32_e32 v20, v18, v20
	v_add_f32_e32 v8, v18, v8
	;; [unrolled: 1-line block ×4, first 2 shown]
	v_rcp_f32_e32 v18, v22
	v_sub_f32_e32 v21, v21, v22
	v_sub_f32_e32 v19, v19, v23
	v_add_f32_e32 v20, v20, v21
	v_add_f32_e32 v8, v8, v19
	v_mul_f32_e32 v24, v23, v18
	v_mul_f32_e32 v25, v22, v24
	v_fma_f32 v21, v24, v22, -v25
	v_fmac_f32_e32 v21, v24, v20
	v_add_f32_e32 v26, v25, v21
	v_sub_f32_e32 v27, v23, v26
	v_sub_f32_e32 v19, v26, v25
	;; [unrolled: 1-line block ×5, first 2 shown]
	v_add_f32_e32 v8, v8, v23
	v_add_f32_e32 v8, v19, v8
	;; [unrolled: 1-line block ×3, first 2 shown]
	v_mul_f32_e32 v21, v18, v19
	v_sub_f32_e32 v26, v27, v19
	v_mul_f32_e32 v23, v22, v21
	v_add_f32_e32 v8, v8, v26
	v_fma_f32 v22, v21, v22, -v23
	v_fmac_f32_e32 v22, v21, v20
	v_add_f32_e32 v20, v23, v22
	v_sub_f32_e32 v25, v19, v20
	v_sub_f32_e32 v23, v20, v23
	;; [unrolled: 1-line block ×5, first 2 shown]
	v_add_f32_e32 v8, v8, v19
	v_add_f32_e32 v19, v24, v21
	;; [unrolled: 1-line block ×3, first 2 shown]
	v_sub_f32_e32 v20, v19, v24
	v_add_f32_e32 v8, v25, v8
	v_sub_f32_e32 v20, v21, v20
	v_mul_f32_e32 v8, v18, v8
	v_add_f32_e32 v8, v20, v8
	v_add_f32_e32 v18, v19, v8
	v_mul_f32_e32 v20, v18, v18
	v_fmaak_f32 v21, s2, v20, 0x3ecc95a3
	v_mul_f32_e32 v22, v18, v20
	v_fmaak_f32 v20, v20, v21, 0x3f2aaada
	v_ldexp_f32 v21, v18, 1
	v_sub_f32_e32 v18, v18, v19
	v_mul_f32_e32 v20, v22, v20
	v_mul_f32_e32 v22, 0x3f317218, v17
	v_sub_f32_e32 v8, v8, v18
	v_add_f32_e32 v19, v21, v20
	v_ldexp_f32 v8, v8, 1
	v_sub_f32_e32 v18, v19, v21
	v_fma_f32 v21, 0x3f317218, v17, -v22
	v_sub_f32_e32 v18, v20, v18
	v_fmamk_f32 v17, v17, 0xb102e308, v21
	v_add_f32_e32 v8, v8, v18
	v_add_f32_e32 v18, v22, v17
	;; [unrolled: 1-line block ×3, first 2 shown]
	v_sub_f32_e32 v22, v18, v22
	v_add_f32_e32 v21, v18, v20
	v_sub_f32_e32 v19, v20, v19
	v_sub_f32_e32 v17, v17, v22
	;; [unrolled: 1-line block ×6, first 2 shown]
	v_add_f32_e32 v20, v17, v8
	v_sub_f32_e32 v18, v18, v24
	v_add_f32_e32 v18, v19, v18
	v_sub_f32_e32 v19, v20, v17
	;; [unrolled: 2-line block ×3, first 2 shown]
	v_sub_f32_e32 v8, v8, v19
	v_add_f32_e32 v22, v21, v18
	v_sub_f32_e32 v17, v17, v20
	v_sub_f32_e32 v19, v22, v21
	v_add_f32_e32 v8, v8, v17
	v_sub_f32_e32 v17, v18, v19
	v_add_f32_e32 v8, v8, v17
	v_add_f32_e32 v8, v22, v8
	v_cndmask_b32_e32 v8, 0x7f800000, v8, vcc_lo
	v_cmp_gt_f32_e64 vcc_lo, 0x33800000, |v6|
	v_cndmask_b32_e32 v6, v8, v6, vcc_lo
	v_add_f32_e32 v6, v14, v6
	v_cvt_f16_f32_e32 v6, v6
	v_cvt_f32_f16_e32 v8, v6
	v_mov_b32_e32 v25, v6
.LBB424_238:
	s_or_b32 exec_lo, exec_lo, s1
	v_max_f32_e32 v14, v1, v1
	v_max_f32_e32 v17, v8, v8
	v_cmp_u_f16_e32 vcc_lo, v6, v6
	v_mov_b32_e32 v26, v25
	v_min_f32_e32 v18, v17, v14
	v_max_f32_e32 v14, v17, v14
	v_cndmask_b32_e32 v17, v18, v8, vcc_lo
	v_cndmask_b32_e32 v18, v14, v8, vcc_lo
	v_cndmask_b32_e64 v14, v17, v1, s3
	v_cndmask_b32_e64 v1, v18, v1, s3
	v_cmp_class_f32_e64 s1, v14, 0x1f8
	v_cmp_neq_f32_e32 vcc_lo, v14, v1
	s_or_b32 s2, vcc_lo, s1
	s_and_saveexec_b32 s1, s2
	s_cbranch_execz .LBB424_240
; %bb.239:
	v_sub_f32_e32 v6, v14, v1
	s_mov_b32 s2, 0x3e9b6dac
	v_mul_f32_e32 v8, 0x3fb8aa3b, v6
	v_cmp_ngt_f32_e32 vcc_lo, 0xc2ce8ed0, v6
	v_fma_f32 v14, 0x3fb8aa3b, v6, -v8
	v_rndne_f32_e32 v17, v8
	v_fmamk_f32 v14, v6, 0x32a5705f, v14
	v_sub_f32_e32 v8, v8, v17
	v_add_f32_e32 v8, v8, v14
	v_cvt_i32_f32_e32 v14, v17
	v_exp_f32_e32 v8, v8
	v_ldexp_f32 v8, v8, v14
	v_cndmask_b32_e32 v8, 0, v8, vcc_lo
	v_cmp_nlt_f32_e32 vcc_lo, 0x42b17218, v6
	v_cndmask_b32_e32 v6, 0x7f800000, v8, vcc_lo
	v_add_f32_e32 v8, 1.0, v6
	v_cvt_f64_f32_e32 v[17:18], v8
	v_frexp_exp_i32_f64_e32 v14, v[17:18]
	v_frexp_mant_f32_e32 v17, v8
	v_cmp_gt_f32_e32 vcc_lo, 0x3f2aaaab, v17
	v_add_f32_e32 v17, -1.0, v8
	v_sub_f32_e32 v19, v17, v8
	v_sub_f32_e32 v17, v6, v17
	v_add_f32_e32 v19, 1.0, v19
	v_add_f32_e32 v17, v17, v19
	v_subrev_co_ci_u32_e64 v14, null, 0, v14, vcc_lo
	v_cmp_neq_f32_e32 vcc_lo, 0x7f800000, v6
	v_sub_nc_u32_e32 v18, 0, v14
	v_cvt_f32_i32_e32 v14, v14
	v_ldexp_f32 v8, v8, v18
	v_ldexp_f32 v17, v17, v18
	v_add_f32_e32 v20, 1.0, v8
	v_add_f32_e32 v18, -1.0, v8
	v_add_f32_e32 v19, -1.0, v20
	v_add_f32_e32 v21, 1.0, v18
	v_sub_f32_e32 v19, v8, v19
	v_sub_f32_e32 v8, v8, v21
	v_add_f32_e32 v19, v17, v19
	v_add_f32_e32 v8, v17, v8
	;; [unrolled: 1-line block ×4, first 2 shown]
	v_rcp_f32_e32 v17, v21
	v_sub_f32_e32 v20, v20, v21
	v_sub_f32_e32 v18, v18, v22
	v_add_f32_e32 v19, v19, v20
	v_add_f32_e32 v8, v8, v18
	v_mul_f32_e32 v23, v22, v17
	v_mul_f32_e32 v24, v21, v23
	v_fma_f32 v20, v23, v21, -v24
	v_fmac_f32_e32 v20, v23, v19
	v_add_f32_e32 v26, v24, v20
	v_sub_f32_e32 v27, v22, v26
	v_sub_f32_e32 v18, v26, v24
	;; [unrolled: 1-line block ×5, first 2 shown]
	v_add_f32_e32 v8, v8, v22
	v_add_f32_e32 v8, v18, v8
	;; [unrolled: 1-line block ×3, first 2 shown]
	v_mul_f32_e32 v20, v17, v18
	v_sub_f32_e32 v26, v27, v18
	v_mul_f32_e32 v22, v21, v20
	v_add_f32_e32 v8, v8, v26
	v_fma_f32 v21, v20, v21, -v22
	v_fmac_f32_e32 v21, v20, v19
	v_add_f32_e32 v19, v22, v21
	v_sub_f32_e32 v24, v18, v19
	v_sub_f32_e32 v22, v19, v22
	;; [unrolled: 1-line block ×5, first 2 shown]
	v_add_f32_e32 v8, v8, v18
	v_add_f32_e32 v18, v23, v20
	;; [unrolled: 1-line block ×3, first 2 shown]
	v_sub_f32_e32 v19, v18, v23
	v_add_f32_e32 v8, v24, v8
	v_sub_f32_e32 v19, v20, v19
	v_mul_f32_e32 v8, v17, v8
	v_add_f32_e32 v8, v19, v8
	v_add_f32_e32 v17, v18, v8
	v_mul_f32_e32 v19, v17, v17
	v_fmaak_f32 v20, s2, v19, 0x3ecc95a3
	v_mul_f32_e32 v21, v17, v19
	v_fmaak_f32 v19, v19, v20, 0x3f2aaada
	v_ldexp_f32 v20, v17, 1
	v_sub_f32_e32 v17, v17, v18
	v_mul_f32_e32 v19, v21, v19
	v_mul_f32_e32 v21, 0x3f317218, v14
	v_sub_f32_e32 v8, v8, v17
	v_add_f32_e32 v18, v20, v19
	v_ldexp_f32 v8, v8, 1
	v_sub_f32_e32 v17, v18, v20
	v_fma_f32 v20, 0x3f317218, v14, -v21
	v_sub_f32_e32 v17, v19, v17
	v_fmamk_f32 v14, v14, 0xb102e308, v20
	v_add_f32_e32 v8, v8, v17
	v_add_f32_e32 v17, v21, v14
	;; [unrolled: 1-line block ×3, first 2 shown]
	v_sub_f32_e32 v21, v17, v21
	v_add_f32_e32 v20, v17, v19
	v_sub_f32_e32 v18, v19, v18
	v_sub_f32_e32 v14, v14, v21
	;; [unrolled: 1-line block ×6, first 2 shown]
	v_add_f32_e32 v19, v14, v8
	v_sub_f32_e32 v17, v17, v23
	v_add_f32_e32 v17, v18, v17
	v_sub_f32_e32 v18, v19, v14
	;; [unrolled: 2-line block ×3, first 2 shown]
	v_sub_f32_e32 v8, v8, v18
	v_add_f32_e32 v21, v20, v17
	v_sub_f32_e32 v14, v14, v19
	v_sub_f32_e32 v18, v21, v20
	v_add_f32_e32 v8, v8, v14
	v_sub_f32_e32 v14, v17, v18
	v_add_f32_e32 v8, v8, v14
	v_add_f32_e32 v8, v21, v8
	v_cndmask_b32_e32 v8, 0x7f800000, v8, vcc_lo
	v_cmp_gt_f32_e64 vcc_lo, 0x33800000, |v6|
	v_cndmask_b32_e32 v6, v8, v6, vcc_lo
	v_add_f32_e32 v1, v1, v6
	v_cvt_f16_f32_e32 v6, v1
	v_cvt_f32_f16_e32 v8, v6
	v_mov_b32_e32 v26, v6
.LBB424_240:
	s_or_b32 exec_lo, exec_lo, s1
	v_max_f32_e32 v1, v9, v9
	v_max_f32_e32 v14, v8, v8
	v_cmp_u_f16_e32 vcc_lo, v6, v6
	v_min_f32_e32 v17, v14, v1
	v_max_f32_e32 v1, v14, v1
	v_cndmask_b32_e32 v14, v17, v8, vcc_lo
	v_cndmask_b32_e32 v1, v1, v8, vcc_lo
	v_cndmask_b32_e64 v14, v14, v9, s4
	v_cndmask_b32_e64 v1, v1, v9, s4
	v_mov_b32_e32 v9, v26
	v_cmp_class_f32_e64 s1, v14, 0x1f8
	v_cmp_neq_f32_e32 vcc_lo, v14, v1
	s_or_b32 s2, vcc_lo, s1
	s_and_saveexec_b32 s1, s2
	s_cbranch_execz .LBB424_242
; %bb.241:
	v_sub_f32_e32 v6, v14, v1
	s_mov_b32 s2, 0x3e9b6dac
	v_mul_f32_e32 v8, 0x3fb8aa3b, v6
	v_cmp_ngt_f32_e32 vcc_lo, 0xc2ce8ed0, v6
	v_fma_f32 v9, 0x3fb8aa3b, v6, -v8
	v_rndne_f32_e32 v14, v8
	v_fmamk_f32 v9, v6, 0x32a5705f, v9
	v_sub_f32_e32 v8, v8, v14
	v_add_f32_e32 v8, v8, v9
	v_cvt_i32_f32_e32 v9, v14
	v_exp_f32_e32 v8, v8
	v_ldexp_f32 v8, v8, v9
	v_cndmask_b32_e32 v8, 0, v8, vcc_lo
	v_cmp_nlt_f32_e32 vcc_lo, 0x42b17218, v6
	v_cndmask_b32_e32 v6, 0x7f800000, v8, vcc_lo
	v_add_f32_e32 v14, 1.0, v6
	v_cvt_f64_f32_e32 v[8:9], v14
	v_frexp_exp_i32_f64_e32 v8, v[8:9]
	v_frexp_mant_f32_e32 v9, v14
	v_cmp_gt_f32_e32 vcc_lo, 0x3f2aaaab, v9
	v_add_f32_e32 v9, -1.0, v14
	v_sub_f32_e32 v18, v9, v14
	v_sub_f32_e32 v9, v6, v9
	v_add_f32_e32 v18, 1.0, v18
	v_add_f32_e32 v9, v9, v18
	v_subrev_co_ci_u32_e64 v8, null, 0, v8, vcc_lo
	v_cmp_neq_f32_e32 vcc_lo, 0x7f800000, v6
	v_sub_nc_u32_e32 v17, 0, v8
	v_cvt_f32_i32_e32 v8, v8
	v_ldexp_f32 v14, v14, v17
	v_ldexp_f32 v9, v9, v17
	v_add_f32_e32 v19, 1.0, v14
	v_add_f32_e32 v17, -1.0, v14
	v_add_f32_e32 v18, -1.0, v19
	v_add_f32_e32 v20, 1.0, v17
	v_sub_f32_e32 v18, v14, v18
	v_sub_f32_e32 v14, v14, v20
	v_add_f32_e32 v18, v9, v18
	v_add_f32_e32 v9, v9, v14
	;; [unrolled: 1-line block ×4, first 2 shown]
	v_rcp_f32_e32 v14, v20
	v_sub_f32_e32 v19, v19, v20
	v_sub_f32_e32 v17, v17, v21
	v_add_f32_e32 v18, v18, v19
	v_add_f32_e32 v9, v9, v17
	v_mul_f32_e32 v22, v21, v14
	v_mul_f32_e32 v23, v20, v22
	v_fma_f32 v19, v22, v20, -v23
	v_fmac_f32_e32 v19, v22, v18
	v_add_f32_e32 v24, v23, v19
	v_sub_f32_e32 v27, v21, v24
	v_sub_f32_e32 v17, v24, v23
	;; [unrolled: 1-line block ×5, first 2 shown]
	v_add_f32_e32 v9, v9, v21
	v_add_f32_e32 v9, v17, v9
	;; [unrolled: 1-line block ×3, first 2 shown]
	v_mul_f32_e32 v19, v14, v17
	v_sub_f32_e32 v24, v27, v17
	v_mul_f32_e32 v21, v20, v19
	v_add_f32_e32 v9, v9, v24
	v_fma_f32 v20, v19, v20, -v21
	v_fmac_f32_e32 v20, v19, v18
	v_add_f32_e32 v18, v21, v20
	v_sub_f32_e32 v23, v17, v18
	v_sub_f32_e32 v21, v18, v21
	;; [unrolled: 1-line block ×5, first 2 shown]
	v_add_f32_e32 v9, v9, v17
	v_add_f32_e32 v17, v22, v19
	;; [unrolled: 1-line block ×3, first 2 shown]
	v_sub_f32_e32 v18, v17, v22
	v_add_f32_e32 v9, v23, v9
	v_sub_f32_e32 v18, v19, v18
	v_mul_f32_e32 v9, v14, v9
	v_add_f32_e32 v9, v18, v9
	v_add_f32_e32 v14, v17, v9
	v_mul_f32_e32 v18, v14, v14
	v_fmaak_f32 v19, s2, v18, 0x3ecc95a3
	v_mul_f32_e32 v20, v14, v18
	v_fmaak_f32 v18, v18, v19, 0x3f2aaada
	v_ldexp_f32 v19, v14, 1
	v_sub_f32_e32 v14, v14, v17
	v_mul_f32_e32 v18, v20, v18
	v_mul_f32_e32 v20, 0x3f317218, v8
	v_sub_f32_e32 v9, v9, v14
	v_add_f32_e32 v17, v19, v18
	v_ldexp_f32 v9, v9, 1
	v_sub_f32_e32 v14, v17, v19
	v_fma_f32 v19, 0x3f317218, v8, -v20
	v_sub_f32_e32 v14, v18, v14
	v_fmamk_f32 v8, v8, 0xb102e308, v19
	v_add_f32_e32 v9, v9, v14
	v_add_f32_e32 v14, v20, v8
	v_add_f32_e32 v18, v17, v9
	v_sub_f32_e32 v20, v14, v20
	v_add_f32_e32 v19, v14, v18
	v_sub_f32_e32 v17, v18, v17
	v_sub_f32_e32 v8, v8, v20
	;; [unrolled: 1-line block ×6, first 2 shown]
	v_add_f32_e32 v18, v8, v9
	v_sub_f32_e32 v14, v14, v22
	v_add_f32_e32 v14, v17, v14
	v_sub_f32_e32 v17, v18, v8
	;; [unrolled: 2-line block ×3, first 2 shown]
	v_sub_f32_e32 v9, v9, v17
	v_add_f32_e32 v20, v19, v14
	v_sub_f32_e32 v8, v8, v18
	v_sub_f32_e32 v17, v20, v19
	v_add_f32_e32 v8, v9, v8
	v_sub_f32_e32 v9, v14, v17
	v_add_f32_e32 v8, v8, v9
	v_add_f32_e32 v8, v20, v8
	v_cndmask_b32_e32 v8, 0x7f800000, v8, vcc_lo
	v_cmp_gt_f32_e64 vcc_lo, 0x33800000, |v6|
	v_cndmask_b32_e32 v6, v8, v6, vcc_lo
	v_add_f32_e32 v1, v1, v6
	v_cvt_f16_f32_e32 v6, v1
	v_cvt_f32_f16_e32 v8, v6
	v_mov_b32_e32 v9, v6
.LBB424_242:
	s_or_b32 exec_lo, exec_lo, s1
	v_max_f32_e32 v1, v2, v2
	v_max_f32_e32 v14, v8, v8
	v_cmp_u_f16_e32 vcc_lo, v6, v6
	v_min_f32_e32 v17, v14, v1
	v_max_f32_e32 v1, v14, v1
	v_cndmask_b32_e32 v14, v17, v8, vcc_lo
	v_cndmask_b32_e32 v1, v1, v8, vcc_lo
	v_mov_b32_e32 v17, v9
	v_cndmask_b32_e64 v14, v14, v2, s5
	v_cndmask_b32_e64 v1, v1, v2, s5
	v_cmp_class_f32_e64 s1, v14, 0x1f8
	v_cmp_neq_f32_e32 vcc_lo, v14, v1
	s_or_b32 s2, vcc_lo, s1
	s_and_saveexec_b32 s1, s2
	s_cbranch_execz .LBB424_244
; %bb.243:
	v_sub_f32_e32 v2, v14, v1
	s_mov_b32 s2, 0x3e9b6dac
	v_mul_f32_e32 v6, 0x3fb8aa3b, v2
	v_cmp_ngt_f32_e32 vcc_lo, 0xc2ce8ed0, v2
	v_fma_f32 v8, 0x3fb8aa3b, v2, -v6
	v_rndne_f32_e32 v14, v6
	v_fmamk_f32 v8, v2, 0x32a5705f, v8
	v_sub_f32_e32 v6, v6, v14
	v_add_f32_e32 v6, v6, v8
	v_cvt_i32_f32_e32 v8, v14
	v_exp_f32_e32 v6, v6
	v_ldexp_f32 v6, v6, v8
	v_cndmask_b32_e32 v6, 0, v6, vcc_lo
	v_cmp_nlt_f32_e32 vcc_lo, 0x42b17218, v2
	v_cndmask_b32_e32 v2, 0x7f800000, v6, vcc_lo
	v_add_f32_e32 v6, 1.0, v2
	v_cvt_f64_f32_e32 v[17:18], v6
	v_frexp_mant_f32_e32 v14, v6
	v_cmp_gt_f32_e32 vcc_lo, 0x3f2aaaab, v14
	v_add_f32_e32 v14, -1.0, v6
	v_frexp_exp_i32_f64_e32 v8, v[17:18]
	v_sub_f32_e32 v18, v14, v6
	v_sub_f32_e32 v14, v2, v14
	v_add_f32_e32 v18, 1.0, v18
	v_add_f32_e32 v14, v14, v18
	v_subrev_co_ci_u32_e64 v8, null, 0, v8, vcc_lo
	v_cmp_neq_f32_e32 vcc_lo, 0x7f800000, v2
	v_sub_nc_u32_e32 v17, 0, v8
	v_cvt_f32_i32_e32 v8, v8
	v_ldexp_f32 v6, v6, v17
	v_ldexp_f32 v14, v14, v17
	v_add_f32_e32 v19, 1.0, v6
	v_add_f32_e32 v17, -1.0, v6
	v_add_f32_e32 v18, -1.0, v19
	v_add_f32_e32 v20, 1.0, v17
	v_sub_f32_e32 v18, v6, v18
	v_sub_f32_e32 v6, v6, v20
	v_add_f32_e32 v18, v14, v18
	v_add_f32_e32 v6, v14, v6
	;; [unrolled: 1-line block ×4, first 2 shown]
	v_rcp_f32_e32 v14, v20
	v_sub_f32_e32 v19, v19, v20
	v_sub_f32_e32 v17, v17, v21
	v_add_f32_e32 v18, v18, v19
	v_add_f32_e32 v6, v6, v17
	v_mul_f32_e32 v22, v21, v14
	v_mul_f32_e32 v23, v20, v22
	v_fma_f32 v19, v22, v20, -v23
	v_fmac_f32_e32 v19, v22, v18
	v_add_f32_e32 v24, v23, v19
	v_sub_f32_e32 v27, v21, v24
	v_sub_f32_e32 v17, v24, v23
	v_sub_f32_e32 v21, v21, v27
	v_sub_f32_e32 v17, v17, v19
	v_sub_f32_e32 v21, v21, v24
	v_add_f32_e32 v6, v6, v21
	v_add_f32_e32 v6, v17, v6
	;; [unrolled: 1-line block ×3, first 2 shown]
	v_mul_f32_e32 v19, v14, v17
	v_sub_f32_e32 v24, v27, v17
	v_mul_f32_e32 v21, v20, v19
	v_add_f32_e32 v6, v6, v24
	v_fma_f32 v20, v19, v20, -v21
	v_fmac_f32_e32 v20, v19, v18
	v_add_f32_e32 v18, v21, v20
	v_sub_f32_e32 v23, v17, v18
	v_sub_f32_e32 v21, v18, v21
	;; [unrolled: 1-line block ×5, first 2 shown]
	v_add_f32_e32 v6, v6, v17
	v_add_f32_e32 v17, v22, v19
	;; [unrolled: 1-line block ×3, first 2 shown]
	v_sub_f32_e32 v18, v17, v22
	v_add_f32_e32 v6, v23, v6
	v_sub_f32_e32 v18, v19, v18
	v_mul_f32_e32 v6, v14, v6
	v_add_f32_e32 v6, v18, v6
	v_add_f32_e32 v14, v17, v6
	v_mul_f32_e32 v18, v14, v14
	v_fmaak_f32 v19, s2, v18, 0x3ecc95a3
	v_mul_f32_e32 v20, v14, v18
	v_fmaak_f32 v18, v18, v19, 0x3f2aaada
	v_ldexp_f32 v19, v14, 1
	v_sub_f32_e32 v14, v14, v17
	v_mul_f32_e32 v18, v20, v18
	v_mul_f32_e32 v20, 0x3f317218, v8
	v_sub_f32_e32 v6, v6, v14
	v_add_f32_e32 v17, v19, v18
	v_ldexp_f32 v6, v6, 1
	v_sub_f32_e32 v14, v17, v19
	v_fma_f32 v19, 0x3f317218, v8, -v20
	v_sub_f32_e32 v14, v18, v14
	v_fmamk_f32 v8, v8, 0xb102e308, v19
	v_add_f32_e32 v6, v6, v14
	v_add_f32_e32 v14, v20, v8
	v_add_f32_e32 v18, v17, v6
	v_sub_f32_e32 v20, v14, v20
	v_add_f32_e32 v19, v14, v18
	v_sub_f32_e32 v17, v18, v17
	v_sub_f32_e32 v8, v8, v20
	;; [unrolled: 1-line block ×6, first 2 shown]
	v_add_f32_e32 v18, v8, v6
	v_sub_f32_e32 v14, v14, v22
	v_add_f32_e32 v14, v17, v14
	v_sub_f32_e32 v17, v18, v8
	;; [unrolled: 2-line block ×3, first 2 shown]
	v_sub_f32_e32 v6, v6, v17
	v_add_f32_e32 v20, v19, v14
	v_sub_f32_e32 v8, v8, v18
	v_sub_f32_e32 v17, v20, v19
	v_add_f32_e32 v6, v6, v8
	v_sub_f32_e32 v8, v14, v17
	v_add_f32_e32 v6, v6, v8
	v_add_f32_e32 v6, v20, v6
	v_cndmask_b32_e32 v6, 0x7f800000, v6, vcc_lo
	v_cmp_gt_f32_e64 vcc_lo, 0x33800000, |v2|
	v_cndmask_b32_e32 v2, v6, v2, vcc_lo
	v_add_f32_e32 v1, v1, v2
	v_cvt_f16_f32_e32 v6, v1
	v_cvt_f32_f16_e32 v8, v6
	v_mov_b32_e32 v17, v6
.LBB424_244:
	s_or_b32 exec_lo, exec_lo, s1
	v_max_f32_e32 v1, v10, v10
	v_max_f32_e32 v2, v8, v8
	v_cmp_u_f16_e32 vcc_lo, v6, v6
	v_min_f32_e32 v14, v2, v1
	v_max_f32_e32 v1, v2, v1
	v_cndmask_b32_e32 v2, v14, v8, vcc_lo
	v_cndmask_b32_e32 v1, v1, v8, vcc_lo
	v_cndmask_b32_e64 v2, v2, v10, s6
	v_cndmask_b32_e64 v1, v1, v10, s6
	v_mov_b32_e32 v10, v17
	v_cmp_class_f32_e64 s1, v2, 0x1f8
	v_cmp_neq_f32_e32 vcc_lo, v2, v1
	s_or_b32 s2, vcc_lo, s1
	s_and_saveexec_b32 s1, s2
	s_cbranch_execz .LBB424_246
; %bb.245:
	v_sub_f32_e32 v2, v2, v1
	s_mov_b32 s2, 0x3e9b6dac
	v_mul_f32_e32 v6, 0x3fb8aa3b, v2
	v_cmp_ngt_f32_e32 vcc_lo, 0xc2ce8ed0, v2
	v_fma_f32 v8, 0x3fb8aa3b, v2, -v6
	v_rndne_f32_e32 v10, v6
	v_fmamk_f32 v8, v2, 0x32a5705f, v8
	v_sub_f32_e32 v6, v6, v10
	v_add_f32_e32 v6, v6, v8
	v_cvt_i32_f32_e32 v8, v10
	v_exp_f32_e32 v6, v6
	v_ldexp_f32 v6, v6, v8
	v_cndmask_b32_e32 v6, 0, v6, vcc_lo
	v_cmp_nlt_f32_e32 vcc_lo, 0x42b17218, v2
	v_cndmask_b32_e32 v2, 0x7f800000, v6, vcc_lo
	v_add_f32_e32 v6, 1.0, v2
	v_cvt_f64_f32_e32 v[18:19], v6
	v_frexp_mant_f32_e32 v10, v6
	v_cmp_gt_f32_e32 vcc_lo, 0x3f2aaaab, v10
	v_add_f32_e32 v10, -1.0, v6
	v_frexp_exp_i32_f64_e32 v8, v[18:19]
	v_sub_f32_e32 v18, v10, v6
	v_sub_f32_e32 v10, v2, v10
	v_add_f32_e32 v18, 1.0, v18
	v_add_f32_e32 v10, v10, v18
	v_subrev_co_ci_u32_e64 v8, null, 0, v8, vcc_lo
	v_cmp_neq_f32_e32 vcc_lo, 0x7f800000, v2
	v_sub_nc_u32_e32 v14, 0, v8
	v_cvt_f32_i32_e32 v8, v8
	v_ldexp_f32 v6, v6, v14
	v_ldexp_f32 v10, v10, v14
	v_add_f32_e32 v19, 1.0, v6
	v_add_f32_e32 v14, -1.0, v6
	v_add_f32_e32 v18, -1.0, v19
	v_add_f32_e32 v20, 1.0, v14
	v_sub_f32_e32 v18, v6, v18
	v_sub_f32_e32 v6, v6, v20
	v_add_f32_e32 v18, v10, v18
	v_add_f32_e32 v6, v10, v6
	v_add_f32_e32 v20, v19, v18
	v_add_f32_e32 v21, v14, v6
	v_rcp_f32_e32 v10, v20
	v_sub_f32_e32 v19, v19, v20
	v_sub_f32_e32 v14, v14, v21
	v_add_f32_e32 v18, v18, v19
	v_add_f32_e32 v6, v6, v14
	v_mul_f32_e32 v22, v21, v10
	v_mul_f32_e32 v23, v20, v22
	v_fma_f32 v19, v22, v20, -v23
	v_fmac_f32_e32 v19, v22, v18
	v_add_f32_e32 v24, v23, v19
	v_sub_f32_e32 v27, v21, v24
	v_sub_f32_e32 v14, v24, v23
	;; [unrolled: 1-line block ×5, first 2 shown]
	v_add_f32_e32 v6, v6, v21
	v_add_f32_e32 v6, v14, v6
	;; [unrolled: 1-line block ×3, first 2 shown]
	v_mul_f32_e32 v19, v10, v14
	v_sub_f32_e32 v24, v27, v14
	v_mul_f32_e32 v21, v20, v19
	v_add_f32_e32 v6, v6, v24
	v_fma_f32 v20, v19, v20, -v21
	v_fmac_f32_e32 v20, v19, v18
	v_add_f32_e32 v18, v21, v20
	v_sub_f32_e32 v23, v14, v18
	v_sub_f32_e32 v21, v18, v21
	v_sub_f32_e32 v14, v14, v23
	v_sub_f32_e32 v14, v14, v18
	v_sub_f32_e32 v18, v21, v20
	v_add_f32_e32 v6, v6, v14
	v_add_f32_e32 v14, v22, v19
	;; [unrolled: 1-line block ×3, first 2 shown]
	v_sub_f32_e32 v18, v14, v22
	v_add_f32_e32 v6, v23, v6
	v_sub_f32_e32 v18, v19, v18
	v_mul_f32_e32 v6, v10, v6
	v_add_f32_e32 v6, v18, v6
	v_add_f32_e32 v10, v14, v6
	v_mul_f32_e32 v18, v10, v10
	v_fmaak_f32 v19, s2, v18, 0x3ecc95a3
	v_mul_f32_e32 v20, v10, v18
	v_fmaak_f32 v18, v18, v19, 0x3f2aaada
	v_ldexp_f32 v19, v10, 1
	v_sub_f32_e32 v10, v10, v14
	v_mul_f32_e32 v18, v20, v18
	v_mul_f32_e32 v20, 0x3f317218, v8
	v_sub_f32_e32 v6, v6, v10
	v_add_f32_e32 v14, v19, v18
	v_ldexp_f32 v6, v6, 1
	v_sub_f32_e32 v10, v14, v19
	v_fma_f32 v19, 0x3f317218, v8, -v20
	v_sub_f32_e32 v10, v18, v10
	v_fmamk_f32 v8, v8, 0xb102e308, v19
	v_add_f32_e32 v6, v6, v10
	v_add_f32_e32 v10, v20, v8
	;; [unrolled: 1-line block ×3, first 2 shown]
	v_sub_f32_e32 v20, v10, v20
	v_add_f32_e32 v19, v10, v18
	v_sub_f32_e32 v14, v18, v14
	v_sub_f32_e32 v8, v8, v20
	;; [unrolled: 1-line block ×6, first 2 shown]
	v_add_f32_e32 v18, v8, v6
	v_sub_f32_e32 v10, v10, v22
	v_add_f32_e32 v10, v14, v10
	v_sub_f32_e32 v14, v18, v8
	;; [unrolled: 2-line block ×3, first 2 shown]
	v_sub_f32_e32 v6, v6, v14
	v_add_f32_e32 v20, v19, v10
	v_sub_f32_e32 v8, v8, v18
	v_sub_f32_e32 v14, v20, v19
	v_add_f32_e32 v6, v6, v8
	v_sub_f32_e32 v8, v10, v14
	v_add_f32_e32 v6, v6, v8
	v_add_f32_e32 v6, v20, v6
	v_cndmask_b32_e32 v6, 0x7f800000, v6, vcc_lo
	v_cmp_gt_f32_e64 vcc_lo, 0x33800000, |v2|
	v_cndmask_b32_e32 v2, v6, v2, vcc_lo
	v_add_f32_e32 v1, v1, v2
	v_cvt_f16_f32_e32 v6, v1
	v_cvt_f32_f16_e32 v8, v6
	v_mov_b32_e32 v10, v6
.LBB424_246:
	s_or_b32 exec_lo, exec_lo, s1
	v_max_f32_e32 v1, v3, v3
	v_max_f32_e32 v2, v8, v8
	v_cmp_u_f16_e32 vcc_lo, v6, v6
	v_mov_b32_e32 v18, v10
	v_min_f32_e32 v14, v2, v1
	v_max_f32_e32 v1, v2, v1
	v_cndmask_b32_e32 v2, v14, v8, vcc_lo
	v_cndmask_b32_e32 v1, v1, v8, vcc_lo
	v_cndmask_b32_e64 v2, v2, v3, s7
	v_cndmask_b32_e64 v1, v1, v3, s7
	v_cmp_class_f32_e64 s1, v2, 0x1f8
	v_cmp_neq_f32_e32 vcc_lo, v2, v1
	s_or_b32 s2, vcc_lo, s1
	s_and_saveexec_b32 s1, s2
	s_cbranch_execz .LBB424_248
; %bb.247:
	v_sub_f32_e32 v2, v2, v1
	s_mov_b32 s2, 0x3e9b6dac
	v_mul_f32_e32 v3, 0x3fb8aa3b, v2
	v_cmp_ngt_f32_e32 vcc_lo, 0xc2ce8ed0, v2
	v_fma_f32 v6, 0x3fb8aa3b, v2, -v3
	v_rndne_f32_e32 v8, v3
	v_fmamk_f32 v6, v2, 0x32a5705f, v6
	v_sub_f32_e32 v3, v3, v8
	v_add_f32_e32 v3, v3, v6
	v_cvt_i32_f32_e32 v6, v8
	v_exp_f32_e32 v3, v3
	v_ldexp_f32 v3, v3, v6
	v_cndmask_b32_e32 v3, 0, v3, vcc_lo
	v_cmp_nlt_f32_e32 vcc_lo, 0x42b17218, v2
	v_cndmask_b32_e32 v6, 0x7f800000, v3, vcc_lo
	v_add_f32_e32 v8, 1.0, v6
	v_cvt_f64_f32_e32 v[2:3], v8
	v_frexp_exp_i32_f64_e32 v2, v[2:3]
	v_frexp_mant_f32_e32 v3, v8
	v_cmp_gt_f32_e32 vcc_lo, 0x3f2aaaab, v3
	v_add_f32_e32 v3, -1.0, v8
	v_sub_f32_e32 v18, v3, v8
	v_sub_f32_e32 v3, v6, v3
	v_add_f32_e32 v18, 1.0, v18
	v_add_f32_e32 v3, v3, v18
	v_subrev_co_ci_u32_e64 v2, null, 0, v2, vcc_lo
	v_cmp_neq_f32_e32 vcc_lo, 0x7f800000, v6
	v_sub_nc_u32_e32 v14, 0, v2
	v_cvt_f32_i32_e32 v2, v2
	v_ldexp_f32 v8, v8, v14
	v_ldexp_f32 v3, v3, v14
	v_add_f32_e32 v19, 1.0, v8
	v_add_f32_e32 v14, -1.0, v8
	v_add_f32_e32 v18, -1.0, v19
	v_add_f32_e32 v20, 1.0, v14
	v_sub_f32_e32 v18, v8, v18
	v_sub_f32_e32 v8, v8, v20
	v_add_f32_e32 v18, v3, v18
	v_add_f32_e32 v3, v3, v8
	;; [unrolled: 1-line block ×4, first 2 shown]
	v_rcp_f32_e32 v8, v20
	v_sub_f32_e32 v19, v19, v20
	v_sub_f32_e32 v14, v14, v21
	v_add_f32_e32 v18, v18, v19
	v_add_f32_e32 v3, v3, v14
	v_mul_f32_e32 v22, v21, v8
	v_mul_f32_e32 v23, v20, v22
	v_fma_f32 v19, v22, v20, -v23
	v_fmac_f32_e32 v19, v22, v18
	v_add_f32_e32 v24, v23, v19
	v_sub_f32_e32 v27, v21, v24
	v_sub_f32_e32 v14, v24, v23
	;; [unrolled: 1-line block ×5, first 2 shown]
	v_add_f32_e32 v3, v3, v21
	v_add_f32_e32 v3, v14, v3
	;; [unrolled: 1-line block ×3, first 2 shown]
	v_mul_f32_e32 v19, v8, v14
	v_sub_f32_e32 v24, v27, v14
	v_mul_f32_e32 v21, v20, v19
	v_add_f32_e32 v3, v3, v24
	v_fma_f32 v20, v19, v20, -v21
	v_fmac_f32_e32 v20, v19, v18
	v_add_f32_e32 v18, v21, v20
	v_sub_f32_e32 v23, v14, v18
	v_sub_f32_e32 v21, v18, v21
	;; [unrolled: 1-line block ×5, first 2 shown]
	v_add_f32_e32 v3, v3, v14
	v_add_f32_e32 v14, v22, v19
	;; [unrolled: 1-line block ×3, first 2 shown]
	v_sub_f32_e32 v18, v14, v22
	v_add_f32_e32 v3, v23, v3
	v_sub_f32_e32 v18, v19, v18
	v_mul_f32_e32 v3, v8, v3
	v_add_f32_e32 v3, v18, v3
	v_add_f32_e32 v8, v14, v3
	v_mul_f32_e32 v18, v8, v8
	v_fmaak_f32 v19, s2, v18, 0x3ecc95a3
	v_mul_f32_e32 v20, v8, v18
	v_fmaak_f32 v18, v18, v19, 0x3f2aaada
	v_ldexp_f32 v19, v8, 1
	v_sub_f32_e32 v8, v8, v14
	v_mul_f32_e32 v18, v20, v18
	v_mul_f32_e32 v20, 0x3f317218, v2
	v_sub_f32_e32 v3, v3, v8
	v_add_f32_e32 v14, v19, v18
	v_ldexp_f32 v3, v3, 1
	v_sub_f32_e32 v8, v14, v19
	v_fma_f32 v19, 0x3f317218, v2, -v20
	v_sub_f32_e32 v8, v18, v8
	v_fmamk_f32 v2, v2, 0xb102e308, v19
	v_add_f32_e32 v3, v3, v8
	v_add_f32_e32 v8, v20, v2
	v_add_f32_e32 v18, v14, v3
	v_sub_f32_e32 v20, v8, v20
	v_add_f32_e32 v19, v8, v18
	v_sub_f32_e32 v14, v18, v14
	v_sub_f32_e32 v2, v2, v20
	;; [unrolled: 1-line block ×6, first 2 shown]
	v_add_f32_e32 v18, v2, v3
	v_sub_f32_e32 v8, v8, v22
	v_add_f32_e32 v8, v14, v8
	v_sub_f32_e32 v14, v18, v2
	;; [unrolled: 2-line block ×3, first 2 shown]
	v_sub_f32_e32 v3, v3, v14
	v_add_f32_e32 v20, v19, v8
	v_sub_f32_e32 v2, v2, v18
	v_sub_f32_e32 v14, v20, v19
	v_add_f32_e32 v2, v3, v2
	v_sub_f32_e32 v3, v8, v14
	v_add_f32_e32 v2, v2, v3
	v_add_f32_e32 v2, v20, v2
	v_cndmask_b32_e32 v2, 0x7f800000, v2, vcc_lo
	v_cmp_gt_f32_e64 vcc_lo, 0x33800000, |v6|
	v_cndmask_b32_e32 v2, v2, v6, vcc_lo
	v_add_f32_e32 v1, v1, v2
	v_cvt_f16_f32_e32 v6, v1
	v_cvt_f32_f16_e32 v8, v6
	v_mov_b32_e32 v18, v6
.LBB424_248:
	s_or_b32 exec_lo, exec_lo, s1
	v_max_f32_e32 v1, v11, v11
	v_max_f32_e32 v2, v8, v8
	v_cmp_u_f16_e32 vcc_lo, v6, v6
	v_min_f32_e32 v3, v2, v1
	v_max_f32_e32 v1, v2, v1
	v_cndmask_b32_e32 v2, v3, v8, vcc_lo
	v_cndmask_b32_e32 v1, v1, v8, vcc_lo
	v_cndmask_b32_e64 v2, v2, v11, s8
	v_cndmask_b32_e64 v1, v1, v11, s8
	v_mov_b32_e32 v11, v18
	v_cmp_class_f32_e64 s1, v2, 0x1f8
	v_cmp_neq_f32_e32 vcc_lo, v2, v1
	s_or_b32 s2, vcc_lo, s1
	s_and_saveexec_b32 s1, s2
	s_cbranch_execz .LBB424_250
; %bb.249:
	v_sub_f32_e32 v2, v2, v1
	s_mov_b32 s2, 0x3e9b6dac
	v_mul_f32_e32 v3, 0x3fb8aa3b, v2
	v_cmp_ngt_f32_e32 vcc_lo, 0xc2ce8ed0, v2
	v_fma_f32 v6, 0x3fb8aa3b, v2, -v3
	v_rndne_f32_e32 v8, v3
	v_fmamk_f32 v6, v2, 0x32a5705f, v6
	v_sub_f32_e32 v3, v3, v8
	v_add_f32_e32 v3, v3, v6
	v_cvt_i32_f32_e32 v6, v8
	v_exp_f32_e32 v3, v3
	v_ldexp_f32 v3, v3, v6
	v_cndmask_b32_e32 v3, 0, v3, vcc_lo
	v_cmp_nlt_f32_e32 vcc_lo, 0x42b17218, v2
	v_cndmask_b32_e32 v6, 0x7f800000, v3, vcc_lo
	v_add_f32_e32 v8, 1.0, v6
	v_cvt_f64_f32_e32 v[2:3], v8
	v_frexp_exp_i32_f64_e32 v2, v[2:3]
	v_frexp_mant_f32_e32 v3, v8
	v_cmp_gt_f32_e32 vcc_lo, 0x3f2aaaab, v3
	v_add_f32_e32 v3, -1.0, v8
	v_sub_f32_e32 v14, v3, v8
	v_sub_f32_e32 v3, v6, v3
	v_add_f32_e32 v14, 1.0, v14
	v_add_f32_e32 v3, v3, v14
	v_subrev_co_ci_u32_e64 v2, null, 0, v2, vcc_lo
	v_cmp_neq_f32_e32 vcc_lo, 0x7f800000, v6
	v_sub_nc_u32_e32 v11, 0, v2
	v_cvt_f32_i32_e32 v2, v2
	v_ldexp_f32 v8, v8, v11
	v_ldexp_f32 v3, v3, v11
	v_add_f32_e32 v19, 1.0, v8
	v_add_f32_e32 v11, -1.0, v8
	v_add_f32_e32 v14, -1.0, v19
	v_add_f32_e32 v20, 1.0, v11
	v_sub_f32_e32 v14, v8, v14
	v_sub_f32_e32 v8, v8, v20
	v_add_f32_e32 v14, v3, v14
	v_add_f32_e32 v3, v3, v8
	;; [unrolled: 1-line block ×4, first 2 shown]
	v_rcp_f32_e32 v8, v20
	v_sub_f32_e32 v19, v19, v20
	v_sub_f32_e32 v11, v11, v21
	v_add_f32_e32 v14, v14, v19
	v_add_f32_e32 v3, v3, v11
	v_mul_f32_e32 v22, v21, v8
	v_mul_f32_e32 v23, v20, v22
	v_fma_f32 v19, v22, v20, -v23
	v_fmac_f32_e32 v19, v22, v14
	v_add_f32_e32 v24, v23, v19
	v_sub_f32_e32 v27, v21, v24
	v_sub_f32_e32 v11, v24, v23
	;; [unrolled: 1-line block ×5, first 2 shown]
	v_add_f32_e32 v3, v3, v21
	v_add_f32_e32 v3, v11, v3
	;; [unrolled: 1-line block ×3, first 2 shown]
	v_mul_f32_e32 v19, v8, v11
	v_sub_f32_e32 v24, v27, v11
	v_mul_f32_e32 v21, v20, v19
	v_add_f32_e32 v3, v3, v24
	v_fma_f32 v20, v19, v20, -v21
	v_fmac_f32_e32 v20, v19, v14
	v_add_f32_e32 v14, v21, v20
	v_sub_f32_e32 v23, v11, v14
	v_sub_f32_e32 v21, v14, v21
	;; [unrolled: 1-line block ×5, first 2 shown]
	v_add_f32_e32 v3, v3, v11
	v_add_f32_e32 v11, v22, v19
	;; [unrolled: 1-line block ×3, first 2 shown]
	v_sub_f32_e32 v14, v11, v22
	v_add_f32_e32 v3, v23, v3
	v_sub_f32_e32 v14, v19, v14
	v_mul_f32_e32 v3, v8, v3
	v_add_f32_e32 v3, v14, v3
	v_add_f32_e32 v8, v11, v3
	v_mul_f32_e32 v14, v8, v8
	v_fmaak_f32 v19, s2, v14, 0x3ecc95a3
	v_mul_f32_e32 v20, v8, v14
	v_fmaak_f32 v14, v14, v19, 0x3f2aaada
	v_ldexp_f32 v19, v8, 1
	v_sub_f32_e32 v8, v8, v11
	v_mul_f32_e32 v14, v20, v14
	v_mul_f32_e32 v20, 0x3f317218, v2
	v_sub_f32_e32 v3, v3, v8
	v_add_f32_e32 v11, v19, v14
	v_ldexp_f32 v3, v3, 1
	v_sub_f32_e32 v8, v11, v19
	v_fma_f32 v19, 0x3f317218, v2, -v20
	v_sub_f32_e32 v8, v14, v8
	v_fmamk_f32 v2, v2, 0xb102e308, v19
	v_add_f32_e32 v3, v3, v8
	v_add_f32_e32 v8, v20, v2
	;; [unrolled: 1-line block ×3, first 2 shown]
	v_sub_f32_e32 v20, v8, v20
	v_add_f32_e32 v19, v8, v14
	v_sub_f32_e32 v11, v14, v11
	v_sub_f32_e32 v2, v2, v20
	;; [unrolled: 1-line block ×6, first 2 shown]
	v_add_f32_e32 v14, v2, v3
	v_sub_f32_e32 v8, v8, v22
	v_add_f32_e32 v8, v11, v8
	v_sub_f32_e32 v11, v14, v2
	;; [unrolled: 2-line block ×3, first 2 shown]
	v_sub_f32_e32 v3, v3, v11
	v_add_f32_e32 v20, v19, v8
	v_sub_f32_e32 v2, v2, v14
	v_sub_f32_e32 v11, v20, v19
	v_add_f32_e32 v2, v3, v2
	v_sub_f32_e32 v3, v8, v11
	v_add_f32_e32 v2, v2, v3
	v_add_f32_e32 v2, v20, v2
	v_cndmask_b32_e32 v2, 0x7f800000, v2, vcc_lo
	v_cmp_gt_f32_e64 vcc_lo, 0x33800000, |v6|
	v_cndmask_b32_e32 v2, v2, v6, vcc_lo
	v_add_f32_e32 v1, v1, v2
	v_cvt_f16_f32_e32 v6, v1
	v_cvt_f32_f16_e32 v8, v6
	v_mov_b32_e32 v11, v6
.LBB424_250:
	s_or_b32 exec_lo, exec_lo, s1
	v_max_f32_e32 v1, v4, v4
	v_max_f32_e32 v2, v8, v8
	v_cmp_u_f16_e32 vcc_lo, v6, v6
	v_mov_b32_e32 v19, v11
	v_min_f32_e32 v3, v2, v1
	v_max_f32_e32 v1, v2, v1
	v_cndmask_b32_e32 v2, v3, v8, vcc_lo
	v_cndmask_b32_e32 v1, v1, v8, vcc_lo
	v_cndmask_b32_e64 v2, v2, v4, s9
	v_cndmask_b32_e64 v1, v1, v4, s9
	v_cmp_class_f32_e64 s1, v2, 0x1f8
	v_cmp_neq_f32_e32 vcc_lo, v2, v1
	s_or_b32 s2, vcc_lo, s1
	s_and_saveexec_b32 s1, s2
	s_cbranch_execz .LBB424_252
; %bb.251:
	v_sub_f32_e32 v2, v2, v1
	s_mov_b32 s2, 0x3e9b6dac
	v_mul_f32_e32 v3, 0x3fb8aa3b, v2
	v_cmp_ngt_f32_e32 vcc_lo, 0xc2ce8ed0, v2
	v_fma_f32 v4, 0x3fb8aa3b, v2, -v3
	v_rndne_f32_e32 v6, v3
	v_fmamk_f32 v4, v2, 0x32a5705f, v4
	v_sub_f32_e32 v3, v3, v6
	v_add_f32_e32 v3, v3, v4
	v_cvt_i32_f32_e32 v4, v6
	v_exp_f32_e32 v3, v3
	v_ldexp_f32 v3, v3, v4
	v_cndmask_b32_e32 v3, 0, v3, vcc_lo
	v_cmp_nlt_f32_e32 vcc_lo, 0x42b17218, v2
	v_cndmask_b32_e32 v4, 0x7f800000, v3, vcc_lo
	v_add_f32_e32 v6, 1.0, v4
	v_cvt_f64_f32_e32 v[2:3], v6
	v_frexp_exp_i32_f64_e32 v2, v[2:3]
	v_frexp_mant_f32_e32 v3, v6
	v_cmp_gt_f32_e32 vcc_lo, 0x3f2aaaab, v3
	v_add_f32_e32 v3, -1.0, v6
	v_sub_f32_e32 v14, v3, v6
	v_sub_f32_e32 v3, v4, v3
	v_add_f32_e32 v14, 1.0, v14
	v_add_f32_e32 v3, v3, v14
	v_subrev_co_ci_u32_e64 v2, null, 0, v2, vcc_lo
	v_cmp_neq_f32_e32 vcc_lo, 0x7f800000, v4
	v_sub_nc_u32_e32 v8, 0, v2
	v_cvt_f32_i32_e32 v2, v2
	v_ldexp_f32 v6, v6, v8
	v_ldexp_f32 v3, v3, v8
	v_add_f32_e32 v19, 1.0, v6
	v_add_f32_e32 v8, -1.0, v6
	v_add_f32_e32 v14, -1.0, v19
	v_add_f32_e32 v20, 1.0, v8
	v_sub_f32_e32 v14, v6, v14
	v_sub_f32_e32 v6, v6, v20
	v_add_f32_e32 v14, v3, v14
	v_add_f32_e32 v3, v3, v6
	;; [unrolled: 1-line block ×4, first 2 shown]
	v_rcp_f32_e32 v6, v20
	v_sub_f32_e32 v19, v19, v20
	v_sub_f32_e32 v8, v8, v21
	v_add_f32_e32 v14, v14, v19
	v_add_f32_e32 v3, v3, v8
	v_mul_f32_e32 v22, v21, v6
	v_mul_f32_e32 v23, v20, v22
	v_fma_f32 v19, v22, v20, -v23
	v_fmac_f32_e32 v19, v22, v14
	v_add_f32_e32 v24, v23, v19
	v_sub_f32_e32 v27, v21, v24
	v_sub_f32_e32 v8, v24, v23
	;; [unrolled: 1-line block ×5, first 2 shown]
	v_add_f32_e32 v3, v3, v21
	v_add_f32_e32 v3, v8, v3
	;; [unrolled: 1-line block ×3, first 2 shown]
	v_mul_f32_e32 v19, v6, v8
	v_sub_f32_e32 v24, v27, v8
	v_mul_f32_e32 v21, v20, v19
	v_add_f32_e32 v3, v3, v24
	v_fma_f32 v20, v19, v20, -v21
	v_fmac_f32_e32 v20, v19, v14
	v_add_f32_e32 v14, v21, v20
	v_sub_f32_e32 v23, v8, v14
	v_sub_f32_e32 v21, v14, v21
	;; [unrolled: 1-line block ×5, first 2 shown]
	v_add_f32_e32 v3, v3, v8
	v_add_f32_e32 v8, v22, v19
	;; [unrolled: 1-line block ×3, first 2 shown]
	v_sub_f32_e32 v14, v8, v22
	v_add_f32_e32 v3, v23, v3
	v_sub_f32_e32 v14, v19, v14
	v_mul_f32_e32 v3, v6, v3
	v_add_f32_e32 v3, v14, v3
	v_add_f32_e32 v6, v8, v3
	v_mul_f32_e32 v14, v6, v6
	v_fmaak_f32 v19, s2, v14, 0x3ecc95a3
	v_mul_f32_e32 v20, v6, v14
	v_fmaak_f32 v14, v14, v19, 0x3f2aaada
	v_ldexp_f32 v19, v6, 1
	v_sub_f32_e32 v6, v6, v8
	v_mul_f32_e32 v14, v20, v14
	v_mul_f32_e32 v20, 0x3f317218, v2
	v_sub_f32_e32 v3, v3, v6
	v_add_f32_e32 v8, v19, v14
	v_ldexp_f32 v3, v3, 1
	v_sub_f32_e32 v6, v8, v19
	v_fma_f32 v19, 0x3f317218, v2, -v20
	v_sub_f32_e32 v6, v14, v6
	v_fmamk_f32 v2, v2, 0xb102e308, v19
	v_add_f32_e32 v3, v3, v6
	v_add_f32_e32 v6, v20, v2
	;; [unrolled: 1-line block ×3, first 2 shown]
	v_sub_f32_e32 v20, v6, v20
	v_add_f32_e32 v19, v6, v14
	v_sub_f32_e32 v8, v14, v8
	v_sub_f32_e32 v2, v2, v20
	;; [unrolled: 1-line block ×6, first 2 shown]
	v_add_f32_e32 v14, v2, v3
	v_sub_f32_e32 v6, v6, v22
	v_add_f32_e32 v6, v8, v6
	v_sub_f32_e32 v8, v14, v2
	;; [unrolled: 2-line block ×3, first 2 shown]
	v_sub_f32_e32 v3, v3, v8
	v_add_f32_e32 v20, v19, v6
	v_sub_f32_e32 v2, v2, v14
	v_sub_f32_e32 v8, v20, v19
	v_add_f32_e32 v2, v3, v2
	v_sub_f32_e32 v3, v6, v8
	v_add_f32_e32 v2, v2, v3
	v_add_f32_e32 v2, v20, v2
	v_cndmask_b32_e32 v2, 0x7f800000, v2, vcc_lo
	v_cmp_gt_f32_e64 vcc_lo, 0x33800000, |v4|
	v_cndmask_b32_e32 v2, v2, v4, vcc_lo
	v_add_f32_e32 v1, v1, v2
	v_cvt_f16_f32_e32 v6, v1
	v_cvt_f32_f16_e32 v8, v6
	v_mov_b32_e32 v19, v6
.LBB424_252:
	s_or_b32 exec_lo, exec_lo, s1
	v_max_f32_e32 v1, v15, v15
	v_max_f32_e32 v2, v8, v8
	v_cmp_u_f16_e32 vcc_lo, v6, v6
	v_min_f32_e32 v3, v2, v1
	v_max_f32_e32 v1, v2, v1
	v_cndmask_b32_e32 v2, v3, v8, vcc_lo
	v_cndmask_b32_e32 v1, v1, v8, vcc_lo
	v_cndmask_b32_e64 v2, v2, v15, s10
	v_cndmask_b32_e64 v1, v1, v15, s10
	v_mov_b32_e32 v15, v19
	v_cmp_class_f32_e64 s1, v2, 0x1f8
	v_cmp_neq_f32_e32 vcc_lo, v2, v1
	s_or_b32 s2, vcc_lo, s1
	s_and_saveexec_b32 s1, s2
	s_cbranch_execz .LBB424_254
; %bb.253:
	v_sub_f32_e32 v2, v2, v1
	s_mov_b32 s2, 0x3e9b6dac
	v_mul_f32_e32 v3, 0x3fb8aa3b, v2
	v_cmp_ngt_f32_e32 vcc_lo, 0xc2ce8ed0, v2
	v_fma_f32 v4, 0x3fb8aa3b, v2, -v3
	v_rndne_f32_e32 v6, v3
	v_fmamk_f32 v4, v2, 0x32a5705f, v4
	v_sub_f32_e32 v3, v3, v6
	v_add_f32_e32 v3, v3, v4
	v_cvt_i32_f32_e32 v4, v6
	v_exp_f32_e32 v3, v3
	v_ldexp_f32 v3, v3, v4
	v_cndmask_b32_e32 v3, 0, v3, vcc_lo
	v_cmp_nlt_f32_e32 vcc_lo, 0x42b17218, v2
	v_cndmask_b32_e32 v4, 0x7f800000, v3, vcc_lo
	v_add_f32_e32 v6, 1.0, v4
	v_cvt_f64_f32_e32 v[2:3], v6
	v_frexp_exp_i32_f64_e32 v2, v[2:3]
	v_frexp_mant_f32_e32 v3, v6
	v_cmp_gt_f32_e32 vcc_lo, 0x3f2aaaab, v3
	v_add_f32_e32 v3, -1.0, v6
	v_sub_f32_e32 v14, v3, v6
	v_sub_f32_e32 v3, v4, v3
	v_add_f32_e32 v14, 1.0, v14
	v_add_f32_e32 v3, v3, v14
	v_subrev_co_ci_u32_e64 v2, null, 0, v2, vcc_lo
	v_cmp_neq_f32_e32 vcc_lo, 0x7f800000, v4
	v_sub_nc_u32_e32 v8, 0, v2
	v_cvt_f32_i32_e32 v2, v2
	v_ldexp_f32 v6, v6, v8
	v_ldexp_f32 v3, v3, v8
	v_add_f32_e32 v15, 1.0, v6
	v_add_f32_e32 v8, -1.0, v6
	v_add_f32_e32 v14, -1.0, v15
	v_add_f32_e32 v20, 1.0, v8
	v_sub_f32_e32 v14, v6, v14
	v_sub_f32_e32 v6, v6, v20
	v_add_f32_e32 v14, v3, v14
	v_add_f32_e32 v3, v3, v6
	;; [unrolled: 1-line block ×4, first 2 shown]
	v_rcp_f32_e32 v6, v20
	v_sub_f32_e32 v15, v15, v20
	v_sub_f32_e32 v8, v8, v21
	v_add_f32_e32 v14, v14, v15
	v_add_f32_e32 v3, v3, v8
	v_mul_f32_e32 v22, v21, v6
	v_mul_f32_e32 v23, v20, v22
	v_fma_f32 v15, v22, v20, -v23
	v_fmac_f32_e32 v15, v22, v14
	v_add_f32_e32 v24, v23, v15
	v_sub_f32_e32 v27, v21, v24
	v_sub_f32_e32 v8, v24, v23
	;; [unrolled: 1-line block ×5, first 2 shown]
	v_add_f32_e32 v3, v3, v21
	v_add_f32_e32 v3, v8, v3
	;; [unrolled: 1-line block ×3, first 2 shown]
	v_mul_f32_e32 v15, v6, v8
	v_sub_f32_e32 v24, v27, v8
	v_mul_f32_e32 v21, v20, v15
	v_add_f32_e32 v3, v3, v24
	v_fma_f32 v20, v15, v20, -v21
	v_fmac_f32_e32 v20, v15, v14
	v_add_f32_e32 v14, v21, v20
	v_sub_f32_e32 v23, v8, v14
	v_sub_f32_e32 v21, v14, v21
	v_sub_f32_e32 v8, v8, v23
	v_sub_f32_e32 v8, v8, v14
	v_sub_f32_e32 v14, v21, v20
	v_add_f32_e32 v3, v3, v8
	v_add_f32_e32 v8, v22, v15
	;; [unrolled: 1-line block ×3, first 2 shown]
	v_sub_f32_e32 v14, v8, v22
	v_add_f32_e32 v3, v23, v3
	v_sub_f32_e32 v14, v15, v14
	v_mul_f32_e32 v3, v6, v3
	v_add_f32_e32 v3, v14, v3
	v_add_f32_e32 v6, v8, v3
	v_mul_f32_e32 v14, v6, v6
	v_fmaak_f32 v15, s2, v14, 0x3ecc95a3
	v_mul_f32_e32 v20, v6, v14
	v_fmaak_f32 v14, v14, v15, 0x3f2aaada
	v_ldexp_f32 v15, v6, 1
	v_sub_f32_e32 v6, v6, v8
	v_mul_f32_e32 v14, v20, v14
	v_mul_f32_e32 v20, 0x3f317218, v2
	v_sub_f32_e32 v3, v3, v6
	v_add_f32_e32 v8, v15, v14
	v_ldexp_f32 v3, v3, 1
	v_sub_f32_e32 v6, v8, v15
	v_fma_f32 v15, 0x3f317218, v2, -v20
	v_sub_f32_e32 v6, v14, v6
	v_fmamk_f32 v2, v2, 0xb102e308, v15
	v_add_f32_e32 v3, v3, v6
	v_add_f32_e32 v6, v20, v2
	;; [unrolled: 1-line block ×3, first 2 shown]
	v_sub_f32_e32 v20, v6, v20
	v_add_f32_e32 v15, v6, v14
	v_sub_f32_e32 v8, v14, v8
	v_sub_f32_e32 v2, v2, v20
	;; [unrolled: 1-line block ×6, first 2 shown]
	v_add_f32_e32 v14, v2, v3
	v_sub_f32_e32 v6, v6, v22
	v_add_f32_e32 v6, v8, v6
	v_sub_f32_e32 v8, v14, v2
	;; [unrolled: 2-line block ×3, first 2 shown]
	v_sub_f32_e32 v3, v3, v8
	v_add_f32_e32 v20, v15, v6
	v_sub_f32_e32 v2, v2, v14
	v_sub_f32_e32 v8, v20, v15
	v_add_f32_e32 v2, v3, v2
	v_sub_f32_e32 v3, v6, v8
	v_add_f32_e32 v2, v2, v3
	v_add_f32_e32 v2, v20, v2
	v_cndmask_b32_e32 v2, 0x7f800000, v2, vcc_lo
	v_cmp_gt_f32_e64 vcc_lo, 0x33800000, |v4|
	v_cndmask_b32_e32 v2, v2, v4, vcc_lo
	v_add_f32_e32 v1, v1, v2
	v_cvt_f16_f32_e32 v6, v1
	v_cvt_f32_f16_e32 v8, v6
	v_mov_b32_e32 v15, v6
.LBB424_254:
	s_or_b32 exec_lo, exec_lo, s1
	v_max_f32_e32 v1, v5, v5
	v_max_f32_e32 v2, v8, v8
	v_cmp_u_f16_e32 vcc_lo, v6, v6
	v_mov_b32_e32 v20, v15
	v_min_f32_e32 v3, v2, v1
	v_max_f32_e32 v1, v2, v1
	v_cndmask_b32_e32 v2, v3, v8, vcc_lo
	v_cndmask_b32_e32 v1, v1, v8, vcc_lo
	v_cndmask_b32_e64 v2, v2, v5, s11
	v_cndmask_b32_e64 v1, v1, v5, s11
	v_cmp_class_f32_e64 s1, v2, 0x1f8
	v_cmp_neq_f32_e32 vcc_lo, v2, v1
	s_or_b32 s2, vcc_lo, s1
	s_and_saveexec_b32 s1, s2
	s_cbranch_execz .LBB424_256
; %bb.255:
	v_sub_f32_e32 v2, v2, v1
	s_mov_b32 s2, 0x3e9b6dac
	v_mul_f32_e32 v3, 0x3fb8aa3b, v2
	v_cmp_ngt_f32_e32 vcc_lo, 0xc2ce8ed0, v2
	v_fma_f32 v4, 0x3fb8aa3b, v2, -v3
	v_rndne_f32_e32 v5, v3
	v_fmamk_f32 v4, v2, 0x32a5705f, v4
	v_sub_f32_e32 v3, v3, v5
	v_add_f32_e32 v3, v3, v4
	v_cvt_i32_f32_e32 v4, v5
	v_exp_f32_e32 v3, v3
	v_ldexp_f32 v3, v3, v4
	v_cndmask_b32_e32 v3, 0, v3, vcc_lo
	v_cmp_nlt_f32_e32 vcc_lo, 0x42b17218, v2
	v_cndmask_b32_e32 v4, 0x7f800000, v3, vcc_lo
	v_add_f32_e32 v5, 1.0, v4
	v_cvt_f64_f32_e32 v[2:3], v5
	v_frexp_exp_i32_f64_e32 v2, v[2:3]
	v_frexp_mant_f32_e32 v3, v5
	v_cmp_gt_f32_e32 vcc_lo, 0x3f2aaaab, v3
	v_add_f32_e32 v3, -1.0, v5
	v_sub_f32_e32 v8, v3, v5
	v_sub_f32_e32 v3, v4, v3
	v_add_f32_e32 v8, 1.0, v8
	v_add_f32_e32 v3, v3, v8
	v_subrev_co_ci_u32_e64 v2, null, 0, v2, vcc_lo
	v_cmp_neq_f32_e32 vcc_lo, 0x7f800000, v4
	v_sub_nc_u32_e32 v6, 0, v2
	v_cvt_f32_i32_e32 v2, v2
	v_ldexp_f32 v5, v5, v6
	v_ldexp_f32 v3, v3, v6
	v_add_f32_e32 v14, 1.0, v5
	v_add_f32_e32 v6, -1.0, v5
	v_add_f32_e32 v8, -1.0, v14
	v_add_f32_e32 v20, 1.0, v6
	v_sub_f32_e32 v8, v5, v8
	v_sub_f32_e32 v5, v5, v20
	v_add_f32_e32 v8, v3, v8
	v_add_f32_e32 v3, v3, v5
	;; [unrolled: 1-line block ×4, first 2 shown]
	v_rcp_f32_e32 v5, v20
	v_sub_f32_e32 v14, v14, v20
	v_sub_f32_e32 v6, v6, v21
	v_add_f32_e32 v8, v8, v14
	v_add_f32_e32 v3, v3, v6
	v_mul_f32_e32 v22, v21, v5
	v_mul_f32_e32 v23, v20, v22
	v_fma_f32 v14, v22, v20, -v23
	v_fmac_f32_e32 v14, v22, v8
	v_add_f32_e32 v24, v23, v14
	v_sub_f32_e32 v27, v21, v24
	v_sub_f32_e32 v6, v24, v23
	;; [unrolled: 1-line block ×5, first 2 shown]
	v_add_f32_e32 v3, v3, v21
	v_add_f32_e32 v3, v6, v3
	;; [unrolled: 1-line block ×3, first 2 shown]
	v_mul_f32_e32 v14, v5, v6
	v_sub_f32_e32 v24, v27, v6
	v_mul_f32_e32 v21, v20, v14
	v_add_f32_e32 v3, v3, v24
	v_fma_f32 v20, v14, v20, -v21
	v_fmac_f32_e32 v20, v14, v8
	v_add_f32_e32 v8, v21, v20
	v_sub_f32_e32 v23, v6, v8
	v_sub_f32_e32 v21, v8, v21
	;; [unrolled: 1-line block ×5, first 2 shown]
	v_add_f32_e32 v3, v3, v6
	v_add_f32_e32 v6, v22, v14
	;; [unrolled: 1-line block ×3, first 2 shown]
	v_sub_f32_e32 v8, v6, v22
	v_add_f32_e32 v3, v23, v3
	v_sub_f32_e32 v8, v14, v8
	v_mul_f32_e32 v3, v5, v3
	v_add_f32_e32 v3, v8, v3
	v_add_f32_e32 v5, v6, v3
	v_mul_f32_e32 v8, v5, v5
	v_fmaak_f32 v14, s2, v8, 0x3ecc95a3
	v_mul_f32_e32 v20, v5, v8
	v_fmaak_f32 v8, v8, v14, 0x3f2aaada
	v_ldexp_f32 v14, v5, 1
	v_sub_f32_e32 v5, v5, v6
	v_mul_f32_e32 v8, v20, v8
	v_mul_f32_e32 v20, 0x3f317218, v2
	v_sub_f32_e32 v3, v3, v5
	v_add_f32_e32 v6, v14, v8
	v_ldexp_f32 v3, v3, 1
	v_sub_f32_e32 v5, v6, v14
	v_fma_f32 v14, 0x3f317218, v2, -v20
	v_sub_f32_e32 v5, v8, v5
	v_fmamk_f32 v2, v2, 0xb102e308, v14
	v_add_f32_e32 v3, v3, v5
	v_add_f32_e32 v5, v20, v2
	;; [unrolled: 1-line block ×3, first 2 shown]
	v_sub_f32_e32 v20, v5, v20
	v_add_f32_e32 v14, v5, v8
	v_sub_f32_e32 v6, v8, v6
	v_sub_f32_e32 v2, v2, v20
	;; [unrolled: 1-line block ×6, first 2 shown]
	v_add_f32_e32 v8, v2, v3
	v_sub_f32_e32 v5, v5, v22
	v_add_f32_e32 v5, v6, v5
	v_sub_f32_e32 v6, v8, v2
	;; [unrolled: 2-line block ×3, first 2 shown]
	v_sub_f32_e32 v3, v3, v6
	v_add_f32_e32 v20, v14, v5
	v_sub_f32_e32 v2, v2, v8
	v_sub_f32_e32 v6, v20, v14
	v_add_f32_e32 v2, v3, v2
	v_sub_f32_e32 v3, v5, v6
	v_add_f32_e32 v2, v2, v3
	v_add_f32_e32 v2, v20, v2
	v_cndmask_b32_e32 v2, 0x7f800000, v2, vcc_lo
	v_cmp_gt_f32_e64 vcc_lo, 0x33800000, |v4|
	v_cndmask_b32_e32 v2, v2, v4, vcc_lo
	v_add_f32_e32 v1, v1, v2
	v_cvt_f16_f32_e32 v6, v1
	v_cvt_f32_f16_e32 v8, v6
	v_mov_b32_e32 v20, v6
.LBB424_256:
	s_or_b32 exec_lo, exec_lo, s1
	v_max_f32_e32 v1, v16, v16
	v_max_f32_e32 v2, v8, v8
	v_cmp_u_f16_e32 vcc_lo, v6, v6
	v_min_f32_e32 v3, v2, v1
	v_max_f32_e32 v1, v2, v1
	v_cndmask_b32_e32 v2, v3, v8, vcc_lo
	v_cndmask_b32_e32 v1, v1, v8, vcc_lo
	v_cndmask_b32_e64 v2, v2, v16, s12
	v_cndmask_b32_e64 v1, v1, v16, s12
	v_mov_b32_e32 v16, v20
	v_cmp_class_f32_e64 s1, v2, 0x1f8
	v_cmp_neq_f32_e32 vcc_lo, v2, v1
	s_or_b32 s2, vcc_lo, s1
	s_and_saveexec_b32 s1, s2
	s_cbranch_execz .LBB424_258
; %bb.257:
	v_sub_f32_e32 v2, v2, v1
	s_mov_b32 s2, 0x3e9b6dac
	v_mul_f32_e32 v3, 0x3fb8aa3b, v2
	v_cmp_ngt_f32_e32 vcc_lo, 0xc2ce8ed0, v2
	v_fma_f32 v4, 0x3fb8aa3b, v2, -v3
	v_rndne_f32_e32 v5, v3
	v_fmamk_f32 v4, v2, 0x32a5705f, v4
	v_sub_f32_e32 v3, v3, v5
	v_add_f32_e32 v3, v3, v4
	v_cvt_i32_f32_e32 v4, v5
	v_exp_f32_e32 v3, v3
	v_ldexp_f32 v3, v3, v4
	v_cndmask_b32_e32 v3, 0, v3, vcc_lo
	v_cmp_nlt_f32_e32 vcc_lo, 0x42b17218, v2
	v_cndmask_b32_e32 v4, 0x7f800000, v3, vcc_lo
	v_add_f32_e32 v5, 1.0, v4
	v_cvt_f64_f32_e32 v[2:3], v5
	v_frexp_exp_i32_f64_e32 v2, v[2:3]
	v_frexp_mant_f32_e32 v3, v5
	v_cmp_gt_f32_e32 vcc_lo, 0x3f2aaaab, v3
	v_add_f32_e32 v3, -1.0, v5
	v_sub_f32_e32 v8, v3, v5
	v_sub_f32_e32 v3, v4, v3
	v_add_f32_e32 v8, 1.0, v8
	v_add_f32_e32 v3, v3, v8
	v_subrev_co_ci_u32_e64 v2, null, 0, v2, vcc_lo
	v_cmp_neq_f32_e32 vcc_lo, 0x7f800000, v4
	v_sub_nc_u32_e32 v6, 0, v2
	v_cvt_f32_i32_e32 v2, v2
	v_ldexp_f32 v5, v5, v6
	v_ldexp_f32 v3, v3, v6
	v_add_f32_e32 v14, 1.0, v5
	v_add_f32_e32 v6, -1.0, v5
	v_add_f32_e32 v8, -1.0, v14
	v_add_f32_e32 v16, 1.0, v6
	v_sub_f32_e32 v8, v5, v8
	v_sub_f32_e32 v5, v5, v16
	v_add_f32_e32 v8, v3, v8
	v_add_f32_e32 v3, v3, v5
	v_add_f32_e32 v16, v14, v8
	v_add_f32_e32 v21, v6, v3
	v_rcp_f32_e32 v5, v16
	v_sub_f32_e32 v14, v14, v16
	v_sub_f32_e32 v6, v6, v21
	v_add_f32_e32 v8, v8, v14
	v_add_f32_e32 v3, v3, v6
	v_mul_f32_e32 v22, v21, v5
	v_mul_f32_e32 v23, v16, v22
	v_fma_f32 v14, v22, v16, -v23
	v_fmac_f32_e32 v14, v22, v8
	v_add_f32_e32 v24, v23, v14
	v_sub_f32_e32 v27, v21, v24
	v_sub_f32_e32 v6, v24, v23
	;; [unrolled: 1-line block ×5, first 2 shown]
	v_add_f32_e32 v3, v3, v21
	v_add_f32_e32 v3, v6, v3
	;; [unrolled: 1-line block ×3, first 2 shown]
	v_mul_f32_e32 v14, v5, v6
	v_sub_f32_e32 v24, v27, v6
	v_mul_f32_e32 v21, v16, v14
	v_add_f32_e32 v3, v3, v24
	v_fma_f32 v16, v14, v16, -v21
	v_fmac_f32_e32 v16, v14, v8
	v_add_f32_e32 v8, v21, v16
	v_sub_f32_e32 v23, v6, v8
	v_sub_f32_e32 v21, v8, v21
	;; [unrolled: 1-line block ×5, first 2 shown]
	v_add_f32_e32 v3, v3, v6
	v_add_f32_e32 v6, v22, v14
	;; [unrolled: 1-line block ×3, first 2 shown]
	v_sub_f32_e32 v8, v6, v22
	v_add_f32_e32 v3, v23, v3
	v_sub_f32_e32 v8, v14, v8
	v_mul_f32_e32 v3, v5, v3
	v_add_f32_e32 v3, v8, v3
	v_add_f32_e32 v5, v6, v3
	v_mul_f32_e32 v8, v5, v5
	v_fmaak_f32 v14, s2, v8, 0x3ecc95a3
	v_mul_f32_e32 v16, v5, v8
	v_fmaak_f32 v8, v8, v14, 0x3f2aaada
	v_ldexp_f32 v14, v5, 1
	v_sub_f32_e32 v5, v5, v6
	v_mul_f32_e32 v8, v16, v8
	v_mul_f32_e32 v16, 0x3f317218, v2
	v_sub_f32_e32 v3, v3, v5
	v_add_f32_e32 v6, v14, v8
	v_ldexp_f32 v3, v3, 1
	v_sub_f32_e32 v5, v6, v14
	v_fma_f32 v14, 0x3f317218, v2, -v16
	v_sub_f32_e32 v5, v8, v5
	v_fmamk_f32 v2, v2, 0xb102e308, v14
	v_add_f32_e32 v3, v3, v5
	v_add_f32_e32 v5, v16, v2
	;; [unrolled: 1-line block ×3, first 2 shown]
	v_sub_f32_e32 v16, v5, v16
	v_add_f32_e32 v14, v5, v8
	v_sub_f32_e32 v6, v8, v6
	v_sub_f32_e32 v2, v2, v16
	;; [unrolled: 1-line block ×6, first 2 shown]
	v_add_f32_e32 v8, v2, v3
	v_sub_f32_e32 v5, v5, v22
	v_add_f32_e32 v5, v6, v5
	v_sub_f32_e32 v6, v8, v2
	;; [unrolled: 2-line block ×3, first 2 shown]
	v_sub_f32_e32 v3, v3, v6
	v_add_f32_e32 v16, v14, v5
	v_sub_f32_e32 v2, v2, v8
	v_sub_f32_e32 v6, v16, v14
	v_add_f32_e32 v2, v3, v2
	v_sub_f32_e32 v3, v5, v6
	v_add_f32_e32 v2, v2, v3
	v_add_f32_e32 v2, v16, v2
	v_cndmask_b32_e32 v2, 0x7f800000, v2, vcc_lo
	v_cmp_gt_f32_e64 vcc_lo, 0x33800000, |v4|
	v_cndmask_b32_e32 v2, v2, v4, vcc_lo
	v_add_f32_e32 v1, v1, v2
	v_cvt_f16_f32_e32 v16, v1
.LBB424_258:
	s_or_b32 exec_lo, exec_lo, s1
	s_mov_b32 s1, exec_lo
	v_cmpx_eq_u32_e32 63, v0
	s_cbranch_execz .LBB424_260
; %bb.259:
	v_mov_b32_e32 v1, 0x20000
	v_mov_b32_e32 v2, 0
	v_or_b32_sdwa v1, v16, v1 dst_sel:DWORD dst_unused:UNUSED_PAD src0_sel:WORD_0 src1_sel:DWORD
	global_store_dword v2, v1, s[18:19] offset:128
.LBB424_260:
	s_or_b32 exec_lo, exec_lo, s1
.LBB424_261:
	s_add_u32 s1, s40, s28
	v_perm_b32 v2, v11, v18, 0x5040100
	v_perm_b32 v1, v10, v17, 0x5040100
	v_perm_b32 v6, v9, v26, 0x5040100
	v_perm_b32 v5, v25, v7, 0x5040100
	v_perm_b32 v4, v16, v20, 0x5040100
	v_perm_b32 v3, v15, v19, 0x5040100
	s_addc_u32 s3, s41, s29
	s_add_u32 s2, s1, s30
	s_addc_u32 s3, s3, s31
	s_and_b32 vcc_lo, exec_lo, s0
	s_mov_b32 s0, -1
	s_waitcnt_vscnt null, 0x0
	s_barrier
	buffer_gl0_inv
	s_cbranch_vccz .LBB424_263
; %bb.262:
	ds_write2_b64 v13, v[5:6], v[1:2] offset1:1
	ds_write_b64 v13, v[3:4] offset:16
	s_waitcnt lgkmcnt(0)
	s_barrier
	buffer_gl0_inv
	ds_read_u16 v7, v12
	ds_read_u16 v8, v12 offset:128
	ds_read_u16 v9, v12 offset:256
	;; [unrolled: 1-line block ×11, first 2 shown]
	s_mov_b32 s0, 0
	s_waitcnt lgkmcnt(11)
	global_store_short v12, v7, s[2:3]
	s_waitcnt lgkmcnt(10)
	global_store_short v12, v8, s[2:3] offset:128
	s_waitcnt lgkmcnt(9)
	global_store_short v12, v9, s[2:3] offset:256
	;; [unrolled: 2-line block ×11, first 2 shown]
.LBB424_263:
	s_andn2_b32 vcc_lo, exec_lo, s0
	s_cbranch_vccnz .LBB424_331
; %bb.264:
	ds_write2_b64 v13, v[5:6], v[1:2] offset1:1
	ds_write_b64 v13, v[3:4] offset:16
	s_waitcnt lgkmcnt(0)
	s_waitcnt_vscnt null, 0x0
	s_barrier
	buffer_gl0_inv
	ds_read_u16 v5, v12
	ds_read_u16 v4, v12 offset:128
	ds_read_u16 v6, v12 offset:256
	;; [unrolled: 1-line block ×11, first 2 shown]
	v_add_co_u32 v2, s0, s2, v12
	v_mov_b32_e32 v1, 0
	v_add_co_ci_u32_e64 v3, null, s3, 0, s0
	s_mov_b32 s0, exec_lo
	v_cmpx_gt_u32_e64 s33, v0
	s_cbranch_execz .LBB424_266
; %bb.265:
	s_waitcnt lgkmcnt(11)
	global_store_short v[2:3], v5, off
.LBB424_266:
	s_or_b32 exec_lo, exec_lo, s0
	v_or_b32_e32 v12, 64, v0
	s_mov_b32 s0, exec_lo
	v_cmpx_gt_u32_e64 s33, v12
	s_cbranch_execz .LBB424_268
; %bb.267:
	s_waitcnt lgkmcnt(10)
	global_store_short v[2:3], v4, off offset:128
.LBB424_268:
	s_or_b32 exec_lo, exec_lo, s0
	v_or_b32_e32 v12, 0x80, v0
	s_mov_b32 s0, exec_lo
	v_cmpx_gt_u32_e64 s33, v12
	s_cbranch_execz .LBB424_270
; %bb.269:
	s_waitcnt lgkmcnt(9)
	global_store_short v[2:3], v6, off offset:256
.LBB424_270:
	;; [unrolled: 9-line block ×11, first 2 shown]
	s_or_b32 exec_lo, exec_lo, s0
	v_cmp_lt_u64_e64 s0, s[26:27], 2
	s_and_b32 vcc_lo, exec_lo, s0
	s_cbranch_vccnz .LBB424_331
; %bb.289:
	s_add_u32 s0, s33, -1
	s_addc_u32 s1, s34, -1
	s_mul_hi_u32 s5, s0, 0xaaaaaaab
	s_mul_i32 s4, s1, 0xaaaaaaab
	s_mul_hi_u32 s6, s1, 0xaaaaaaab
	s_mul_i32 s3, s0, 0xaaaaaaaa
	s_add_u32 s4, s4, s5
	s_mul_hi_u32 s2, s0, 0xaaaaaaaa
	s_addc_u32 s5, s6, 0
	s_add_u32 s3, s3, s4
	s_addc_u32 s2, s2, 0
	s_mul_i32 s4, s1, 0xaaaaaaaa
	s_add_u32 s2, s5, s2
	s_addc_u32 s3, 0, 0
	s_mul_hi_u32 s5, s1, 0xaaaaaaaa
	s_add_u32 s2, s4, s2
	s_addc_u32 s3, s5, s3
	s_lshr_b64 s[2:3], s[2:3], 3
	v_cmp_eq_u64_e32 vcc_lo, s[2:3], v[0:1]
	s_and_saveexec_b32 s2, vcc_lo
	s_cbranch_execz .LBB424_331
; %bb.290:
	v_mul_u32_u24_e32 v1, 12, v0
	v_mul_hi_u32_u24_e32 v2, 12, v0
	v_sub_co_u32 v0, vcc_lo, s0, v1
	v_sub_co_ci_u32_e64 v1, null, s1, v2, vcc_lo
	s_mov_b32 s0, exec_lo
	v_cmpx_lt_i64_e32 5, v[0:1]
	s_xor_b32 s0, exec_lo, s0
	s_cbranch_execz .LBB424_312
; %bb.291:
	s_mov_b32 s1, exec_lo
	v_cmpx_lt_i64_e32 8, v[0:1]
	s_xor_b32 s1, exec_lo, s1
	s_cbranch_execz .LBB424_301
; %bb.292:
	;; [unrolled: 5-line block ×4, first 2 shown]
	v_mov_b32_e32 v0, 0
                                        ; implicit-def: $vgpr14
	s_waitcnt lgkmcnt(0)
	global_store_short v0, v16, s[22:23]
.LBB424_295:
	s_andn2_saveexec_b32 s3, s3
	s_cbranch_execz .LBB424_297
; %bb.296:
	v_mov_b32_e32 v0, 0
	s_waitcnt lgkmcnt(1)
	global_store_short v0, v14, s[22:23]
.LBB424_297:
	s_or_b32 exec_lo, exec_lo, s3
                                        ; implicit-def: $vgpr15
.LBB424_298:
	s_andn2_saveexec_b32 s2, s2
	s_cbranch_execz .LBB424_300
; %bb.299:
	v_mov_b32_e32 v0, 0
	s_waitcnt lgkmcnt(2)
	global_store_short v0, v15, s[22:23]
.LBB424_300:
	s_or_b32 exec_lo, exec_lo, s2
                                        ; implicit-def: $vgpr11
                                        ; implicit-def: $vgpr0_vgpr1
                                        ; implicit-def: $vgpr9
                                        ; implicit-def: $vgpr13
.LBB424_301:
	s_andn2_saveexec_b32 s1, s1
	s_cbranch_execz .LBB424_311
; %bb.302:
	s_mov_b32 s2, exec_lo
	v_cmpx_lt_i64_e32 6, v[0:1]
	s_xor_b32 s2, exec_lo, s2
	s_cbranch_execz .LBB424_308
; %bb.303:
	s_mov_b32 s3, exec_lo
	v_cmpx_lt_i64_e32 7, v[0:1]
	s_xor_b32 s3, exec_lo, s3
	s_cbranch_execz .LBB424_305
; %bb.304:
	v_mov_b32_e32 v0, 0
                                        ; implicit-def: $vgpr9
	s_waitcnt lgkmcnt(3)
	global_store_short v0, v13, s[22:23]
.LBB424_305:
	s_andn2_saveexec_b32 s3, s3
	s_cbranch_execz .LBB424_307
; %bb.306:
	v_mov_b32_e32 v0, 0
	s_waitcnt lgkmcnt(4)
	global_store_short v0, v9, s[22:23]
.LBB424_307:
	s_or_b32 exec_lo, exec_lo, s3
                                        ; implicit-def: $vgpr11
.LBB424_308:
	s_andn2_saveexec_b32 s2, s2
	s_cbranch_execz .LBB424_310
; %bb.309:
	v_mov_b32_e32 v0, 0
	s_waitcnt lgkmcnt(5)
	global_store_short v0, v11, s[22:23]
.LBB424_310:
	s_or_b32 exec_lo, exec_lo, s2
.LBB424_311:
	s_or_b32 exec_lo, exec_lo, s1
                                        ; implicit-def: $vgpr0_vgpr1
                                        ; implicit-def: $vgpr8
                                        ; implicit-def: $vgpr6
                                        ; implicit-def: $vgpr4
                                        ; implicit-def: $vgpr5
                                        ; implicit-def: $vgpr7
                                        ; implicit-def: $vgpr10
.LBB424_312:
	s_andn2_saveexec_b32 s0, s0
	s_cbranch_execz .LBB424_331
; %bb.313:
	s_mov_b32 s0, exec_lo
	v_cmpx_lt_i64_e32 2, v[0:1]
	s_xor_b32 s0, exec_lo, s0
	s_cbranch_execz .LBB424_323
; %bb.314:
	s_mov_b32 s1, exec_lo
	v_cmpx_lt_i64_e32 3, v[0:1]
	s_xor_b32 s1, exec_lo, s1
	s_cbranch_execz .LBB424_320
; %bb.315:
	s_mov_b32 s2, exec_lo
	v_cmpx_lt_i64_e32 4, v[0:1]
	s_xor_b32 s2, exec_lo, s2
	s_cbranch_execz .LBB424_317
; %bb.316:
	v_mov_b32_e32 v0, 0
                                        ; implicit-def: $vgpr7
	s_waitcnt lgkmcnt(6)
	global_store_short v0, v10, s[22:23]
.LBB424_317:
	s_andn2_saveexec_b32 s2, s2
	s_cbranch_execz .LBB424_319
; %bb.318:
	v_mov_b32_e32 v0, 0
	s_waitcnt lgkmcnt(7)
	global_store_short v0, v7, s[22:23]
.LBB424_319:
	s_or_b32 exec_lo, exec_lo, s2
                                        ; implicit-def: $vgpr8
.LBB424_320:
	s_andn2_saveexec_b32 s1, s1
	s_cbranch_execz .LBB424_322
; %bb.321:
	v_mov_b32_e32 v0, 0
	s_waitcnt lgkmcnt(8)
	global_store_short v0, v8, s[22:23]
.LBB424_322:
	s_or_b32 exec_lo, exec_lo, s1
                                        ; implicit-def: $vgpr0_vgpr1
                                        ; implicit-def: $vgpr6
                                        ; implicit-def: $vgpr4
                                        ; implicit-def: $vgpr5
.LBB424_323:
	s_andn2_saveexec_b32 s0, s0
	s_cbranch_execz .LBB424_331
; %bb.324:
	s_mov_b32 s0, exec_lo
	v_cmpx_lt_i64_e32 1, v[0:1]
	s_xor_b32 s0, exec_lo, s0
	s_cbranch_execz .LBB424_326
; %bb.325:
	v_mov_b32_e32 v0, 0
                                        ; implicit-def: $vgpr4
                                        ; implicit-def: $vgpr5
	s_waitcnt lgkmcnt(9)
	global_store_short v0, v6, s[22:23]
                                        ; implicit-def: $vgpr0_vgpr1
.LBB424_326:
	s_andn2_saveexec_b32 s0, s0
	s_cbranch_execz .LBB424_331
; %bb.327:
	s_mov_b32 s0, exec_lo
	v_cmpx_ne_u64_e32 1, v[0:1]
	s_xor_b32 s0, exec_lo, s0
	s_cbranch_execz .LBB424_329
; %bb.328:
	v_mov_b32_e32 v0, 0
                                        ; implicit-def: $vgpr4
	s_waitcnt lgkmcnt(11)
	global_store_short v0, v5, s[22:23]
.LBB424_329:
	s_andn2_saveexec_b32 s0, s0
	s_cbranch_execz .LBB424_331
; %bb.330:
	v_mov_b32_e32 v0, 0
	s_waitcnt lgkmcnt(10)
	global_store_short v0, v4, s[22:23]
.LBB424_331:
	s_endpgm
	.section	.rodata,"a",@progbits
	.p2align	6, 0x0
	.amdhsa_kernel _ZN7rocprim17ROCPRIM_400000_NS6detail17trampoline_kernelINS0_14default_configENS1_20scan_config_selectorIN3c104HalfEEEZZNS1_9scan_implILNS1_25lookback_scan_determinismE0ELb0ELb0ES3_PKS6_PS6_S6_ZZZN2at6native31launch_logcumsumexp_cuda_kernelERKNSD_10TensorBaseESH_lENKUlvE_clEvENKUlvE3_clEvEUlS6_S6_E_S6_EEDaPvRmT3_T4_T5_mT6_P12ihipStream_tbENKUlT_T0_E_clISt17integral_constantIbLb0EESX_IbLb1EEEEDaST_SU_EUlST_E_NS1_11comp_targetILNS1_3genE8ELNS1_11target_archE1030ELNS1_3gpuE2ELNS1_3repE0EEENS1_30default_config_static_selectorELNS0_4arch9wavefront6targetE0EEEvT1_
		.amdhsa_group_segment_fixed_size 1536
		.amdhsa_private_segment_fixed_size 0
		.amdhsa_kernarg_size 96
		.amdhsa_user_sgpr_count 6
		.amdhsa_user_sgpr_private_segment_buffer 1
		.amdhsa_user_sgpr_dispatch_ptr 0
		.amdhsa_user_sgpr_queue_ptr 0
		.amdhsa_user_sgpr_kernarg_segment_ptr 1
		.amdhsa_user_sgpr_dispatch_id 0
		.amdhsa_user_sgpr_flat_scratch_init 0
		.amdhsa_user_sgpr_private_segment_size 0
		.amdhsa_wavefront_size32 1
		.amdhsa_uses_dynamic_stack 0
		.amdhsa_system_sgpr_private_segment_wavefront_offset 0
		.amdhsa_system_sgpr_workgroup_id_x 1
		.amdhsa_system_sgpr_workgroup_id_y 0
		.amdhsa_system_sgpr_workgroup_id_z 0
		.amdhsa_system_sgpr_workgroup_info 0
		.amdhsa_system_vgpr_workitem_id 0
		.amdhsa_next_free_vgpr 54
		.amdhsa_next_free_sgpr 44
		.amdhsa_reserve_vcc 1
		.amdhsa_reserve_flat_scratch 0
		.amdhsa_float_round_mode_32 0
		.amdhsa_float_round_mode_16_64 0
		.amdhsa_float_denorm_mode_32 3
		.amdhsa_float_denorm_mode_16_64 3
		.amdhsa_dx10_clamp 1
		.amdhsa_ieee_mode 1
		.amdhsa_fp16_overflow 0
		.amdhsa_workgroup_processor_mode 1
		.amdhsa_memory_ordered 1
		.amdhsa_forward_progress 1
		.amdhsa_shared_vgpr_count 0
		.amdhsa_exception_fp_ieee_invalid_op 0
		.amdhsa_exception_fp_denorm_src 0
		.amdhsa_exception_fp_ieee_div_zero 0
		.amdhsa_exception_fp_ieee_overflow 0
		.amdhsa_exception_fp_ieee_underflow 0
		.amdhsa_exception_fp_ieee_inexact 0
		.amdhsa_exception_int_div_zero 0
	.end_amdhsa_kernel
	.section	.text._ZN7rocprim17ROCPRIM_400000_NS6detail17trampoline_kernelINS0_14default_configENS1_20scan_config_selectorIN3c104HalfEEEZZNS1_9scan_implILNS1_25lookback_scan_determinismE0ELb0ELb0ES3_PKS6_PS6_S6_ZZZN2at6native31launch_logcumsumexp_cuda_kernelERKNSD_10TensorBaseESH_lENKUlvE_clEvENKUlvE3_clEvEUlS6_S6_E_S6_EEDaPvRmT3_T4_T5_mT6_P12ihipStream_tbENKUlT_T0_E_clISt17integral_constantIbLb0EESX_IbLb1EEEEDaST_SU_EUlST_E_NS1_11comp_targetILNS1_3genE8ELNS1_11target_archE1030ELNS1_3gpuE2ELNS1_3repE0EEENS1_30default_config_static_selectorELNS0_4arch9wavefront6targetE0EEEvT1_,"axG",@progbits,_ZN7rocprim17ROCPRIM_400000_NS6detail17trampoline_kernelINS0_14default_configENS1_20scan_config_selectorIN3c104HalfEEEZZNS1_9scan_implILNS1_25lookback_scan_determinismE0ELb0ELb0ES3_PKS6_PS6_S6_ZZZN2at6native31launch_logcumsumexp_cuda_kernelERKNSD_10TensorBaseESH_lENKUlvE_clEvENKUlvE3_clEvEUlS6_S6_E_S6_EEDaPvRmT3_T4_T5_mT6_P12ihipStream_tbENKUlT_T0_E_clISt17integral_constantIbLb0EESX_IbLb1EEEEDaST_SU_EUlST_E_NS1_11comp_targetILNS1_3genE8ELNS1_11target_archE1030ELNS1_3gpuE2ELNS1_3repE0EEENS1_30default_config_static_selectorELNS0_4arch9wavefront6targetE0EEEvT1_,comdat
.Lfunc_end424:
	.size	_ZN7rocprim17ROCPRIM_400000_NS6detail17trampoline_kernelINS0_14default_configENS1_20scan_config_selectorIN3c104HalfEEEZZNS1_9scan_implILNS1_25lookback_scan_determinismE0ELb0ELb0ES3_PKS6_PS6_S6_ZZZN2at6native31launch_logcumsumexp_cuda_kernelERKNSD_10TensorBaseESH_lENKUlvE_clEvENKUlvE3_clEvEUlS6_S6_E_S6_EEDaPvRmT3_T4_T5_mT6_P12ihipStream_tbENKUlT_T0_E_clISt17integral_constantIbLb0EESX_IbLb1EEEEDaST_SU_EUlST_E_NS1_11comp_targetILNS1_3genE8ELNS1_11target_archE1030ELNS1_3gpuE2ELNS1_3repE0EEENS1_30default_config_static_selectorELNS0_4arch9wavefront6targetE0EEEvT1_, .Lfunc_end424-_ZN7rocprim17ROCPRIM_400000_NS6detail17trampoline_kernelINS0_14default_configENS1_20scan_config_selectorIN3c104HalfEEEZZNS1_9scan_implILNS1_25lookback_scan_determinismE0ELb0ELb0ES3_PKS6_PS6_S6_ZZZN2at6native31launch_logcumsumexp_cuda_kernelERKNSD_10TensorBaseESH_lENKUlvE_clEvENKUlvE3_clEvEUlS6_S6_E_S6_EEDaPvRmT3_T4_T5_mT6_P12ihipStream_tbENKUlT_T0_E_clISt17integral_constantIbLb0EESX_IbLb1EEEEDaST_SU_EUlST_E_NS1_11comp_targetILNS1_3genE8ELNS1_11target_archE1030ELNS1_3gpuE2ELNS1_3repE0EEENS1_30default_config_static_selectorELNS0_4arch9wavefront6targetE0EEEvT1_
                                        ; -- End function
	.set _ZN7rocprim17ROCPRIM_400000_NS6detail17trampoline_kernelINS0_14default_configENS1_20scan_config_selectorIN3c104HalfEEEZZNS1_9scan_implILNS1_25lookback_scan_determinismE0ELb0ELb0ES3_PKS6_PS6_S6_ZZZN2at6native31launch_logcumsumexp_cuda_kernelERKNSD_10TensorBaseESH_lENKUlvE_clEvENKUlvE3_clEvEUlS6_S6_E_S6_EEDaPvRmT3_T4_T5_mT6_P12ihipStream_tbENKUlT_T0_E_clISt17integral_constantIbLb0EESX_IbLb1EEEEDaST_SU_EUlST_E_NS1_11comp_targetILNS1_3genE8ELNS1_11target_archE1030ELNS1_3gpuE2ELNS1_3repE0EEENS1_30default_config_static_selectorELNS0_4arch9wavefront6targetE0EEEvT1_.num_vgpr, 54
	.set _ZN7rocprim17ROCPRIM_400000_NS6detail17trampoline_kernelINS0_14default_configENS1_20scan_config_selectorIN3c104HalfEEEZZNS1_9scan_implILNS1_25lookback_scan_determinismE0ELb0ELb0ES3_PKS6_PS6_S6_ZZZN2at6native31launch_logcumsumexp_cuda_kernelERKNSD_10TensorBaseESH_lENKUlvE_clEvENKUlvE3_clEvEUlS6_S6_E_S6_EEDaPvRmT3_T4_T5_mT6_P12ihipStream_tbENKUlT_T0_E_clISt17integral_constantIbLb0EESX_IbLb1EEEEDaST_SU_EUlST_E_NS1_11comp_targetILNS1_3genE8ELNS1_11target_archE1030ELNS1_3gpuE2ELNS1_3repE0EEENS1_30default_config_static_selectorELNS0_4arch9wavefront6targetE0EEEvT1_.num_agpr, 0
	.set _ZN7rocprim17ROCPRIM_400000_NS6detail17trampoline_kernelINS0_14default_configENS1_20scan_config_selectorIN3c104HalfEEEZZNS1_9scan_implILNS1_25lookback_scan_determinismE0ELb0ELb0ES3_PKS6_PS6_S6_ZZZN2at6native31launch_logcumsumexp_cuda_kernelERKNSD_10TensorBaseESH_lENKUlvE_clEvENKUlvE3_clEvEUlS6_S6_E_S6_EEDaPvRmT3_T4_T5_mT6_P12ihipStream_tbENKUlT_T0_E_clISt17integral_constantIbLb0EESX_IbLb1EEEEDaST_SU_EUlST_E_NS1_11comp_targetILNS1_3genE8ELNS1_11target_archE1030ELNS1_3gpuE2ELNS1_3repE0EEENS1_30default_config_static_selectorELNS0_4arch9wavefront6targetE0EEEvT1_.numbered_sgpr, 44
	.set _ZN7rocprim17ROCPRIM_400000_NS6detail17trampoline_kernelINS0_14default_configENS1_20scan_config_selectorIN3c104HalfEEEZZNS1_9scan_implILNS1_25lookback_scan_determinismE0ELb0ELb0ES3_PKS6_PS6_S6_ZZZN2at6native31launch_logcumsumexp_cuda_kernelERKNSD_10TensorBaseESH_lENKUlvE_clEvENKUlvE3_clEvEUlS6_S6_E_S6_EEDaPvRmT3_T4_T5_mT6_P12ihipStream_tbENKUlT_T0_E_clISt17integral_constantIbLb0EESX_IbLb1EEEEDaST_SU_EUlST_E_NS1_11comp_targetILNS1_3genE8ELNS1_11target_archE1030ELNS1_3gpuE2ELNS1_3repE0EEENS1_30default_config_static_selectorELNS0_4arch9wavefront6targetE0EEEvT1_.num_named_barrier, 0
	.set _ZN7rocprim17ROCPRIM_400000_NS6detail17trampoline_kernelINS0_14default_configENS1_20scan_config_selectorIN3c104HalfEEEZZNS1_9scan_implILNS1_25lookback_scan_determinismE0ELb0ELb0ES3_PKS6_PS6_S6_ZZZN2at6native31launch_logcumsumexp_cuda_kernelERKNSD_10TensorBaseESH_lENKUlvE_clEvENKUlvE3_clEvEUlS6_S6_E_S6_EEDaPvRmT3_T4_T5_mT6_P12ihipStream_tbENKUlT_T0_E_clISt17integral_constantIbLb0EESX_IbLb1EEEEDaST_SU_EUlST_E_NS1_11comp_targetILNS1_3genE8ELNS1_11target_archE1030ELNS1_3gpuE2ELNS1_3repE0EEENS1_30default_config_static_selectorELNS0_4arch9wavefront6targetE0EEEvT1_.private_seg_size, 0
	.set _ZN7rocprim17ROCPRIM_400000_NS6detail17trampoline_kernelINS0_14default_configENS1_20scan_config_selectorIN3c104HalfEEEZZNS1_9scan_implILNS1_25lookback_scan_determinismE0ELb0ELb0ES3_PKS6_PS6_S6_ZZZN2at6native31launch_logcumsumexp_cuda_kernelERKNSD_10TensorBaseESH_lENKUlvE_clEvENKUlvE3_clEvEUlS6_S6_E_S6_EEDaPvRmT3_T4_T5_mT6_P12ihipStream_tbENKUlT_T0_E_clISt17integral_constantIbLb0EESX_IbLb1EEEEDaST_SU_EUlST_E_NS1_11comp_targetILNS1_3genE8ELNS1_11target_archE1030ELNS1_3gpuE2ELNS1_3repE0EEENS1_30default_config_static_selectorELNS0_4arch9wavefront6targetE0EEEvT1_.uses_vcc, 1
	.set _ZN7rocprim17ROCPRIM_400000_NS6detail17trampoline_kernelINS0_14default_configENS1_20scan_config_selectorIN3c104HalfEEEZZNS1_9scan_implILNS1_25lookback_scan_determinismE0ELb0ELb0ES3_PKS6_PS6_S6_ZZZN2at6native31launch_logcumsumexp_cuda_kernelERKNSD_10TensorBaseESH_lENKUlvE_clEvENKUlvE3_clEvEUlS6_S6_E_S6_EEDaPvRmT3_T4_T5_mT6_P12ihipStream_tbENKUlT_T0_E_clISt17integral_constantIbLb0EESX_IbLb1EEEEDaST_SU_EUlST_E_NS1_11comp_targetILNS1_3genE8ELNS1_11target_archE1030ELNS1_3gpuE2ELNS1_3repE0EEENS1_30default_config_static_selectorELNS0_4arch9wavefront6targetE0EEEvT1_.uses_flat_scratch, 0
	.set _ZN7rocprim17ROCPRIM_400000_NS6detail17trampoline_kernelINS0_14default_configENS1_20scan_config_selectorIN3c104HalfEEEZZNS1_9scan_implILNS1_25lookback_scan_determinismE0ELb0ELb0ES3_PKS6_PS6_S6_ZZZN2at6native31launch_logcumsumexp_cuda_kernelERKNSD_10TensorBaseESH_lENKUlvE_clEvENKUlvE3_clEvEUlS6_S6_E_S6_EEDaPvRmT3_T4_T5_mT6_P12ihipStream_tbENKUlT_T0_E_clISt17integral_constantIbLb0EESX_IbLb1EEEEDaST_SU_EUlST_E_NS1_11comp_targetILNS1_3genE8ELNS1_11target_archE1030ELNS1_3gpuE2ELNS1_3repE0EEENS1_30default_config_static_selectorELNS0_4arch9wavefront6targetE0EEEvT1_.has_dyn_sized_stack, 0
	.set _ZN7rocprim17ROCPRIM_400000_NS6detail17trampoline_kernelINS0_14default_configENS1_20scan_config_selectorIN3c104HalfEEEZZNS1_9scan_implILNS1_25lookback_scan_determinismE0ELb0ELb0ES3_PKS6_PS6_S6_ZZZN2at6native31launch_logcumsumexp_cuda_kernelERKNSD_10TensorBaseESH_lENKUlvE_clEvENKUlvE3_clEvEUlS6_S6_E_S6_EEDaPvRmT3_T4_T5_mT6_P12ihipStream_tbENKUlT_T0_E_clISt17integral_constantIbLb0EESX_IbLb1EEEEDaST_SU_EUlST_E_NS1_11comp_targetILNS1_3genE8ELNS1_11target_archE1030ELNS1_3gpuE2ELNS1_3repE0EEENS1_30default_config_static_selectorELNS0_4arch9wavefront6targetE0EEEvT1_.has_recursion, 0
	.set _ZN7rocprim17ROCPRIM_400000_NS6detail17trampoline_kernelINS0_14default_configENS1_20scan_config_selectorIN3c104HalfEEEZZNS1_9scan_implILNS1_25lookback_scan_determinismE0ELb0ELb0ES3_PKS6_PS6_S6_ZZZN2at6native31launch_logcumsumexp_cuda_kernelERKNSD_10TensorBaseESH_lENKUlvE_clEvENKUlvE3_clEvEUlS6_S6_E_S6_EEDaPvRmT3_T4_T5_mT6_P12ihipStream_tbENKUlT_T0_E_clISt17integral_constantIbLb0EESX_IbLb1EEEEDaST_SU_EUlST_E_NS1_11comp_targetILNS1_3genE8ELNS1_11target_archE1030ELNS1_3gpuE2ELNS1_3repE0EEENS1_30default_config_static_selectorELNS0_4arch9wavefront6targetE0EEEvT1_.has_indirect_call, 0
	.section	.AMDGPU.csdata,"",@progbits
; Kernel info:
; codeLenInByte = 58924
; TotalNumSgprs: 46
; NumVgprs: 54
; ScratchSize: 0
; MemoryBound: 0
; FloatMode: 240
; IeeeMode: 1
; LDSByteSize: 1536 bytes/workgroup (compile time only)
; SGPRBlocks: 0
; VGPRBlocks: 6
; NumSGPRsForWavesPerEU: 46
; NumVGPRsForWavesPerEU: 54
; Occupancy: 16
; WaveLimiterHint : 1
; COMPUTE_PGM_RSRC2:SCRATCH_EN: 0
; COMPUTE_PGM_RSRC2:USER_SGPR: 6
; COMPUTE_PGM_RSRC2:TRAP_HANDLER: 0
; COMPUTE_PGM_RSRC2:TGID_X_EN: 1
; COMPUTE_PGM_RSRC2:TGID_Y_EN: 0
; COMPUTE_PGM_RSRC2:TGID_Z_EN: 0
; COMPUTE_PGM_RSRC2:TIDIG_COMP_CNT: 0
	.section	.text._ZN7rocprim17ROCPRIM_400000_NS6detail17trampoline_kernelINS0_14default_configENS1_20scan_config_selectorIN3c104HalfEEEZZNS1_9scan_implILNS1_25lookback_scan_determinismE0ELb0ELb0ES3_PKS6_PS6_S6_ZZZN2at6native31launch_logcumsumexp_cuda_kernelERKNSD_10TensorBaseESH_lENKUlvE_clEvENKUlvE3_clEvEUlS6_S6_E_S6_EEDaPvRmT3_T4_T5_mT6_P12ihipStream_tbENKUlT_T0_E_clISt17integral_constantIbLb0EESX_IbLb1EEEEDaST_SU_EUlST_E0_NS1_11comp_targetILNS1_3genE0ELNS1_11target_archE4294967295ELNS1_3gpuE0ELNS1_3repE0EEENS1_30default_config_static_selectorELNS0_4arch9wavefront6targetE0EEEvT1_,"axG",@progbits,_ZN7rocprim17ROCPRIM_400000_NS6detail17trampoline_kernelINS0_14default_configENS1_20scan_config_selectorIN3c104HalfEEEZZNS1_9scan_implILNS1_25lookback_scan_determinismE0ELb0ELb0ES3_PKS6_PS6_S6_ZZZN2at6native31launch_logcumsumexp_cuda_kernelERKNSD_10TensorBaseESH_lENKUlvE_clEvENKUlvE3_clEvEUlS6_S6_E_S6_EEDaPvRmT3_T4_T5_mT6_P12ihipStream_tbENKUlT_T0_E_clISt17integral_constantIbLb0EESX_IbLb1EEEEDaST_SU_EUlST_E0_NS1_11comp_targetILNS1_3genE0ELNS1_11target_archE4294967295ELNS1_3gpuE0ELNS1_3repE0EEENS1_30default_config_static_selectorELNS0_4arch9wavefront6targetE0EEEvT1_,comdat
	.globl	_ZN7rocprim17ROCPRIM_400000_NS6detail17trampoline_kernelINS0_14default_configENS1_20scan_config_selectorIN3c104HalfEEEZZNS1_9scan_implILNS1_25lookback_scan_determinismE0ELb0ELb0ES3_PKS6_PS6_S6_ZZZN2at6native31launch_logcumsumexp_cuda_kernelERKNSD_10TensorBaseESH_lENKUlvE_clEvENKUlvE3_clEvEUlS6_S6_E_S6_EEDaPvRmT3_T4_T5_mT6_P12ihipStream_tbENKUlT_T0_E_clISt17integral_constantIbLb0EESX_IbLb1EEEEDaST_SU_EUlST_E0_NS1_11comp_targetILNS1_3genE0ELNS1_11target_archE4294967295ELNS1_3gpuE0ELNS1_3repE0EEENS1_30default_config_static_selectorELNS0_4arch9wavefront6targetE0EEEvT1_ ; -- Begin function _ZN7rocprim17ROCPRIM_400000_NS6detail17trampoline_kernelINS0_14default_configENS1_20scan_config_selectorIN3c104HalfEEEZZNS1_9scan_implILNS1_25lookback_scan_determinismE0ELb0ELb0ES3_PKS6_PS6_S6_ZZZN2at6native31launch_logcumsumexp_cuda_kernelERKNSD_10TensorBaseESH_lENKUlvE_clEvENKUlvE3_clEvEUlS6_S6_E_S6_EEDaPvRmT3_T4_T5_mT6_P12ihipStream_tbENKUlT_T0_E_clISt17integral_constantIbLb0EESX_IbLb1EEEEDaST_SU_EUlST_E0_NS1_11comp_targetILNS1_3genE0ELNS1_11target_archE4294967295ELNS1_3gpuE0ELNS1_3repE0EEENS1_30default_config_static_selectorELNS0_4arch9wavefront6targetE0EEEvT1_
	.p2align	8
	.type	_ZN7rocprim17ROCPRIM_400000_NS6detail17trampoline_kernelINS0_14default_configENS1_20scan_config_selectorIN3c104HalfEEEZZNS1_9scan_implILNS1_25lookback_scan_determinismE0ELb0ELb0ES3_PKS6_PS6_S6_ZZZN2at6native31launch_logcumsumexp_cuda_kernelERKNSD_10TensorBaseESH_lENKUlvE_clEvENKUlvE3_clEvEUlS6_S6_E_S6_EEDaPvRmT3_T4_T5_mT6_P12ihipStream_tbENKUlT_T0_E_clISt17integral_constantIbLb0EESX_IbLb1EEEEDaST_SU_EUlST_E0_NS1_11comp_targetILNS1_3genE0ELNS1_11target_archE4294967295ELNS1_3gpuE0ELNS1_3repE0EEENS1_30default_config_static_selectorELNS0_4arch9wavefront6targetE0EEEvT1_,@function
_ZN7rocprim17ROCPRIM_400000_NS6detail17trampoline_kernelINS0_14default_configENS1_20scan_config_selectorIN3c104HalfEEEZZNS1_9scan_implILNS1_25lookback_scan_determinismE0ELb0ELb0ES3_PKS6_PS6_S6_ZZZN2at6native31launch_logcumsumexp_cuda_kernelERKNSD_10TensorBaseESH_lENKUlvE_clEvENKUlvE3_clEvEUlS6_S6_E_S6_EEDaPvRmT3_T4_T5_mT6_P12ihipStream_tbENKUlT_T0_E_clISt17integral_constantIbLb0EESX_IbLb1EEEEDaST_SU_EUlST_E0_NS1_11comp_targetILNS1_3genE0ELNS1_11target_archE4294967295ELNS1_3gpuE0ELNS1_3repE0EEENS1_30default_config_static_selectorELNS0_4arch9wavefront6targetE0EEEvT1_: ; @_ZN7rocprim17ROCPRIM_400000_NS6detail17trampoline_kernelINS0_14default_configENS1_20scan_config_selectorIN3c104HalfEEEZZNS1_9scan_implILNS1_25lookback_scan_determinismE0ELb0ELb0ES3_PKS6_PS6_S6_ZZZN2at6native31launch_logcumsumexp_cuda_kernelERKNSD_10TensorBaseESH_lENKUlvE_clEvENKUlvE3_clEvEUlS6_S6_E_S6_EEDaPvRmT3_T4_T5_mT6_P12ihipStream_tbENKUlT_T0_E_clISt17integral_constantIbLb0EESX_IbLb1EEEEDaST_SU_EUlST_E0_NS1_11comp_targetILNS1_3genE0ELNS1_11target_archE4294967295ELNS1_3gpuE0ELNS1_3repE0EEENS1_30default_config_static_selectorELNS0_4arch9wavefront6targetE0EEEvT1_
; %bb.0:
	.section	.rodata,"a",@progbits
	.p2align	6, 0x0
	.amdhsa_kernel _ZN7rocprim17ROCPRIM_400000_NS6detail17trampoline_kernelINS0_14default_configENS1_20scan_config_selectorIN3c104HalfEEEZZNS1_9scan_implILNS1_25lookback_scan_determinismE0ELb0ELb0ES3_PKS6_PS6_S6_ZZZN2at6native31launch_logcumsumexp_cuda_kernelERKNSD_10TensorBaseESH_lENKUlvE_clEvENKUlvE3_clEvEUlS6_S6_E_S6_EEDaPvRmT3_T4_T5_mT6_P12ihipStream_tbENKUlT_T0_E_clISt17integral_constantIbLb0EESX_IbLb1EEEEDaST_SU_EUlST_E0_NS1_11comp_targetILNS1_3genE0ELNS1_11target_archE4294967295ELNS1_3gpuE0ELNS1_3repE0EEENS1_30default_config_static_selectorELNS0_4arch9wavefront6targetE0EEEvT1_
		.amdhsa_group_segment_fixed_size 0
		.amdhsa_private_segment_fixed_size 0
		.amdhsa_kernarg_size 32
		.amdhsa_user_sgpr_count 6
		.amdhsa_user_sgpr_private_segment_buffer 1
		.amdhsa_user_sgpr_dispatch_ptr 0
		.amdhsa_user_sgpr_queue_ptr 0
		.amdhsa_user_sgpr_kernarg_segment_ptr 1
		.amdhsa_user_sgpr_dispatch_id 0
		.amdhsa_user_sgpr_flat_scratch_init 0
		.amdhsa_user_sgpr_private_segment_size 0
		.amdhsa_wavefront_size32 1
		.amdhsa_uses_dynamic_stack 0
		.amdhsa_system_sgpr_private_segment_wavefront_offset 0
		.amdhsa_system_sgpr_workgroup_id_x 1
		.amdhsa_system_sgpr_workgroup_id_y 0
		.amdhsa_system_sgpr_workgroup_id_z 0
		.amdhsa_system_sgpr_workgroup_info 0
		.amdhsa_system_vgpr_workitem_id 0
		.amdhsa_next_free_vgpr 1
		.amdhsa_next_free_sgpr 1
		.amdhsa_reserve_vcc 0
		.amdhsa_reserve_flat_scratch 0
		.amdhsa_float_round_mode_32 0
		.amdhsa_float_round_mode_16_64 0
		.amdhsa_float_denorm_mode_32 3
		.amdhsa_float_denorm_mode_16_64 3
		.amdhsa_dx10_clamp 1
		.amdhsa_ieee_mode 1
		.amdhsa_fp16_overflow 0
		.amdhsa_workgroup_processor_mode 1
		.amdhsa_memory_ordered 1
		.amdhsa_forward_progress 1
		.amdhsa_shared_vgpr_count 0
		.amdhsa_exception_fp_ieee_invalid_op 0
		.amdhsa_exception_fp_denorm_src 0
		.amdhsa_exception_fp_ieee_div_zero 0
		.amdhsa_exception_fp_ieee_overflow 0
		.amdhsa_exception_fp_ieee_underflow 0
		.amdhsa_exception_fp_ieee_inexact 0
		.amdhsa_exception_int_div_zero 0
	.end_amdhsa_kernel
	.section	.text._ZN7rocprim17ROCPRIM_400000_NS6detail17trampoline_kernelINS0_14default_configENS1_20scan_config_selectorIN3c104HalfEEEZZNS1_9scan_implILNS1_25lookback_scan_determinismE0ELb0ELb0ES3_PKS6_PS6_S6_ZZZN2at6native31launch_logcumsumexp_cuda_kernelERKNSD_10TensorBaseESH_lENKUlvE_clEvENKUlvE3_clEvEUlS6_S6_E_S6_EEDaPvRmT3_T4_T5_mT6_P12ihipStream_tbENKUlT_T0_E_clISt17integral_constantIbLb0EESX_IbLb1EEEEDaST_SU_EUlST_E0_NS1_11comp_targetILNS1_3genE0ELNS1_11target_archE4294967295ELNS1_3gpuE0ELNS1_3repE0EEENS1_30default_config_static_selectorELNS0_4arch9wavefront6targetE0EEEvT1_,"axG",@progbits,_ZN7rocprim17ROCPRIM_400000_NS6detail17trampoline_kernelINS0_14default_configENS1_20scan_config_selectorIN3c104HalfEEEZZNS1_9scan_implILNS1_25lookback_scan_determinismE0ELb0ELb0ES3_PKS6_PS6_S6_ZZZN2at6native31launch_logcumsumexp_cuda_kernelERKNSD_10TensorBaseESH_lENKUlvE_clEvENKUlvE3_clEvEUlS6_S6_E_S6_EEDaPvRmT3_T4_T5_mT6_P12ihipStream_tbENKUlT_T0_E_clISt17integral_constantIbLb0EESX_IbLb1EEEEDaST_SU_EUlST_E0_NS1_11comp_targetILNS1_3genE0ELNS1_11target_archE4294967295ELNS1_3gpuE0ELNS1_3repE0EEENS1_30default_config_static_selectorELNS0_4arch9wavefront6targetE0EEEvT1_,comdat
.Lfunc_end425:
	.size	_ZN7rocprim17ROCPRIM_400000_NS6detail17trampoline_kernelINS0_14default_configENS1_20scan_config_selectorIN3c104HalfEEEZZNS1_9scan_implILNS1_25lookback_scan_determinismE0ELb0ELb0ES3_PKS6_PS6_S6_ZZZN2at6native31launch_logcumsumexp_cuda_kernelERKNSD_10TensorBaseESH_lENKUlvE_clEvENKUlvE3_clEvEUlS6_S6_E_S6_EEDaPvRmT3_T4_T5_mT6_P12ihipStream_tbENKUlT_T0_E_clISt17integral_constantIbLb0EESX_IbLb1EEEEDaST_SU_EUlST_E0_NS1_11comp_targetILNS1_3genE0ELNS1_11target_archE4294967295ELNS1_3gpuE0ELNS1_3repE0EEENS1_30default_config_static_selectorELNS0_4arch9wavefront6targetE0EEEvT1_, .Lfunc_end425-_ZN7rocprim17ROCPRIM_400000_NS6detail17trampoline_kernelINS0_14default_configENS1_20scan_config_selectorIN3c104HalfEEEZZNS1_9scan_implILNS1_25lookback_scan_determinismE0ELb0ELb0ES3_PKS6_PS6_S6_ZZZN2at6native31launch_logcumsumexp_cuda_kernelERKNSD_10TensorBaseESH_lENKUlvE_clEvENKUlvE3_clEvEUlS6_S6_E_S6_EEDaPvRmT3_T4_T5_mT6_P12ihipStream_tbENKUlT_T0_E_clISt17integral_constantIbLb0EESX_IbLb1EEEEDaST_SU_EUlST_E0_NS1_11comp_targetILNS1_3genE0ELNS1_11target_archE4294967295ELNS1_3gpuE0ELNS1_3repE0EEENS1_30default_config_static_selectorELNS0_4arch9wavefront6targetE0EEEvT1_
                                        ; -- End function
	.set _ZN7rocprim17ROCPRIM_400000_NS6detail17trampoline_kernelINS0_14default_configENS1_20scan_config_selectorIN3c104HalfEEEZZNS1_9scan_implILNS1_25lookback_scan_determinismE0ELb0ELb0ES3_PKS6_PS6_S6_ZZZN2at6native31launch_logcumsumexp_cuda_kernelERKNSD_10TensorBaseESH_lENKUlvE_clEvENKUlvE3_clEvEUlS6_S6_E_S6_EEDaPvRmT3_T4_T5_mT6_P12ihipStream_tbENKUlT_T0_E_clISt17integral_constantIbLb0EESX_IbLb1EEEEDaST_SU_EUlST_E0_NS1_11comp_targetILNS1_3genE0ELNS1_11target_archE4294967295ELNS1_3gpuE0ELNS1_3repE0EEENS1_30default_config_static_selectorELNS0_4arch9wavefront6targetE0EEEvT1_.num_vgpr, 0
	.set _ZN7rocprim17ROCPRIM_400000_NS6detail17trampoline_kernelINS0_14default_configENS1_20scan_config_selectorIN3c104HalfEEEZZNS1_9scan_implILNS1_25lookback_scan_determinismE0ELb0ELb0ES3_PKS6_PS6_S6_ZZZN2at6native31launch_logcumsumexp_cuda_kernelERKNSD_10TensorBaseESH_lENKUlvE_clEvENKUlvE3_clEvEUlS6_S6_E_S6_EEDaPvRmT3_T4_T5_mT6_P12ihipStream_tbENKUlT_T0_E_clISt17integral_constantIbLb0EESX_IbLb1EEEEDaST_SU_EUlST_E0_NS1_11comp_targetILNS1_3genE0ELNS1_11target_archE4294967295ELNS1_3gpuE0ELNS1_3repE0EEENS1_30default_config_static_selectorELNS0_4arch9wavefront6targetE0EEEvT1_.num_agpr, 0
	.set _ZN7rocprim17ROCPRIM_400000_NS6detail17trampoline_kernelINS0_14default_configENS1_20scan_config_selectorIN3c104HalfEEEZZNS1_9scan_implILNS1_25lookback_scan_determinismE0ELb0ELb0ES3_PKS6_PS6_S6_ZZZN2at6native31launch_logcumsumexp_cuda_kernelERKNSD_10TensorBaseESH_lENKUlvE_clEvENKUlvE3_clEvEUlS6_S6_E_S6_EEDaPvRmT3_T4_T5_mT6_P12ihipStream_tbENKUlT_T0_E_clISt17integral_constantIbLb0EESX_IbLb1EEEEDaST_SU_EUlST_E0_NS1_11comp_targetILNS1_3genE0ELNS1_11target_archE4294967295ELNS1_3gpuE0ELNS1_3repE0EEENS1_30default_config_static_selectorELNS0_4arch9wavefront6targetE0EEEvT1_.numbered_sgpr, 0
	.set _ZN7rocprim17ROCPRIM_400000_NS6detail17trampoline_kernelINS0_14default_configENS1_20scan_config_selectorIN3c104HalfEEEZZNS1_9scan_implILNS1_25lookback_scan_determinismE0ELb0ELb0ES3_PKS6_PS6_S6_ZZZN2at6native31launch_logcumsumexp_cuda_kernelERKNSD_10TensorBaseESH_lENKUlvE_clEvENKUlvE3_clEvEUlS6_S6_E_S6_EEDaPvRmT3_T4_T5_mT6_P12ihipStream_tbENKUlT_T0_E_clISt17integral_constantIbLb0EESX_IbLb1EEEEDaST_SU_EUlST_E0_NS1_11comp_targetILNS1_3genE0ELNS1_11target_archE4294967295ELNS1_3gpuE0ELNS1_3repE0EEENS1_30default_config_static_selectorELNS0_4arch9wavefront6targetE0EEEvT1_.num_named_barrier, 0
	.set _ZN7rocprim17ROCPRIM_400000_NS6detail17trampoline_kernelINS0_14default_configENS1_20scan_config_selectorIN3c104HalfEEEZZNS1_9scan_implILNS1_25lookback_scan_determinismE0ELb0ELb0ES3_PKS6_PS6_S6_ZZZN2at6native31launch_logcumsumexp_cuda_kernelERKNSD_10TensorBaseESH_lENKUlvE_clEvENKUlvE3_clEvEUlS6_S6_E_S6_EEDaPvRmT3_T4_T5_mT6_P12ihipStream_tbENKUlT_T0_E_clISt17integral_constantIbLb0EESX_IbLb1EEEEDaST_SU_EUlST_E0_NS1_11comp_targetILNS1_3genE0ELNS1_11target_archE4294967295ELNS1_3gpuE0ELNS1_3repE0EEENS1_30default_config_static_selectorELNS0_4arch9wavefront6targetE0EEEvT1_.private_seg_size, 0
	.set _ZN7rocprim17ROCPRIM_400000_NS6detail17trampoline_kernelINS0_14default_configENS1_20scan_config_selectorIN3c104HalfEEEZZNS1_9scan_implILNS1_25lookback_scan_determinismE0ELb0ELb0ES3_PKS6_PS6_S6_ZZZN2at6native31launch_logcumsumexp_cuda_kernelERKNSD_10TensorBaseESH_lENKUlvE_clEvENKUlvE3_clEvEUlS6_S6_E_S6_EEDaPvRmT3_T4_T5_mT6_P12ihipStream_tbENKUlT_T0_E_clISt17integral_constantIbLb0EESX_IbLb1EEEEDaST_SU_EUlST_E0_NS1_11comp_targetILNS1_3genE0ELNS1_11target_archE4294967295ELNS1_3gpuE0ELNS1_3repE0EEENS1_30default_config_static_selectorELNS0_4arch9wavefront6targetE0EEEvT1_.uses_vcc, 0
	.set _ZN7rocprim17ROCPRIM_400000_NS6detail17trampoline_kernelINS0_14default_configENS1_20scan_config_selectorIN3c104HalfEEEZZNS1_9scan_implILNS1_25lookback_scan_determinismE0ELb0ELb0ES3_PKS6_PS6_S6_ZZZN2at6native31launch_logcumsumexp_cuda_kernelERKNSD_10TensorBaseESH_lENKUlvE_clEvENKUlvE3_clEvEUlS6_S6_E_S6_EEDaPvRmT3_T4_T5_mT6_P12ihipStream_tbENKUlT_T0_E_clISt17integral_constantIbLb0EESX_IbLb1EEEEDaST_SU_EUlST_E0_NS1_11comp_targetILNS1_3genE0ELNS1_11target_archE4294967295ELNS1_3gpuE0ELNS1_3repE0EEENS1_30default_config_static_selectorELNS0_4arch9wavefront6targetE0EEEvT1_.uses_flat_scratch, 0
	.set _ZN7rocprim17ROCPRIM_400000_NS6detail17trampoline_kernelINS0_14default_configENS1_20scan_config_selectorIN3c104HalfEEEZZNS1_9scan_implILNS1_25lookback_scan_determinismE0ELb0ELb0ES3_PKS6_PS6_S6_ZZZN2at6native31launch_logcumsumexp_cuda_kernelERKNSD_10TensorBaseESH_lENKUlvE_clEvENKUlvE3_clEvEUlS6_S6_E_S6_EEDaPvRmT3_T4_T5_mT6_P12ihipStream_tbENKUlT_T0_E_clISt17integral_constantIbLb0EESX_IbLb1EEEEDaST_SU_EUlST_E0_NS1_11comp_targetILNS1_3genE0ELNS1_11target_archE4294967295ELNS1_3gpuE0ELNS1_3repE0EEENS1_30default_config_static_selectorELNS0_4arch9wavefront6targetE0EEEvT1_.has_dyn_sized_stack, 0
	.set _ZN7rocprim17ROCPRIM_400000_NS6detail17trampoline_kernelINS0_14default_configENS1_20scan_config_selectorIN3c104HalfEEEZZNS1_9scan_implILNS1_25lookback_scan_determinismE0ELb0ELb0ES3_PKS6_PS6_S6_ZZZN2at6native31launch_logcumsumexp_cuda_kernelERKNSD_10TensorBaseESH_lENKUlvE_clEvENKUlvE3_clEvEUlS6_S6_E_S6_EEDaPvRmT3_T4_T5_mT6_P12ihipStream_tbENKUlT_T0_E_clISt17integral_constantIbLb0EESX_IbLb1EEEEDaST_SU_EUlST_E0_NS1_11comp_targetILNS1_3genE0ELNS1_11target_archE4294967295ELNS1_3gpuE0ELNS1_3repE0EEENS1_30default_config_static_selectorELNS0_4arch9wavefront6targetE0EEEvT1_.has_recursion, 0
	.set _ZN7rocprim17ROCPRIM_400000_NS6detail17trampoline_kernelINS0_14default_configENS1_20scan_config_selectorIN3c104HalfEEEZZNS1_9scan_implILNS1_25lookback_scan_determinismE0ELb0ELb0ES3_PKS6_PS6_S6_ZZZN2at6native31launch_logcumsumexp_cuda_kernelERKNSD_10TensorBaseESH_lENKUlvE_clEvENKUlvE3_clEvEUlS6_S6_E_S6_EEDaPvRmT3_T4_T5_mT6_P12ihipStream_tbENKUlT_T0_E_clISt17integral_constantIbLb0EESX_IbLb1EEEEDaST_SU_EUlST_E0_NS1_11comp_targetILNS1_3genE0ELNS1_11target_archE4294967295ELNS1_3gpuE0ELNS1_3repE0EEENS1_30default_config_static_selectorELNS0_4arch9wavefront6targetE0EEEvT1_.has_indirect_call, 0
	.section	.AMDGPU.csdata,"",@progbits
; Kernel info:
; codeLenInByte = 0
; TotalNumSgprs: 0
; NumVgprs: 0
; ScratchSize: 0
; MemoryBound: 0
; FloatMode: 240
; IeeeMode: 1
; LDSByteSize: 0 bytes/workgroup (compile time only)
; SGPRBlocks: 0
; VGPRBlocks: 0
; NumSGPRsForWavesPerEU: 1
; NumVGPRsForWavesPerEU: 1
; Occupancy: 16
; WaveLimiterHint : 0
; COMPUTE_PGM_RSRC2:SCRATCH_EN: 0
; COMPUTE_PGM_RSRC2:USER_SGPR: 6
; COMPUTE_PGM_RSRC2:TRAP_HANDLER: 0
; COMPUTE_PGM_RSRC2:TGID_X_EN: 1
; COMPUTE_PGM_RSRC2:TGID_Y_EN: 0
; COMPUTE_PGM_RSRC2:TGID_Z_EN: 0
; COMPUTE_PGM_RSRC2:TIDIG_COMP_CNT: 0
	.section	.text._ZN7rocprim17ROCPRIM_400000_NS6detail17trampoline_kernelINS0_14default_configENS1_20scan_config_selectorIN3c104HalfEEEZZNS1_9scan_implILNS1_25lookback_scan_determinismE0ELb0ELb0ES3_PKS6_PS6_S6_ZZZN2at6native31launch_logcumsumexp_cuda_kernelERKNSD_10TensorBaseESH_lENKUlvE_clEvENKUlvE3_clEvEUlS6_S6_E_S6_EEDaPvRmT3_T4_T5_mT6_P12ihipStream_tbENKUlT_T0_E_clISt17integral_constantIbLb0EESX_IbLb1EEEEDaST_SU_EUlST_E0_NS1_11comp_targetILNS1_3genE5ELNS1_11target_archE942ELNS1_3gpuE9ELNS1_3repE0EEENS1_30default_config_static_selectorELNS0_4arch9wavefront6targetE0EEEvT1_,"axG",@progbits,_ZN7rocprim17ROCPRIM_400000_NS6detail17trampoline_kernelINS0_14default_configENS1_20scan_config_selectorIN3c104HalfEEEZZNS1_9scan_implILNS1_25lookback_scan_determinismE0ELb0ELb0ES3_PKS6_PS6_S6_ZZZN2at6native31launch_logcumsumexp_cuda_kernelERKNSD_10TensorBaseESH_lENKUlvE_clEvENKUlvE3_clEvEUlS6_S6_E_S6_EEDaPvRmT3_T4_T5_mT6_P12ihipStream_tbENKUlT_T0_E_clISt17integral_constantIbLb0EESX_IbLb1EEEEDaST_SU_EUlST_E0_NS1_11comp_targetILNS1_3genE5ELNS1_11target_archE942ELNS1_3gpuE9ELNS1_3repE0EEENS1_30default_config_static_selectorELNS0_4arch9wavefront6targetE0EEEvT1_,comdat
	.globl	_ZN7rocprim17ROCPRIM_400000_NS6detail17trampoline_kernelINS0_14default_configENS1_20scan_config_selectorIN3c104HalfEEEZZNS1_9scan_implILNS1_25lookback_scan_determinismE0ELb0ELb0ES3_PKS6_PS6_S6_ZZZN2at6native31launch_logcumsumexp_cuda_kernelERKNSD_10TensorBaseESH_lENKUlvE_clEvENKUlvE3_clEvEUlS6_S6_E_S6_EEDaPvRmT3_T4_T5_mT6_P12ihipStream_tbENKUlT_T0_E_clISt17integral_constantIbLb0EESX_IbLb1EEEEDaST_SU_EUlST_E0_NS1_11comp_targetILNS1_3genE5ELNS1_11target_archE942ELNS1_3gpuE9ELNS1_3repE0EEENS1_30default_config_static_selectorELNS0_4arch9wavefront6targetE0EEEvT1_ ; -- Begin function _ZN7rocprim17ROCPRIM_400000_NS6detail17trampoline_kernelINS0_14default_configENS1_20scan_config_selectorIN3c104HalfEEEZZNS1_9scan_implILNS1_25lookback_scan_determinismE0ELb0ELb0ES3_PKS6_PS6_S6_ZZZN2at6native31launch_logcumsumexp_cuda_kernelERKNSD_10TensorBaseESH_lENKUlvE_clEvENKUlvE3_clEvEUlS6_S6_E_S6_EEDaPvRmT3_T4_T5_mT6_P12ihipStream_tbENKUlT_T0_E_clISt17integral_constantIbLb0EESX_IbLb1EEEEDaST_SU_EUlST_E0_NS1_11comp_targetILNS1_3genE5ELNS1_11target_archE942ELNS1_3gpuE9ELNS1_3repE0EEENS1_30default_config_static_selectorELNS0_4arch9wavefront6targetE0EEEvT1_
	.p2align	8
	.type	_ZN7rocprim17ROCPRIM_400000_NS6detail17trampoline_kernelINS0_14default_configENS1_20scan_config_selectorIN3c104HalfEEEZZNS1_9scan_implILNS1_25lookback_scan_determinismE0ELb0ELb0ES3_PKS6_PS6_S6_ZZZN2at6native31launch_logcumsumexp_cuda_kernelERKNSD_10TensorBaseESH_lENKUlvE_clEvENKUlvE3_clEvEUlS6_S6_E_S6_EEDaPvRmT3_T4_T5_mT6_P12ihipStream_tbENKUlT_T0_E_clISt17integral_constantIbLb0EESX_IbLb1EEEEDaST_SU_EUlST_E0_NS1_11comp_targetILNS1_3genE5ELNS1_11target_archE942ELNS1_3gpuE9ELNS1_3repE0EEENS1_30default_config_static_selectorELNS0_4arch9wavefront6targetE0EEEvT1_,@function
_ZN7rocprim17ROCPRIM_400000_NS6detail17trampoline_kernelINS0_14default_configENS1_20scan_config_selectorIN3c104HalfEEEZZNS1_9scan_implILNS1_25lookback_scan_determinismE0ELb0ELb0ES3_PKS6_PS6_S6_ZZZN2at6native31launch_logcumsumexp_cuda_kernelERKNSD_10TensorBaseESH_lENKUlvE_clEvENKUlvE3_clEvEUlS6_S6_E_S6_EEDaPvRmT3_T4_T5_mT6_P12ihipStream_tbENKUlT_T0_E_clISt17integral_constantIbLb0EESX_IbLb1EEEEDaST_SU_EUlST_E0_NS1_11comp_targetILNS1_3genE5ELNS1_11target_archE942ELNS1_3gpuE9ELNS1_3repE0EEENS1_30default_config_static_selectorELNS0_4arch9wavefront6targetE0EEEvT1_: ; @_ZN7rocprim17ROCPRIM_400000_NS6detail17trampoline_kernelINS0_14default_configENS1_20scan_config_selectorIN3c104HalfEEEZZNS1_9scan_implILNS1_25lookback_scan_determinismE0ELb0ELb0ES3_PKS6_PS6_S6_ZZZN2at6native31launch_logcumsumexp_cuda_kernelERKNSD_10TensorBaseESH_lENKUlvE_clEvENKUlvE3_clEvEUlS6_S6_E_S6_EEDaPvRmT3_T4_T5_mT6_P12ihipStream_tbENKUlT_T0_E_clISt17integral_constantIbLb0EESX_IbLb1EEEEDaST_SU_EUlST_E0_NS1_11comp_targetILNS1_3genE5ELNS1_11target_archE942ELNS1_3gpuE9ELNS1_3repE0EEENS1_30default_config_static_selectorELNS0_4arch9wavefront6targetE0EEEvT1_
; %bb.0:
	.section	.rodata,"a",@progbits
	.p2align	6, 0x0
	.amdhsa_kernel _ZN7rocprim17ROCPRIM_400000_NS6detail17trampoline_kernelINS0_14default_configENS1_20scan_config_selectorIN3c104HalfEEEZZNS1_9scan_implILNS1_25lookback_scan_determinismE0ELb0ELb0ES3_PKS6_PS6_S6_ZZZN2at6native31launch_logcumsumexp_cuda_kernelERKNSD_10TensorBaseESH_lENKUlvE_clEvENKUlvE3_clEvEUlS6_S6_E_S6_EEDaPvRmT3_T4_T5_mT6_P12ihipStream_tbENKUlT_T0_E_clISt17integral_constantIbLb0EESX_IbLb1EEEEDaST_SU_EUlST_E0_NS1_11comp_targetILNS1_3genE5ELNS1_11target_archE942ELNS1_3gpuE9ELNS1_3repE0EEENS1_30default_config_static_selectorELNS0_4arch9wavefront6targetE0EEEvT1_
		.amdhsa_group_segment_fixed_size 0
		.amdhsa_private_segment_fixed_size 0
		.amdhsa_kernarg_size 32
		.amdhsa_user_sgpr_count 6
		.amdhsa_user_sgpr_private_segment_buffer 1
		.amdhsa_user_sgpr_dispatch_ptr 0
		.amdhsa_user_sgpr_queue_ptr 0
		.amdhsa_user_sgpr_kernarg_segment_ptr 1
		.amdhsa_user_sgpr_dispatch_id 0
		.amdhsa_user_sgpr_flat_scratch_init 0
		.amdhsa_user_sgpr_private_segment_size 0
		.amdhsa_wavefront_size32 1
		.amdhsa_uses_dynamic_stack 0
		.amdhsa_system_sgpr_private_segment_wavefront_offset 0
		.amdhsa_system_sgpr_workgroup_id_x 1
		.amdhsa_system_sgpr_workgroup_id_y 0
		.amdhsa_system_sgpr_workgroup_id_z 0
		.amdhsa_system_sgpr_workgroup_info 0
		.amdhsa_system_vgpr_workitem_id 0
		.amdhsa_next_free_vgpr 1
		.amdhsa_next_free_sgpr 1
		.amdhsa_reserve_vcc 0
		.amdhsa_reserve_flat_scratch 0
		.amdhsa_float_round_mode_32 0
		.amdhsa_float_round_mode_16_64 0
		.amdhsa_float_denorm_mode_32 3
		.amdhsa_float_denorm_mode_16_64 3
		.amdhsa_dx10_clamp 1
		.amdhsa_ieee_mode 1
		.amdhsa_fp16_overflow 0
		.amdhsa_workgroup_processor_mode 1
		.amdhsa_memory_ordered 1
		.amdhsa_forward_progress 1
		.amdhsa_shared_vgpr_count 0
		.amdhsa_exception_fp_ieee_invalid_op 0
		.amdhsa_exception_fp_denorm_src 0
		.amdhsa_exception_fp_ieee_div_zero 0
		.amdhsa_exception_fp_ieee_overflow 0
		.amdhsa_exception_fp_ieee_underflow 0
		.amdhsa_exception_fp_ieee_inexact 0
		.amdhsa_exception_int_div_zero 0
	.end_amdhsa_kernel
	.section	.text._ZN7rocprim17ROCPRIM_400000_NS6detail17trampoline_kernelINS0_14default_configENS1_20scan_config_selectorIN3c104HalfEEEZZNS1_9scan_implILNS1_25lookback_scan_determinismE0ELb0ELb0ES3_PKS6_PS6_S6_ZZZN2at6native31launch_logcumsumexp_cuda_kernelERKNSD_10TensorBaseESH_lENKUlvE_clEvENKUlvE3_clEvEUlS6_S6_E_S6_EEDaPvRmT3_T4_T5_mT6_P12ihipStream_tbENKUlT_T0_E_clISt17integral_constantIbLb0EESX_IbLb1EEEEDaST_SU_EUlST_E0_NS1_11comp_targetILNS1_3genE5ELNS1_11target_archE942ELNS1_3gpuE9ELNS1_3repE0EEENS1_30default_config_static_selectorELNS0_4arch9wavefront6targetE0EEEvT1_,"axG",@progbits,_ZN7rocprim17ROCPRIM_400000_NS6detail17trampoline_kernelINS0_14default_configENS1_20scan_config_selectorIN3c104HalfEEEZZNS1_9scan_implILNS1_25lookback_scan_determinismE0ELb0ELb0ES3_PKS6_PS6_S6_ZZZN2at6native31launch_logcumsumexp_cuda_kernelERKNSD_10TensorBaseESH_lENKUlvE_clEvENKUlvE3_clEvEUlS6_S6_E_S6_EEDaPvRmT3_T4_T5_mT6_P12ihipStream_tbENKUlT_T0_E_clISt17integral_constantIbLb0EESX_IbLb1EEEEDaST_SU_EUlST_E0_NS1_11comp_targetILNS1_3genE5ELNS1_11target_archE942ELNS1_3gpuE9ELNS1_3repE0EEENS1_30default_config_static_selectorELNS0_4arch9wavefront6targetE0EEEvT1_,comdat
.Lfunc_end426:
	.size	_ZN7rocprim17ROCPRIM_400000_NS6detail17trampoline_kernelINS0_14default_configENS1_20scan_config_selectorIN3c104HalfEEEZZNS1_9scan_implILNS1_25lookback_scan_determinismE0ELb0ELb0ES3_PKS6_PS6_S6_ZZZN2at6native31launch_logcumsumexp_cuda_kernelERKNSD_10TensorBaseESH_lENKUlvE_clEvENKUlvE3_clEvEUlS6_S6_E_S6_EEDaPvRmT3_T4_T5_mT6_P12ihipStream_tbENKUlT_T0_E_clISt17integral_constantIbLb0EESX_IbLb1EEEEDaST_SU_EUlST_E0_NS1_11comp_targetILNS1_3genE5ELNS1_11target_archE942ELNS1_3gpuE9ELNS1_3repE0EEENS1_30default_config_static_selectorELNS0_4arch9wavefront6targetE0EEEvT1_, .Lfunc_end426-_ZN7rocprim17ROCPRIM_400000_NS6detail17trampoline_kernelINS0_14default_configENS1_20scan_config_selectorIN3c104HalfEEEZZNS1_9scan_implILNS1_25lookback_scan_determinismE0ELb0ELb0ES3_PKS6_PS6_S6_ZZZN2at6native31launch_logcumsumexp_cuda_kernelERKNSD_10TensorBaseESH_lENKUlvE_clEvENKUlvE3_clEvEUlS6_S6_E_S6_EEDaPvRmT3_T4_T5_mT6_P12ihipStream_tbENKUlT_T0_E_clISt17integral_constantIbLb0EESX_IbLb1EEEEDaST_SU_EUlST_E0_NS1_11comp_targetILNS1_3genE5ELNS1_11target_archE942ELNS1_3gpuE9ELNS1_3repE0EEENS1_30default_config_static_selectorELNS0_4arch9wavefront6targetE0EEEvT1_
                                        ; -- End function
	.set _ZN7rocprim17ROCPRIM_400000_NS6detail17trampoline_kernelINS0_14default_configENS1_20scan_config_selectorIN3c104HalfEEEZZNS1_9scan_implILNS1_25lookback_scan_determinismE0ELb0ELb0ES3_PKS6_PS6_S6_ZZZN2at6native31launch_logcumsumexp_cuda_kernelERKNSD_10TensorBaseESH_lENKUlvE_clEvENKUlvE3_clEvEUlS6_S6_E_S6_EEDaPvRmT3_T4_T5_mT6_P12ihipStream_tbENKUlT_T0_E_clISt17integral_constantIbLb0EESX_IbLb1EEEEDaST_SU_EUlST_E0_NS1_11comp_targetILNS1_3genE5ELNS1_11target_archE942ELNS1_3gpuE9ELNS1_3repE0EEENS1_30default_config_static_selectorELNS0_4arch9wavefront6targetE0EEEvT1_.num_vgpr, 0
	.set _ZN7rocprim17ROCPRIM_400000_NS6detail17trampoline_kernelINS0_14default_configENS1_20scan_config_selectorIN3c104HalfEEEZZNS1_9scan_implILNS1_25lookback_scan_determinismE0ELb0ELb0ES3_PKS6_PS6_S6_ZZZN2at6native31launch_logcumsumexp_cuda_kernelERKNSD_10TensorBaseESH_lENKUlvE_clEvENKUlvE3_clEvEUlS6_S6_E_S6_EEDaPvRmT3_T4_T5_mT6_P12ihipStream_tbENKUlT_T0_E_clISt17integral_constantIbLb0EESX_IbLb1EEEEDaST_SU_EUlST_E0_NS1_11comp_targetILNS1_3genE5ELNS1_11target_archE942ELNS1_3gpuE9ELNS1_3repE0EEENS1_30default_config_static_selectorELNS0_4arch9wavefront6targetE0EEEvT1_.num_agpr, 0
	.set _ZN7rocprim17ROCPRIM_400000_NS6detail17trampoline_kernelINS0_14default_configENS1_20scan_config_selectorIN3c104HalfEEEZZNS1_9scan_implILNS1_25lookback_scan_determinismE0ELb0ELb0ES3_PKS6_PS6_S6_ZZZN2at6native31launch_logcumsumexp_cuda_kernelERKNSD_10TensorBaseESH_lENKUlvE_clEvENKUlvE3_clEvEUlS6_S6_E_S6_EEDaPvRmT3_T4_T5_mT6_P12ihipStream_tbENKUlT_T0_E_clISt17integral_constantIbLb0EESX_IbLb1EEEEDaST_SU_EUlST_E0_NS1_11comp_targetILNS1_3genE5ELNS1_11target_archE942ELNS1_3gpuE9ELNS1_3repE0EEENS1_30default_config_static_selectorELNS0_4arch9wavefront6targetE0EEEvT1_.numbered_sgpr, 0
	.set _ZN7rocprim17ROCPRIM_400000_NS6detail17trampoline_kernelINS0_14default_configENS1_20scan_config_selectorIN3c104HalfEEEZZNS1_9scan_implILNS1_25lookback_scan_determinismE0ELb0ELb0ES3_PKS6_PS6_S6_ZZZN2at6native31launch_logcumsumexp_cuda_kernelERKNSD_10TensorBaseESH_lENKUlvE_clEvENKUlvE3_clEvEUlS6_S6_E_S6_EEDaPvRmT3_T4_T5_mT6_P12ihipStream_tbENKUlT_T0_E_clISt17integral_constantIbLb0EESX_IbLb1EEEEDaST_SU_EUlST_E0_NS1_11comp_targetILNS1_3genE5ELNS1_11target_archE942ELNS1_3gpuE9ELNS1_3repE0EEENS1_30default_config_static_selectorELNS0_4arch9wavefront6targetE0EEEvT1_.num_named_barrier, 0
	.set _ZN7rocprim17ROCPRIM_400000_NS6detail17trampoline_kernelINS0_14default_configENS1_20scan_config_selectorIN3c104HalfEEEZZNS1_9scan_implILNS1_25lookback_scan_determinismE0ELb0ELb0ES3_PKS6_PS6_S6_ZZZN2at6native31launch_logcumsumexp_cuda_kernelERKNSD_10TensorBaseESH_lENKUlvE_clEvENKUlvE3_clEvEUlS6_S6_E_S6_EEDaPvRmT3_T4_T5_mT6_P12ihipStream_tbENKUlT_T0_E_clISt17integral_constantIbLb0EESX_IbLb1EEEEDaST_SU_EUlST_E0_NS1_11comp_targetILNS1_3genE5ELNS1_11target_archE942ELNS1_3gpuE9ELNS1_3repE0EEENS1_30default_config_static_selectorELNS0_4arch9wavefront6targetE0EEEvT1_.private_seg_size, 0
	.set _ZN7rocprim17ROCPRIM_400000_NS6detail17trampoline_kernelINS0_14default_configENS1_20scan_config_selectorIN3c104HalfEEEZZNS1_9scan_implILNS1_25lookback_scan_determinismE0ELb0ELb0ES3_PKS6_PS6_S6_ZZZN2at6native31launch_logcumsumexp_cuda_kernelERKNSD_10TensorBaseESH_lENKUlvE_clEvENKUlvE3_clEvEUlS6_S6_E_S6_EEDaPvRmT3_T4_T5_mT6_P12ihipStream_tbENKUlT_T0_E_clISt17integral_constantIbLb0EESX_IbLb1EEEEDaST_SU_EUlST_E0_NS1_11comp_targetILNS1_3genE5ELNS1_11target_archE942ELNS1_3gpuE9ELNS1_3repE0EEENS1_30default_config_static_selectorELNS0_4arch9wavefront6targetE0EEEvT1_.uses_vcc, 0
	.set _ZN7rocprim17ROCPRIM_400000_NS6detail17trampoline_kernelINS0_14default_configENS1_20scan_config_selectorIN3c104HalfEEEZZNS1_9scan_implILNS1_25lookback_scan_determinismE0ELb0ELb0ES3_PKS6_PS6_S6_ZZZN2at6native31launch_logcumsumexp_cuda_kernelERKNSD_10TensorBaseESH_lENKUlvE_clEvENKUlvE3_clEvEUlS6_S6_E_S6_EEDaPvRmT3_T4_T5_mT6_P12ihipStream_tbENKUlT_T0_E_clISt17integral_constantIbLb0EESX_IbLb1EEEEDaST_SU_EUlST_E0_NS1_11comp_targetILNS1_3genE5ELNS1_11target_archE942ELNS1_3gpuE9ELNS1_3repE0EEENS1_30default_config_static_selectorELNS0_4arch9wavefront6targetE0EEEvT1_.uses_flat_scratch, 0
	.set _ZN7rocprim17ROCPRIM_400000_NS6detail17trampoline_kernelINS0_14default_configENS1_20scan_config_selectorIN3c104HalfEEEZZNS1_9scan_implILNS1_25lookback_scan_determinismE0ELb0ELb0ES3_PKS6_PS6_S6_ZZZN2at6native31launch_logcumsumexp_cuda_kernelERKNSD_10TensorBaseESH_lENKUlvE_clEvENKUlvE3_clEvEUlS6_S6_E_S6_EEDaPvRmT3_T4_T5_mT6_P12ihipStream_tbENKUlT_T0_E_clISt17integral_constantIbLb0EESX_IbLb1EEEEDaST_SU_EUlST_E0_NS1_11comp_targetILNS1_3genE5ELNS1_11target_archE942ELNS1_3gpuE9ELNS1_3repE0EEENS1_30default_config_static_selectorELNS0_4arch9wavefront6targetE0EEEvT1_.has_dyn_sized_stack, 0
	.set _ZN7rocprim17ROCPRIM_400000_NS6detail17trampoline_kernelINS0_14default_configENS1_20scan_config_selectorIN3c104HalfEEEZZNS1_9scan_implILNS1_25lookback_scan_determinismE0ELb0ELb0ES3_PKS6_PS6_S6_ZZZN2at6native31launch_logcumsumexp_cuda_kernelERKNSD_10TensorBaseESH_lENKUlvE_clEvENKUlvE3_clEvEUlS6_S6_E_S6_EEDaPvRmT3_T4_T5_mT6_P12ihipStream_tbENKUlT_T0_E_clISt17integral_constantIbLb0EESX_IbLb1EEEEDaST_SU_EUlST_E0_NS1_11comp_targetILNS1_3genE5ELNS1_11target_archE942ELNS1_3gpuE9ELNS1_3repE0EEENS1_30default_config_static_selectorELNS0_4arch9wavefront6targetE0EEEvT1_.has_recursion, 0
	.set _ZN7rocprim17ROCPRIM_400000_NS6detail17trampoline_kernelINS0_14default_configENS1_20scan_config_selectorIN3c104HalfEEEZZNS1_9scan_implILNS1_25lookback_scan_determinismE0ELb0ELb0ES3_PKS6_PS6_S6_ZZZN2at6native31launch_logcumsumexp_cuda_kernelERKNSD_10TensorBaseESH_lENKUlvE_clEvENKUlvE3_clEvEUlS6_S6_E_S6_EEDaPvRmT3_T4_T5_mT6_P12ihipStream_tbENKUlT_T0_E_clISt17integral_constantIbLb0EESX_IbLb1EEEEDaST_SU_EUlST_E0_NS1_11comp_targetILNS1_3genE5ELNS1_11target_archE942ELNS1_3gpuE9ELNS1_3repE0EEENS1_30default_config_static_selectorELNS0_4arch9wavefront6targetE0EEEvT1_.has_indirect_call, 0
	.section	.AMDGPU.csdata,"",@progbits
; Kernel info:
; codeLenInByte = 0
; TotalNumSgprs: 0
; NumVgprs: 0
; ScratchSize: 0
; MemoryBound: 0
; FloatMode: 240
; IeeeMode: 1
; LDSByteSize: 0 bytes/workgroup (compile time only)
; SGPRBlocks: 0
; VGPRBlocks: 0
; NumSGPRsForWavesPerEU: 1
; NumVGPRsForWavesPerEU: 1
; Occupancy: 16
; WaveLimiterHint : 0
; COMPUTE_PGM_RSRC2:SCRATCH_EN: 0
; COMPUTE_PGM_RSRC2:USER_SGPR: 6
; COMPUTE_PGM_RSRC2:TRAP_HANDLER: 0
; COMPUTE_PGM_RSRC2:TGID_X_EN: 1
; COMPUTE_PGM_RSRC2:TGID_Y_EN: 0
; COMPUTE_PGM_RSRC2:TGID_Z_EN: 0
; COMPUTE_PGM_RSRC2:TIDIG_COMP_CNT: 0
	.section	.text._ZN7rocprim17ROCPRIM_400000_NS6detail17trampoline_kernelINS0_14default_configENS1_20scan_config_selectorIN3c104HalfEEEZZNS1_9scan_implILNS1_25lookback_scan_determinismE0ELb0ELb0ES3_PKS6_PS6_S6_ZZZN2at6native31launch_logcumsumexp_cuda_kernelERKNSD_10TensorBaseESH_lENKUlvE_clEvENKUlvE3_clEvEUlS6_S6_E_S6_EEDaPvRmT3_T4_T5_mT6_P12ihipStream_tbENKUlT_T0_E_clISt17integral_constantIbLb0EESX_IbLb1EEEEDaST_SU_EUlST_E0_NS1_11comp_targetILNS1_3genE4ELNS1_11target_archE910ELNS1_3gpuE8ELNS1_3repE0EEENS1_30default_config_static_selectorELNS0_4arch9wavefront6targetE0EEEvT1_,"axG",@progbits,_ZN7rocprim17ROCPRIM_400000_NS6detail17trampoline_kernelINS0_14default_configENS1_20scan_config_selectorIN3c104HalfEEEZZNS1_9scan_implILNS1_25lookback_scan_determinismE0ELb0ELb0ES3_PKS6_PS6_S6_ZZZN2at6native31launch_logcumsumexp_cuda_kernelERKNSD_10TensorBaseESH_lENKUlvE_clEvENKUlvE3_clEvEUlS6_S6_E_S6_EEDaPvRmT3_T4_T5_mT6_P12ihipStream_tbENKUlT_T0_E_clISt17integral_constantIbLb0EESX_IbLb1EEEEDaST_SU_EUlST_E0_NS1_11comp_targetILNS1_3genE4ELNS1_11target_archE910ELNS1_3gpuE8ELNS1_3repE0EEENS1_30default_config_static_selectorELNS0_4arch9wavefront6targetE0EEEvT1_,comdat
	.globl	_ZN7rocprim17ROCPRIM_400000_NS6detail17trampoline_kernelINS0_14default_configENS1_20scan_config_selectorIN3c104HalfEEEZZNS1_9scan_implILNS1_25lookback_scan_determinismE0ELb0ELb0ES3_PKS6_PS6_S6_ZZZN2at6native31launch_logcumsumexp_cuda_kernelERKNSD_10TensorBaseESH_lENKUlvE_clEvENKUlvE3_clEvEUlS6_S6_E_S6_EEDaPvRmT3_T4_T5_mT6_P12ihipStream_tbENKUlT_T0_E_clISt17integral_constantIbLb0EESX_IbLb1EEEEDaST_SU_EUlST_E0_NS1_11comp_targetILNS1_3genE4ELNS1_11target_archE910ELNS1_3gpuE8ELNS1_3repE0EEENS1_30default_config_static_selectorELNS0_4arch9wavefront6targetE0EEEvT1_ ; -- Begin function _ZN7rocprim17ROCPRIM_400000_NS6detail17trampoline_kernelINS0_14default_configENS1_20scan_config_selectorIN3c104HalfEEEZZNS1_9scan_implILNS1_25lookback_scan_determinismE0ELb0ELb0ES3_PKS6_PS6_S6_ZZZN2at6native31launch_logcumsumexp_cuda_kernelERKNSD_10TensorBaseESH_lENKUlvE_clEvENKUlvE3_clEvEUlS6_S6_E_S6_EEDaPvRmT3_T4_T5_mT6_P12ihipStream_tbENKUlT_T0_E_clISt17integral_constantIbLb0EESX_IbLb1EEEEDaST_SU_EUlST_E0_NS1_11comp_targetILNS1_3genE4ELNS1_11target_archE910ELNS1_3gpuE8ELNS1_3repE0EEENS1_30default_config_static_selectorELNS0_4arch9wavefront6targetE0EEEvT1_
	.p2align	8
	.type	_ZN7rocprim17ROCPRIM_400000_NS6detail17trampoline_kernelINS0_14default_configENS1_20scan_config_selectorIN3c104HalfEEEZZNS1_9scan_implILNS1_25lookback_scan_determinismE0ELb0ELb0ES3_PKS6_PS6_S6_ZZZN2at6native31launch_logcumsumexp_cuda_kernelERKNSD_10TensorBaseESH_lENKUlvE_clEvENKUlvE3_clEvEUlS6_S6_E_S6_EEDaPvRmT3_T4_T5_mT6_P12ihipStream_tbENKUlT_T0_E_clISt17integral_constantIbLb0EESX_IbLb1EEEEDaST_SU_EUlST_E0_NS1_11comp_targetILNS1_3genE4ELNS1_11target_archE910ELNS1_3gpuE8ELNS1_3repE0EEENS1_30default_config_static_selectorELNS0_4arch9wavefront6targetE0EEEvT1_,@function
_ZN7rocprim17ROCPRIM_400000_NS6detail17trampoline_kernelINS0_14default_configENS1_20scan_config_selectorIN3c104HalfEEEZZNS1_9scan_implILNS1_25lookback_scan_determinismE0ELb0ELb0ES3_PKS6_PS6_S6_ZZZN2at6native31launch_logcumsumexp_cuda_kernelERKNSD_10TensorBaseESH_lENKUlvE_clEvENKUlvE3_clEvEUlS6_S6_E_S6_EEDaPvRmT3_T4_T5_mT6_P12ihipStream_tbENKUlT_T0_E_clISt17integral_constantIbLb0EESX_IbLb1EEEEDaST_SU_EUlST_E0_NS1_11comp_targetILNS1_3genE4ELNS1_11target_archE910ELNS1_3gpuE8ELNS1_3repE0EEENS1_30default_config_static_selectorELNS0_4arch9wavefront6targetE0EEEvT1_: ; @_ZN7rocprim17ROCPRIM_400000_NS6detail17trampoline_kernelINS0_14default_configENS1_20scan_config_selectorIN3c104HalfEEEZZNS1_9scan_implILNS1_25lookback_scan_determinismE0ELb0ELb0ES3_PKS6_PS6_S6_ZZZN2at6native31launch_logcumsumexp_cuda_kernelERKNSD_10TensorBaseESH_lENKUlvE_clEvENKUlvE3_clEvEUlS6_S6_E_S6_EEDaPvRmT3_T4_T5_mT6_P12ihipStream_tbENKUlT_T0_E_clISt17integral_constantIbLb0EESX_IbLb1EEEEDaST_SU_EUlST_E0_NS1_11comp_targetILNS1_3genE4ELNS1_11target_archE910ELNS1_3gpuE8ELNS1_3repE0EEENS1_30default_config_static_selectorELNS0_4arch9wavefront6targetE0EEEvT1_
; %bb.0:
	.section	.rodata,"a",@progbits
	.p2align	6, 0x0
	.amdhsa_kernel _ZN7rocprim17ROCPRIM_400000_NS6detail17trampoline_kernelINS0_14default_configENS1_20scan_config_selectorIN3c104HalfEEEZZNS1_9scan_implILNS1_25lookback_scan_determinismE0ELb0ELb0ES3_PKS6_PS6_S6_ZZZN2at6native31launch_logcumsumexp_cuda_kernelERKNSD_10TensorBaseESH_lENKUlvE_clEvENKUlvE3_clEvEUlS6_S6_E_S6_EEDaPvRmT3_T4_T5_mT6_P12ihipStream_tbENKUlT_T0_E_clISt17integral_constantIbLb0EESX_IbLb1EEEEDaST_SU_EUlST_E0_NS1_11comp_targetILNS1_3genE4ELNS1_11target_archE910ELNS1_3gpuE8ELNS1_3repE0EEENS1_30default_config_static_selectorELNS0_4arch9wavefront6targetE0EEEvT1_
		.amdhsa_group_segment_fixed_size 0
		.amdhsa_private_segment_fixed_size 0
		.amdhsa_kernarg_size 32
		.amdhsa_user_sgpr_count 6
		.amdhsa_user_sgpr_private_segment_buffer 1
		.amdhsa_user_sgpr_dispatch_ptr 0
		.amdhsa_user_sgpr_queue_ptr 0
		.amdhsa_user_sgpr_kernarg_segment_ptr 1
		.amdhsa_user_sgpr_dispatch_id 0
		.amdhsa_user_sgpr_flat_scratch_init 0
		.amdhsa_user_sgpr_private_segment_size 0
		.amdhsa_wavefront_size32 1
		.amdhsa_uses_dynamic_stack 0
		.amdhsa_system_sgpr_private_segment_wavefront_offset 0
		.amdhsa_system_sgpr_workgroup_id_x 1
		.amdhsa_system_sgpr_workgroup_id_y 0
		.amdhsa_system_sgpr_workgroup_id_z 0
		.amdhsa_system_sgpr_workgroup_info 0
		.amdhsa_system_vgpr_workitem_id 0
		.amdhsa_next_free_vgpr 1
		.amdhsa_next_free_sgpr 1
		.amdhsa_reserve_vcc 0
		.amdhsa_reserve_flat_scratch 0
		.amdhsa_float_round_mode_32 0
		.amdhsa_float_round_mode_16_64 0
		.amdhsa_float_denorm_mode_32 3
		.amdhsa_float_denorm_mode_16_64 3
		.amdhsa_dx10_clamp 1
		.amdhsa_ieee_mode 1
		.amdhsa_fp16_overflow 0
		.amdhsa_workgroup_processor_mode 1
		.amdhsa_memory_ordered 1
		.amdhsa_forward_progress 1
		.amdhsa_shared_vgpr_count 0
		.amdhsa_exception_fp_ieee_invalid_op 0
		.amdhsa_exception_fp_denorm_src 0
		.amdhsa_exception_fp_ieee_div_zero 0
		.amdhsa_exception_fp_ieee_overflow 0
		.amdhsa_exception_fp_ieee_underflow 0
		.amdhsa_exception_fp_ieee_inexact 0
		.amdhsa_exception_int_div_zero 0
	.end_amdhsa_kernel
	.section	.text._ZN7rocprim17ROCPRIM_400000_NS6detail17trampoline_kernelINS0_14default_configENS1_20scan_config_selectorIN3c104HalfEEEZZNS1_9scan_implILNS1_25lookback_scan_determinismE0ELb0ELb0ES3_PKS6_PS6_S6_ZZZN2at6native31launch_logcumsumexp_cuda_kernelERKNSD_10TensorBaseESH_lENKUlvE_clEvENKUlvE3_clEvEUlS6_S6_E_S6_EEDaPvRmT3_T4_T5_mT6_P12ihipStream_tbENKUlT_T0_E_clISt17integral_constantIbLb0EESX_IbLb1EEEEDaST_SU_EUlST_E0_NS1_11comp_targetILNS1_3genE4ELNS1_11target_archE910ELNS1_3gpuE8ELNS1_3repE0EEENS1_30default_config_static_selectorELNS0_4arch9wavefront6targetE0EEEvT1_,"axG",@progbits,_ZN7rocprim17ROCPRIM_400000_NS6detail17trampoline_kernelINS0_14default_configENS1_20scan_config_selectorIN3c104HalfEEEZZNS1_9scan_implILNS1_25lookback_scan_determinismE0ELb0ELb0ES3_PKS6_PS6_S6_ZZZN2at6native31launch_logcumsumexp_cuda_kernelERKNSD_10TensorBaseESH_lENKUlvE_clEvENKUlvE3_clEvEUlS6_S6_E_S6_EEDaPvRmT3_T4_T5_mT6_P12ihipStream_tbENKUlT_T0_E_clISt17integral_constantIbLb0EESX_IbLb1EEEEDaST_SU_EUlST_E0_NS1_11comp_targetILNS1_3genE4ELNS1_11target_archE910ELNS1_3gpuE8ELNS1_3repE0EEENS1_30default_config_static_selectorELNS0_4arch9wavefront6targetE0EEEvT1_,comdat
.Lfunc_end427:
	.size	_ZN7rocprim17ROCPRIM_400000_NS6detail17trampoline_kernelINS0_14default_configENS1_20scan_config_selectorIN3c104HalfEEEZZNS1_9scan_implILNS1_25lookback_scan_determinismE0ELb0ELb0ES3_PKS6_PS6_S6_ZZZN2at6native31launch_logcumsumexp_cuda_kernelERKNSD_10TensorBaseESH_lENKUlvE_clEvENKUlvE3_clEvEUlS6_S6_E_S6_EEDaPvRmT3_T4_T5_mT6_P12ihipStream_tbENKUlT_T0_E_clISt17integral_constantIbLb0EESX_IbLb1EEEEDaST_SU_EUlST_E0_NS1_11comp_targetILNS1_3genE4ELNS1_11target_archE910ELNS1_3gpuE8ELNS1_3repE0EEENS1_30default_config_static_selectorELNS0_4arch9wavefront6targetE0EEEvT1_, .Lfunc_end427-_ZN7rocprim17ROCPRIM_400000_NS6detail17trampoline_kernelINS0_14default_configENS1_20scan_config_selectorIN3c104HalfEEEZZNS1_9scan_implILNS1_25lookback_scan_determinismE0ELb0ELb0ES3_PKS6_PS6_S6_ZZZN2at6native31launch_logcumsumexp_cuda_kernelERKNSD_10TensorBaseESH_lENKUlvE_clEvENKUlvE3_clEvEUlS6_S6_E_S6_EEDaPvRmT3_T4_T5_mT6_P12ihipStream_tbENKUlT_T0_E_clISt17integral_constantIbLb0EESX_IbLb1EEEEDaST_SU_EUlST_E0_NS1_11comp_targetILNS1_3genE4ELNS1_11target_archE910ELNS1_3gpuE8ELNS1_3repE0EEENS1_30default_config_static_selectorELNS0_4arch9wavefront6targetE0EEEvT1_
                                        ; -- End function
	.set _ZN7rocprim17ROCPRIM_400000_NS6detail17trampoline_kernelINS0_14default_configENS1_20scan_config_selectorIN3c104HalfEEEZZNS1_9scan_implILNS1_25lookback_scan_determinismE0ELb0ELb0ES3_PKS6_PS6_S6_ZZZN2at6native31launch_logcumsumexp_cuda_kernelERKNSD_10TensorBaseESH_lENKUlvE_clEvENKUlvE3_clEvEUlS6_S6_E_S6_EEDaPvRmT3_T4_T5_mT6_P12ihipStream_tbENKUlT_T0_E_clISt17integral_constantIbLb0EESX_IbLb1EEEEDaST_SU_EUlST_E0_NS1_11comp_targetILNS1_3genE4ELNS1_11target_archE910ELNS1_3gpuE8ELNS1_3repE0EEENS1_30default_config_static_selectorELNS0_4arch9wavefront6targetE0EEEvT1_.num_vgpr, 0
	.set _ZN7rocprim17ROCPRIM_400000_NS6detail17trampoline_kernelINS0_14default_configENS1_20scan_config_selectorIN3c104HalfEEEZZNS1_9scan_implILNS1_25lookback_scan_determinismE0ELb0ELb0ES3_PKS6_PS6_S6_ZZZN2at6native31launch_logcumsumexp_cuda_kernelERKNSD_10TensorBaseESH_lENKUlvE_clEvENKUlvE3_clEvEUlS6_S6_E_S6_EEDaPvRmT3_T4_T5_mT6_P12ihipStream_tbENKUlT_T0_E_clISt17integral_constantIbLb0EESX_IbLb1EEEEDaST_SU_EUlST_E0_NS1_11comp_targetILNS1_3genE4ELNS1_11target_archE910ELNS1_3gpuE8ELNS1_3repE0EEENS1_30default_config_static_selectorELNS0_4arch9wavefront6targetE0EEEvT1_.num_agpr, 0
	.set _ZN7rocprim17ROCPRIM_400000_NS6detail17trampoline_kernelINS0_14default_configENS1_20scan_config_selectorIN3c104HalfEEEZZNS1_9scan_implILNS1_25lookback_scan_determinismE0ELb0ELb0ES3_PKS6_PS6_S6_ZZZN2at6native31launch_logcumsumexp_cuda_kernelERKNSD_10TensorBaseESH_lENKUlvE_clEvENKUlvE3_clEvEUlS6_S6_E_S6_EEDaPvRmT3_T4_T5_mT6_P12ihipStream_tbENKUlT_T0_E_clISt17integral_constantIbLb0EESX_IbLb1EEEEDaST_SU_EUlST_E0_NS1_11comp_targetILNS1_3genE4ELNS1_11target_archE910ELNS1_3gpuE8ELNS1_3repE0EEENS1_30default_config_static_selectorELNS0_4arch9wavefront6targetE0EEEvT1_.numbered_sgpr, 0
	.set _ZN7rocprim17ROCPRIM_400000_NS6detail17trampoline_kernelINS0_14default_configENS1_20scan_config_selectorIN3c104HalfEEEZZNS1_9scan_implILNS1_25lookback_scan_determinismE0ELb0ELb0ES3_PKS6_PS6_S6_ZZZN2at6native31launch_logcumsumexp_cuda_kernelERKNSD_10TensorBaseESH_lENKUlvE_clEvENKUlvE3_clEvEUlS6_S6_E_S6_EEDaPvRmT3_T4_T5_mT6_P12ihipStream_tbENKUlT_T0_E_clISt17integral_constantIbLb0EESX_IbLb1EEEEDaST_SU_EUlST_E0_NS1_11comp_targetILNS1_3genE4ELNS1_11target_archE910ELNS1_3gpuE8ELNS1_3repE0EEENS1_30default_config_static_selectorELNS0_4arch9wavefront6targetE0EEEvT1_.num_named_barrier, 0
	.set _ZN7rocprim17ROCPRIM_400000_NS6detail17trampoline_kernelINS0_14default_configENS1_20scan_config_selectorIN3c104HalfEEEZZNS1_9scan_implILNS1_25lookback_scan_determinismE0ELb0ELb0ES3_PKS6_PS6_S6_ZZZN2at6native31launch_logcumsumexp_cuda_kernelERKNSD_10TensorBaseESH_lENKUlvE_clEvENKUlvE3_clEvEUlS6_S6_E_S6_EEDaPvRmT3_T4_T5_mT6_P12ihipStream_tbENKUlT_T0_E_clISt17integral_constantIbLb0EESX_IbLb1EEEEDaST_SU_EUlST_E0_NS1_11comp_targetILNS1_3genE4ELNS1_11target_archE910ELNS1_3gpuE8ELNS1_3repE0EEENS1_30default_config_static_selectorELNS0_4arch9wavefront6targetE0EEEvT1_.private_seg_size, 0
	.set _ZN7rocprim17ROCPRIM_400000_NS6detail17trampoline_kernelINS0_14default_configENS1_20scan_config_selectorIN3c104HalfEEEZZNS1_9scan_implILNS1_25lookback_scan_determinismE0ELb0ELb0ES3_PKS6_PS6_S6_ZZZN2at6native31launch_logcumsumexp_cuda_kernelERKNSD_10TensorBaseESH_lENKUlvE_clEvENKUlvE3_clEvEUlS6_S6_E_S6_EEDaPvRmT3_T4_T5_mT6_P12ihipStream_tbENKUlT_T0_E_clISt17integral_constantIbLb0EESX_IbLb1EEEEDaST_SU_EUlST_E0_NS1_11comp_targetILNS1_3genE4ELNS1_11target_archE910ELNS1_3gpuE8ELNS1_3repE0EEENS1_30default_config_static_selectorELNS0_4arch9wavefront6targetE0EEEvT1_.uses_vcc, 0
	.set _ZN7rocprim17ROCPRIM_400000_NS6detail17trampoline_kernelINS0_14default_configENS1_20scan_config_selectorIN3c104HalfEEEZZNS1_9scan_implILNS1_25lookback_scan_determinismE0ELb0ELb0ES3_PKS6_PS6_S6_ZZZN2at6native31launch_logcumsumexp_cuda_kernelERKNSD_10TensorBaseESH_lENKUlvE_clEvENKUlvE3_clEvEUlS6_S6_E_S6_EEDaPvRmT3_T4_T5_mT6_P12ihipStream_tbENKUlT_T0_E_clISt17integral_constantIbLb0EESX_IbLb1EEEEDaST_SU_EUlST_E0_NS1_11comp_targetILNS1_3genE4ELNS1_11target_archE910ELNS1_3gpuE8ELNS1_3repE0EEENS1_30default_config_static_selectorELNS0_4arch9wavefront6targetE0EEEvT1_.uses_flat_scratch, 0
	.set _ZN7rocprim17ROCPRIM_400000_NS6detail17trampoline_kernelINS0_14default_configENS1_20scan_config_selectorIN3c104HalfEEEZZNS1_9scan_implILNS1_25lookback_scan_determinismE0ELb0ELb0ES3_PKS6_PS6_S6_ZZZN2at6native31launch_logcumsumexp_cuda_kernelERKNSD_10TensorBaseESH_lENKUlvE_clEvENKUlvE3_clEvEUlS6_S6_E_S6_EEDaPvRmT3_T4_T5_mT6_P12ihipStream_tbENKUlT_T0_E_clISt17integral_constantIbLb0EESX_IbLb1EEEEDaST_SU_EUlST_E0_NS1_11comp_targetILNS1_3genE4ELNS1_11target_archE910ELNS1_3gpuE8ELNS1_3repE0EEENS1_30default_config_static_selectorELNS0_4arch9wavefront6targetE0EEEvT1_.has_dyn_sized_stack, 0
	.set _ZN7rocprim17ROCPRIM_400000_NS6detail17trampoline_kernelINS0_14default_configENS1_20scan_config_selectorIN3c104HalfEEEZZNS1_9scan_implILNS1_25lookback_scan_determinismE0ELb0ELb0ES3_PKS6_PS6_S6_ZZZN2at6native31launch_logcumsumexp_cuda_kernelERKNSD_10TensorBaseESH_lENKUlvE_clEvENKUlvE3_clEvEUlS6_S6_E_S6_EEDaPvRmT3_T4_T5_mT6_P12ihipStream_tbENKUlT_T0_E_clISt17integral_constantIbLb0EESX_IbLb1EEEEDaST_SU_EUlST_E0_NS1_11comp_targetILNS1_3genE4ELNS1_11target_archE910ELNS1_3gpuE8ELNS1_3repE0EEENS1_30default_config_static_selectorELNS0_4arch9wavefront6targetE0EEEvT1_.has_recursion, 0
	.set _ZN7rocprim17ROCPRIM_400000_NS6detail17trampoline_kernelINS0_14default_configENS1_20scan_config_selectorIN3c104HalfEEEZZNS1_9scan_implILNS1_25lookback_scan_determinismE0ELb0ELb0ES3_PKS6_PS6_S6_ZZZN2at6native31launch_logcumsumexp_cuda_kernelERKNSD_10TensorBaseESH_lENKUlvE_clEvENKUlvE3_clEvEUlS6_S6_E_S6_EEDaPvRmT3_T4_T5_mT6_P12ihipStream_tbENKUlT_T0_E_clISt17integral_constantIbLb0EESX_IbLb1EEEEDaST_SU_EUlST_E0_NS1_11comp_targetILNS1_3genE4ELNS1_11target_archE910ELNS1_3gpuE8ELNS1_3repE0EEENS1_30default_config_static_selectorELNS0_4arch9wavefront6targetE0EEEvT1_.has_indirect_call, 0
	.section	.AMDGPU.csdata,"",@progbits
; Kernel info:
; codeLenInByte = 0
; TotalNumSgprs: 0
; NumVgprs: 0
; ScratchSize: 0
; MemoryBound: 0
; FloatMode: 240
; IeeeMode: 1
; LDSByteSize: 0 bytes/workgroup (compile time only)
; SGPRBlocks: 0
; VGPRBlocks: 0
; NumSGPRsForWavesPerEU: 1
; NumVGPRsForWavesPerEU: 1
; Occupancy: 16
; WaveLimiterHint : 0
; COMPUTE_PGM_RSRC2:SCRATCH_EN: 0
; COMPUTE_PGM_RSRC2:USER_SGPR: 6
; COMPUTE_PGM_RSRC2:TRAP_HANDLER: 0
; COMPUTE_PGM_RSRC2:TGID_X_EN: 1
; COMPUTE_PGM_RSRC2:TGID_Y_EN: 0
; COMPUTE_PGM_RSRC2:TGID_Z_EN: 0
; COMPUTE_PGM_RSRC2:TIDIG_COMP_CNT: 0
	.section	.text._ZN7rocprim17ROCPRIM_400000_NS6detail17trampoline_kernelINS0_14default_configENS1_20scan_config_selectorIN3c104HalfEEEZZNS1_9scan_implILNS1_25lookback_scan_determinismE0ELb0ELb0ES3_PKS6_PS6_S6_ZZZN2at6native31launch_logcumsumexp_cuda_kernelERKNSD_10TensorBaseESH_lENKUlvE_clEvENKUlvE3_clEvEUlS6_S6_E_S6_EEDaPvRmT3_T4_T5_mT6_P12ihipStream_tbENKUlT_T0_E_clISt17integral_constantIbLb0EESX_IbLb1EEEEDaST_SU_EUlST_E0_NS1_11comp_targetILNS1_3genE3ELNS1_11target_archE908ELNS1_3gpuE7ELNS1_3repE0EEENS1_30default_config_static_selectorELNS0_4arch9wavefront6targetE0EEEvT1_,"axG",@progbits,_ZN7rocprim17ROCPRIM_400000_NS6detail17trampoline_kernelINS0_14default_configENS1_20scan_config_selectorIN3c104HalfEEEZZNS1_9scan_implILNS1_25lookback_scan_determinismE0ELb0ELb0ES3_PKS6_PS6_S6_ZZZN2at6native31launch_logcumsumexp_cuda_kernelERKNSD_10TensorBaseESH_lENKUlvE_clEvENKUlvE3_clEvEUlS6_S6_E_S6_EEDaPvRmT3_T4_T5_mT6_P12ihipStream_tbENKUlT_T0_E_clISt17integral_constantIbLb0EESX_IbLb1EEEEDaST_SU_EUlST_E0_NS1_11comp_targetILNS1_3genE3ELNS1_11target_archE908ELNS1_3gpuE7ELNS1_3repE0EEENS1_30default_config_static_selectorELNS0_4arch9wavefront6targetE0EEEvT1_,comdat
	.globl	_ZN7rocprim17ROCPRIM_400000_NS6detail17trampoline_kernelINS0_14default_configENS1_20scan_config_selectorIN3c104HalfEEEZZNS1_9scan_implILNS1_25lookback_scan_determinismE0ELb0ELb0ES3_PKS6_PS6_S6_ZZZN2at6native31launch_logcumsumexp_cuda_kernelERKNSD_10TensorBaseESH_lENKUlvE_clEvENKUlvE3_clEvEUlS6_S6_E_S6_EEDaPvRmT3_T4_T5_mT6_P12ihipStream_tbENKUlT_T0_E_clISt17integral_constantIbLb0EESX_IbLb1EEEEDaST_SU_EUlST_E0_NS1_11comp_targetILNS1_3genE3ELNS1_11target_archE908ELNS1_3gpuE7ELNS1_3repE0EEENS1_30default_config_static_selectorELNS0_4arch9wavefront6targetE0EEEvT1_ ; -- Begin function _ZN7rocprim17ROCPRIM_400000_NS6detail17trampoline_kernelINS0_14default_configENS1_20scan_config_selectorIN3c104HalfEEEZZNS1_9scan_implILNS1_25lookback_scan_determinismE0ELb0ELb0ES3_PKS6_PS6_S6_ZZZN2at6native31launch_logcumsumexp_cuda_kernelERKNSD_10TensorBaseESH_lENKUlvE_clEvENKUlvE3_clEvEUlS6_S6_E_S6_EEDaPvRmT3_T4_T5_mT6_P12ihipStream_tbENKUlT_T0_E_clISt17integral_constantIbLb0EESX_IbLb1EEEEDaST_SU_EUlST_E0_NS1_11comp_targetILNS1_3genE3ELNS1_11target_archE908ELNS1_3gpuE7ELNS1_3repE0EEENS1_30default_config_static_selectorELNS0_4arch9wavefront6targetE0EEEvT1_
	.p2align	8
	.type	_ZN7rocprim17ROCPRIM_400000_NS6detail17trampoline_kernelINS0_14default_configENS1_20scan_config_selectorIN3c104HalfEEEZZNS1_9scan_implILNS1_25lookback_scan_determinismE0ELb0ELb0ES3_PKS6_PS6_S6_ZZZN2at6native31launch_logcumsumexp_cuda_kernelERKNSD_10TensorBaseESH_lENKUlvE_clEvENKUlvE3_clEvEUlS6_S6_E_S6_EEDaPvRmT3_T4_T5_mT6_P12ihipStream_tbENKUlT_T0_E_clISt17integral_constantIbLb0EESX_IbLb1EEEEDaST_SU_EUlST_E0_NS1_11comp_targetILNS1_3genE3ELNS1_11target_archE908ELNS1_3gpuE7ELNS1_3repE0EEENS1_30default_config_static_selectorELNS0_4arch9wavefront6targetE0EEEvT1_,@function
_ZN7rocprim17ROCPRIM_400000_NS6detail17trampoline_kernelINS0_14default_configENS1_20scan_config_selectorIN3c104HalfEEEZZNS1_9scan_implILNS1_25lookback_scan_determinismE0ELb0ELb0ES3_PKS6_PS6_S6_ZZZN2at6native31launch_logcumsumexp_cuda_kernelERKNSD_10TensorBaseESH_lENKUlvE_clEvENKUlvE3_clEvEUlS6_S6_E_S6_EEDaPvRmT3_T4_T5_mT6_P12ihipStream_tbENKUlT_T0_E_clISt17integral_constantIbLb0EESX_IbLb1EEEEDaST_SU_EUlST_E0_NS1_11comp_targetILNS1_3genE3ELNS1_11target_archE908ELNS1_3gpuE7ELNS1_3repE0EEENS1_30default_config_static_selectorELNS0_4arch9wavefront6targetE0EEEvT1_: ; @_ZN7rocprim17ROCPRIM_400000_NS6detail17trampoline_kernelINS0_14default_configENS1_20scan_config_selectorIN3c104HalfEEEZZNS1_9scan_implILNS1_25lookback_scan_determinismE0ELb0ELb0ES3_PKS6_PS6_S6_ZZZN2at6native31launch_logcumsumexp_cuda_kernelERKNSD_10TensorBaseESH_lENKUlvE_clEvENKUlvE3_clEvEUlS6_S6_E_S6_EEDaPvRmT3_T4_T5_mT6_P12ihipStream_tbENKUlT_T0_E_clISt17integral_constantIbLb0EESX_IbLb1EEEEDaST_SU_EUlST_E0_NS1_11comp_targetILNS1_3genE3ELNS1_11target_archE908ELNS1_3gpuE7ELNS1_3repE0EEENS1_30default_config_static_selectorELNS0_4arch9wavefront6targetE0EEEvT1_
; %bb.0:
	.section	.rodata,"a",@progbits
	.p2align	6, 0x0
	.amdhsa_kernel _ZN7rocprim17ROCPRIM_400000_NS6detail17trampoline_kernelINS0_14default_configENS1_20scan_config_selectorIN3c104HalfEEEZZNS1_9scan_implILNS1_25lookback_scan_determinismE0ELb0ELb0ES3_PKS6_PS6_S6_ZZZN2at6native31launch_logcumsumexp_cuda_kernelERKNSD_10TensorBaseESH_lENKUlvE_clEvENKUlvE3_clEvEUlS6_S6_E_S6_EEDaPvRmT3_T4_T5_mT6_P12ihipStream_tbENKUlT_T0_E_clISt17integral_constantIbLb0EESX_IbLb1EEEEDaST_SU_EUlST_E0_NS1_11comp_targetILNS1_3genE3ELNS1_11target_archE908ELNS1_3gpuE7ELNS1_3repE0EEENS1_30default_config_static_selectorELNS0_4arch9wavefront6targetE0EEEvT1_
		.amdhsa_group_segment_fixed_size 0
		.amdhsa_private_segment_fixed_size 0
		.amdhsa_kernarg_size 32
		.amdhsa_user_sgpr_count 6
		.amdhsa_user_sgpr_private_segment_buffer 1
		.amdhsa_user_sgpr_dispatch_ptr 0
		.amdhsa_user_sgpr_queue_ptr 0
		.amdhsa_user_sgpr_kernarg_segment_ptr 1
		.amdhsa_user_sgpr_dispatch_id 0
		.amdhsa_user_sgpr_flat_scratch_init 0
		.amdhsa_user_sgpr_private_segment_size 0
		.amdhsa_wavefront_size32 1
		.amdhsa_uses_dynamic_stack 0
		.amdhsa_system_sgpr_private_segment_wavefront_offset 0
		.amdhsa_system_sgpr_workgroup_id_x 1
		.amdhsa_system_sgpr_workgroup_id_y 0
		.amdhsa_system_sgpr_workgroup_id_z 0
		.amdhsa_system_sgpr_workgroup_info 0
		.amdhsa_system_vgpr_workitem_id 0
		.amdhsa_next_free_vgpr 1
		.amdhsa_next_free_sgpr 1
		.amdhsa_reserve_vcc 0
		.amdhsa_reserve_flat_scratch 0
		.amdhsa_float_round_mode_32 0
		.amdhsa_float_round_mode_16_64 0
		.amdhsa_float_denorm_mode_32 3
		.amdhsa_float_denorm_mode_16_64 3
		.amdhsa_dx10_clamp 1
		.amdhsa_ieee_mode 1
		.amdhsa_fp16_overflow 0
		.amdhsa_workgroup_processor_mode 1
		.amdhsa_memory_ordered 1
		.amdhsa_forward_progress 1
		.amdhsa_shared_vgpr_count 0
		.amdhsa_exception_fp_ieee_invalid_op 0
		.amdhsa_exception_fp_denorm_src 0
		.amdhsa_exception_fp_ieee_div_zero 0
		.amdhsa_exception_fp_ieee_overflow 0
		.amdhsa_exception_fp_ieee_underflow 0
		.amdhsa_exception_fp_ieee_inexact 0
		.amdhsa_exception_int_div_zero 0
	.end_amdhsa_kernel
	.section	.text._ZN7rocprim17ROCPRIM_400000_NS6detail17trampoline_kernelINS0_14default_configENS1_20scan_config_selectorIN3c104HalfEEEZZNS1_9scan_implILNS1_25lookback_scan_determinismE0ELb0ELb0ES3_PKS6_PS6_S6_ZZZN2at6native31launch_logcumsumexp_cuda_kernelERKNSD_10TensorBaseESH_lENKUlvE_clEvENKUlvE3_clEvEUlS6_S6_E_S6_EEDaPvRmT3_T4_T5_mT6_P12ihipStream_tbENKUlT_T0_E_clISt17integral_constantIbLb0EESX_IbLb1EEEEDaST_SU_EUlST_E0_NS1_11comp_targetILNS1_3genE3ELNS1_11target_archE908ELNS1_3gpuE7ELNS1_3repE0EEENS1_30default_config_static_selectorELNS0_4arch9wavefront6targetE0EEEvT1_,"axG",@progbits,_ZN7rocprim17ROCPRIM_400000_NS6detail17trampoline_kernelINS0_14default_configENS1_20scan_config_selectorIN3c104HalfEEEZZNS1_9scan_implILNS1_25lookback_scan_determinismE0ELb0ELb0ES3_PKS6_PS6_S6_ZZZN2at6native31launch_logcumsumexp_cuda_kernelERKNSD_10TensorBaseESH_lENKUlvE_clEvENKUlvE3_clEvEUlS6_S6_E_S6_EEDaPvRmT3_T4_T5_mT6_P12ihipStream_tbENKUlT_T0_E_clISt17integral_constantIbLb0EESX_IbLb1EEEEDaST_SU_EUlST_E0_NS1_11comp_targetILNS1_3genE3ELNS1_11target_archE908ELNS1_3gpuE7ELNS1_3repE0EEENS1_30default_config_static_selectorELNS0_4arch9wavefront6targetE0EEEvT1_,comdat
.Lfunc_end428:
	.size	_ZN7rocprim17ROCPRIM_400000_NS6detail17trampoline_kernelINS0_14default_configENS1_20scan_config_selectorIN3c104HalfEEEZZNS1_9scan_implILNS1_25lookback_scan_determinismE0ELb0ELb0ES3_PKS6_PS6_S6_ZZZN2at6native31launch_logcumsumexp_cuda_kernelERKNSD_10TensorBaseESH_lENKUlvE_clEvENKUlvE3_clEvEUlS6_S6_E_S6_EEDaPvRmT3_T4_T5_mT6_P12ihipStream_tbENKUlT_T0_E_clISt17integral_constantIbLb0EESX_IbLb1EEEEDaST_SU_EUlST_E0_NS1_11comp_targetILNS1_3genE3ELNS1_11target_archE908ELNS1_3gpuE7ELNS1_3repE0EEENS1_30default_config_static_selectorELNS0_4arch9wavefront6targetE0EEEvT1_, .Lfunc_end428-_ZN7rocprim17ROCPRIM_400000_NS6detail17trampoline_kernelINS0_14default_configENS1_20scan_config_selectorIN3c104HalfEEEZZNS1_9scan_implILNS1_25lookback_scan_determinismE0ELb0ELb0ES3_PKS6_PS6_S6_ZZZN2at6native31launch_logcumsumexp_cuda_kernelERKNSD_10TensorBaseESH_lENKUlvE_clEvENKUlvE3_clEvEUlS6_S6_E_S6_EEDaPvRmT3_T4_T5_mT6_P12ihipStream_tbENKUlT_T0_E_clISt17integral_constantIbLb0EESX_IbLb1EEEEDaST_SU_EUlST_E0_NS1_11comp_targetILNS1_3genE3ELNS1_11target_archE908ELNS1_3gpuE7ELNS1_3repE0EEENS1_30default_config_static_selectorELNS0_4arch9wavefront6targetE0EEEvT1_
                                        ; -- End function
	.set _ZN7rocprim17ROCPRIM_400000_NS6detail17trampoline_kernelINS0_14default_configENS1_20scan_config_selectorIN3c104HalfEEEZZNS1_9scan_implILNS1_25lookback_scan_determinismE0ELb0ELb0ES3_PKS6_PS6_S6_ZZZN2at6native31launch_logcumsumexp_cuda_kernelERKNSD_10TensorBaseESH_lENKUlvE_clEvENKUlvE3_clEvEUlS6_S6_E_S6_EEDaPvRmT3_T4_T5_mT6_P12ihipStream_tbENKUlT_T0_E_clISt17integral_constantIbLb0EESX_IbLb1EEEEDaST_SU_EUlST_E0_NS1_11comp_targetILNS1_3genE3ELNS1_11target_archE908ELNS1_3gpuE7ELNS1_3repE0EEENS1_30default_config_static_selectorELNS0_4arch9wavefront6targetE0EEEvT1_.num_vgpr, 0
	.set _ZN7rocprim17ROCPRIM_400000_NS6detail17trampoline_kernelINS0_14default_configENS1_20scan_config_selectorIN3c104HalfEEEZZNS1_9scan_implILNS1_25lookback_scan_determinismE0ELb0ELb0ES3_PKS6_PS6_S6_ZZZN2at6native31launch_logcumsumexp_cuda_kernelERKNSD_10TensorBaseESH_lENKUlvE_clEvENKUlvE3_clEvEUlS6_S6_E_S6_EEDaPvRmT3_T4_T5_mT6_P12ihipStream_tbENKUlT_T0_E_clISt17integral_constantIbLb0EESX_IbLb1EEEEDaST_SU_EUlST_E0_NS1_11comp_targetILNS1_3genE3ELNS1_11target_archE908ELNS1_3gpuE7ELNS1_3repE0EEENS1_30default_config_static_selectorELNS0_4arch9wavefront6targetE0EEEvT1_.num_agpr, 0
	.set _ZN7rocprim17ROCPRIM_400000_NS6detail17trampoline_kernelINS0_14default_configENS1_20scan_config_selectorIN3c104HalfEEEZZNS1_9scan_implILNS1_25lookback_scan_determinismE0ELb0ELb0ES3_PKS6_PS6_S6_ZZZN2at6native31launch_logcumsumexp_cuda_kernelERKNSD_10TensorBaseESH_lENKUlvE_clEvENKUlvE3_clEvEUlS6_S6_E_S6_EEDaPvRmT3_T4_T5_mT6_P12ihipStream_tbENKUlT_T0_E_clISt17integral_constantIbLb0EESX_IbLb1EEEEDaST_SU_EUlST_E0_NS1_11comp_targetILNS1_3genE3ELNS1_11target_archE908ELNS1_3gpuE7ELNS1_3repE0EEENS1_30default_config_static_selectorELNS0_4arch9wavefront6targetE0EEEvT1_.numbered_sgpr, 0
	.set _ZN7rocprim17ROCPRIM_400000_NS6detail17trampoline_kernelINS0_14default_configENS1_20scan_config_selectorIN3c104HalfEEEZZNS1_9scan_implILNS1_25lookback_scan_determinismE0ELb0ELb0ES3_PKS6_PS6_S6_ZZZN2at6native31launch_logcumsumexp_cuda_kernelERKNSD_10TensorBaseESH_lENKUlvE_clEvENKUlvE3_clEvEUlS6_S6_E_S6_EEDaPvRmT3_T4_T5_mT6_P12ihipStream_tbENKUlT_T0_E_clISt17integral_constantIbLb0EESX_IbLb1EEEEDaST_SU_EUlST_E0_NS1_11comp_targetILNS1_3genE3ELNS1_11target_archE908ELNS1_3gpuE7ELNS1_3repE0EEENS1_30default_config_static_selectorELNS0_4arch9wavefront6targetE0EEEvT1_.num_named_barrier, 0
	.set _ZN7rocprim17ROCPRIM_400000_NS6detail17trampoline_kernelINS0_14default_configENS1_20scan_config_selectorIN3c104HalfEEEZZNS1_9scan_implILNS1_25lookback_scan_determinismE0ELb0ELb0ES3_PKS6_PS6_S6_ZZZN2at6native31launch_logcumsumexp_cuda_kernelERKNSD_10TensorBaseESH_lENKUlvE_clEvENKUlvE3_clEvEUlS6_S6_E_S6_EEDaPvRmT3_T4_T5_mT6_P12ihipStream_tbENKUlT_T0_E_clISt17integral_constantIbLb0EESX_IbLb1EEEEDaST_SU_EUlST_E0_NS1_11comp_targetILNS1_3genE3ELNS1_11target_archE908ELNS1_3gpuE7ELNS1_3repE0EEENS1_30default_config_static_selectorELNS0_4arch9wavefront6targetE0EEEvT1_.private_seg_size, 0
	.set _ZN7rocprim17ROCPRIM_400000_NS6detail17trampoline_kernelINS0_14default_configENS1_20scan_config_selectorIN3c104HalfEEEZZNS1_9scan_implILNS1_25lookback_scan_determinismE0ELb0ELb0ES3_PKS6_PS6_S6_ZZZN2at6native31launch_logcumsumexp_cuda_kernelERKNSD_10TensorBaseESH_lENKUlvE_clEvENKUlvE3_clEvEUlS6_S6_E_S6_EEDaPvRmT3_T4_T5_mT6_P12ihipStream_tbENKUlT_T0_E_clISt17integral_constantIbLb0EESX_IbLb1EEEEDaST_SU_EUlST_E0_NS1_11comp_targetILNS1_3genE3ELNS1_11target_archE908ELNS1_3gpuE7ELNS1_3repE0EEENS1_30default_config_static_selectorELNS0_4arch9wavefront6targetE0EEEvT1_.uses_vcc, 0
	.set _ZN7rocprim17ROCPRIM_400000_NS6detail17trampoline_kernelINS0_14default_configENS1_20scan_config_selectorIN3c104HalfEEEZZNS1_9scan_implILNS1_25lookback_scan_determinismE0ELb0ELb0ES3_PKS6_PS6_S6_ZZZN2at6native31launch_logcumsumexp_cuda_kernelERKNSD_10TensorBaseESH_lENKUlvE_clEvENKUlvE3_clEvEUlS6_S6_E_S6_EEDaPvRmT3_T4_T5_mT6_P12ihipStream_tbENKUlT_T0_E_clISt17integral_constantIbLb0EESX_IbLb1EEEEDaST_SU_EUlST_E0_NS1_11comp_targetILNS1_3genE3ELNS1_11target_archE908ELNS1_3gpuE7ELNS1_3repE0EEENS1_30default_config_static_selectorELNS0_4arch9wavefront6targetE0EEEvT1_.uses_flat_scratch, 0
	.set _ZN7rocprim17ROCPRIM_400000_NS6detail17trampoline_kernelINS0_14default_configENS1_20scan_config_selectorIN3c104HalfEEEZZNS1_9scan_implILNS1_25lookback_scan_determinismE0ELb0ELb0ES3_PKS6_PS6_S6_ZZZN2at6native31launch_logcumsumexp_cuda_kernelERKNSD_10TensorBaseESH_lENKUlvE_clEvENKUlvE3_clEvEUlS6_S6_E_S6_EEDaPvRmT3_T4_T5_mT6_P12ihipStream_tbENKUlT_T0_E_clISt17integral_constantIbLb0EESX_IbLb1EEEEDaST_SU_EUlST_E0_NS1_11comp_targetILNS1_3genE3ELNS1_11target_archE908ELNS1_3gpuE7ELNS1_3repE0EEENS1_30default_config_static_selectorELNS0_4arch9wavefront6targetE0EEEvT1_.has_dyn_sized_stack, 0
	.set _ZN7rocprim17ROCPRIM_400000_NS6detail17trampoline_kernelINS0_14default_configENS1_20scan_config_selectorIN3c104HalfEEEZZNS1_9scan_implILNS1_25lookback_scan_determinismE0ELb0ELb0ES3_PKS6_PS6_S6_ZZZN2at6native31launch_logcumsumexp_cuda_kernelERKNSD_10TensorBaseESH_lENKUlvE_clEvENKUlvE3_clEvEUlS6_S6_E_S6_EEDaPvRmT3_T4_T5_mT6_P12ihipStream_tbENKUlT_T0_E_clISt17integral_constantIbLb0EESX_IbLb1EEEEDaST_SU_EUlST_E0_NS1_11comp_targetILNS1_3genE3ELNS1_11target_archE908ELNS1_3gpuE7ELNS1_3repE0EEENS1_30default_config_static_selectorELNS0_4arch9wavefront6targetE0EEEvT1_.has_recursion, 0
	.set _ZN7rocprim17ROCPRIM_400000_NS6detail17trampoline_kernelINS0_14default_configENS1_20scan_config_selectorIN3c104HalfEEEZZNS1_9scan_implILNS1_25lookback_scan_determinismE0ELb0ELb0ES3_PKS6_PS6_S6_ZZZN2at6native31launch_logcumsumexp_cuda_kernelERKNSD_10TensorBaseESH_lENKUlvE_clEvENKUlvE3_clEvEUlS6_S6_E_S6_EEDaPvRmT3_T4_T5_mT6_P12ihipStream_tbENKUlT_T0_E_clISt17integral_constantIbLb0EESX_IbLb1EEEEDaST_SU_EUlST_E0_NS1_11comp_targetILNS1_3genE3ELNS1_11target_archE908ELNS1_3gpuE7ELNS1_3repE0EEENS1_30default_config_static_selectorELNS0_4arch9wavefront6targetE0EEEvT1_.has_indirect_call, 0
	.section	.AMDGPU.csdata,"",@progbits
; Kernel info:
; codeLenInByte = 0
; TotalNumSgprs: 0
; NumVgprs: 0
; ScratchSize: 0
; MemoryBound: 0
; FloatMode: 240
; IeeeMode: 1
; LDSByteSize: 0 bytes/workgroup (compile time only)
; SGPRBlocks: 0
; VGPRBlocks: 0
; NumSGPRsForWavesPerEU: 1
; NumVGPRsForWavesPerEU: 1
; Occupancy: 16
; WaveLimiterHint : 0
; COMPUTE_PGM_RSRC2:SCRATCH_EN: 0
; COMPUTE_PGM_RSRC2:USER_SGPR: 6
; COMPUTE_PGM_RSRC2:TRAP_HANDLER: 0
; COMPUTE_PGM_RSRC2:TGID_X_EN: 1
; COMPUTE_PGM_RSRC2:TGID_Y_EN: 0
; COMPUTE_PGM_RSRC2:TGID_Z_EN: 0
; COMPUTE_PGM_RSRC2:TIDIG_COMP_CNT: 0
	.section	.text._ZN7rocprim17ROCPRIM_400000_NS6detail17trampoline_kernelINS0_14default_configENS1_20scan_config_selectorIN3c104HalfEEEZZNS1_9scan_implILNS1_25lookback_scan_determinismE0ELb0ELb0ES3_PKS6_PS6_S6_ZZZN2at6native31launch_logcumsumexp_cuda_kernelERKNSD_10TensorBaseESH_lENKUlvE_clEvENKUlvE3_clEvEUlS6_S6_E_S6_EEDaPvRmT3_T4_T5_mT6_P12ihipStream_tbENKUlT_T0_E_clISt17integral_constantIbLb0EESX_IbLb1EEEEDaST_SU_EUlST_E0_NS1_11comp_targetILNS1_3genE2ELNS1_11target_archE906ELNS1_3gpuE6ELNS1_3repE0EEENS1_30default_config_static_selectorELNS0_4arch9wavefront6targetE0EEEvT1_,"axG",@progbits,_ZN7rocprim17ROCPRIM_400000_NS6detail17trampoline_kernelINS0_14default_configENS1_20scan_config_selectorIN3c104HalfEEEZZNS1_9scan_implILNS1_25lookback_scan_determinismE0ELb0ELb0ES3_PKS6_PS6_S6_ZZZN2at6native31launch_logcumsumexp_cuda_kernelERKNSD_10TensorBaseESH_lENKUlvE_clEvENKUlvE3_clEvEUlS6_S6_E_S6_EEDaPvRmT3_T4_T5_mT6_P12ihipStream_tbENKUlT_T0_E_clISt17integral_constantIbLb0EESX_IbLb1EEEEDaST_SU_EUlST_E0_NS1_11comp_targetILNS1_3genE2ELNS1_11target_archE906ELNS1_3gpuE6ELNS1_3repE0EEENS1_30default_config_static_selectorELNS0_4arch9wavefront6targetE0EEEvT1_,comdat
	.globl	_ZN7rocprim17ROCPRIM_400000_NS6detail17trampoline_kernelINS0_14default_configENS1_20scan_config_selectorIN3c104HalfEEEZZNS1_9scan_implILNS1_25lookback_scan_determinismE0ELb0ELb0ES3_PKS6_PS6_S6_ZZZN2at6native31launch_logcumsumexp_cuda_kernelERKNSD_10TensorBaseESH_lENKUlvE_clEvENKUlvE3_clEvEUlS6_S6_E_S6_EEDaPvRmT3_T4_T5_mT6_P12ihipStream_tbENKUlT_T0_E_clISt17integral_constantIbLb0EESX_IbLb1EEEEDaST_SU_EUlST_E0_NS1_11comp_targetILNS1_3genE2ELNS1_11target_archE906ELNS1_3gpuE6ELNS1_3repE0EEENS1_30default_config_static_selectorELNS0_4arch9wavefront6targetE0EEEvT1_ ; -- Begin function _ZN7rocprim17ROCPRIM_400000_NS6detail17trampoline_kernelINS0_14default_configENS1_20scan_config_selectorIN3c104HalfEEEZZNS1_9scan_implILNS1_25lookback_scan_determinismE0ELb0ELb0ES3_PKS6_PS6_S6_ZZZN2at6native31launch_logcumsumexp_cuda_kernelERKNSD_10TensorBaseESH_lENKUlvE_clEvENKUlvE3_clEvEUlS6_S6_E_S6_EEDaPvRmT3_T4_T5_mT6_P12ihipStream_tbENKUlT_T0_E_clISt17integral_constantIbLb0EESX_IbLb1EEEEDaST_SU_EUlST_E0_NS1_11comp_targetILNS1_3genE2ELNS1_11target_archE906ELNS1_3gpuE6ELNS1_3repE0EEENS1_30default_config_static_selectorELNS0_4arch9wavefront6targetE0EEEvT1_
	.p2align	8
	.type	_ZN7rocprim17ROCPRIM_400000_NS6detail17trampoline_kernelINS0_14default_configENS1_20scan_config_selectorIN3c104HalfEEEZZNS1_9scan_implILNS1_25lookback_scan_determinismE0ELb0ELb0ES3_PKS6_PS6_S6_ZZZN2at6native31launch_logcumsumexp_cuda_kernelERKNSD_10TensorBaseESH_lENKUlvE_clEvENKUlvE3_clEvEUlS6_S6_E_S6_EEDaPvRmT3_T4_T5_mT6_P12ihipStream_tbENKUlT_T0_E_clISt17integral_constantIbLb0EESX_IbLb1EEEEDaST_SU_EUlST_E0_NS1_11comp_targetILNS1_3genE2ELNS1_11target_archE906ELNS1_3gpuE6ELNS1_3repE0EEENS1_30default_config_static_selectorELNS0_4arch9wavefront6targetE0EEEvT1_,@function
_ZN7rocprim17ROCPRIM_400000_NS6detail17trampoline_kernelINS0_14default_configENS1_20scan_config_selectorIN3c104HalfEEEZZNS1_9scan_implILNS1_25lookback_scan_determinismE0ELb0ELb0ES3_PKS6_PS6_S6_ZZZN2at6native31launch_logcumsumexp_cuda_kernelERKNSD_10TensorBaseESH_lENKUlvE_clEvENKUlvE3_clEvEUlS6_S6_E_S6_EEDaPvRmT3_T4_T5_mT6_P12ihipStream_tbENKUlT_T0_E_clISt17integral_constantIbLb0EESX_IbLb1EEEEDaST_SU_EUlST_E0_NS1_11comp_targetILNS1_3genE2ELNS1_11target_archE906ELNS1_3gpuE6ELNS1_3repE0EEENS1_30default_config_static_selectorELNS0_4arch9wavefront6targetE0EEEvT1_: ; @_ZN7rocprim17ROCPRIM_400000_NS6detail17trampoline_kernelINS0_14default_configENS1_20scan_config_selectorIN3c104HalfEEEZZNS1_9scan_implILNS1_25lookback_scan_determinismE0ELb0ELb0ES3_PKS6_PS6_S6_ZZZN2at6native31launch_logcumsumexp_cuda_kernelERKNSD_10TensorBaseESH_lENKUlvE_clEvENKUlvE3_clEvEUlS6_S6_E_S6_EEDaPvRmT3_T4_T5_mT6_P12ihipStream_tbENKUlT_T0_E_clISt17integral_constantIbLb0EESX_IbLb1EEEEDaST_SU_EUlST_E0_NS1_11comp_targetILNS1_3genE2ELNS1_11target_archE906ELNS1_3gpuE6ELNS1_3repE0EEENS1_30default_config_static_selectorELNS0_4arch9wavefront6targetE0EEEvT1_
; %bb.0:
	.section	.rodata,"a",@progbits
	.p2align	6, 0x0
	.amdhsa_kernel _ZN7rocprim17ROCPRIM_400000_NS6detail17trampoline_kernelINS0_14default_configENS1_20scan_config_selectorIN3c104HalfEEEZZNS1_9scan_implILNS1_25lookback_scan_determinismE0ELb0ELb0ES3_PKS6_PS6_S6_ZZZN2at6native31launch_logcumsumexp_cuda_kernelERKNSD_10TensorBaseESH_lENKUlvE_clEvENKUlvE3_clEvEUlS6_S6_E_S6_EEDaPvRmT3_T4_T5_mT6_P12ihipStream_tbENKUlT_T0_E_clISt17integral_constantIbLb0EESX_IbLb1EEEEDaST_SU_EUlST_E0_NS1_11comp_targetILNS1_3genE2ELNS1_11target_archE906ELNS1_3gpuE6ELNS1_3repE0EEENS1_30default_config_static_selectorELNS0_4arch9wavefront6targetE0EEEvT1_
		.amdhsa_group_segment_fixed_size 0
		.amdhsa_private_segment_fixed_size 0
		.amdhsa_kernarg_size 32
		.amdhsa_user_sgpr_count 6
		.amdhsa_user_sgpr_private_segment_buffer 1
		.amdhsa_user_sgpr_dispatch_ptr 0
		.amdhsa_user_sgpr_queue_ptr 0
		.amdhsa_user_sgpr_kernarg_segment_ptr 1
		.amdhsa_user_sgpr_dispatch_id 0
		.amdhsa_user_sgpr_flat_scratch_init 0
		.amdhsa_user_sgpr_private_segment_size 0
		.amdhsa_wavefront_size32 1
		.amdhsa_uses_dynamic_stack 0
		.amdhsa_system_sgpr_private_segment_wavefront_offset 0
		.amdhsa_system_sgpr_workgroup_id_x 1
		.amdhsa_system_sgpr_workgroup_id_y 0
		.amdhsa_system_sgpr_workgroup_id_z 0
		.amdhsa_system_sgpr_workgroup_info 0
		.amdhsa_system_vgpr_workitem_id 0
		.amdhsa_next_free_vgpr 1
		.amdhsa_next_free_sgpr 1
		.amdhsa_reserve_vcc 0
		.amdhsa_reserve_flat_scratch 0
		.amdhsa_float_round_mode_32 0
		.amdhsa_float_round_mode_16_64 0
		.amdhsa_float_denorm_mode_32 3
		.amdhsa_float_denorm_mode_16_64 3
		.amdhsa_dx10_clamp 1
		.amdhsa_ieee_mode 1
		.amdhsa_fp16_overflow 0
		.amdhsa_workgroup_processor_mode 1
		.amdhsa_memory_ordered 1
		.amdhsa_forward_progress 1
		.amdhsa_shared_vgpr_count 0
		.amdhsa_exception_fp_ieee_invalid_op 0
		.amdhsa_exception_fp_denorm_src 0
		.amdhsa_exception_fp_ieee_div_zero 0
		.amdhsa_exception_fp_ieee_overflow 0
		.amdhsa_exception_fp_ieee_underflow 0
		.amdhsa_exception_fp_ieee_inexact 0
		.amdhsa_exception_int_div_zero 0
	.end_amdhsa_kernel
	.section	.text._ZN7rocprim17ROCPRIM_400000_NS6detail17trampoline_kernelINS0_14default_configENS1_20scan_config_selectorIN3c104HalfEEEZZNS1_9scan_implILNS1_25lookback_scan_determinismE0ELb0ELb0ES3_PKS6_PS6_S6_ZZZN2at6native31launch_logcumsumexp_cuda_kernelERKNSD_10TensorBaseESH_lENKUlvE_clEvENKUlvE3_clEvEUlS6_S6_E_S6_EEDaPvRmT3_T4_T5_mT6_P12ihipStream_tbENKUlT_T0_E_clISt17integral_constantIbLb0EESX_IbLb1EEEEDaST_SU_EUlST_E0_NS1_11comp_targetILNS1_3genE2ELNS1_11target_archE906ELNS1_3gpuE6ELNS1_3repE0EEENS1_30default_config_static_selectorELNS0_4arch9wavefront6targetE0EEEvT1_,"axG",@progbits,_ZN7rocprim17ROCPRIM_400000_NS6detail17trampoline_kernelINS0_14default_configENS1_20scan_config_selectorIN3c104HalfEEEZZNS1_9scan_implILNS1_25lookback_scan_determinismE0ELb0ELb0ES3_PKS6_PS6_S6_ZZZN2at6native31launch_logcumsumexp_cuda_kernelERKNSD_10TensorBaseESH_lENKUlvE_clEvENKUlvE3_clEvEUlS6_S6_E_S6_EEDaPvRmT3_T4_T5_mT6_P12ihipStream_tbENKUlT_T0_E_clISt17integral_constantIbLb0EESX_IbLb1EEEEDaST_SU_EUlST_E0_NS1_11comp_targetILNS1_3genE2ELNS1_11target_archE906ELNS1_3gpuE6ELNS1_3repE0EEENS1_30default_config_static_selectorELNS0_4arch9wavefront6targetE0EEEvT1_,comdat
.Lfunc_end429:
	.size	_ZN7rocprim17ROCPRIM_400000_NS6detail17trampoline_kernelINS0_14default_configENS1_20scan_config_selectorIN3c104HalfEEEZZNS1_9scan_implILNS1_25lookback_scan_determinismE0ELb0ELb0ES3_PKS6_PS6_S6_ZZZN2at6native31launch_logcumsumexp_cuda_kernelERKNSD_10TensorBaseESH_lENKUlvE_clEvENKUlvE3_clEvEUlS6_S6_E_S6_EEDaPvRmT3_T4_T5_mT6_P12ihipStream_tbENKUlT_T0_E_clISt17integral_constantIbLb0EESX_IbLb1EEEEDaST_SU_EUlST_E0_NS1_11comp_targetILNS1_3genE2ELNS1_11target_archE906ELNS1_3gpuE6ELNS1_3repE0EEENS1_30default_config_static_selectorELNS0_4arch9wavefront6targetE0EEEvT1_, .Lfunc_end429-_ZN7rocprim17ROCPRIM_400000_NS6detail17trampoline_kernelINS0_14default_configENS1_20scan_config_selectorIN3c104HalfEEEZZNS1_9scan_implILNS1_25lookback_scan_determinismE0ELb0ELb0ES3_PKS6_PS6_S6_ZZZN2at6native31launch_logcumsumexp_cuda_kernelERKNSD_10TensorBaseESH_lENKUlvE_clEvENKUlvE3_clEvEUlS6_S6_E_S6_EEDaPvRmT3_T4_T5_mT6_P12ihipStream_tbENKUlT_T0_E_clISt17integral_constantIbLb0EESX_IbLb1EEEEDaST_SU_EUlST_E0_NS1_11comp_targetILNS1_3genE2ELNS1_11target_archE906ELNS1_3gpuE6ELNS1_3repE0EEENS1_30default_config_static_selectorELNS0_4arch9wavefront6targetE0EEEvT1_
                                        ; -- End function
	.set _ZN7rocprim17ROCPRIM_400000_NS6detail17trampoline_kernelINS0_14default_configENS1_20scan_config_selectorIN3c104HalfEEEZZNS1_9scan_implILNS1_25lookback_scan_determinismE0ELb0ELb0ES3_PKS6_PS6_S6_ZZZN2at6native31launch_logcumsumexp_cuda_kernelERKNSD_10TensorBaseESH_lENKUlvE_clEvENKUlvE3_clEvEUlS6_S6_E_S6_EEDaPvRmT3_T4_T5_mT6_P12ihipStream_tbENKUlT_T0_E_clISt17integral_constantIbLb0EESX_IbLb1EEEEDaST_SU_EUlST_E0_NS1_11comp_targetILNS1_3genE2ELNS1_11target_archE906ELNS1_3gpuE6ELNS1_3repE0EEENS1_30default_config_static_selectorELNS0_4arch9wavefront6targetE0EEEvT1_.num_vgpr, 0
	.set _ZN7rocprim17ROCPRIM_400000_NS6detail17trampoline_kernelINS0_14default_configENS1_20scan_config_selectorIN3c104HalfEEEZZNS1_9scan_implILNS1_25lookback_scan_determinismE0ELb0ELb0ES3_PKS6_PS6_S6_ZZZN2at6native31launch_logcumsumexp_cuda_kernelERKNSD_10TensorBaseESH_lENKUlvE_clEvENKUlvE3_clEvEUlS6_S6_E_S6_EEDaPvRmT3_T4_T5_mT6_P12ihipStream_tbENKUlT_T0_E_clISt17integral_constantIbLb0EESX_IbLb1EEEEDaST_SU_EUlST_E0_NS1_11comp_targetILNS1_3genE2ELNS1_11target_archE906ELNS1_3gpuE6ELNS1_3repE0EEENS1_30default_config_static_selectorELNS0_4arch9wavefront6targetE0EEEvT1_.num_agpr, 0
	.set _ZN7rocprim17ROCPRIM_400000_NS6detail17trampoline_kernelINS0_14default_configENS1_20scan_config_selectorIN3c104HalfEEEZZNS1_9scan_implILNS1_25lookback_scan_determinismE0ELb0ELb0ES3_PKS6_PS6_S6_ZZZN2at6native31launch_logcumsumexp_cuda_kernelERKNSD_10TensorBaseESH_lENKUlvE_clEvENKUlvE3_clEvEUlS6_S6_E_S6_EEDaPvRmT3_T4_T5_mT6_P12ihipStream_tbENKUlT_T0_E_clISt17integral_constantIbLb0EESX_IbLb1EEEEDaST_SU_EUlST_E0_NS1_11comp_targetILNS1_3genE2ELNS1_11target_archE906ELNS1_3gpuE6ELNS1_3repE0EEENS1_30default_config_static_selectorELNS0_4arch9wavefront6targetE0EEEvT1_.numbered_sgpr, 0
	.set _ZN7rocprim17ROCPRIM_400000_NS6detail17trampoline_kernelINS0_14default_configENS1_20scan_config_selectorIN3c104HalfEEEZZNS1_9scan_implILNS1_25lookback_scan_determinismE0ELb0ELb0ES3_PKS6_PS6_S6_ZZZN2at6native31launch_logcumsumexp_cuda_kernelERKNSD_10TensorBaseESH_lENKUlvE_clEvENKUlvE3_clEvEUlS6_S6_E_S6_EEDaPvRmT3_T4_T5_mT6_P12ihipStream_tbENKUlT_T0_E_clISt17integral_constantIbLb0EESX_IbLb1EEEEDaST_SU_EUlST_E0_NS1_11comp_targetILNS1_3genE2ELNS1_11target_archE906ELNS1_3gpuE6ELNS1_3repE0EEENS1_30default_config_static_selectorELNS0_4arch9wavefront6targetE0EEEvT1_.num_named_barrier, 0
	.set _ZN7rocprim17ROCPRIM_400000_NS6detail17trampoline_kernelINS0_14default_configENS1_20scan_config_selectorIN3c104HalfEEEZZNS1_9scan_implILNS1_25lookback_scan_determinismE0ELb0ELb0ES3_PKS6_PS6_S6_ZZZN2at6native31launch_logcumsumexp_cuda_kernelERKNSD_10TensorBaseESH_lENKUlvE_clEvENKUlvE3_clEvEUlS6_S6_E_S6_EEDaPvRmT3_T4_T5_mT6_P12ihipStream_tbENKUlT_T0_E_clISt17integral_constantIbLb0EESX_IbLb1EEEEDaST_SU_EUlST_E0_NS1_11comp_targetILNS1_3genE2ELNS1_11target_archE906ELNS1_3gpuE6ELNS1_3repE0EEENS1_30default_config_static_selectorELNS0_4arch9wavefront6targetE0EEEvT1_.private_seg_size, 0
	.set _ZN7rocprim17ROCPRIM_400000_NS6detail17trampoline_kernelINS0_14default_configENS1_20scan_config_selectorIN3c104HalfEEEZZNS1_9scan_implILNS1_25lookback_scan_determinismE0ELb0ELb0ES3_PKS6_PS6_S6_ZZZN2at6native31launch_logcumsumexp_cuda_kernelERKNSD_10TensorBaseESH_lENKUlvE_clEvENKUlvE3_clEvEUlS6_S6_E_S6_EEDaPvRmT3_T4_T5_mT6_P12ihipStream_tbENKUlT_T0_E_clISt17integral_constantIbLb0EESX_IbLb1EEEEDaST_SU_EUlST_E0_NS1_11comp_targetILNS1_3genE2ELNS1_11target_archE906ELNS1_3gpuE6ELNS1_3repE0EEENS1_30default_config_static_selectorELNS0_4arch9wavefront6targetE0EEEvT1_.uses_vcc, 0
	.set _ZN7rocprim17ROCPRIM_400000_NS6detail17trampoline_kernelINS0_14default_configENS1_20scan_config_selectorIN3c104HalfEEEZZNS1_9scan_implILNS1_25lookback_scan_determinismE0ELb0ELb0ES3_PKS6_PS6_S6_ZZZN2at6native31launch_logcumsumexp_cuda_kernelERKNSD_10TensorBaseESH_lENKUlvE_clEvENKUlvE3_clEvEUlS6_S6_E_S6_EEDaPvRmT3_T4_T5_mT6_P12ihipStream_tbENKUlT_T0_E_clISt17integral_constantIbLb0EESX_IbLb1EEEEDaST_SU_EUlST_E0_NS1_11comp_targetILNS1_3genE2ELNS1_11target_archE906ELNS1_3gpuE6ELNS1_3repE0EEENS1_30default_config_static_selectorELNS0_4arch9wavefront6targetE0EEEvT1_.uses_flat_scratch, 0
	.set _ZN7rocprim17ROCPRIM_400000_NS6detail17trampoline_kernelINS0_14default_configENS1_20scan_config_selectorIN3c104HalfEEEZZNS1_9scan_implILNS1_25lookback_scan_determinismE0ELb0ELb0ES3_PKS6_PS6_S6_ZZZN2at6native31launch_logcumsumexp_cuda_kernelERKNSD_10TensorBaseESH_lENKUlvE_clEvENKUlvE3_clEvEUlS6_S6_E_S6_EEDaPvRmT3_T4_T5_mT6_P12ihipStream_tbENKUlT_T0_E_clISt17integral_constantIbLb0EESX_IbLb1EEEEDaST_SU_EUlST_E0_NS1_11comp_targetILNS1_3genE2ELNS1_11target_archE906ELNS1_3gpuE6ELNS1_3repE0EEENS1_30default_config_static_selectorELNS0_4arch9wavefront6targetE0EEEvT1_.has_dyn_sized_stack, 0
	.set _ZN7rocprim17ROCPRIM_400000_NS6detail17trampoline_kernelINS0_14default_configENS1_20scan_config_selectorIN3c104HalfEEEZZNS1_9scan_implILNS1_25lookback_scan_determinismE0ELb0ELb0ES3_PKS6_PS6_S6_ZZZN2at6native31launch_logcumsumexp_cuda_kernelERKNSD_10TensorBaseESH_lENKUlvE_clEvENKUlvE3_clEvEUlS6_S6_E_S6_EEDaPvRmT3_T4_T5_mT6_P12ihipStream_tbENKUlT_T0_E_clISt17integral_constantIbLb0EESX_IbLb1EEEEDaST_SU_EUlST_E0_NS1_11comp_targetILNS1_3genE2ELNS1_11target_archE906ELNS1_3gpuE6ELNS1_3repE0EEENS1_30default_config_static_selectorELNS0_4arch9wavefront6targetE0EEEvT1_.has_recursion, 0
	.set _ZN7rocprim17ROCPRIM_400000_NS6detail17trampoline_kernelINS0_14default_configENS1_20scan_config_selectorIN3c104HalfEEEZZNS1_9scan_implILNS1_25lookback_scan_determinismE0ELb0ELb0ES3_PKS6_PS6_S6_ZZZN2at6native31launch_logcumsumexp_cuda_kernelERKNSD_10TensorBaseESH_lENKUlvE_clEvENKUlvE3_clEvEUlS6_S6_E_S6_EEDaPvRmT3_T4_T5_mT6_P12ihipStream_tbENKUlT_T0_E_clISt17integral_constantIbLb0EESX_IbLb1EEEEDaST_SU_EUlST_E0_NS1_11comp_targetILNS1_3genE2ELNS1_11target_archE906ELNS1_3gpuE6ELNS1_3repE0EEENS1_30default_config_static_selectorELNS0_4arch9wavefront6targetE0EEEvT1_.has_indirect_call, 0
	.section	.AMDGPU.csdata,"",@progbits
; Kernel info:
; codeLenInByte = 0
; TotalNumSgprs: 0
; NumVgprs: 0
; ScratchSize: 0
; MemoryBound: 0
; FloatMode: 240
; IeeeMode: 1
; LDSByteSize: 0 bytes/workgroup (compile time only)
; SGPRBlocks: 0
; VGPRBlocks: 0
; NumSGPRsForWavesPerEU: 1
; NumVGPRsForWavesPerEU: 1
; Occupancy: 16
; WaveLimiterHint : 0
; COMPUTE_PGM_RSRC2:SCRATCH_EN: 0
; COMPUTE_PGM_RSRC2:USER_SGPR: 6
; COMPUTE_PGM_RSRC2:TRAP_HANDLER: 0
; COMPUTE_PGM_RSRC2:TGID_X_EN: 1
; COMPUTE_PGM_RSRC2:TGID_Y_EN: 0
; COMPUTE_PGM_RSRC2:TGID_Z_EN: 0
; COMPUTE_PGM_RSRC2:TIDIG_COMP_CNT: 0
	.section	.text._ZN7rocprim17ROCPRIM_400000_NS6detail17trampoline_kernelINS0_14default_configENS1_20scan_config_selectorIN3c104HalfEEEZZNS1_9scan_implILNS1_25lookback_scan_determinismE0ELb0ELb0ES3_PKS6_PS6_S6_ZZZN2at6native31launch_logcumsumexp_cuda_kernelERKNSD_10TensorBaseESH_lENKUlvE_clEvENKUlvE3_clEvEUlS6_S6_E_S6_EEDaPvRmT3_T4_T5_mT6_P12ihipStream_tbENKUlT_T0_E_clISt17integral_constantIbLb0EESX_IbLb1EEEEDaST_SU_EUlST_E0_NS1_11comp_targetILNS1_3genE10ELNS1_11target_archE1201ELNS1_3gpuE5ELNS1_3repE0EEENS1_30default_config_static_selectorELNS0_4arch9wavefront6targetE0EEEvT1_,"axG",@progbits,_ZN7rocprim17ROCPRIM_400000_NS6detail17trampoline_kernelINS0_14default_configENS1_20scan_config_selectorIN3c104HalfEEEZZNS1_9scan_implILNS1_25lookback_scan_determinismE0ELb0ELb0ES3_PKS6_PS6_S6_ZZZN2at6native31launch_logcumsumexp_cuda_kernelERKNSD_10TensorBaseESH_lENKUlvE_clEvENKUlvE3_clEvEUlS6_S6_E_S6_EEDaPvRmT3_T4_T5_mT6_P12ihipStream_tbENKUlT_T0_E_clISt17integral_constantIbLb0EESX_IbLb1EEEEDaST_SU_EUlST_E0_NS1_11comp_targetILNS1_3genE10ELNS1_11target_archE1201ELNS1_3gpuE5ELNS1_3repE0EEENS1_30default_config_static_selectorELNS0_4arch9wavefront6targetE0EEEvT1_,comdat
	.globl	_ZN7rocprim17ROCPRIM_400000_NS6detail17trampoline_kernelINS0_14default_configENS1_20scan_config_selectorIN3c104HalfEEEZZNS1_9scan_implILNS1_25lookback_scan_determinismE0ELb0ELb0ES3_PKS6_PS6_S6_ZZZN2at6native31launch_logcumsumexp_cuda_kernelERKNSD_10TensorBaseESH_lENKUlvE_clEvENKUlvE3_clEvEUlS6_S6_E_S6_EEDaPvRmT3_T4_T5_mT6_P12ihipStream_tbENKUlT_T0_E_clISt17integral_constantIbLb0EESX_IbLb1EEEEDaST_SU_EUlST_E0_NS1_11comp_targetILNS1_3genE10ELNS1_11target_archE1201ELNS1_3gpuE5ELNS1_3repE0EEENS1_30default_config_static_selectorELNS0_4arch9wavefront6targetE0EEEvT1_ ; -- Begin function _ZN7rocprim17ROCPRIM_400000_NS6detail17trampoline_kernelINS0_14default_configENS1_20scan_config_selectorIN3c104HalfEEEZZNS1_9scan_implILNS1_25lookback_scan_determinismE0ELb0ELb0ES3_PKS6_PS6_S6_ZZZN2at6native31launch_logcumsumexp_cuda_kernelERKNSD_10TensorBaseESH_lENKUlvE_clEvENKUlvE3_clEvEUlS6_S6_E_S6_EEDaPvRmT3_T4_T5_mT6_P12ihipStream_tbENKUlT_T0_E_clISt17integral_constantIbLb0EESX_IbLb1EEEEDaST_SU_EUlST_E0_NS1_11comp_targetILNS1_3genE10ELNS1_11target_archE1201ELNS1_3gpuE5ELNS1_3repE0EEENS1_30default_config_static_selectorELNS0_4arch9wavefront6targetE0EEEvT1_
	.p2align	8
	.type	_ZN7rocprim17ROCPRIM_400000_NS6detail17trampoline_kernelINS0_14default_configENS1_20scan_config_selectorIN3c104HalfEEEZZNS1_9scan_implILNS1_25lookback_scan_determinismE0ELb0ELb0ES3_PKS6_PS6_S6_ZZZN2at6native31launch_logcumsumexp_cuda_kernelERKNSD_10TensorBaseESH_lENKUlvE_clEvENKUlvE3_clEvEUlS6_S6_E_S6_EEDaPvRmT3_T4_T5_mT6_P12ihipStream_tbENKUlT_T0_E_clISt17integral_constantIbLb0EESX_IbLb1EEEEDaST_SU_EUlST_E0_NS1_11comp_targetILNS1_3genE10ELNS1_11target_archE1201ELNS1_3gpuE5ELNS1_3repE0EEENS1_30default_config_static_selectorELNS0_4arch9wavefront6targetE0EEEvT1_,@function
_ZN7rocprim17ROCPRIM_400000_NS6detail17trampoline_kernelINS0_14default_configENS1_20scan_config_selectorIN3c104HalfEEEZZNS1_9scan_implILNS1_25lookback_scan_determinismE0ELb0ELb0ES3_PKS6_PS6_S6_ZZZN2at6native31launch_logcumsumexp_cuda_kernelERKNSD_10TensorBaseESH_lENKUlvE_clEvENKUlvE3_clEvEUlS6_S6_E_S6_EEDaPvRmT3_T4_T5_mT6_P12ihipStream_tbENKUlT_T0_E_clISt17integral_constantIbLb0EESX_IbLb1EEEEDaST_SU_EUlST_E0_NS1_11comp_targetILNS1_3genE10ELNS1_11target_archE1201ELNS1_3gpuE5ELNS1_3repE0EEENS1_30default_config_static_selectorELNS0_4arch9wavefront6targetE0EEEvT1_: ; @_ZN7rocprim17ROCPRIM_400000_NS6detail17trampoline_kernelINS0_14default_configENS1_20scan_config_selectorIN3c104HalfEEEZZNS1_9scan_implILNS1_25lookback_scan_determinismE0ELb0ELb0ES3_PKS6_PS6_S6_ZZZN2at6native31launch_logcumsumexp_cuda_kernelERKNSD_10TensorBaseESH_lENKUlvE_clEvENKUlvE3_clEvEUlS6_S6_E_S6_EEDaPvRmT3_T4_T5_mT6_P12ihipStream_tbENKUlT_T0_E_clISt17integral_constantIbLb0EESX_IbLb1EEEEDaST_SU_EUlST_E0_NS1_11comp_targetILNS1_3genE10ELNS1_11target_archE1201ELNS1_3gpuE5ELNS1_3repE0EEENS1_30default_config_static_selectorELNS0_4arch9wavefront6targetE0EEEvT1_
; %bb.0:
	.section	.rodata,"a",@progbits
	.p2align	6, 0x0
	.amdhsa_kernel _ZN7rocprim17ROCPRIM_400000_NS6detail17trampoline_kernelINS0_14default_configENS1_20scan_config_selectorIN3c104HalfEEEZZNS1_9scan_implILNS1_25lookback_scan_determinismE0ELb0ELb0ES3_PKS6_PS6_S6_ZZZN2at6native31launch_logcumsumexp_cuda_kernelERKNSD_10TensorBaseESH_lENKUlvE_clEvENKUlvE3_clEvEUlS6_S6_E_S6_EEDaPvRmT3_T4_T5_mT6_P12ihipStream_tbENKUlT_T0_E_clISt17integral_constantIbLb0EESX_IbLb1EEEEDaST_SU_EUlST_E0_NS1_11comp_targetILNS1_3genE10ELNS1_11target_archE1201ELNS1_3gpuE5ELNS1_3repE0EEENS1_30default_config_static_selectorELNS0_4arch9wavefront6targetE0EEEvT1_
		.amdhsa_group_segment_fixed_size 0
		.amdhsa_private_segment_fixed_size 0
		.amdhsa_kernarg_size 32
		.amdhsa_user_sgpr_count 6
		.amdhsa_user_sgpr_private_segment_buffer 1
		.amdhsa_user_sgpr_dispatch_ptr 0
		.amdhsa_user_sgpr_queue_ptr 0
		.amdhsa_user_sgpr_kernarg_segment_ptr 1
		.amdhsa_user_sgpr_dispatch_id 0
		.amdhsa_user_sgpr_flat_scratch_init 0
		.amdhsa_user_sgpr_private_segment_size 0
		.amdhsa_wavefront_size32 1
		.amdhsa_uses_dynamic_stack 0
		.amdhsa_system_sgpr_private_segment_wavefront_offset 0
		.amdhsa_system_sgpr_workgroup_id_x 1
		.amdhsa_system_sgpr_workgroup_id_y 0
		.amdhsa_system_sgpr_workgroup_id_z 0
		.amdhsa_system_sgpr_workgroup_info 0
		.amdhsa_system_vgpr_workitem_id 0
		.amdhsa_next_free_vgpr 1
		.amdhsa_next_free_sgpr 1
		.amdhsa_reserve_vcc 0
		.amdhsa_reserve_flat_scratch 0
		.amdhsa_float_round_mode_32 0
		.amdhsa_float_round_mode_16_64 0
		.amdhsa_float_denorm_mode_32 3
		.amdhsa_float_denorm_mode_16_64 3
		.amdhsa_dx10_clamp 1
		.amdhsa_ieee_mode 1
		.amdhsa_fp16_overflow 0
		.amdhsa_workgroup_processor_mode 1
		.amdhsa_memory_ordered 1
		.amdhsa_forward_progress 1
		.amdhsa_shared_vgpr_count 0
		.amdhsa_exception_fp_ieee_invalid_op 0
		.amdhsa_exception_fp_denorm_src 0
		.amdhsa_exception_fp_ieee_div_zero 0
		.amdhsa_exception_fp_ieee_overflow 0
		.amdhsa_exception_fp_ieee_underflow 0
		.amdhsa_exception_fp_ieee_inexact 0
		.amdhsa_exception_int_div_zero 0
	.end_amdhsa_kernel
	.section	.text._ZN7rocprim17ROCPRIM_400000_NS6detail17trampoline_kernelINS0_14default_configENS1_20scan_config_selectorIN3c104HalfEEEZZNS1_9scan_implILNS1_25lookback_scan_determinismE0ELb0ELb0ES3_PKS6_PS6_S6_ZZZN2at6native31launch_logcumsumexp_cuda_kernelERKNSD_10TensorBaseESH_lENKUlvE_clEvENKUlvE3_clEvEUlS6_S6_E_S6_EEDaPvRmT3_T4_T5_mT6_P12ihipStream_tbENKUlT_T0_E_clISt17integral_constantIbLb0EESX_IbLb1EEEEDaST_SU_EUlST_E0_NS1_11comp_targetILNS1_3genE10ELNS1_11target_archE1201ELNS1_3gpuE5ELNS1_3repE0EEENS1_30default_config_static_selectorELNS0_4arch9wavefront6targetE0EEEvT1_,"axG",@progbits,_ZN7rocprim17ROCPRIM_400000_NS6detail17trampoline_kernelINS0_14default_configENS1_20scan_config_selectorIN3c104HalfEEEZZNS1_9scan_implILNS1_25lookback_scan_determinismE0ELb0ELb0ES3_PKS6_PS6_S6_ZZZN2at6native31launch_logcumsumexp_cuda_kernelERKNSD_10TensorBaseESH_lENKUlvE_clEvENKUlvE3_clEvEUlS6_S6_E_S6_EEDaPvRmT3_T4_T5_mT6_P12ihipStream_tbENKUlT_T0_E_clISt17integral_constantIbLb0EESX_IbLb1EEEEDaST_SU_EUlST_E0_NS1_11comp_targetILNS1_3genE10ELNS1_11target_archE1201ELNS1_3gpuE5ELNS1_3repE0EEENS1_30default_config_static_selectorELNS0_4arch9wavefront6targetE0EEEvT1_,comdat
.Lfunc_end430:
	.size	_ZN7rocprim17ROCPRIM_400000_NS6detail17trampoline_kernelINS0_14default_configENS1_20scan_config_selectorIN3c104HalfEEEZZNS1_9scan_implILNS1_25lookback_scan_determinismE0ELb0ELb0ES3_PKS6_PS6_S6_ZZZN2at6native31launch_logcumsumexp_cuda_kernelERKNSD_10TensorBaseESH_lENKUlvE_clEvENKUlvE3_clEvEUlS6_S6_E_S6_EEDaPvRmT3_T4_T5_mT6_P12ihipStream_tbENKUlT_T0_E_clISt17integral_constantIbLb0EESX_IbLb1EEEEDaST_SU_EUlST_E0_NS1_11comp_targetILNS1_3genE10ELNS1_11target_archE1201ELNS1_3gpuE5ELNS1_3repE0EEENS1_30default_config_static_selectorELNS0_4arch9wavefront6targetE0EEEvT1_, .Lfunc_end430-_ZN7rocprim17ROCPRIM_400000_NS6detail17trampoline_kernelINS0_14default_configENS1_20scan_config_selectorIN3c104HalfEEEZZNS1_9scan_implILNS1_25lookback_scan_determinismE0ELb0ELb0ES3_PKS6_PS6_S6_ZZZN2at6native31launch_logcumsumexp_cuda_kernelERKNSD_10TensorBaseESH_lENKUlvE_clEvENKUlvE3_clEvEUlS6_S6_E_S6_EEDaPvRmT3_T4_T5_mT6_P12ihipStream_tbENKUlT_T0_E_clISt17integral_constantIbLb0EESX_IbLb1EEEEDaST_SU_EUlST_E0_NS1_11comp_targetILNS1_3genE10ELNS1_11target_archE1201ELNS1_3gpuE5ELNS1_3repE0EEENS1_30default_config_static_selectorELNS0_4arch9wavefront6targetE0EEEvT1_
                                        ; -- End function
	.set _ZN7rocprim17ROCPRIM_400000_NS6detail17trampoline_kernelINS0_14default_configENS1_20scan_config_selectorIN3c104HalfEEEZZNS1_9scan_implILNS1_25lookback_scan_determinismE0ELb0ELb0ES3_PKS6_PS6_S6_ZZZN2at6native31launch_logcumsumexp_cuda_kernelERKNSD_10TensorBaseESH_lENKUlvE_clEvENKUlvE3_clEvEUlS6_S6_E_S6_EEDaPvRmT3_T4_T5_mT6_P12ihipStream_tbENKUlT_T0_E_clISt17integral_constantIbLb0EESX_IbLb1EEEEDaST_SU_EUlST_E0_NS1_11comp_targetILNS1_3genE10ELNS1_11target_archE1201ELNS1_3gpuE5ELNS1_3repE0EEENS1_30default_config_static_selectorELNS0_4arch9wavefront6targetE0EEEvT1_.num_vgpr, 0
	.set _ZN7rocprim17ROCPRIM_400000_NS6detail17trampoline_kernelINS0_14default_configENS1_20scan_config_selectorIN3c104HalfEEEZZNS1_9scan_implILNS1_25lookback_scan_determinismE0ELb0ELb0ES3_PKS6_PS6_S6_ZZZN2at6native31launch_logcumsumexp_cuda_kernelERKNSD_10TensorBaseESH_lENKUlvE_clEvENKUlvE3_clEvEUlS6_S6_E_S6_EEDaPvRmT3_T4_T5_mT6_P12ihipStream_tbENKUlT_T0_E_clISt17integral_constantIbLb0EESX_IbLb1EEEEDaST_SU_EUlST_E0_NS1_11comp_targetILNS1_3genE10ELNS1_11target_archE1201ELNS1_3gpuE5ELNS1_3repE0EEENS1_30default_config_static_selectorELNS0_4arch9wavefront6targetE0EEEvT1_.num_agpr, 0
	.set _ZN7rocprim17ROCPRIM_400000_NS6detail17trampoline_kernelINS0_14default_configENS1_20scan_config_selectorIN3c104HalfEEEZZNS1_9scan_implILNS1_25lookback_scan_determinismE0ELb0ELb0ES3_PKS6_PS6_S6_ZZZN2at6native31launch_logcumsumexp_cuda_kernelERKNSD_10TensorBaseESH_lENKUlvE_clEvENKUlvE3_clEvEUlS6_S6_E_S6_EEDaPvRmT3_T4_T5_mT6_P12ihipStream_tbENKUlT_T0_E_clISt17integral_constantIbLb0EESX_IbLb1EEEEDaST_SU_EUlST_E0_NS1_11comp_targetILNS1_3genE10ELNS1_11target_archE1201ELNS1_3gpuE5ELNS1_3repE0EEENS1_30default_config_static_selectorELNS0_4arch9wavefront6targetE0EEEvT1_.numbered_sgpr, 0
	.set _ZN7rocprim17ROCPRIM_400000_NS6detail17trampoline_kernelINS0_14default_configENS1_20scan_config_selectorIN3c104HalfEEEZZNS1_9scan_implILNS1_25lookback_scan_determinismE0ELb0ELb0ES3_PKS6_PS6_S6_ZZZN2at6native31launch_logcumsumexp_cuda_kernelERKNSD_10TensorBaseESH_lENKUlvE_clEvENKUlvE3_clEvEUlS6_S6_E_S6_EEDaPvRmT3_T4_T5_mT6_P12ihipStream_tbENKUlT_T0_E_clISt17integral_constantIbLb0EESX_IbLb1EEEEDaST_SU_EUlST_E0_NS1_11comp_targetILNS1_3genE10ELNS1_11target_archE1201ELNS1_3gpuE5ELNS1_3repE0EEENS1_30default_config_static_selectorELNS0_4arch9wavefront6targetE0EEEvT1_.num_named_barrier, 0
	.set _ZN7rocprim17ROCPRIM_400000_NS6detail17trampoline_kernelINS0_14default_configENS1_20scan_config_selectorIN3c104HalfEEEZZNS1_9scan_implILNS1_25lookback_scan_determinismE0ELb0ELb0ES3_PKS6_PS6_S6_ZZZN2at6native31launch_logcumsumexp_cuda_kernelERKNSD_10TensorBaseESH_lENKUlvE_clEvENKUlvE3_clEvEUlS6_S6_E_S6_EEDaPvRmT3_T4_T5_mT6_P12ihipStream_tbENKUlT_T0_E_clISt17integral_constantIbLb0EESX_IbLb1EEEEDaST_SU_EUlST_E0_NS1_11comp_targetILNS1_3genE10ELNS1_11target_archE1201ELNS1_3gpuE5ELNS1_3repE0EEENS1_30default_config_static_selectorELNS0_4arch9wavefront6targetE0EEEvT1_.private_seg_size, 0
	.set _ZN7rocprim17ROCPRIM_400000_NS6detail17trampoline_kernelINS0_14default_configENS1_20scan_config_selectorIN3c104HalfEEEZZNS1_9scan_implILNS1_25lookback_scan_determinismE0ELb0ELb0ES3_PKS6_PS6_S6_ZZZN2at6native31launch_logcumsumexp_cuda_kernelERKNSD_10TensorBaseESH_lENKUlvE_clEvENKUlvE3_clEvEUlS6_S6_E_S6_EEDaPvRmT3_T4_T5_mT6_P12ihipStream_tbENKUlT_T0_E_clISt17integral_constantIbLb0EESX_IbLb1EEEEDaST_SU_EUlST_E0_NS1_11comp_targetILNS1_3genE10ELNS1_11target_archE1201ELNS1_3gpuE5ELNS1_3repE0EEENS1_30default_config_static_selectorELNS0_4arch9wavefront6targetE0EEEvT1_.uses_vcc, 0
	.set _ZN7rocprim17ROCPRIM_400000_NS6detail17trampoline_kernelINS0_14default_configENS1_20scan_config_selectorIN3c104HalfEEEZZNS1_9scan_implILNS1_25lookback_scan_determinismE0ELb0ELb0ES3_PKS6_PS6_S6_ZZZN2at6native31launch_logcumsumexp_cuda_kernelERKNSD_10TensorBaseESH_lENKUlvE_clEvENKUlvE3_clEvEUlS6_S6_E_S6_EEDaPvRmT3_T4_T5_mT6_P12ihipStream_tbENKUlT_T0_E_clISt17integral_constantIbLb0EESX_IbLb1EEEEDaST_SU_EUlST_E0_NS1_11comp_targetILNS1_3genE10ELNS1_11target_archE1201ELNS1_3gpuE5ELNS1_3repE0EEENS1_30default_config_static_selectorELNS0_4arch9wavefront6targetE0EEEvT1_.uses_flat_scratch, 0
	.set _ZN7rocprim17ROCPRIM_400000_NS6detail17trampoline_kernelINS0_14default_configENS1_20scan_config_selectorIN3c104HalfEEEZZNS1_9scan_implILNS1_25lookback_scan_determinismE0ELb0ELb0ES3_PKS6_PS6_S6_ZZZN2at6native31launch_logcumsumexp_cuda_kernelERKNSD_10TensorBaseESH_lENKUlvE_clEvENKUlvE3_clEvEUlS6_S6_E_S6_EEDaPvRmT3_T4_T5_mT6_P12ihipStream_tbENKUlT_T0_E_clISt17integral_constantIbLb0EESX_IbLb1EEEEDaST_SU_EUlST_E0_NS1_11comp_targetILNS1_3genE10ELNS1_11target_archE1201ELNS1_3gpuE5ELNS1_3repE0EEENS1_30default_config_static_selectorELNS0_4arch9wavefront6targetE0EEEvT1_.has_dyn_sized_stack, 0
	.set _ZN7rocprim17ROCPRIM_400000_NS6detail17trampoline_kernelINS0_14default_configENS1_20scan_config_selectorIN3c104HalfEEEZZNS1_9scan_implILNS1_25lookback_scan_determinismE0ELb0ELb0ES3_PKS6_PS6_S6_ZZZN2at6native31launch_logcumsumexp_cuda_kernelERKNSD_10TensorBaseESH_lENKUlvE_clEvENKUlvE3_clEvEUlS6_S6_E_S6_EEDaPvRmT3_T4_T5_mT6_P12ihipStream_tbENKUlT_T0_E_clISt17integral_constantIbLb0EESX_IbLb1EEEEDaST_SU_EUlST_E0_NS1_11comp_targetILNS1_3genE10ELNS1_11target_archE1201ELNS1_3gpuE5ELNS1_3repE0EEENS1_30default_config_static_selectorELNS0_4arch9wavefront6targetE0EEEvT1_.has_recursion, 0
	.set _ZN7rocprim17ROCPRIM_400000_NS6detail17trampoline_kernelINS0_14default_configENS1_20scan_config_selectorIN3c104HalfEEEZZNS1_9scan_implILNS1_25lookback_scan_determinismE0ELb0ELb0ES3_PKS6_PS6_S6_ZZZN2at6native31launch_logcumsumexp_cuda_kernelERKNSD_10TensorBaseESH_lENKUlvE_clEvENKUlvE3_clEvEUlS6_S6_E_S6_EEDaPvRmT3_T4_T5_mT6_P12ihipStream_tbENKUlT_T0_E_clISt17integral_constantIbLb0EESX_IbLb1EEEEDaST_SU_EUlST_E0_NS1_11comp_targetILNS1_3genE10ELNS1_11target_archE1201ELNS1_3gpuE5ELNS1_3repE0EEENS1_30default_config_static_selectorELNS0_4arch9wavefront6targetE0EEEvT1_.has_indirect_call, 0
	.section	.AMDGPU.csdata,"",@progbits
; Kernel info:
; codeLenInByte = 0
; TotalNumSgprs: 0
; NumVgprs: 0
; ScratchSize: 0
; MemoryBound: 0
; FloatMode: 240
; IeeeMode: 1
; LDSByteSize: 0 bytes/workgroup (compile time only)
; SGPRBlocks: 0
; VGPRBlocks: 0
; NumSGPRsForWavesPerEU: 1
; NumVGPRsForWavesPerEU: 1
; Occupancy: 16
; WaveLimiterHint : 0
; COMPUTE_PGM_RSRC2:SCRATCH_EN: 0
; COMPUTE_PGM_RSRC2:USER_SGPR: 6
; COMPUTE_PGM_RSRC2:TRAP_HANDLER: 0
; COMPUTE_PGM_RSRC2:TGID_X_EN: 1
; COMPUTE_PGM_RSRC2:TGID_Y_EN: 0
; COMPUTE_PGM_RSRC2:TGID_Z_EN: 0
; COMPUTE_PGM_RSRC2:TIDIG_COMP_CNT: 0
	.section	.text._ZN7rocprim17ROCPRIM_400000_NS6detail17trampoline_kernelINS0_14default_configENS1_20scan_config_selectorIN3c104HalfEEEZZNS1_9scan_implILNS1_25lookback_scan_determinismE0ELb0ELb0ES3_PKS6_PS6_S6_ZZZN2at6native31launch_logcumsumexp_cuda_kernelERKNSD_10TensorBaseESH_lENKUlvE_clEvENKUlvE3_clEvEUlS6_S6_E_S6_EEDaPvRmT3_T4_T5_mT6_P12ihipStream_tbENKUlT_T0_E_clISt17integral_constantIbLb0EESX_IbLb1EEEEDaST_SU_EUlST_E0_NS1_11comp_targetILNS1_3genE10ELNS1_11target_archE1200ELNS1_3gpuE4ELNS1_3repE0EEENS1_30default_config_static_selectorELNS0_4arch9wavefront6targetE0EEEvT1_,"axG",@progbits,_ZN7rocprim17ROCPRIM_400000_NS6detail17trampoline_kernelINS0_14default_configENS1_20scan_config_selectorIN3c104HalfEEEZZNS1_9scan_implILNS1_25lookback_scan_determinismE0ELb0ELb0ES3_PKS6_PS6_S6_ZZZN2at6native31launch_logcumsumexp_cuda_kernelERKNSD_10TensorBaseESH_lENKUlvE_clEvENKUlvE3_clEvEUlS6_S6_E_S6_EEDaPvRmT3_T4_T5_mT6_P12ihipStream_tbENKUlT_T0_E_clISt17integral_constantIbLb0EESX_IbLb1EEEEDaST_SU_EUlST_E0_NS1_11comp_targetILNS1_3genE10ELNS1_11target_archE1200ELNS1_3gpuE4ELNS1_3repE0EEENS1_30default_config_static_selectorELNS0_4arch9wavefront6targetE0EEEvT1_,comdat
	.globl	_ZN7rocprim17ROCPRIM_400000_NS6detail17trampoline_kernelINS0_14default_configENS1_20scan_config_selectorIN3c104HalfEEEZZNS1_9scan_implILNS1_25lookback_scan_determinismE0ELb0ELb0ES3_PKS6_PS6_S6_ZZZN2at6native31launch_logcumsumexp_cuda_kernelERKNSD_10TensorBaseESH_lENKUlvE_clEvENKUlvE3_clEvEUlS6_S6_E_S6_EEDaPvRmT3_T4_T5_mT6_P12ihipStream_tbENKUlT_T0_E_clISt17integral_constantIbLb0EESX_IbLb1EEEEDaST_SU_EUlST_E0_NS1_11comp_targetILNS1_3genE10ELNS1_11target_archE1200ELNS1_3gpuE4ELNS1_3repE0EEENS1_30default_config_static_selectorELNS0_4arch9wavefront6targetE0EEEvT1_ ; -- Begin function _ZN7rocprim17ROCPRIM_400000_NS6detail17trampoline_kernelINS0_14default_configENS1_20scan_config_selectorIN3c104HalfEEEZZNS1_9scan_implILNS1_25lookback_scan_determinismE0ELb0ELb0ES3_PKS6_PS6_S6_ZZZN2at6native31launch_logcumsumexp_cuda_kernelERKNSD_10TensorBaseESH_lENKUlvE_clEvENKUlvE3_clEvEUlS6_S6_E_S6_EEDaPvRmT3_T4_T5_mT6_P12ihipStream_tbENKUlT_T0_E_clISt17integral_constantIbLb0EESX_IbLb1EEEEDaST_SU_EUlST_E0_NS1_11comp_targetILNS1_3genE10ELNS1_11target_archE1200ELNS1_3gpuE4ELNS1_3repE0EEENS1_30default_config_static_selectorELNS0_4arch9wavefront6targetE0EEEvT1_
	.p2align	8
	.type	_ZN7rocprim17ROCPRIM_400000_NS6detail17trampoline_kernelINS0_14default_configENS1_20scan_config_selectorIN3c104HalfEEEZZNS1_9scan_implILNS1_25lookback_scan_determinismE0ELb0ELb0ES3_PKS6_PS6_S6_ZZZN2at6native31launch_logcumsumexp_cuda_kernelERKNSD_10TensorBaseESH_lENKUlvE_clEvENKUlvE3_clEvEUlS6_S6_E_S6_EEDaPvRmT3_T4_T5_mT6_P12ihipStream_tbENKUlT_T0_E_clISt17integral_constantIbLb0EESX_IbLb1EEEEDaST_SU_EUlST_E0_NS1_11comp_targetILNS1_3genE10ELNS1_11target_archE1200ELNS1_3gpuE4ELNS1_3repE0EEENS1_30default_config_static_selectorELNS0_4arch9wavefront6targetE0EEEvT1_,@function
_ZN7rocprim17ROCPRIM_400000_NS6detail17trampoline_kernelINS0_14default_configENS1_20scan_config_selectorIN3c104HalfEEEZZNS1_9scan_implILNS1_25lookback_scan_determinismE0ELb0ELb0ES3_PKS6_PS6_S6_ZZZN2at6native31launch_logcumsumexp_cuda_kernelERKNSD_10TensorBaseESH_lENKUlvE_clEvENKUlvE3_clEvEUlS6_S6_E_S6_EEDaPvRmT3_T4_T5_mT6_P12ihipStream_tbENKUlT_T0_E_clISt17integral_constantIbLb0EESX_IbLb1EEEEDaST_SU_EUlST_E0_NS1_11comp_targetILNS1_3genE10ELNS1_11target_archE1200ELNS1_3gpuE4ELNS1_3repE0EEENS1_30default_config_static_selectorELNS0_4arch9wavefront6targetE0EEEvT1_: ; @_ZN7rocprim17ROCPRIM_400000_NS6detail17trampoline_kernelINS0_14default_configENS1_20scan_config_selectorIN3c104HalfEEEZZNS1_9scan_implILNS1_25lookback_scan_determinismE0ELb0ELb0ES3_PKS6_PS6_S6_ZZZN2at6native31launch_logcumsumexp_cuda_kernelERKNSD_10TensorBaseESH_lENKUlvE_clEvENKUlvE3_clEvEUlS6_S6_E_S6_EEDaPvRmT3_T4_T5_mT6_P12ihipStream_tbENKUlT_T0_E_clISt17integral_constantIbLb0EESX_IbLb1EEEEDaST_SU_EUlST_E0_NS1_11comp_targetILNS1_3genE10ELNS1_11target_archE1200ELNS1_3gpuE4ELNS1_3repE0EEENS1_30default_config_static_selectorELNS0_4arch9wavefront6targetE0EEEvT1_
; %bb.0:
	.section	.rodata,"a",@progbits
	.p2align	6, 0x0
	.amdhsa_kernel _ZN7rocprim17ROCPRIM_400000_NS6detail17trampoline_kernelINS0_14default_configENS1_20scan_config_selectorIN3c104HalfEEEZZNS1_9scan_implILNS1_25lookback_scan_determinismE0ELb0ELb0ES3_PKS6_PS6_S6_ZZZN2at6native31launch_logcumsumexp_cuda_kernelERKNSD_10TensorBaseESH_lENKUlvE_clEvENKUlvE3_clEvEUlS6_S6_E_S6_EEDaPvRmT3_T4_T5_mT6_P12ihipStream_tbENKUlT_T0_E_clISt17integral_constantIbLb0EESX_IbLb1EEEEDaST_SU_EUlST_E0_NS1_11comp_targetILNS1_3genE10ELNS1_11target_archE1200ELNS1_3gpuE4ELNS1_3repE0EEENS1_30default_config_static_selectorELNS0_4arch9wavefront6targetE0EEEvT1_
		.amdhsa_group_segment_fixed_size 0
		.amdhsa_private_segment_fixed_size 0
		.amdhsa_kernarg_size 32
		.amdhsa_user_sgpr_count 6
		.amdhsa_user_sgpr_private_segment_buffer 1
		.amdhsa_user_sgpr_dispatch_ptr 0
		.amdhsa_user_sgpr_queue_ptr 0
		.amdhsa_user_sgpr_kernarg_segment_ptr 1
		.amdhsa_user_sgpr_dispatch_id 0
		.amdhsa_user_sgpr_flat_scratch_init 0
		.amdhsa_user_sgpr_private_segment_size 0
		.amdhsa_wavefront_size32 1
		.amdhsa_uses_dynamic_stack 0
		.amdhsa_system_sgpr_private_segment_wavefront_offset 0
		.amdhsa_system_sgpr_workgroup_id_x 1
		.amdhsa_system_sgpr_workgroup_id_y 0
		.amdhsa_system_sgpr_workgroup_id_z 0
		.amdhsa_system_sgpr_workgroup_info 0
		.amdhsa_system_vgpr_workitem_id 0
		.amdhsa_next_free_vgpr 1
		.amdhsa_next_free_sgpr 1
		.amdhsa_reserve_vcc 0
		.amdhsa_reserve_flat_scratch 0
		.amdhsa_float_round_mode_32 0
		.amdhsa_float_round_mode_16_64 0
		.amdhsa_float_denorm_mode_32 3
		.amdhsa_float_denorm_mode_16_64 3
		.amdhsa_dx10_clamp 1
		.amdhsa_ieee_mode 1
		.amdhsa_fp16_overflow 0
		.amdhsa_workgroup_processor_mode 1
		.amdhsa_memory_ordered 1
		.amdhsa_forward_progress 1
		.amdhsa_shared_vgpr_count 0
		.amdhsa_exception_fp_ieee_invalid_op 0
		.amdhsa_exception_fp_denorm_src 0
		.amdhsa_exception_fp_ieee_div_zero 0
		.amdhsa_exception_fp_ieee_overflow 0
		.amdhsa_exception_fp_ieee_underflow 0
		.amdhsa_exception_fp_ieee_inexact 0
		.amdhsa_exception_int_div_zero 0
	.end_amdhsa_kernel
	.section	.text._ZN7rocprim17ROCPRIM_400000_NS6detail17trampoline_kernelINS0_14default_configENS1_20scan_config_selectorIN3c104HalfEEEZZNS1_9scan_implILNS1_25lookback_scan_determinismE0ELb0ELb0ES3_PKS6_PS6_S6_ZZZN2at6native31launch_logcumsumexp_cuda_kernelERKNSD_10TensorBaseESH_lENKUlvE_clEvENKUlvE3_clEvEUlS6_S6_E_S6_EEDaPvRmT3_T4_T5_mT6_P12ihipStream_tbENKUlT_T0_E_clISt17integral_constantIbLb0EESX_IbLb1EEEEDaST_SU_EUlST_E0_NS1_11comp_targetILNS1_3genE10ELNS1_11target_archE1200ELNS1_3gpuE4ELNS1_3repE0EEENS1_30default_config_static_selectorELNS0_4arch9wavefront6targetE0EEEvT1_,"axG",@progbits,_ZN7rocprim17ROCPRIM_400000_NS6detail17trampoline_kernelINS0_14default_configENS1_20scan_config_selectorIN3c104HalfEEEZZNS1_9scan_implILNS1_25lookback_scan_determinismE0ELb0ELb0ES3_PKS6_PS6_S6_ZZZN2at6native31launch_logcumsumexp_cuda_kernelERKNSD_10TensorBaseESH_lENKUlvE_clEvENKUlvE3_clEvEUlS6_S6_E_S6_EEDaPvRmT3_T4_T5_mT6_P12ihipStream_tbENKUlT_T0_E_clISt17integral_constantIbLb0EESX_IbLb1EEEEDaST_SU_EUlST_E0_NS1_11comp_targetILNS1_3genE10ELNS1_11target_archE1200ELNS1_3gpuE4ELNS1_3repE0EEENS1_30default_config_static_selectorELNS0_4arch9wavefront6targetE0EEEvT1_,comdat
.Lfunc_end431:
	.size	_ZN7rocprim17ROCPRIM_400000_NS6detail17trampoline_kernelINS0_14default_configENS1_20scan_config_selectorIN3c104HalfEEEZZNS1_9scan_implILNS1_25lookback_scan_determinismE0ELb0ELb0ES3_PKS6_PS6_S6_ZZZN2at6native31launch_logcumsumexp_cuda_kernelERKNSD_10TensorBaseESH_lENKUlvE_clEvENKUlvE3_clEvEUlS6_S6_E_S6_EEDaPvRmT3_T4_T5_mT6_P12ihipStream_tbENKUlT_T0_E_clISt17integral_constantIbLb0EESX_IbLb1EEEEDaST_SU_EUlST_E0_NS1_11comp_targetILNS1_3genE10ELNS1_11target_archE1200ELNS1_3gpuE4ELNS1_3repE0EEENS1_30default_config_static_selectorELNS0_4arch9wavefront6targetE0EEEvT1_, .Lfunc_end431-_ZN7rocprim17ROCPRIM_400000_NS6detail17trampoline_kernelINS0_14default_configENS1_20scan_config_selectorIN3c104HalfEEEZZNS1_9scan_implILNS1_25lookback_scan_determinismE0ELb0ELb0ES3_PKS6_PS6_S6_ZZZN2at6native31launch_logcumsumexp_cuda_kernelERKNSD_10TensorBaseESH_lENKUlvE_clEvENKUlvE3_clEvEUlS6_S6_E_S6_EEDaPvRmT3_T4_T5_mT6_P12ihipStream_tbENKUlT_T0_E_clISt17integral_constantIbLb0EESX_IbLb1EEEEDaST_SU_EUlST_E0_NS1_11comp_targetILNS1_3genE10ELNS1_11target_archE1200ELNS1_3gpuE4ELNS1_3repE0EEENS1_30default_config_static_selectorELNS0_4arch9wavefront6targetE0EEEvT1_
                                        ; -- End function
	.set _ZN7rocprim17ROCPRIM_400000_NS6detail17trampoline_kernelINS0_14default_configENS1_20scan_config_selectorIN3c104HalfEEEZZNS1_9scan_implILNS1_25lookback_scan_determinismE0ELb0ELb0ES3_PKS6_PS6_S6_ZZZN2at6native31launch_logcumsumexp_cuda_kernelERKNSD_10TensorBaseESH_lENKUlvE_clEvENKUlvE3_clEvEUlS6_S6_E_S6_EEDaPvRmT3_T4_T5_mT6_P12ihipStream_tbENKUlT_T0_E_clISt17integral_constantIbLb0EESX_IbLb1EEEEDaST_SU_EUlST_E0_NS1_11comp_targetILNS1_3genE10ELNS1_11target_archE1200ELNS1_3gpuE4ELNS1_3repE0EEENS1_30default_config_static_selectorELNS0_4arch9wavefront6targetE0EEEvT1_.num_vgpr, 0
	.set _ZN7rocprim17ROCPRIM_400000_NS6detail17trampoline_kernelINS0_14default_configENS1_20scan_config_selectorIN3c104HalfEEEZZNS1_9scan_implILNS1_25lookback_scan_determinismE0ELb0ELb0ES3_PKS6_PS6_S6_ZZZN2at6native31launch_logcumsumexp_cuda_kernelERKNSD_10TensorBaseESH_lENKUlvE_clEvENKUlvE3_clEvEUlS6_S6_E_S6_EEDaPvRmT3_T4_T5_mT6_P12ihipStream_tbENKUlT_T0_E_clISt17integral_constantIbLb0EESX_IbLb1EEEEDaST_SU_EUlST_E0_NS1_11comp_targetILNS1_3genE10ELNS1_11target_archE1200ELNS1_3gpuE4ELNS1_3repE0EEENS1_30default_config_static_selectorELNS0_4arch9wavefront6targetE0EEEvT1_.num_agpr, 0
	.set _ZN7rocprim17ROCPRIM_400000_NS6detail17trampoline_kernelINS0_14default_configENS1_20scan_config_selectorIN3c104HalfEEEZZNS1_9scan_implILNS1_25lookback_scan_determinismE0ELb0ELb0ES3_PKS6_PS6_S6_ZZZN2at6native31launch_logcumsumexp_cuda_kernelERKNSD_10TensorBaseESH_lENKUlvE_clEvENKUlvE3_clEvEUlS6_S6_E_S6_EEDaPvRmT3_T4_T5_mT6_P12ihipStream_tbENKUlT_T0_E_clISt17integral_constantIbLb0EESX_IbLb1EEEEDaST_SU_EUlST_E0_NS1_11comp_targetILNS1_3genE10ELNS1_11target_archE1200ELNS1_3gpuE4ELNS1_3repE0EEENS1_30default_config_static_selectorELNS0_4arch9wavefront6targetE0EEEvT1_.numbered_sgpr, 0
	.set _ZN7rocprim17ROCPRIM_400000_NS6detail17trampoline_kernelINS0_14default_configENS1_20scan_config_selectorIN3c104HalfEEEZZNS1_9scan_implILNS1_25lookback_scan_determinismE0ELb0ELb0ES3_PKS6_PS6_S6_ZZZN2at6native31launch_logcumsumexp_cuda_kernelERKNSD_10TensorBaseESH_lENKUlvE_clEvENKUlvE3_clEvEUlS6_S6_E_S6_EEDaPvRmT3_T4_T5_mT6_P12ihipStream_tbENKUlT_T0_E_clISt17integral_constantIbLb0EESX_IbLb1EEEEDaST_SU_EUlST_E0_NS1_11comp_targetILNS1_3genE10ELNS1_11target_archE1200ELNS1_3gpuE4ELNS1_3repE0EEENS1_30default_config_static_selectorELNS0_4arch9wavefront6targetE0EEEvT1_.num_named_barrier, 0
	.set _ZN7rocprim17ROCPRIM_400000_NS6detail17trampoline_kernelINS0_14default_configENS1_20scan_config_selectorIN3c104HalfEEEZZNS1_9scan_implILNS1_25lookback_scan_determinismE0ELb0ELb0ES3_PKS6_PS6_S6_ZZZN2at6native31launch_logcumsumexp_cuda_kernelERKNSD_10TensorBaseESH_lENKUlvE_clEvENKUlvE3_clEvEUlS6_S6_E_S6_EEDaPvRmT3_T4_T5_mT6_P12ihipStream_tbENKUlT_T0_E_clISt17integral_constantIbLb0EESX_IbLb1EEEEDaST_SU_EUlST_E0_NS1_11comp_targetILNS1_3genE10ELNS1_11target_archE1200ELNS1_3gpuE4ELNS1_3repE0EEENS1_30default_config_static_selectorELNS0_4arch9wavefront6targetE0EEEvT1_.private_seg_size, 0
	.set _ZN7rocprim17ROCPRIM_400000_NS6detail17trampoline_kernelINS0_14default_configENS1_20scan_config_selectorIN3c104HalfEEEZZNS1_9scan_implILNS1_25lookback_scan_determinismE0ELb0ELb0ES3_PKS6_PS6_S6_ZZZN2at6native31launch_logcumsumexp_cuda_kernelERKNSD_10TensorBaseESH_lENKUlvE_clEvENKUlvE3_clEvEUlS6_S6_E_S6_EEDaPvRmT3_T4_T5_mT6_P12ihipStream_tbENKUlT_T0_E_clISt17integral_constantIbLb0EESX_IbLb1EEEEDaST_SU_EUlST_E0_NS1_11comp_targetILNS1_3genE10ELNS1_11target_archE1200ELNS1_3gpuE4ELNS1_3repE0EEENS1_30default_config_static_selectorELNS0_4arch9wavefront6targetE0EEEvT1_.uses_vcc, 0
	.set _ZN7rocprim17ROCPRIM_400000_NS6detail17trampoline_kernelINS0_14default_configENS1_20scan_config_selectorIN3c104HalfEEEZZNS1_9scan_implILNS1_25lookback_scan_determinismE0ELb0ELb0ES3_PKS6_PS6_S6_ZZZN2at6native31launch_logcumsumexp_cuda_kernelERKNSD_10TensorBaseESH_lENKUlvE_clEvENKUlvE3_clEvEUlS6_S6_E_S6_EEDaPvRmT3_T4_T5_mT6_P12ihipStream_tbENKUlT_T0_E_clISt17integral_constantIbLb0EESX_IbLb1EEEEDaST_SU_EUlST_E0_NS1_11comp_targetILNS1_3genE10ELNS1_11target_archE1200ELNS1_3gpuE4ELNS1_3repE0EEENS1_30default_config_static_selectorELNS0_4arch9wavefront6targetE0EEEvT1_.uses_flat_scratch, 0
	.set _ZN7rocprim17ROCPRIM_400000_NS6detail17trampoline_kernelINS0_14default_configENS1_20scan_config_selectorIN3c104HalfEEEZZNS1_9scan_implILNS1_25lookback_scan_determinismE0ELb0ELb0ES3_PKS6_PS6_S6_ZZZN2at6native31launch_logcumsumexp_cuda_kernelERKNSD_10TensorBaseESH_lENKUlvE_clEvENKUlvE3_clEvEUlS6_S6_E_S6_EEDaPvRmT3_T4_T5_mT6_P12ihipStream_tbENKUlT_T0_E_clISt17integral_constantIbLb0EESX_IbLb1EEEEDaST_SU_EUlST_E0_NS1_11comp_targetILNS1_3genE10ELNS1_11target_archE1200ELNS1_3gpuE4ELNS1_3repE0EEENS1_30default_config_static_selectorELNS0_4arch9wavefront6targetE0EEEvT1_.has_dyn_sized_stack, 0
	.set _ZN7rocprim17ROCPRIM_400000_NS6detail17trampoline_kernelINS0_14default_configENS1_20scan_config_selectorIN3c104HalfEEEZZNS1_9scan_implILNS1_25lookback_scan_determinismE0ELb0ELb0ES3_PKS6_PS6_S6_ZZZN2at6native31launch_logcumsumexp_cuda_kernelERKNSD_10TensorBaseESH_lENKUlvE_clEvENKUlvE3_clEvEUlS6_S6_E_S6_EEDaPvRmT3_T4_T5_mT6_P12ihipStream_tbENKUlT_T0_E_clISt17integral_constantIbLb0EESX_IbLb1EEEEDaST_SU_EUlST_E0_NS1_11comp_targetILNS1_3genE10ELNS1_11target_archE1200ELNS1_3gpuE4ELNS1_3repE0EEENS1_30default_config_static_selectorELNS0_4arch9wavefront6targetE0EEEvT1_.has_recursion, 0
	.set _ZN7rocprim17ROCPRIM_400000_NS6detail17trampoline_kernelINS0_14default_configENS1_20scan_config_selectorIN3c104HalfEEEZZNS1_9scan_implILNS1_25lookback_scan_determinismE0ELb0ELb0ES3_PKS6_PS6_S6_ZZZN2at6native31launch_logcumsumexp_cuda_kernelERKNSD_10TensorBaseESH_lENKUlvE_clEvENKUlvE3_clEvEUlS6_S6_E_S6_EEDaPvRmT3_T4_T5_mT6_P12ihipStream_tbENKUlT_T0_E_clISt17integral_constantIbLb0EESX_IbLb1EEEEDaST_SU_EUlST_E0_NS1_11comp_targetILNS1_3genE10ELNS1_11target_archE1200ELNS1_3gpuE4ELNS1_3repE0EEENS1_30default_config_static_selectorELNS0_4arch9wavefront6targetE0EEEvT1_.has_indirect_call, 0
	.section	.AMDGPU.csdata,"",@progbits
; Kernel info:
; codeLenInByte = 0
; TotalNumSgprs: 0
; NumVgprs: 0
; ScratchSize: 0
; MemoryBound: 0
; FloatMode: 240
; IeeeMode: 1
; LDSByteSize: 0 bytes/workgroup (compile time only)
; SGPRBlocks: 0
; VGPRBlocks: 0
; NumSGPRsForWavesPerEU: 1
; NumVGPRsForWavesPerEU: 1
; Occupancy: 16
; WaveLimiterHint : 0
; COMPUTE_PGM_RSRC2:SCRATCH_EN: 0
; COMPUTE_PGM_RSRC2:USER_SGPR: 6
; COMPUTE_PGM_RSRC2:TRAP_HANDLER: 0
; COMPUTE_PGM_RSRC2:TGID_X_EN: 1
; COMPUTE_PGM_RSRC2:TGID_Y_EN: 0
; COMPUTE_PGM_RSRC2:TGID_Z_EN: 0
; COMPUTE_PGM_RSRC2:TIDIG_COMP_CNT: 0
	.section	.text._ZN7rocprim17ROCPRIM_400000_NS6detail17trampoline_kernelINS0_14default_configENS1_20scan_config_selectorIN3c104HalfEEEZZNS1_9scan_implILNS1_25lookback_scan_determinismE0ELb0ELb0ES3_PKS6_PS6_S6_ZZZN2at6native31launch_logcumsumexp_cuda_kernelERKNSD_10TensorBaseESH_lENKUlvE_clEvENKUlvE3_clEvEUlS6_S6_E_S6_EEDaPvRmT3_T4_T5_mT6_P12ihipStream_tbENKUlT_T0_E_clISt17integral_constantIbLb0EESX_IbLb1EEEEDaST_SU_EUlST_E0_NS1_11comp_targetILNS1_3genE9ELNS1_11target_archE1100ELNS1_3gpuE3ELNS1_3repE0EEENS1_30default_config_static_selectorELNS0_4arch9wavefront6targetE0EEEvT1_,"axG",@progbits,_ZN7rocprim17ROCPRIM_400000_NS6detail17trampoline_kernelINS0_14default_configENS1_20scan_config_selectorIN3c104HalfEEEZZNS1_9scan_implILNS1_25lookback_scan_determinismE0ELb0ELb0ES3_PKS6_PS6_S6_ZZZN2at6native31launch_logcumsumexp_cuda_kernelERKNSD_10TensorBaseESH_lENKUlvE_clEvENKUlvE3_clEvEUlS6_S6_E_S6_EEDaPvRmT3_T4_T5_mT6_P12ihipStream_tbENKUlT_T0_E_clISt17integral_constantIbLb0EESX_IbLb1EEEEDaST_SU_EUlST_E0_NS1_11comp_targetILNS1_3genE9ELNS1_11target_archE1100ELNS1_3gpuE3ELNS1_3repE0EEENS1_30default_config_static_selectorELNS0_4arch9wavefront6targetE0EEEvT1_,comdat
	.globl	_ZN7rocprim17ROCPRIM_400000_NS6detail17trampoline_kernelINS0_14default_configENS1_20scan_config_selectorIN3c104HalfEEEZZNS1_9scan_implILNS1_25lookback_scan_determinismE0ELb0ELb0ES3_PKS6_PS6_S6_ZZZN2at6native31launch_logcumsumexp_cuda_kernelERKNSD_10TensorBaseESH_lENKUlvE_clEvENKUlvE3_clEvEUlS6_S6_E_S6_EEDaPvRmT3_T4_T5_mT6_P12ihipStream_tbENKUlT_T0_E_clISt17integral_constantIbLb0EESX_IbLb1EEEEDaST_SU_EUlST_E0_NS1_11comp_targetILNS1_3genE9ELNS1_11target_archE1100ELNS1_3gpuE3ELNS1_3repE0EEENS1_30default_config_static_selectorELNS0_4arch9wavefront6targetE0EEEvT1_ ; -- Begin function _ZN7rocprim17ROCPRIM_400000_NS6detail17trampoline_kernelINS0_14default_configENS1_20scan_config_selectorIN3c104HalfEEEZZNS1_9scan_implILNS1_25lookback_scan_determinismE0ELb0ELb0ES3_PKS6_PS6_S6_ZZZN2at6native31launch_logcumsumexp_cuda_kernelERKNSD_10TensorBaseESH_lENKUlvE_clEvENKUlvE3_clEvEUlS6_S6_E_S6_EEDaPvRmT3_T4_T5_mT6_P12ihipStream_tbENKUlT_T0_E_clISt17integral_constantIbLb0EESX_IbLb1EEEEDaST_SU_EUlST_E0_NS1_11comp_targetILNS1_3genE9ELNS1_11target_archE1100ELNS1_3gpuE3ELNS1_3repE0EEENS1_30default_config_static_selectorELNS0_4arch9wavefront6targetE0EEEvT1_
	.p2align	8
	.type	_ZN7rocprim17ROCPRIM_400000_NS6detail17trampoline_kernelINS0_14default_configENS1_20scan_config_selectorIN3c104HalfEEEZZNS1_9scan_implILNS1_25lookback_scan_determinismE0ELb0ELb0ES3_PKS6_PS6_S6_ZZZN2at6native31launch_logcumsumexp_cuda_kernelERKNSD_10TensorBaseESH_lENKUlvE_clEvENKUlvE3_clEvEUlS6_S6_E_S6_EEDaPvRmT3_T4_T5_mT6_P12ihipStream_tbENKUlT_T0_E_clISt17integral_constantIbLb0EESX_IbLb1EEEEDaST_SU_EUlST_E0_NS1_11comp_targetILNS1_3genE9ELNS1_11target_archE1100ELNS1_3gpuE3ELNS1_3repE0EEENS1_30default_config_static_selectorELNS0_4arch9wavefront6targetE0EEEvT1_,@function
_ZN7rocprim17ROCPRIM_400000_NS6detail17trampoline_kernelINS0_14default_configENS1_20scan_config_selectorIN3c104HalfEEEZZNS1_9scan_implILNS1_25lookback_scan_determinismE0ELb0ELb0ES3_PKS6_PS6_S6_ZZZN2at6native31launch_logcumsumexp_cuda_kernelERKNSD_10TensorBaseESH_lENKUlvE_clEvENKUlvE3_clEvEUlS6_S6_E_S6_EEDaPvRmT3_T4_T5_mT6_P12ihipStream_tbENKUlT_T0_E_clISt17integral_constantIbLb0EESX_IbLb1EEEEDaST_SU_EUlST_E0_NS1_11comp_targetILNS1_3genE9ELNS1_11target_archE1100ELNS1_3gpuE3ELNS1_3repE0EEENS1_30default_config_static_selectorELNS0_4arch9wavefront6targetE0EEEvT1_: ; @_ZN7rocprim17ROCPRIM_400000_NS6detail17trampoline_kernelINS0_14default_configENS1_20scan_config_selectorIN3c104HalfEEEZZNS1_9scan_implILNS1_25lookback_scan_determinismE0ELb0ELb0ES3_PKS6_PS6_S6_ZZZN2at6native31launch_logcumsumexp_cuda_kernelERKNSD_10TensorBaseESH_lENKUlvE_clEvENKUlvE3_clEvEUlS6_S6_E_S6_EEDaPvRmT3_T4_T5_mT6_P12ihipStream_tbENKUlT_T0_E_clISt17integral_constantIbLb0EESX_IbLb1EEEEDaST_SU_EUlST_E0_NS1_11comp_targetILNS1_3genE9ELNS1_11target_archE1100ELNS1_3gpuE3ELNS1_3repE0EEENS1_30default_config_static_selectorELNS0_4arch9wavefront6targetE0EEEvT1_
; %bb.0:
	.section	.rodata,"a",@progbits
	.p2align	6, 0x0
	.amdhsa_kernel _ZN7rocprim17ROCPRIM_400000_NS6detail17trampoline_kernelINS0_14default_configENS1_20scan_config_selectorIN3c104HalfEEEZZNS1_9scan_implILNS1_25lookback_scan_determinismE0ELb0ELb0ES3_PKS6_PS6_S6_ZZZN2at6native31launch_logcumsumexp_cuda_kernelERKNSD_10TensorBaseESH_lENKUlvE_clEvENKUlvE3_clEvEUlS6_S6_E_S6_EEDaPvRmT3_T4_T5_mT6_P12ihipStream_tbENKUlT_T0_E_clISt17integral_constantIbLb0EESX_IbLb1EEEEDaST_SU_EUlST_E0_NS1_11comp_targetILNS1_3genE9ELNS1_11target_archE1100ELNS1_3gpuE3ELNS1_3repE0EEENS1_30default_config_static_selectorELNS0_4arch9wavefront6targetE0EEEvT1_
		.amdhsa_group_segment_fixed_size 0
		.amdhsa_private_segment_fixed_size 0
		.amdhsa_kernarg_size 32
		.amdhsa_user_sgpr_count 6
		.amdhsa_user_sgpr_private_segment_buffer 1
		.amdhsa_user_sgpr_dispatch_ptr 0
		.amdhsa_user_sgpr_queue_ptr 0
		.amdhsa_user_sgpr_kernarg_segment_ptr 1
		.amdhsa_user_sgpr_dispatch_id 0
		.amdhsa_user_sgpr_flat_scratch_init 0
		.amdhsa_user_sgpr_private_segment_size 0
		.amdhsa_wavefront_size32 1
		.amdhsa_uses_dynamic_stack 0
		.amdhsa_system_sgpr_private_segment_wavefront_offset 0
		.amdhsa_system_sgpr_workgroup_id_x 1
		.amdhsa_system_sgpr_workgroup_id_y 0
		.amdhsa_system_sgpr_workgroup_id_z 0
		.amdhsa_system_sgpr_workgroup_info 0
		.amdhsa_system_vgpr_workitem_id 0
		.amdhsa_next_free_vgpr 1
		.amdhsa_next_free_sgpr 1
		.amdhsa_reserve_vcc 0
		.amdhsa_reserve_flat_scratch 0
		.amdhsa_float_round_mode_32 0
		.amdhsa_float_round_mode_16_64 0
		.amdhsa_float_denorm_mode_32 3
		.amdhsa_float_denorm_mode_16_64 3
		.amdhsa_dx10_clamp 1
		.amdhsa_ieee_mode 1
		.amdhsa_fp16_overflow 0
		.amdhsa_workgroup_processor_mode 1
		.amdhsa_memory_ordered 1
		.amdhsa_forward_progress 1
		.amdhsa_shared_vgpr_count 0
		.amdhsa_exception_fp_ieee_invalid_op 0
		.amdhsa_exception_fp_denorm_src 0
		.amdhsa_exception_fp_ieee_div_zero 0
		.amdhsa_exception_fp_ieee_overflow 0
		.amdhsa_exception_fp_ieee_underflow 0
		.amdhsa_exception_fp_ieee_inexact 0
		.amdhsa_exception_int_div_zero 0
	.end_amdhsa_kernel
	.section	.text._ZN7rocprim17ROCPRIM_400000_NS6detail17trampoline_kernelINS0_14default_configENS1_20scan_config_selectorIN3c104HalfEEEZZNS1_9scan_implILNS1_25lookback_scan_determinismE0ELb0ELb0ES3_PKS6_PS6_S6_ZZZN2at6native31launch_logcumsumexp_cuda_kernelERKNSD_10TensorBaseESH_lENKUlvE_clEvENKUlvE3_clEvEUlS6_S6_E_S6_EEDaPvRmT3_T4_T5_mT6_P12ihipStream_tbENKUlT_T0_E_clISt17integral_constantIbLb0EESX_IbLb1EEEEDaST_SU_EUlST_E0_NS1_11comp_targetILNS1_3genE9ELNS1_11target_archE1100ELNS1_3gpuE3ELNS1_3repE0EEENS1_30default_config_static_selectorELNS0_4arch9wavefront6targetE0EEEvT1_,"axG",@progbits,_ZN7rocprim17ROCPRIM_400000_NS6detail17trampoline_kernelINS0_14default_configENS1_20scan_config_selectorIN3c104HalfEEEZZNS1_9scan_implILNS1_25lookback_scan_determinismE0ELb0ELb0ES3_PKS6_PS6_S6_ZZZN2at6native31launch_logcumsumexp_cuda_kernelERKNSD_10TensorBaseESH_lENKUlvE_clEvENKUlvE3_clEvEUlS6_S6_E_S6_EEDaPvRmT3_T4_T5_mT6_P12ihipStream_tbENKUlT_T0_E_clISt17integral_constantIbLb0EESX_IbLb1EEEEDaST_SU_EUlST_E0_NS1_11comp_targetILNS1_3genE9ELNS1_11target_archE1100ELNS1_3gpuE3ELNS1_3repE0EEENS1_30default_config_static_selectorELNS0_4arch9wavefront6targetE0EEEvT1_,comdat
.Lfunc_end432:
	.size	_ZN7rocprim17ROCPRIM_400000_NS6detail17trampoline_kernelINS0_14default_configENS1_20scan_config_selectorIN3c104HalfEEEZZNS1_9scan_implILNS1_25lookback_scan_determinismE0ELb0ELb0ES3_PKS6_PS6_S6_ZZZN2at6native31launch_logcumsumexp_cuda_kernelERKNSD_10TensorBaseESH_lENKUlvE_clEvENKUlvE3_clEvEUlS6_S6_E_S6_EEDaPvRmT3_T4_T5_mT6_P12ihipStream_tbENKUlT_T0_E_clISt17integral_constantIbLb0EESX_IbLb1EEEEDaST_SU_EUlST_E0_NS1_11comp_targetILNS1_3genE9ELNS1_11target_archE1100ELNS1_3gpuE3ELNS1_3repE0EEENS1_30default_config_static_selectorELNS0_4arch9wavefront6targetE0EEEvT1_, .Lfunc_end432-_ZN7rocprim17ROCPRIM_400000_NS6detail17trampoline_kernelINS0_14default_configENS1_20scan_config_selectorIN3c104HalfEEEZZNS1_9scan_implILNS1_25lookback_scan_determinismE0ELb0ELb0ES3_PKS6_PS6_S6_ZZZN2at6native31launch_logcumsumexp_cuda_kernelERKNSD_10TensorBaseESH_lENKUlvE_clEvENKUlvE3_clEvEUlS6_S6_E_S6_EEDaPvRmT3_T4_T5_mT6_P12ihipStream_tbENKUlT_T0_E_clISt17integral_constantIbLb0EESX_IbLb1EEEEDaST_SU_EUlST_E0_NS1_11comp_targetILNS1_3genE9ELNS1_11target_archE1100ELNS1_3gpuE3ELNS1_3repE0EEENS1_30default_config_static_selectorELNS0_4arch9wavefront6targetE0EEEvT1_
                                        ; -- End function
	.set _ZN7rocprim17ROCPRIM_400000_NS6detail17trampoline_kernelINS0_14default_configENS1_20scan_config_selectorIN3c104HalfEEEZZNS1_9scan_implILNS1_25lookback_scan_determinismE0ELb0ELb0ES3_PKS6_PS6_S6_ZZZN2at6native31launch_logcumsumexp_cuda_kernelERKNSD_10TensorBaseESH_lENKUlvE_clEvENKUlvE3_clEvEUlS6_S6_E_S6_EEDaPvRmT3_T4_T5_mT6_P12ihipStream_tbENKUlT_T0_E_clISt17integral_constantIbLb0EESX_IbLb1EEEEDaST_SU_EUlST_E0_NS1_11comp_targetILNS1_3genE9ELNS1_11target_archE1100ELNS1_3gpuE3ELNS1_3repE0EEENS1_30default_config_static_selectorELNS0_4arch9wavefront6targetE0EEEvT1_.num_vgpr, 0
	.set _ZN7rocprim17ROCPRIM_400000_NS6detail17trampoline_kernelINS0_14default_configENS1_20scan_config_selectorIN3c104HalfEEEZZNS1_9scan_implILNS1_25lookback_scan_determinismE0ELb0ELb0ES3_PKS6_PS6_S6_ZZZN2at6native31launch_logcumsumexp_cuda_kernelERKNSD_10TensorBaseESH_lENKUlvE_clEvENKUlvE3_clEvEUlS6_S6_E_S6_EEDaPvRmT3_T4_T5_mT6_P12ihipStream_tbENKUlT_T0_E_clISt17integral_constantIbLb0EESX_IbLb1EEEEDaST_SU_EUlST_E0_NS1_11comp_targetILNS1_3genE9ELNS1_11target_archE1100ELNS1_3gpuE3ELNS1_3repE0EEENS1_30default_config_static_selectorELNS0_4arch9wavefront6targetE0EEEvT1_.num_agpr, 0
	.set _ZN7rocprim17ROCPRIM_400000_NS6detail17trampoline_kernelINS0_14default_configENS1_20scan_config_selectorIN3c104HalfEEEZZNS1_9scan_implILNS1_25lookback_scan_determinismE0ELb0ELb0ES3_PKS6_PS6_S6_ZZZN2at6native31launch_logcumsumexp_cuda_kernelERKNSD_10TensorBaseESH_lENKUlvE_clEvENKUlvE3_clEvEUlS6_S6_E_S6_EEDaPvRmT3_T4_T5_mT6_P12ihipStream_tbENKUlT_T0_E_clISt17integral_constantIbLb0EESX_IbLb1EEEEDaST_SU_EUlST_E0_NS1_11comp_targetILNS1_3genE9ELNS1_11target_archE1100ELNS1_3gpuE3ELNS1_3repE0EEENS1_30default_config_static_selectorELNS0_4arch9wavefront6targetE0EEEvT1_.numbered_sgpr, 0
	.set _ZN7rocprim17ROCPRIM_400000_NS6detail17trampoline_kernelINS0_14default_configENS1_20scan_config_selectorIN3c104HalfEEEZZNS1_9scan_implILNS1_25lookback_scan_determinismE0ELb0ELb0ES3_PKS6_PS6_S6_ZZZN2at6native31launch_logcumsumexp_cuda_kernelERKNSD_10TensorBaseESH_lENKUlvE_clEvENKUlvE3_clEvEUlS6_S6_E_S6_EEDaPvRmT3_T4_T5_mT6_P12ihipStream_tbENKUlT_T0_E_clISt17integral_constantIbLb0EESX_IbLb1EEEEDaST_SU_EUlST_E0_NS1_11comp_targetILNS1_3genE9ELNS1_11target_archE1100ELNS1_3gpuE3ELNS1_3repE0EEENS1_30default_config_static_selectorELNS0_4arch9wavefront6targetE0EEEvT1_.num_named_barrier, 0
	.set _ZN7rocprim17ROCPRIM_400000_NS6detail17trampoline_kernelINS0_14default_configENS1_20scan_config_selectorIN3c104HalfEEEZZNS1_9scan_implILNS1_25lookback_scan_determinismE0ELb0ELb0ES3_PKS6_PS6_S6_ZZZN2at6native31launch_logcumsumexp_cuda_kernelERKNSD_10TensorBaseESH_lENKUlvE_clEvENKUlvE3_clEvEUlS6_S6_E_S6_EEDaPvRmT3_T4_T5_mT6_P12ihipStream_tbENKUlT_T0_E_clISt17integral_constantIbLb0EESX_IbLb1EEEEDaST_SU_EUlST_E0_NS1_11comp_targetILNS1_3genE9ELNS1_11target_archE1100ELNS1_3gpuE3ELNS1_3repE0EEENS1_30default_config_static_selectorELNS0_4arch9wavefront6targetE0EEEvT1_.private_seg_size, 0
	.set _ZN7rocprim17ROCPRIM_400000_NS6detail17trampoline_kernelINS0_14default_configENS1_20scan_config_selectorIN3c104HalfEEEZZNS1_9scan_implILNS1_25lookback_scan_determinismE0ELb0ELb0ES3_PKS6_PS6_S6_ZZZN2at6native31launch_logcumsumexp_cuda_kernelERKNSD_10TensorBaseESH_lENKUlvE_clEvENKUlvE3_clEvEUlS6_S6_E_S6_EEDaPvRmT3_T4_T5_mT6_P12ihipStream_tbENKUlT_T0_E_clISt17integral_constantIbLb0EESX_IbLb1EEEEDaST_SU_EUlST_E0_NS1_11comp_targetILNS1_3genE9ELNS1_11target_archE1100ELNS1_3gpuE3ELNS1_3repE0EEENS1_30default_config_static_selectorELNS0_4arch9wavefront6targetE0EEEvT1_.uses_vcc, 0
	.set _ZN7rocprim17ROCPRIM_400000_NS6detail17trampoline_kernelINS0_14default_configENS1_20scan_config_selectorIN3c104HalfEEEZZNS1_9scan_implILNS1_25lookback_scan_determinismE0ELb0ELb0ES3_PKS6_PS6_S6_ZZZN2at6native31launch_logcumsumexp_cuda_kernelERKNSD_10TensorBaseESH_lENKUlvE_clEvENKUlvE3_clEvEUlS6_S6_E_S6_EEDaPvRmT3_T4_T5_mT6_P12ihipStream_tbENKUlT_T0_E_clISt17integral_constantIbLb0EESX_IbLb1EEEEDaST_SU_EUlST_E0_NS1_11comp_targetILNS1_3genE9ELNS1_11target_archE1100ELNS1_3gpuE3ELNS1_3repE0EEENS1_30default_config_static_selectorELNS0_4arch9wavefront6targetE0EEEvT1_.uses_flat_scratch, 0
	.set _ZN7rocprim17ROCPRIM_400000_NS6detail17trampoline_kernelINS0_14default_configENS1_20scan_config_selectorIN3c104HalfEEEZZNS1_9scan_implILNS1_25lookback_scan_determinismE0ELb0ELb0ES3_PKS6_PS6_S6_ZZZN2at6native31launch_logcumsumexp_cuda_kernelERKNSD_10TensorBaseESH_lENKUlvE_clEvENKUlvE3_clEvEUlS6_S6_E_S6_EEDaPvRmT3_T4_T5_mT6_P12ihipStream_tbENKUlT_T0_E_clISt17integral_constantIbLb0EESX_IbLb1EEEEDaST_SU_EUlST_E0_NS1_11comp_targetILNS1_3genE9ELNS1_11target_archE1100ELNS1_3gpuE3ELNS1_3repE0EEENS1_30default_config_static_selectorELNS0_4arch9wavefront6targetE0EEEvT1_.has_dyn_sized_stack, 0
	.set _ZN7rocprim17ROCPRIM_400000_NS6detail17trampoline_kernelINS0_14default_configENS1_20scan_config_selectorIN3c104HalfEEEZZNS1_9scan_implILNS1_25lookback_scan_determinismE0ELb0ELb0ES3_PKS6_PS6_S6_ZZZN2at6native31launch_logcumsumexp_cuda_kernelERKNSD_10TensorBaseESH_lENKUlvE_clEvENKUlvE3_clEvEUlS6_S6_E_S6_EEDaPvRmT3_T4_T5_mT6_P12ihipStream_tbENKUlT_T0_E_clISt17integral_constantIbLb0EESX_IbLb1EEEEDaST_SU_EUlST_E0_NS1_11comp_targetILNS1_3genE9ELNS1_11target_archE1100ELNS1_3gpuE3ELNS1_3repE0EEENS1_30default_config_static_selectorELNS0_4arch9wavefront6targetE0EEEvT1_.has_recursion, 0
	.set _ZN7rocprim17ROCPRIM_400000_NS6detail17trampoline_kernelINS0_14default_configENS1_20scan_config_selectorIN3c104HalfEEEZZNS1_9scan_implILNS1_25lookback_scan_determinismE0ELb0ELb0ES3_PKS6_PS6_S6_ZZZN2at6native31launch_logcumsumexp_cuda_kernelERKNSD_10TensorBaseESH_lENKUlvE_clEvENKUlvE3_clEvEUlS6_S6_E_S6_EEDaPvRmT3_T4_T5_mT6_P12ihipStream_tbENKUlT_T0_E_clISt17integral_constantIbLb0EESX_IbLb1EEEEDaST_SU_EUlST_E0_NS1_11comp_targetILNS1_3genE9ELNS1_11target_archE1100ELNS1_3gpuE3ELNS1_3repE0EEENS1_30default_config_static_selectorELNS0_4arch9wavefront6targetE0EEEvT1_.has_indirect_call, 0
	.section	.AMDGPU.csdata,"",@progbits
; Kernel info:
; codeLenInByte = 0
; TotalNumSgprs: 0
; NumVgprs: 0
; ScratchSize: 0
; MemoryBound: 0
; FloatMode: 240
; IeeeMode: 1
; LDSByteSize: 0 bytes/workgroup (compile time only)
; SGPRBlocks: 0
; VGPRBlocks: 0
; NumSGPRsForWavesPerEU: 1
; NumVGPRsForWavesPerEU: 1
; Occupancy: 16
; WaveLimiterHint : 0
; COMPUTE_PGM_RSRC2:SCRATCH_EN: 0
; COMPUTE_PGM_RSRC2:USER_SGPR: 6
; COMPUTE_PGM_RSRC2:TRAP_HANDLER: 0
; COMPUTE_PGM_RSRC2:TGID_X_EN: 1
; COMPUTE_PGM_RSRC2:TGID_Y_EN: 0
; COMPUTE_PGM_RSRC2:TGID_Z_EN: 0
; COMPUTE_PGM_RSRC2:TIDIG_COMP_CNT: 0
	.section	.text._ZN7rocprim17ROCPRIM_400000_NS6detail17trampoline_kernelINS0_14default_configENS1_20scan_config_selectorIN3c104HalfEEEZZNS1_9scan_implILNS1_25lookback_scan_determinismE0ELb0ELb0ES3_PKS6_PS6_S6_ZZZN2at6native31launch_logcumsumexp_cuda_kernelERKNSD_10TensorBaseESH_lENKUlvE_clEvENKUlvE3_clEvEUlS6_S6_E_S6_EEDaPvRmT3_T4_T5_mT6_P12ihipStream_tbENKUlT_T0_E_clISt17integral_constantIbLb0EESX_IbLb1EEEEDaST_SU_EUlST_E0_NS1_11comp_targetILNS1_3genE8ELNS1_11target_archE1030ELNS1_3gpuE2ELNS1_3repE0EEENS1_30default_config_static_selectorELNS0_4arch9wavefront6targetE0EEEvT1_,"axG",@progbits,_ZN7rocprim17ROCPRIM_400000_NS6detail17trampoline_kernelINS0_14default_configENS1_20scan_config_selectorIN3c104HalfEEEZZNS1_9scan_implILNS1_25lookback_scan_determinismE0ELb0ELb0ES3_PKS6_PS6_S6_ZZZN2at6native31launch_logcumsumexp_cuda_kernelERKNSD_10TensorBaseESH_lENKUlvE_clEvENKUlvE3_clEvEUlS6_S6_E_S6_EEDaPvRmT3_T4_T5_mT6_P12ihipStream_tbENKUlT_T0_E_clISt17integral_constantIbLb0EESX_IbLb1EEEEDaST_SU_EUlST_E0_NS1_11comp_targetILNS1_3genE8ELNS1_11target_archE1030ELNS1_3gpuE2ELNS1_3repE0EEENS1_30default_config_static_selectorELNS0_4arch9wavefront6targetE0EEEvT1_,comdat
	.globl	_ZN7rocprim17ROCPRIM_400000_NS6detail17trampoline_kernelINS0_14default_configENS1_20scan_config_selectorIN3c104HalfEEEZZNS1_9scan_implILNS1_25lookback_scan_determinismE0ELb0ELb0ES3_PKS6_PS6_S6_ZZZN2at6native31launch_logcumsumexp_cuda_kernelERKNSD_10TensorBaseESH_lENKUlvE_clEvENKUlvE3_clEvEUlS6_S6_E_S6_EEDaPvRmT3_T4_T5_mT6_P12ihipStream_tbENKUlT_T0_E_clISt17integral_constantIbLb0EESX_IbLb1EEEEDaST_SU_EUlST_E0_NS1_11comp_targetILNS1_3genE8ELNS1_11target_archE1030ELNS1_3gpuE2ELNS1_3repE0EEENS1_30default_config_static_selectorELNS0_4arch9wavefront6targetE0EEEvT1_ ; -- Begin function _ZN7rocprim17ROCPRIM_400000_NS6detail17trampoline_kernelINS0_14default_configENS1_20scan_config_selectorIN3c104HalfEEEZZNS1_9scan_implILNS1_25lookback_scan_determinismE0ELb0ELb0ES3_PKS6_PS6_S6_ZZZN2at6native31launch_logcumsumexp_cuda_kernelERKNSD_10TensorBaseESH_lENKUlvE_clEvENKUlvE3_clEvEUlS6_S6_E_S6_EEDaPvRmT3_T4_T5_mT6_P12ihipStream_tbENKUlT_T0_E_clISt17integral_constantIbLb0EESX_IbLb1EEEEDaST_SU_EUlST_E0_NS1_11comp_targetILNS1_3genE8ELNS1_11target_archE1030ELNS1_3gpuE2ELNS1_3repE0EEENS1_30default_config_static_selectorELNS0_4arch9wavefront6targetE0EEEvT1_
	.p2align	8
	.type	_ZN7rocprim17ROCPRIM_400000_NS6detail17trampoline_kernelINS0_14default_configENS1_20scan_config_selectorIN3c104HalfEEEZZNS1_9scan_implILNS1_25lookback_scan_determinismE0ELb0ELb0ES3_PKS6_PS6_S6_ZZZN2at6native31launch_logcumsumexp_cuda_kernelERKNSD_10TensorBaseESH_lENKUlvE_clEvENKUlvE3_clEvEUlS6_S6_E_S6_EEDaPvRmT3_T4_T5_mT6_P12ihipStream_tbENKUlT_T0_E_clISt17integral_constantIbLb0EESX_IbLb1EEEEDaST_SU_EUlST_E0_NS1_11comp_targetILNS1_3genE8ELNS1_11target_archE1030ELNS1_3gpuE2ELNS1_3repE0EEENS1_30default_config_static_selectorELNS0_4arch9wavefront6targetE0EEEvT1_,@function
_ZN7rocprim17ROCPRIM_400000_NS6detail17trampoline_kernelINS0_14default_configENS1_20scan_config_selectorIN3c104HalfEEEZZNS1_9scan_implILNS1_25lookback_scan_determinismE0ELb0ELb0ES3_PKS6_PS6_S6_ZZZN2at6native31launch_logcumsumexp_cuda_kernelERKNSD_10TensorBaseESH_lENKUlvE_clEvENKUlvE3_clEvEUlS6_S6_E_S6_EEDaPvRmT3_T4_T5_mT6_P12ihipStream_tbENKUlT_T0_E_clISt17integral_constantIbLb0EESX_IbLb1EEEEDaST_SU_EUlST_E0_NS1_11comp_targetILNS1_3genE8ELNS1_11target_archE1030ELNS1_3gpuE2ELNS1_3repE0EEENS1_30default_config_static_selectorELNS0_4arch9wavefront6targetE0EEEvT1_: ; @_ZN7rocprim17ROCPRIM_400000_NS6detail17trampoline_kernelINS0_14default_configENS1_20scan_config_selectorIN3c104HalfEEEZZNS1_9scan_implILNS1_25lookback_scan_determinismE0ELb0ELb0ES3_PKS6_PS6_S6_ZZZN2at6native31launch_logcumsumexp_cuda_kernelERKNSD_10TensorBaseESH_lENKUlvE_clEvENKUlvE3_clEvEUlS6_S6_E_S6_EEDaPvRmT3_T4_T5_mT6_P12ihipStream_tbENKUlT_T0_E_clISt17integral_constantIbLb0EESX_IbLb1EEEEDaST_SU_EUlST_E0_NS1_11comp_targetILNS1_3genE8ELNS1_11target_archE1030ELNS1_3gpuE2ELNS1_3repE0EEENS1_30default_config_static_selectorELNS0_4arch9wavefront6targetE0EEEvT1_
; %bb.0:
	s_load_dwordx4 s[16:19], s[4:5], 0x0
	v_mov_b32_e32 v1, 0
	v_lshlrev_b32_e32 v7, 1, v0
	s_waitcnt lgkmcnt(0)
	global_load_ushort v1, v1, s[16:17]
	v_cmp_gt_u32_e32 vcc_lo, s18, v0
	s_waitcnt vmcnt(0)
	v_mov_b32_e32 v2, v1
	s_and_saveexec_b32 s0, vcc_lo
	s_cbranch_execz .LBB433_2
; %bb.1:
	global_load_ushort v2, v7, s[16:17]
.LBB433_2:
	s_or_b32 exec_lo, exec_lo, s0
	v_or_b32_e32 v3, 64, v0
	v_cmp_gt_u32_e64 s0, s18, v3
	v_mov_b32_e32 v3, v1
	s_and_saveexec_b32 s1, s0
	s_cbranch_execz .LBB433_4
; %bb.3:
	global_load_ushort v3, v7, s[16:17] offset:128
.LBB433_4:
	s_or_b32 exec_lo, exec_lo, s1
	v_or_b32_e32 v4, 0x80, v0
	v_cmp_gt_u32_e64 s1, s18, v4
	v_mov_b32_e32 v4, v1
	s_and_saveexec_b32 s2, s1
	s_cbranch_execz .LBB433_6
; %bb.5:
	global_load_ushort v4, v7, s[16:17] offset:256
.LBB433_6:
	;; [unrolled: 9-line block ×10, first 2 shown]
	s_or_b32 exec_lo, exec_lo, s12
	v_or_b32_e32 v14, 0x2c0, v0
	v_cmp_gt_u32_e64 s12, s18, v14
	v_cmp_le_u32_e64 s13, s18, v14
	s_and_saveexec_b32 s14, s13
	s_xor_b32 s13, exec_lo, s14
	s_andn2_saveexec_b32 s13, s13
	s_cbranch_execz .LBB433_24
; %bb.23:
	v_lshlrev_b32_e32 v1, 1, v0
	global_load_ushort v1, v1, s[16:17] offset:1408
.LBB433_24:
	s_or_b32 exec_lo, exec_lo, s13
	s_waitcnt vmcnt(0)
	ds_write_b16 v7, v2
	ds_write_b16 v7, v3 offset:128
	ds_write_b16 v7, v4 offset:256
	;; [unrolled: 1-line block ×10, first 2 shown]
	v_mad_u32_u24 v5, v0, 22, v7
	ds_write_b16 v7, v1 offset:1408
	s_waitcnt lgkmcnt(0)
	s_barrier
	buffer_gl0_inv
	ds_read2_b64 v[1:4], v5 offset1:1
	ds_read_b64 v[5:6], v5 offset:16
	s_waitcnt lgkmcnt(0)
	s_barrier
	buffer_gl0_inv
	v_cvt_f32_f16_e32 v8, v1
	v_cvt_f32_f16_sdwa v9, v1 dst_sel:DWORD dst_unused:UNUSED_PAD src0_sel:WORD_1
	v_cmp_u_f16_e64 s24, v1, v1
	v_cmp_u_f16_sdwa s13, v1, v1 src0_sel:WORD_1 src1_sel:WORD_1
	v_mov_b32_e32 v19, v1
	v_mov_b32_e32 v20, v8
	v_min_f32_e32 v16, v8, v9
	v_max_f32_e32 v17, v8, v9
	v_mov_b32_e32 v18, v1
	v_cndmask_b32_e64 v10, v16, v8, s24
	v_cndmask_b32_e64 v12, v17, v8, s24
	;; [unrolled: 1-line block ×4, first 2 shown]
	v_cmp_class_f32_e64 s15, v11, 0x1f8
	v_cmp_neq_f32_e64 s14, v11, v10
	s_or_b32 s14, s14, s15
	s_and_saveexec_b32 s15, s14
	s_cbranch_execz .LBB433_26
; %bb.25:
	v_sub_f32_e32 v11, v11, v10
	v_mul_f32_e32 v12, 0x3fb8aa3b, v11
	v_cmp_ngt_f32_e64 s14, 0xc2ce8ed0, v11
	v_fma_f32 v13, 0x3fb8aa3b, v11, -v12
	v_rndne_f32_e32 v14, v12
	v_fmamk_f32 v13, v11, 0x32a5705f, v13
	v_sub_f32_e32 v12, v12, v14
	v_add_f32_e32 v12, v12, v13
	v_cvt_i32_f32_e32 v13, v14
	v_exp_f32_e32 v12, v12
	v_ldexp_f32 v12, v12, v13
	v_cndmask_b32_e64 v12, 0, v12, s14
	v_cmp_nlt_f32_e64 s14, 0x42b17218, v11
	v_cndmask_b32_e64 v13, 0x7f800000, v12, s14
	v_add_f32_e32 v14, 1.0, v13
	v_cvt_f64_f32_e32 v[11:12], v14
	v_frexp_exp_i32_f64_e32 v11, v[11:12]
	v_frexp_mant_f32_e32 v12, v14
	v_cmp_gt_f32_e64 s14, 0x3f2aaaab, v12
	v_add_f32_e32 v12, -1.0, v14
	v_sub_f32_e32 v18, v12, v14
	v_sub_f32_e32 v12, v13, v12
	v_add_f32_e32 v18, 1.0, v18
	v_add_f32_e32 v12, v12, v18
	v_subrev_co_ci_u32_e64 v11, null, 0, v11, s14
	s_mov_b32 s14, 0x3e9b6dac
	v_sub_nc_u32_e32 v15, 0, v11
	v_cvt_f32_i32_e32 v11, v11
	v_ldexp_f32 v14, v14, v15
	v_ldexp_f32 v12, v12, v15
	v_add_f32_e32 v19, 1.0, v14
	v_add_f32_e32 v15, -1.0, v14
	v_add_f32_e32 v18, -1.0, v19
	v_add_f32_e32 v20, 1.0, v15
	v_sub_f32_e32 v18, v14, v18
	v_sub_f32_e32 v14, v14, v20
	v_add_f32_e32 v18, v12, v18
	v_add_f32_e32 v12, v12, v14
	v_add_f32_e32 v20, v19, v18
	v_add_f32_e32 v21, v15, v12
	v_rcp_f32_e32 v14, v20
	v_sub_f32_e32 v19, v19, v20
	v_sub_f32_e32 v15, v15, v21
	v_add_f32_e32 v18, v18, v19
	v_add_f32_e32 v12, v12, v15
	v_mul_f32_e32 v22, v21, v14
	v_mul_f32_e32 v23, v20, v22
	v_fma_f32 v19, v22, v20, -v23
	v_fmac_f32_e32 v19, v22, v18
	v_add_f32_e32 v24, v23, v19
	v_sub_f32_e32 v25, v21, v24
	v_sub_f32_e32 v15, v24, v23
	;; [unrolled: 1-line block ×5, first 2 shown]
	v_add_f32_e32 v12, v12, v21
	v_add_f32_e32 v12, v15, v12
	;; [unrolled: 1-line block ×3, first 2 shown]
	v_mul_f32_e32 v19, v14, v15
	v_sub_f32_e32 v24, v25, v15
	v_mul_f32_e32 v21, v20, v19
	v_add_f32_e32 v12, v12, v24
	v_fma_f32 v20, v19, v20, -v21
	v_fmac_f32_e32 v20, v19, v18
	v_add_f32_e32 v18, v21, v20
	v_sub_f32_e32 v23, v15, v18
	v_sub_f32_e32 v21, v18, v21
	v_sub_f32_e32 v15, v15, v23
	v_sub_f32_e32 v15, v15, v18
	v_sub_f32_e32 v18, v21, v20
	v_add_f32_e32 v12, v12, v15
	v_add_f32_e32 v15, v22, v19
	;; [unrolled: 1-line block ×3, first 2 shown]
	v_sub_f32_e32 v18, v15, v22
	v_add_f32_e32 v12, v23, v12
	v_sub_f32_e32 v18, v19, v18
	v_mul_f32_e32 v12, v14, v12
	v_add_f32_e32 v12, v18, v12
	v_add_f32_e32 v14, v15, v12
	v_mul_f32_e32 v18, v14, v14
	v_fmaak_f32 v19, s14, v18, 0x3ecc95a3
	v_mul_f32_e32 v20, v14, v18
	v_cmp_neq_f32_e64 s14, 0x7f800000, v13
	v_fmaak_f32 v18, v18, v19, 0x3f2aaada
	v_ldexp_f32 v19, v14, 1
	v_sub_f32_e32 v14, v14, v15
	v_mul_f32_e32 v18, v20, v18
	v_mul_f32_e32 v20, 0x3f317218, v11
	v_sub_f32_e32 v12, v12, v14
	v_add_f32_e32 v15, v19, v18
	v_ldexp_f32 v12, v12, 1
	v_sub_f32_e32 v14, v15, v19
	v_fma_f32 v19, 0x3f317218, v11, -v20
	v_sub_f32_e32 v14, v18, v14
	v_fmamk_f32 v11, v11, 0xb102e308, v19
	v_add_f32_e32 v12, v12, v14
	v_add_f32_e32 v14, v20, v11
	;; [unrolled: 1-line block ×3, first 2 shown]
	v_sub_f32_e32 v20, v14, v20
	v_add_f32_e32 v19, v14, v18
	v_sub_f32_e32 v15, v18, v15
	v_sub_f32_e32 v11, v11, v20
	;; [unrolled: 1-line block ×6, first 2 shown]
	v_add_f32_e32 v18, v11, v12
	v_sub_f32_e32 v14, v14, v22
	v_add_f32_e32 v14, v15, v14
	v_sub_f32_e32 v15, v18, v11
	v_add_f32_e32 v14, v18, v14
	v_sub_f32_e32 v18, v18, v15
	v_sub_f32_e32 v12, v12, v15
	v_add_f32_e32 v20, v19, v14
	v_sub_f32_e32 v11, v11, v18
	v_sub_f32_e32 v15, v20, v19
	v_add_f32_e32 v11, v12, v11
	v_sub_f32_e32 v12, v14, v15
	v_add_f32_e32 v11, v11, v12
	v_add_f32_e32 v11, v20, v11
	v_cndmask_b32_e64 v11, 0x7f800000, v11, s14
	v_cmp_gt_f32_e64 s14, 0x33800000, |v13|
	v_cndmask_b32_e64 v11, v11, v13, s14
	v_add_f32_e32 v10, v10, v11
	v_cvt_f16_f32_e32 v19, v10
	v_cvt_f32_f16_e32 v20, v19
	v_mov_b32_e32 v18, v19
.LBB433_26:
	s_or_b32 exec_lo, exec_lo, s15
	v_cvt_f32_f16_e32 v10, v2
	v_max_f32_e32 v11, v20, v20
	v_cmp_u_f16_e64 s14, v19, v19
	v_min_f32_e32 v12, v11, v10
	v_max_f32_e32 v11, v11, v10
	v_cndmask_b32_e64 v12, v12, v20, s14
	v_cndmask_b32_e64 v11, v11, v20, s14
	v_cmp_u_f16_e64 s14, v2, v2
	v_cndmask_b32_e64 v12, v12, v10, s14
	v_cndmask_b32_e64 v11, v11, v10, s14
	v_cmp_class_f32_e64 s16, v12, 0x1f8
	v_cmp_neq_f32_e64 s15, v12, v11
	s_or_b32 s15, s15, s16
	s_and_saveexec_b32 s16, s15
	s_cbranch_execz .LBB433_28
; %bb.27:
	v_sub_f32_e32 v12, v12, v11
	v_mul_f32_e32 v13, 0x3fb8aa3b, v12
	v_cmp_ngt_f32_e64 s15, 0xc2ce8ed0, v12
	v_fma_f32 v14, 0x3fb8aa3b, v12, -v13
	v_rndne_f32_e32 v15, v13
	v_fmamk_f32 v14, v12, 0x32a5705f, v14
	v_sub_f32_e32 v13, v13, v15
	v_add_f32_e32 v13, v13, v14
	v_cvt_i32_f32_e32 v14, v15
	v_exp_f32_e32 v13, v13
	v_ldexp_f32 v13, v13, v14
	v_cndmask_b32_e64 v13, 0, v13, s15
	v_cmp_nlt_f32_e64 s15, 0x42b17218, v12
	v_cndmask_b32_e64 v14, 0x7f800000, v13, s15
	v_add_f32_e32 v15, 1.0, v14
	v_cvt_f64_f32_e32 v[12:13], v15
	v_frexp_exp_i32_f64_e32 v12, v[12:13]
	v_frexp_mant_f32_e32 v13, v15
	v_cmp_gt_f32_e64 s15, 0x3f2aaaab, v13
	v_add_f32_e32 v13, -1.0, v15
	v_sub_f32_e32 v19, v13, v15
	v_sub_f32_e32 v13, v14, v13
	v_add_f32_e32 v19, 1.0, v19
	v_add_f32_e32 v13, v13, v19
	v_subrev_co_ci_u32_e64 v12, null, 0, v12, s15
	s_mov_b32 s15, 0x3e9b6dac
	v_sub_nc_u32_e32 v18, 0, v12
	v_cvt_f32_i32_e32 v12, v12
	v_ldexp_f32 v15, v15, v18
	v_ldexp_f32 v13, v13, v18
	v_add_f32_e32 v20, 1.0, v15
	v_add_f32_e32 v18, -1.0, v15
	v_add_f32_e32 v19, -1.0, v20
	v_add_f32_e32 v21, 1.0, v18
	v_sub_f32_e32 v19, v15, v19
	v_sub_f32_e32 v15, v15, v21
	v_add_f32_e32 v19, v13, v19
	v_add_f32_e32 v13, v13, v15
	;; [unrolled: 1-line block ×4, first 2 shown]
	v_rcp_f32_e32 v15, v21
	v_sub_f32_e32 v20, v20, v21
	v_sub_f32_e32 v18, v18, v22
	v_add_f32_e32 v19, v19, v20
	v_add_f32_e32 v13, v13, v18
	v_mul_f32_e32 v23, v22, v15
	v_mul_f32_e32 v24, v21, v23
	v_fma_f32 v20, v23, v21, -v24
	v_fmac_f32_e32 v20, v23, v19
	v_add_f32_e32 v25, v24, v20
	v_sub_f32_e32 v26, v22, v25
	v_sub_f32_e32 v18, v25, v24
	;; [unrolled: 1-line block ×5, first 2 shown]
	v_add_f32_e32 v13, v13, v22
	v_add_f32_e32 v13, v18, v13
	;; [unrolled: 1-line block ×3, first 2 shown]
	v_mul_f32_e32 v20, v15, v18
	v_sub_f32_e32 v25, v26, v18
	v_mul_f32_e32 v22, v21, v20
	v_add_f32_e32 v13, v13, v25
	v_fma_f32 v21, v20, v21, -v22
	v_fmac_f32_e32 v21, v20, v19
	v_add_f32_e32 v19, v22, v21
	v_sub_f32_e32 v24, v18, v19
	v_sub_f32_e32 v22, v19, v22
	;; [unrolled: 1-line block ×5, first 2 shown]
	v_add_f32_e32 v13, v13, v18
	v_add_f32_e32 v18, v23, v20
	;; [unrolled: 1-line block ×3, first 2 shown]
	v_sub_f32_e32 v19, v18, v23
	v_add_f32_e32 v13, v24, v13
	v_sub_f32_e32 v19, v20, v19
	v_mul_f32_e32 v13, v15, v13
	v_add_f32_e32 v13, v19, v13
	v_add_f32_e32 v15, v18, v13
	v_mul_f32_e32 v19, v15, v15
	v_fmaak_f32 v20, s15, v19, 0x3ecc95a3
	v_mul_f32_e32 v21, v15, v19
	v_cmp_neq_f32_e64 s15, 0x7f800000, v14
	v_fmaak_f32 v19, v19, v20, 0x3f2aaada
	v_ldexp_f32 v20, v15, 1
	v_sub_f32_e32 v15, v15, v18
	v_mul_f32_e32 v19, v21, v19
	v_mul_f32_e32 v21, 0x3f317218, v12
	v_sub_f32_e32 v13, v13, v15
	v_add_f32_e32 v18, v20, v19
	v_ldexp_f32 v13, v13, 1
	v_sub_f32_e32 v15, v18, v20
	v_fma_f32 v20, 0x3f317218, v12, -v21
	v_sub_f32_e32 v15, v19, v15
	v_fmamk_f32 v12, v12, 0xb102e308, v20
	v_add_f32_e32 v13, v13, v15
	v_add_f32_e32 v15, v21, v12
	;; [unrolled: 1-line block ×3, first 2 shown]
	v_sub_f32_e32 v21, v15, v21
	v_add_f32_e32 v20, v15, v19
	v_sub_f32_e32 v18, v19, v18
	v_sub_f32_e32 v12, v12, v21
	;; [unrolled: 1-line block ×6, first 2 shown]
	v_add_f32_e32 v19, v12, v13
	v_sub_f32_e32 v15, v15, v23
	v_add_f32_e32 v15, v18, v15
	v_sub_f32_e32 v18, v19, v12
	v_add_f32_e32 v15, v19, v15
	v_sub_f32_e32 v19, v19, v18
	v_sub_f32_e32 v13, v13, v18
	v_add_f32_e32 v21, v20, v15
	v_sub_f32_e32 v12, v12, v19
	v_sub_f32_e32 v18, v21, v20
	v_add_f32_e32 v12, v13, v12
	v_sub_f32_e32 v13, v15, v18
	v_add_f32_e32 v12, v12, v13
	v_add_f32_e32 v12, v21, v12
	v_cndmask_b32_e64 v12, 0x7f800000, v12, s15
	v_cmp_gt_f32_e64 s15, 0x33800000, |v14|
	v_cndmask_b32_e64 v12, v12, v14, s15
	v_add_f32_e32 v11, v11, v12
	v_cvt_f16_f32_e32 v19, v11
	v_cvt_f32_f16_e32 v20, v19
	v_mov_b32_e32 v18, v19
.LBB433_28:
	s_or_b32 exec_lo, exec_lo, s16
	v_cvt_f32_f16_sdwa v11, v2 dst_sel:DWORD dst_unused:UNUSED_PAD src0_sel:WORD_1
	v_max_f32_e32 v12, v20, v20
	v_cmp_u_f16_e64 s15, v19, v19
	v_min_f32_e32 v13, v12, v11
	v_max_f32_e32 v12, v12, v11
	v_cndmask_b32_e64 v13, v13, v20, s15
	v_cndmask_b32_e64 v14, v12, v20, s15
	v_cmp_u_f16_sdwa s15, v2, v2 src0_sel:WORD_1 src1_sel:WORD_1
	v_cndmask_b32_e64 v12, v13, v11, s15
	v_cndmask_b32_e64 v2, v14, v11, s15
	v_cmp_class_f32_e64 s17, v12, 0x1f8
	v_cmp_neq_f32_e64 s16, v12, v2
	s_or_b32 s16, s16, s17
	s_and_saveexec_b32 s17, s16
	s_cbranch_execz .LBB433_30
; %bb.29:
	v_sub_f32_e32 v12, v12, v2
	v_mul_f32_e32 v13, 0x3fb8aa3b, v12
	v_cmp_ngt_f32_e64 s16, 0xc2ce8ed0, v12
	v_fma_f32 v14, 0x3fb8aa3b, v12, -v13
	v_rndne_f32_e32 v15, v13
	v_fmamk_f32 v14, v12, 0x32a5705f, v14
	v_sub_f32_e32 v13, v13, v15
	v_add_f32_e32 v13, v13, v14
	v_cvt_i32_f32_e32 v14, v15
	v_exp_f32_e32 v13, v13
	v_ldexp_f32 v13, v13, v14
	v_cndmask_b32_e64 v13, 0, v13, s16
	v_cmp_nlt_f32_e64 s16, 0x42b17218, v12
	v_cndmask_b32_e64 v14, 0x7f800000, v13, s16
	v_add_f32_e32 v15, 1.0, v14
	v_cvt_f64_f32_e32 v[12:13], v15
	v_frexp_exp_i32_f64_e32 v12, v[12:13]
	v_frexp_mant_f32_e32 v13, v15
	v_cmp_gt_f32_e64 s16, 0x3f2aaaab, v13
	v_add_f32_e32 v13, -1.0, v15
	v_sub_f32_e32 v19, v13, v15
	v_sub_f32_e32 v13, v14, v13
	v_add_f32_e32 v19, 1.0, v19
	v_add_f32_e32 v13, v13, v19
	v_subrev_co_ci_u32_e64 v12, null, 0, v12, s16
	s_mov_b32 s16, 0x3e9b6dac
	v_sub_nc_u32_e32 v18, 0, v12
	v_cvt_f32_i32_e32 v12, v12
	v_ldexp_f32 v15, v15, v18
	v_ldexp_f32 v13, v13, v18
	v_add_f32_e32 v20, 1.0, v15
	v_add_f32_e32 v18, -1.0, v15
	v_add_f32_e32 v19, -1.0, v20
	v_add_f32_e32 v21, 1.0, v18
	v_sub_f32_e32 v19, v15, v19
	v_sub_f32_e32 v15, v15, v21
	v_add_f32_e32 v19, v13, v19
	v_add_f32_e32 v13, v13, v15
	;; [unrolled: 1-line block ×4, first 2 shown]
	v_rcp_f32_e32 v15, v21
	v_sub_f32_e32 v20, v20, v21
	v_sub_f32_e32 v18, v18, v22
	v_add_f32_e32 v19, v19, v20
	v_add_f32_e32 v13, v13, v18
	v_mul_f32_e32 v23, v22, v15
	v_mul_f32_e32 v24, v21, v23
	v_fma_f32 v20, v23, v21, -v24
	v_fmac_f32_e32 v20, v23, v19
	v_add_f32_e32 v25, v24, v20
	v_sub_f32_e32 v26, v22, v25
	v_sub_f32_e32 v18, v25, v24
	;; [unrolled: 1-line block ×5, first 2 shown]
	v_add_f32_e32 v13, v13, v22
	v_add_f32_e32 v13, v18, v13
	;; [unrolled: 1-line block ×3, first 2 shown]
	v_mul_f32_e32 v20, v15, v18
	v_sub_f32_e32 v25, v26, v18
	v_mul_f32_e32 v22, v21, v20
	v_add_f32_e32 v13, v13, v25
	v_fma_f32 v21, v20, v21, -v22
	v_fmac_f32_e32 v21, v20, v19
	v_add_f32_e32 v19, v22, v21
	v_sub_f32_e32 v24, v18, v19
	v_sub_f32_e32 v22, v19, v22
	;; [unrolled: 1-line block ×5, first 2 shown]
	v_add_f32_e32 v13, v13, v18
	v_add_f32_e32 v18, v23, v20
	;; [unrolled: 1-line block ×3, first 2 shown]
	v_sub_f32_e32 v19, v18, v23
	v_add_f32_e32 v13, v24, v13
	v_sub_f32_e32 v19, v20, v19
	v_mul_f32_e32 v13, v15, v13
	v_add_f32_e32 v13, v19, v13
	v_add_f32_e32 v15, v18, v13
	v_mul_f32_e32 v19, v15, v15
	v_fmaak_f32 v20, s16, v19, 0x3ecc95a3
	v_mul_f32_e32 v21, v15, v19
	v_cmp_neq_f32_e64 s16, 0x7f800000, v14
	v_fmaak_f32 v19, v19, v20, 0x3f2aaada
	v_ldexp_f32 v20, v15, 1
	v_sub_f32_e32 v15, v15, v18
	v_mul_f32_e32 v19, v21, v19
	v_mul_f32_e32 v21, 0x3f317218, v12
	v_sub_f32_e32 v13, v13, v15
	v_add_f32_e32 v18, v20, v19
	v_ldexp_f32 v13, v13, 1
	v_sub_f32_e32 v15, v18, v20
	v_fma_f32 v20, 0x3f317218, v12, -v21
	v_sub_f32_e32 v15, v19, v15
	v_fmamk_f32 v12, v12, 0xb102e308, v20
	v_add_f32_e32 v13, v13, v15
	v_add_f32_e32 v15, v21, v12
	v_add_f32_e32 v19, v18, v13
	v_sub_f32_e32 v21, v15, v21
	v_add_f32_e32 v20, v15, v19
	v_sub_f32_e32 v18, v19, v18
	v_sub_f32_e32 v12, v12, v21
	v_sub_f32_e32 v22, v20, v15
	v_sub_f32_e32 v13, v13, v18
	v_sub_f32_e32 v23, v20, v22
	v_sub_f32_e32 v18, v19, v22
	v_add_f32_e32 v19, v12, v13
	v_sub_f32_e32 v15, v15, v23
	v_add_f32_e32 v15, v18, v15
	v_sub_f32_e32 v18, v19, v12
	;; [unrolled: 2-line block ×3, first 2 shown]
	v_sub_f32_e32 v13, v13, v18
	v_add_f32_e32 v21, v20, v15
	v_sub_f32_e32 v12, v12, v19
	v_sub_f32_e32 v18, v21, v20
	v_add_f32_e32 v12, v13, v12
	v_sub_f32_e32 v13, v15, v18
	v_add_f32_e32 v12, v12, v13
	v_add_f32_e32 v12, v21, v12
	v_cndmask_b32_e64 v12, 0x7f800000, v12, s16
	v_cmp_gt_f32_e64 s16, 0x33800000, |v14|
	v_cndmask_b32_e64 v12, v12, v14, s16
	v_add_f32_e32 v2, v2, v12
	v_cvt_f16_f32_e32 v19, v2
	v_cvt_f32_f16_e32 v20, v19
	v_mov_b32_e32 v18, v19
.LBB433_30:
	s_or_b32 exec_lo, exec_lo, s17
	v_cvt_f32_f16_e32 v2, v3
	v_max_f32_e32 v12, v20, v20
	v_cmp_u_f16_e64 s16, v19, v19
	v_min_f32_e32 v13, v12, v2
	v_max_f32_e32 v12, v12, v2
	v_cndmask_b32_e64 v13, v13, v20, s16
	v_cndmask_b32_e64 v12, v12, v20, s16
	v_cmp_u_f16_e64 s16, v3, v3
	v_cndmask_b32_e64 v13, v13, v2, s16
	v_cndmask_b32_e64 v12, v12, v2, s16
	v_cmp_class_f32_e64 s18, v13, 0x1f8
	v_cmp_neq_f32_e64 s17, v13, v12
	s_or_b32 s17, s17, s18
	s_and_saveexec_b32 s18, s17
	s_cbranch_execz .LBB433_32
; %bb.31:
	v_sub_f32_e32 v13, v13, v12
	v_mul_f32_e32 v14, 0x3fb8aa3b, v13
	v_cmp_ngt_f32_e64 s17, 0xc2ce8ed0, v13
	v_fma_f32 v15, 0x3fb8aa3b, v13, -v14
	v_rndne_f32_e32 v18, v14
	v_fmamk_f32 v15, v13, 0x32a5705f, v15
	v_sub_f32_e32 v14, v14, v18
	v_add_f32_e32 v14, v14, v15
	v_cvt_i32_f32_e32 v15, v18
	v_exp_f32_e32 v14, v14
	v_ldexp_f32 v14, v14, v15
	v_cndmask_b32_e64 v14, 0, v14, s17
	v_cmp_nlt_f32_e64 s17, 0x42b17218, v13
	v_cndmask_b32_e64 v15, 0x7f800000, v14, s17
	v_add_f32_e32 v18, 1.0, v15
	v_cvt_f64_f32_e32 v[13:14], v18
	v_frexp_exp_i32_f64_e32 v13, v[13:14]
	v_frexp_mant_f32_e32 v14, v18
	v_cmp_gt_f32_e64 s17, 0x3f2aaaab, v14
	v_add_f32_e32 v14, -1.0, v18
	v_sub_f32_e32 v20, v14, v18
	v_sub_f32_e32 v14, v15, v14
	v_add_f32_e32 v20, 1.0, v20
	v_add_f32_e32 v14, v14, v20
	v_subrev_co_ci_u32_e64 v13, null, 0, v13, s17
	s_mov_b32 s17, 0x3e9b6dac
	v_sub_nc_u32_e32 v19, 0, v13
	v_cvt_f32_i32_e32 v13, v13
	v_ldexp_f32 v18, v18, v19
	v_ldexp_f32 v14, v14, v19
	v_add_f32_e32 v21, 1.0, v18
	v_add_f32_e32 v19, -1.0, v18
	v_add_f32_e32 v20, -1.0, v21
	v_add_f32_e32 v22, 1.0, v19
	v_sub_f32_e32 v20, v18, v20
	v_sub_f32_e32 v18, v18, v22
	v_add_f32_e32 v20, v14, v20
	v_add_f32_e32 v14, v14, v18
	;; [unrolled: 1-line block ×4, first 2 shown]
	v_rcp_f32_e32 v18, v22
	v_sub_f32_e32 v21, v21, v22
	v_sub_f32_e32 v19, v19, v23
	v_add_f32_e32 v20, v20, v21
	v_add_f32_e32 v14, v14, v19
	v_mul_f32_e32 v24, v23, v18
	v_mul_f32_e32 v25, v22, v24
	v_fma_f32 v21, v24, v22, -v25
	v_fmac_f32_e32 v21, v24, v20
	v_add_f32_e32 v26, v25, v21
	v_sub_f32_e32 v27, v23, v26
	v_sub_f32_e32 v19, v26, v25
	;; [unrolled: 1-line block ×5, first 2 shown]
	v_add_f32_e32 v14, v14, v23
	v_add_f32_e32 v14, v19, v14
	;; [unrolled: 1-line block ×3, first 2 shown]
	v_mul_f32_e32 v21, v18, v19
	v_sub_f32_e32 v26, v27, v19
	v_mul_f32_e32 v23, v22, v21
	v_add_f32_e32 v14, v14, v26
	v_fma_f32 v22, v21, v22, -v23
	v_fmac_f32_e32 v22, v21, v20
	v_add_f32_e32 v20, v23, v22
	v_sub_f32_e32 v25, v19, v20
	v_sub_f32_e32 v23, v20, v23
	;; [unrolled: 1-line block ×5, first 2 shown]
	v_add_f32_e32 v14, v14, v19
	v_add_f32_e32 v19, v24, v21
	;; [unrolled: 1-line block ×3, first 2 shown]
	v_sub_f32_e32 v20, v19, v24
	v_add_f32_e32 v14, v25, v14
	v_sub_f32_e32 v20, v21, v20
	v_mul_f32_e32 v14, v18, v14
	v_add_f32_e32 v14, v20, v14
	v_add_f32_e32 v18, v19, v14
	v_mul_f32_e32 v20, v18, v18
	v_fmaak_f32 v21, s17, v20, 0x3ecc95a3
	v_mul_f32_e32 v22, v18, v20
	v_cmp_neq_f32_e64 s17, 0x7f800000, v15
	v_fmaak_f32 v20, v20, v21, 0x3f2aaada
	v_ldexp_f32 v21, v18, 1
	v_sub_f32_e32 v18, v18, v19
	v_mul_f32_e32 v20, v22, v20
	v_mul_f32_e32 v22, 0x3f317218, v13
	v_sub_f32_e32 v14, v14, v18
	v_add_f32_e32 v19, v21, v20
	v_ldexp_f32 v14, v14, 1
	v_sub_f32_e32 v18, v19, v21
	v_fma_f32 v21, 0x3f317218, v13, -v22
	v_sub_f32_e32 v18, v20, v18
	v_fmamk_f32 v13, v13, 0xb102e308, v21
	v_add_f32_e32 v14, v14, v18
	v_add_f32_e32 v18, v22, v13
	v_add_f32_e32 v20, v19, v14
	v_sub_f32_e32 v22, v18, v22
	v_add_f32_e32 v21, v18, v20
	v_sub_f32_e32 v19, v20, v19
	v_sub_f32_e32 v13, v13, v22
	v_sub_f32_e32 v23, v21, v18
	v_sub_f32_e32 v14, v14, v19
	v_sub_f32_e32 v24, v21, v23
	v_sub_f32_e32 v19, v20, v23
	v_add_f32_e32 v20, v13, v14
	v_sub_f32_e32 v18, v18, v24
	v_add_f32_e32 v18, v19, v18
	v_sub_f32_e32 v19, v20, v13
	;; [unrolled: 2-line block ×3, first 2 shown]
	v_sub_f32_e32 v14, v14, v19
	v_add_f32_e32 v22, v21, v18
	v_sub_f32_e32 v13, v13, v20
	v_sub_f32_e32 v19, v22, v21
	v_add_f32_e32 v13, v14, v13
	v_sub_f32_e32 v14, v18, v19
	v_add_f32_e32 v13, v13, v14
	v_add_f32_e32 v13, v22, v13
	v_cndmask_b32_e64 v13, 0x7f800000, v13, s17
	v_cmp_gt_f32_e64 s17, 0x33800000, |v15|
	v_cndmask_b32_e64 v13, v13, v15, s17
	v_add_f32_e32 v12, v12, v13
	v_cvt_f16_f32_e32 v19, v12
	v_cvt_f32_f16_e32 v20, v19
	v_mov_b32_e32 v18, v19
.LBB433_32:
	s_or_b32 exec_lo, exec_lo, s18
	v_cvt_f32_f16_sdwa v12, v3 dst_sel:DWORD dst_unused:UNUSED_PAD src0_sel:WORD_1
	v_max_f32_e32 v13, v20, v20
	v_cmp_u_f16_e64 s17, v19, v19
	v_min_f32_e32 v14, v13, v12
	v_max_f32_e32 v13, v13, v12
	v_cndmask_b32_e64 v14, v14, v20, s17
	v_cndmask_b32_e64 v15, v13, v20, s17
	v_cmp_u_f16_sdwa s17, v3, v3 src0_sel:WORD_1 src1_sel:WORD_1
	v_cndmask_b32_e64 v13, v14, v12, s17
	v_cndmask_b32_e64 v3, v15, v12, s17
	v_cmp_class_f32_e64 s19, v13, 0x1f8
	v_cmp_neq_f32_e64 s18, v13, v3
	s_or_b32 s18, s18, s19
	s_and_saveexec_b32 s19, s18
	s_cbranch_execz .LBB433_34
; %bb.33:
	v_sub_f32_e32 v13, v13, v3
	v_mul_f32_e32 v14, 0x3fb8aa3b, v13
	v_cmp_ngt_f32_e64 s18, 0xc2ce8ed0, v13
	v_fma_f32 v15, 0x3fb8aa3b, v13, -v14
	v_rndne_f32_e32 v18, v14
	v_fmamk_f32 v15, v13, 0x32a5705f, v15
	v_sub_f32_e32 v14, v14, v18
	v_add_f32_e32 v14, v14, v15
	v_cvt_i32_f32_e32 v15, v18
	v_exp_f32_e32 v14, v14
	v_ldexp_f32 v14, v14, v15
	v_cndmask_b32_e64 v14, 0, v14, s18
	v_cmp_nlt_f32_e64 s18, 0x42b17218, v13
	v_cndmask_b32_e64 v15, 0x7f800000, v14, s18
	v_add_f32_e32 v18, 1.0, v15
	v_cvt_f64_f32_e32 v[13:14], v18
	v_frexp_exp_i32_f64_e32 v13, v[13:14]
	v_frexp_mant_f32_e32 v14, v18
	v_cmp_gt_f32_e64 s18, 0x3f2aaaab, v14
	v_add_f32_e32 v14, -1.0, v18
	v_sub_f32_e32 v20, v14, v18
	v_sub_f32_e32 v14, v15, v14
	v_add_f32_e32 v20, 1.0, v20
	v_add_f32_e32 v14, v14, v20
	v_subrev_co_ci_u32_e64 v13, null, 0, v13, s18
	s_mov_b32 s18, 0x3e9b6dac
	v_sub_nc_u32_e32 v19, 0, v13
	v_cvt_f32_i32_e32 v13, v13
	v_ldexp_f32 v18, v18, v19
	v_ldexp_f32 v14, v14, v19
	v_add_f32_e32 v21, 1.0, v18
	v_add_f32_e32 v19, -1.0, v18
	v_add_f32_e32 v20, -1.0, v21
	v_add_f32_e32 v22, 1.0, v19
	v_sub_f32_e32 v20, v18, v20
	v_sub_f32_e32 v18, v18, v22
	v_add_f32_e32 v20, v14, v20
	v_add_f32_e32 v14, v14, v18
	;; [unrolled: 1-line block ×4, first 2 shown]
	v_rcp_f32_e32 v18, v22
	v_sub_f32_e32 v21, v21, v22
	v_sub_f32_e32 v19, v19, v23
	v_add_f32_e32 v20, v20, v21
	v_add_f32_e32 v14, v14, v19
	v_mul_f32_e32 v24, v23, v18
	v_mul_f32_e32 v25, v22, v24
	v_fma_f32 v21, v24, v22, -v25
	v_fmac_f32_e32 v21, v24, v20
	v_add_f32_e32 v26, v25, v21
	v_sub_f32_e32 v27, v23, v26
	v_sub_f32_e32 v19, v26, v25
	;; [unrolled: 1-line block ×5, first 2 shown]
	v_add_f32_e32 v14, v14, v23
	v_add_f32_e32 v14, v19, v14
	;; [unrolled: 1-line block ×3, first 2 shown]
	v_mul_f32_e32 v21, v18, v19
	v_sub_f32_e32 v26, v27, v19
	v_mul_f32_e32 v23, v22, v21
	v_add_f32_e32 v14, v14, v26
	v_fma_f32 v22, v21, v22, -v23
	v_fmac_f32_e32 v22, v21, v20
	v_add_f32_e32 v20, v23, v22
	v_sub_f32_e32 v25, v19, v20
	v_sub_f32_e32 v23, v20, v23
	;; [unrolled: 1-line block ×5, first 2 shown]
	v_add_f32_e32 v14, v14, v19
	v_add_f32_e32 v19, v24, v21
	;; [unrolled: 1-line block ×3, first 2 shown]
	v_sub_f32_e32 v20, v19, v24
	v_add_f32_e32 v14, v25, v14
	v_sub_f32_e32 v20, v21, v20
	v_mul_f32_e32 v14, v18, v14
	v_add_f32_e32 v14, v20, v14
	v_add_f32_e32 v18, v19, v14
	v_mul_f32_e32 v20, v18, v18
	v_fmaak_f32 v21, s18, v20, 0x3ecc95a3
	v_mul_f32_e32 v22, v18, v20
	v_cmp_neq_f32_e64 s18, 0x7f800000, v15
	v_fmaak_f32 v20, v20, v21, 0x3f2aaada
	v_ldexp_f32 v21, v18, 1
	v_sub_f32_e32 v18, v18, v19
	v_mul_f32_e32 v20, v22, v20
	v_mul_f32_e32 v22, 0x3f317218, v13
	v_sub_f32_e32 v14, v14, v18
	v_add_f32_e32 v19, v21, v20
	v_ldexp_f32 v14, v14, 1
	v_sub_f32_e32 v18, v19, v21
	v_fma_f32 v21, 0x3f317218, v13, -v22
	v_sub_f32_e32 v18, v20, v18
	v_fmamk_f32 v13, v13, 0xb102e308, v21
	v_add_f32_e32 v14, v14, v18
	v_add_f32_e32 v18, v22, v13
	;; [unrolled: 1-line block ×3, first 2 shown]
	v_sub_f32_e32 v22, v18, v22
	v_add_f32_e32 v21, v18, v20
	v_sub_f32_e32 v19, v20, v19
	v_sub_f32_e32 v13, v13, v22
	;; [unrolled: 1-line block ×6, first 2 shown]
	v_add_f32_e32 v20, v13, v14
	v_sub_f32_e32 v18, v18, v24
	v_add_f32_e32 v18, v19, v18
	v_sub_f32_e32 v19, v20, v13
	;; [unrolled: 2-line block ×3, first 2 shown]
	v_sub_f32_e32 v14, v14, v19
	v_add_f32_e32 v22, v21, v18
	v_sub_f32_e32 v13, v13, v20
	v_sub_f32_e32 v19, v22, v21
	v_add_f32_e32 v13, v14, v13
	v_sub_f32_e32 v14, v18, v19
	v_add_f32_e32 v13, v13, v14
	v_add_f32_e32 v13, v22, v13
	v_cndmask_b32_e64 v13, 0x7f800000, v13, s18
	v_cmp_gt_f32_e64 s18, 0x33800000, |v15|
	v_cndmask_b32_e64 v13, v13, v15, s18
	v_add_f32_e32 v3, v3, v13
	v_cvt_f16_f32_e32 v19, v3
	v_cvt_f32_f16_e32 v20, v19
	v_mov_b32_e32 v18, v19
.LBB433_34:
	s_or_b32 exec_lo, exec_lo, s19
	v_cvt_f32_f16_e32 v3, v4
	v_max_f32_e32 v13, v20, v20
	v_cmp_u_f16_e64 s18, v19, v19
	v_min_f32_e32 v14, v13, v3
	v_max_f32_e32 v13, v13, v3
	v_cndmask_b32_e64 v14, v14, v20, s18
	v_cndmask_b32_e64 v13, v13, v20, s18
	v_cmp_u_f16_e64 s18, v4, v4
	v_cndmask_b32_e64 v14, v14, v3, s18
	v_cndmask_b32_e64 v13, v13, v3, s18
	v_cmp_class_f32_e64 s20, v14, 0x1f8
	v_cmp_neq_f32_e64 s19, v14, v13
	s_or_b32 s19, s19, s20
	s_and_saveexec_b32 s20, s19
	s_cbranch_execz .LBB433_36
; %bb.35:
	v_sub_f32_e32 v14, v14, v13
	v_mul_f32_e32 v15, 0x3fb8aa3b, v14
	v_cmp_ngt_f32_e64 s19, 0xc2ce8ed0, v14
	v_fma_f32 v18, 0x3fb8aa3b, v14, -v15
	v_rndne_f32_e32 v19, v15
	v_fmamk_f32 v18, v14, 0x32a5705f, v18
	v_sub_f32_e32 v15, v15, v19
	v_add_f32_e32 v15, v15, v18
	v_cvt_i32_f32_e32 v18, v19
	v_exp_f32_e32 v15, v15
	v_ldexp_f32 v15, v15, v18
	v_cndmask_b32_e64 v15, 0, v15, s19
	v_cmp_nlt_f32_e64 s19, 0x42b17218, v14
	v_cndmask_b32_e64 v18, 0x7f800000, v15, s19
	v_add_f32_e32 v19, 1.0, v18
	v_cvt_f64_f32_e32 v[14:15], v19
	v_frexp_exp_i32_f64_e32 v14, v[14:15]
	v_frexp_mant_f32_e32 v15, v19
	v_cmp_gt_f32_e64 s19, 0x3f2aaaab, v15
	v_add_f32_e32 v15, -1.0, v19
	v_sub_f32_e32 v21, v15, v19
	v_sub_f32_e32 v15, v18, v15
	v_add_f32_e32 v21, 1.0, v21
	v_add_f32_e32 v15, v15, v21
	v_subrev_co_ci_u32_e64 v14, null, 0, v14, s19
	s_mov_b32 s19, 0x3e9b6dac
	v_sub_nc_u32_e32 v20, 0, v14
	v_cvt_f32_i32_e32 v14, v14
	v_ldexp_f32 v19, v19, v20
	v_ldexp_f32 v15, v15, v20
	v_add_f32_e32 v22, 1.0, v19
	v_add_f32_e32 v20, -1.0, v19
	v_add_f32_e32 v21, -1.0, v22
	v_add_f32_e32 v23, 1.0, v20
	v_sub_f32_e32 v21, v19, v21
	v_sub_f32_e32 v19, v19, v23
	v_add_f32_e32 v21, v15, v21
	v_add_f32_e32 v15, v15, v19
	;; [unrolled: 1-line block ×4, first 2 shown]
	v_rcp_f32_e32 v19, v23
	v_sub_f32_e32 v22, v22, v23
	v_sub_f32_e32 v20, v20, v24
	v_add_f32_e32 v21, v21, v22
	v_add_f32_e32 v15, v15, v20
	v_mul_f32_e32 v25, v24, v19
	v_mul_f32_e32 v26, v23, v25
	v_fma_f32 v22, v25, v23, -v26
	v_fmac_f32_e32 v22, v25, v21
	v_add_f32_e32 v27, v26, v22
	v_sub_f32_e32 v28, v24, v27
	v_sub_f32_e32 v20, v27, v26
	;; [unrolled: 1-line block ×5, first 2 shown]
	v_add_f32_e32 v15, v15, v24
	v_add_f32_e32 v15, v20, v15
	;; [unrolled: 1-line block ×3, first 2 shown]
	v_mul_f32_e32 v22, v19, v20
	v_sub_f32_e32 v27, v28, v20
	v_mul_f32_e32 v24, v23, v22
	v_add_f32_e32 v15, v15, v27
	v_fma_f32 v23, v22, v23, -v24
	v_fmac_f32_e32 v23, v22, v21
	v_add_f32_e32 v21, v24, v23
	v_sub_f32_e32 v26, v20, v21
	v_sub_f32_e32 v24, v21, v24
	;; [unrolled: 1-line block ×5, first 2 shown]
	v_add_f32_e32 v15, v15, v20
	v_add_f32_e32 v20, v25, v22
	;; [unrolled: 1-line block ×3, first 2 shown]
	v_sub_f32_e32 v21, v20, v25
	v_add_f32_e32 v15, v26, v15
	v_sub_f32_e32 v21, v22, v21
	v_mul_f32_e32 v15, v19, v15
	v_add_f32_e32 v15, v21, v15
	v_add_f32_e32 v19, v20, v15
	v_mul_f32_e32 v21, v19, v19
	v_fmaak_f32 v22, s19, v21, 0x3ecc95a3
	v_mul_f32_e32 v23, v19, v21
	v_cmp_neq_f32_e64 s19, 0x7f800000, v18
	v_fmaak_f32 v21, v21, v22, 0x3f2aaada
	v_ldexp_f32 v22, v19, 1
	v_sub_f32_e32 v19, v19, v20
	v_mul_f32_e32 v21, v23, v21
	v_mul_f32_e32 v23, 0x3f317218, v14
	v_sub_f32_e32 v15, v15, v19
	v_add_f32_e32 v20, v22, v21
	v_ldexp_f32 v15, v15, 1
	v_sub_f32_e32 v19, v20, v22
	v_fma_f32 v22, 0x3f317218, v14, -v23
	v_sub_f32_e32 v19, v21, v19
	v_fmamk_f32 v14, v14, 0xb102e308, v22
	v_add_f32_e32 v15, v15, v19
	v_add_f32_e32 v19, v23, v14
	;; [unrolled: 1-line block ×3, first 2 shown]
	v_sub_f32_e32 v23, v19, v23
	v_add_f32_e32 v22, v19, v21
	v_sub_f32_e32 v20, v21, v20
	v_sub_f32_e32 v14, v14, v23
	;; [unrolled: 1-line block ×6, first 2 shown]
	v_add_f32_e32 v21, v14, v15
	v_sub_f32_e32 v19, v19, v25
	v_add_f32_e32 v19, v20, v19
	v_sub_f32_e32 v20, v21, v14
	;; [unrolled: 2-line block ×3, first 2 shown]
	v_sub_f32_e32 v15, v15, v20
	v_add_f32_e32 v23, v22, v19
	v_sub_f32_e32 v14, v14, v21
	v_sub_f32_e32 v20, v23, v22
	v_add_f32_e32 v14, v15, v14
	v_sub_f32_e32 v15, v19, v20
	v_add_f32_e32 v14, v14, v15
	v_add_f32_e32 v14, v23, v14
	v_cndmask_b32_e64 v14, 0x7f800000, v14, s19
	v_cmp_gt_f32_e64 s19, 0x33800000, |v18|
	v_cndmask_b32_e64 v14, v14, v18, s19
	v_add_f32_e32 v13, v13, v14
	v_cvt_f16_f32_e32 v19, v13
	v_cvt_f32_f16_e32 v20, v19
	v_mov_b32_e32 v18, v19
.LBB433_36:
	s_or_b32 exec_lo, exec_lo, s20
	v_cvt_f32_f16_sdwa v13, v4 dst_sel:DWORD dst_unused:UNUSED_PAD src0_sel:WORD_1
	v_max_f32_e32 v14, v20, v20
	v_cmp_u_f16_e64 s19, v19, v19
	v_min_f32_e32 v15, v14, v13
	v_max_f32_e32 v14, v14, v13
	v_cndmask_b32_e64 v15, v15, v20, s19
	v_cndmask_b32_e64 v21, v14, v20, s19
	v_cmp_u_f16_sdwa s19, v4, v4 src0_sel:WORD_1 src1_sel:WORD_1
	v_cndmask_b32_e64 v14, v15, v13, s19
	v_cndmask_b32_e64 v4, v21, v13, s19
	v_cmp_class_f32_e64 s21, v14, 0x1f8
	v_cmp_neq_f32_e64 s20, v14, v4
	s_or_b32 s20, s20, s21
	s_and_saveexec_b32 s21, s20
	s_cbranch_execz .LBB433_38
; %bb.37:
	v_sub_f32_e32 v14, v14, v4
	v_mul_f32_e32 v15, 0x3fb8aa3b, v14
	v_cmp_ngt_f32_e64 s20, 0xc2ce8ed0, v14
	v_fma_f32 v18, 0x3fb8aa3b, v14, -v15
	v_rndne_f32_e32 v19, v15
	v_fmamk_f32 v18, v14, 0x32a5705f, v18
	v_sub_f32_e32 v15, v15, v19
	v_add_f32_e32 v15, v15, v18
	v_cvt_i32_f32_e32 v18, v19
	v_exp_f32_e32 v15, v15
	v_ldexp_f32 v15, v15, v18
	v_cndmask_b32_e64 v15, 0, v15, s20
	v_cmp_nlt_f32_e64 s20, 0x42b17218, v14
	v_cndmask_b32_e64 v18, 0x7f800000, v15, s20
	v_add_f32_e32 v19, 1.0, v18
	v_cvt_f64_f32_e32 v[14:15], v19
	v_frexp_exp_i32_f64_e32 v14, v[14:15]
	v_frexp_mant_f32_e32 v15, v19
	v_cmp_gt_f32_e64 s20, 0x3f2aaaab, v15
	v_add_f32_e32 v15, -1.0, v19
	v_sub_f32_e32 v21, v15, v19
	v_sub_f32_e32 v15, v18, v15
	v_add_f32_e32 v21, 1.0, v21
	v_add_f32_e32 v15, v15, v21
	v_subrev_co_ci_u32_e64 v14, null, 0, v14, s20
	s_mov_b32 s20, 0x3e9b6dac
	v_sub_nc_u32_e32 v20, 0, v14
	v_cvt_f32_i32_e32 v14, v14
	v_ldexp_f32 v19, v19, v20
	v_ldexp_f32 v15, v15, v20
	v_add_f32_e32 v22, 1.0, v19
	v_add_f32_e32 v20, -1.0, v19
	v_add_f32_e32 v21, -1.0, v22
	v_add_f32_e32 v23, 1.0, v20
	v_sub_f32_e32 v21, v19, v21
	v_sub_f32_e32 v19, v19, v23
	v_add_f32_e32 v21, v15, v21
	v_add_f32_e32 v15, v15, v19
	;; [unrolled: 1-line block ×4, first 2 shown]
	v_rcp_f32_e32 v19, v23
	v_sub_f32_e32 v22, v22, v23
	v_sub_f32_e32 v20, v20, v24
	v_add_f32_e32 v21, v21, v22
	v_add_f32_e32 v15, v15, v20
	v_mul_f32_e32 v25, v24, v19
	v_mul_f32_e32 v26, v23, v25
	v_fma_f32 v22, v25, v23, -v26
	v_fmac_f32_e32 v22, v25, v21
	v_add_f32_e32 v27, v26, v22
	v_sub_f32_e32 v28, v24, v27
	v_sub_f32_e32 v20, v27, v26
	;; [unrolled: 1-line block ×5, first 2 shown]
	v_add_f32_e32 v15, v15, v24
	v_add_f32_e32 v15, v20, v15
	;; [unrolled: 1-line block ×3, first 2 shown]
	v_mul_f32_e32 v22, v19, v20
	v_sub_f32_e32 v27, v28, v20
	v_mul_f32_e32 v24, v23, v22
	v_add_f32_e32 v15, v15, v27
	v_fma_f32 v23, v22, v23, -v24
	v_fmac_f32_e32 v23, v22, v21
	v_add_f32_e32 v21, v24, v23
	v_sub_f32_e32 v26, v20, v21
	v_sub_f32_e32 v24, v21, v24
	;; [unrolled: 1-line block ×5, first 2 shown]
	v_add_f32_e32 v15, v15, v20
	v_add_f32_e32 v20, v25, v22
	;; [unrolled: 1-line block ×3, first 2 shown]
	v_sub_f32_e32 v21, v20, v25
	v_add_f32_e32 v15, v26, v15
	v_sub_f32_e32 v21, v22, v21
	v_mul_f32_e32 v15, v19, v15
	v_add_f32_e32 v15, v21, v15
	v_add_f32_e32 v19, v20, v15
	v_mul_f32_e32 v21, v19, v19
	v_fmaak_f32 v22, s20, v21, 0x3ecc95a3
	v_mul_f32_e32 v23, v19, v21
	v_cmp_neq_f32_e64 s20, 0x7f800000, v18
	v_fmaak_f32 v21, v21, v22, 0x3f2aaada
	v_ldexp_f32 v22, v19, 1
	v_sub_f32_e32 v19, v19, v20
	v_mul_f32_e32 v21, v23, v21
	v_mul_f32_e32 v23, 0x3f317218, v14
	v_sub_f32_e32 v15, v15, v19
	v_add_f32_e32 v20, v22, v21
	v_ldexp_f32 v15, v15, 1
	v_sub_f32_e32 v19, v20, v22
	v_fma_f32 v22, 0x3f317218, v14, -v23
	v_sub_f32_e32 v19, v21, v19
	v_fmamk_f32 v14, v14, 0xb102e308, v22
	v_add_f32_e32 v15, v15, v19
	v_add_f32_e32 v19, v23, v14
	;; [unrolled: 1-line block ×3, first 2 shown]
	v_sub_f32_e32 v23, v19, v23
	v_add_f32_e32 v22, v19, v21
	v_sub_f32_e32 v20, v21, v20
	v_sub_f32_e32 v14, v14, v23
	;; [unrolled: 1-line block ×6, first 2 shown]
	v_add_f32_e32 v21, v14, v15
	v_sub_f32_e32 v19, v19, v25
	v_add_f32_e32 v19, v20, v19
	v_sub_f32_e32 v20, v21, v14
	;; [unrolled: 2-line block ×3, first 2 shown]
	v_sub_f32_e32 v15, v15, v20
	v_add_f32_e32 v23, v22, v19
	v_sub_f32_e32 v14, v14, v21
	v_sub_f32_e32 v20, v23, v22
	v_add_f32_e32 v14, v15, v14
	v_sub_f32_e32 v15, v19, v20
	v_add_f32_e32 v14, v14, v15
	v_add_f32_e32 v14, v23, v14
	v_cndmask_b32_e64 v14, 0x7f800000, v14, s20
	v_cmp_gt_f32_e64 s20, 0x33800000, |v18|
	v_cndmask_b32_e64 v14, v14, v18, s20
	v_add_f32_e32 v4, v4, v14
	v_cvt_f16_f32_e32 v19, v4
	v_cvt_f32_f16_e32 v20, v19
	v_mov_b32_e32 v18, v19
.LBB433_38:
	s_or_b32 exec_lo, exec_lo, s21
	v_cvt_f32_f16_e32 v4, v5
	v_max_f32_e32 v14, v20, v20
	v_cmp_u_f16_e64 s20, v19, v19
	v_min_f32_e32 v15, v14, v4
	v_max_f32_e32 v14, v14, v4
	v_cndmask_b32_e64 v15, v15, v20, s20
	v_cndmask_b32_e64 v14, v14, v20, s20
	v_cmp_u_f16_e64 s20, v5, v5
	v_cndmask_b32_e64 v15, v15, v4, s20
	v_cndmask_b32_e64 v14, v14, v4, s20
	v_cmp_class_f32_e64 s22, v15, 0x1f8
	v_cmp_neq_f32_e64 s21, v15, v14
	s_or_b32 s21, s21, s22
	s_and_saveexec_b32 s22, s21
	s_cbranch_execz .LBB433_40
; %bb.39:
	v_sub_f32_e32 v15, v15, v14
	v_mul_f32_e32 v18, 0x3fb8aa3b, v15
	v_cmp_ngt_f32_e64 s21, 0xc2ce8ed0, v15
	v_fma_f32 v19, 0x3fb8aa3b, v15, -v18
	v_rndne_f32_e32 v20, v18
	v_fmamk_f32 v19, v15, 0x32a5705f, v19
	v_sub_f32_e32 v18, v18, v20
	v_add_f32_e32 v18, v18, v19
	v_cvt_i32_f32_e32 v19, v20
	v_exp_f32_e32 v18, v18
	v_ldexp_f32 v18, v18, v19
	v_cndmask_b32_e64 v18, 0, v18, s21
	v_cmp_nlt_f32_e64 s21, 0x42b17218, v15
	v_cndmask_b32_e64 v15, 0x7f800000, v18, s21
	v_add_f32_e32 v20, 1.0, v15
	v_cvt_f64_f32_e32 v[18:19], v20
	v_frexp_exp_i32_f64_e32 v18, v[18:19]
	v_frexp_mant_f32_e32 v19, v20
	v_cmp_gt_f32_e64 s21, 0x3f2aaaab, v19
	v_add_f32_e32 v19, -1.0, v20
	v_sub_f32_e32 v22, v19, v20
	v_sub_f32_e32 v19, v15, v19
	v_add_f32_e32 v22, 1.0, v22
	v_add_f32_e32 v19, v19, v22
	v_subrev_co_ci_u32_e64 v18, null, 0, v18, s21
	s_mov_b32 s21, 0x3e9b6dac
	v_sub_nc_u32_e32 v21, 0, v18
	v_cvt_f32_i32_e32 v18, v18
	v_ldexp_f32 v20, v20, v21
	v_ldexp_f32 v19, v19, v21
	v_add_f32_e32 v23, 1.0, v20
	v_add_f32_e32 v21, -1.0, v20
	v_add_f32_e32 v22, -1.0, v23
	v_add_f32_e32 v24, 1.0, v21
	v_sub_f32_e32 v22, v20, v22
	v_sub_f32_e32 v20, v20, v24
	v_add_f32_e32 v22, v19, v22
	v_add_f32_e32 v19, v19, v20
	;; [unrolled: 1-line block ×4, first 2 shown]
	v_rcp_f32_e32 v20, v24
	v_sub_f32_e32 v23, v23, v24
	v_sub_f32_e32 v21, v21, v25
	v_add_f32_e32 v22, v22, v23
	v_add_f32_e32 v19, v19, v21
	v_mul_f32_e32 v26, v25, v20
	v_mul_f32_e32 v27, v24, v26
	v_fma_f32 v23, v26, v24, -v27
	v_fmac_f32_e32 v23, v26, v22
	v_add_f32_e32 v28, v27, v23
	v_sub_f32_e32 v29, v25, v28
	v_sub_f32_e32 v21, v28, v27
	;; [unrolled: 1-line block ×5, first 2 shown]
	v_add_f32_e32 v19, v19, v25
	v_add_f32_e32 v19, v21, v19
	;; [unrolled: 1-line block ×3, first 2 shown]
	v_mul_f32_e32 v23, v20, v21
	v_sub_f32_e32 v28, v29, v21
	v_mul_f32_e32 v25, v24, v23
	v_add_f32_e32 v19, v19, v28
	v_fma_f32 v24, v23, v24, -v25
	v_fmac_f32_e32 v24, v23, v22
	v_add_f32_e32 v22, v25, v24
	v_sub_f32_e32 v27, v21, v22
	v_sub_f32_e32 v25, v22, v25
	;; [unrolled: 1-line block ×5, first 2 shown]
	v_add_f32_e32 v19, v19, v21
	v_add_f32_e32 v21, v26, v23
	;; [unrolled: 1-line block ×3, first 2 shown]
	v_sub_f32_e32 v22, v21, v26
	v_add_f32_e32 v19, v27, v19
	v_sub_f32_e32 v22, v23, v22
	v_mul_f32_e32 v19, v20, v19
	v_add_f32_e32 v19, v22, v19
	v_add_f32_e32 v20, v21, v19
	v_mul_f32_e32 v22, v20, v20
	v_fmaak_f32 v23, s21, v22, 0x3ecc95a3
	v_mul_f32_e32 v24, v20, v22
	v_cmp_neq_f32_e64 s21, 0x7f800000, v15
	v_fmaak_f32 v22, v22, v23, 0x3f2aaada
	v_ldexp_f32 v23, v20, 1
	v_sub_f32_e32 v20, v20, v21
	v_mul_f32_e32 v22, v24, v22
	v_mul_f32_e32 v24, 0x3f317218, v18
	v_sub_f32_e32 v19, v19, v20
	v_add_f32_e32 v21, v23, v22
	v_ldexp_f32 v19, v19, 1
	v_sub_f32_e32 v20, v21, v23
	v_fma_f32 v23, 0x3f317218, v18, -v24
	v_sub_f32_e32 v20, v22, v20
	v_fmamk_f32 v18, v18, 0xb102e308, v23
	v_add_f32_e32 v19, v19, v20
	v_add_f32_e32 v20, v24, v18
	;; [unrolled: 1-line block ×3, first 2 shown]
	v_sub_f32_e32 v24, v20, v24
	v_add_f32_e32 v23, v20, v22
	v_sub_f32_e32 v21, v22, v21
	v_sub_f32_e32 v18, v18, v24
	;; [unrolled: 1-line block ×6, first 2 shown]
	v_add_f32_e32 v22, v18, v19
	v_sub_f32_e32 v20, v20, v26
	v_add_f32_e32 v20, v21, v20
	v_sub_f32_e32 v21, v22, v18
	;; [unrolled: 2-line block ×3, first 2 shown]
	v_sub_f32_e32 v19, v19, v21
	v_add_f32_e32 v24, v23, v20
	v_sub_f32_e32 v18, v18, v22
	v_sub_f32_e32 v21, v24, v23
	v_add_f32_e32 v18, v19, v18
	v_sub_f32_e32 v19, v20, v21
	v_add_f32_e32 v18, v18, v19
	v_add_f32_e32 v18, v24, v18
	v_cndmask_b32_e64 v18, 0x7f800000, v18, s21
	v_cmp_gt_f32_e64 s21, 0x33800000, |v15|
	v_cndmask_b32_e64 v15, v18, v15, s21
	v_add_f32_e32 v14, v14, v15
	v_cvt_f16_f32_e32 v19, v14
	v_cvt_f32_f16_e32 v20, v19
	v_mov_b32_e32 v18, v19
.LBB433_40:
	s_or_b32 exec_lo, exec_lo, s22
	v_cvt_f32_f16_sdwa v14, v5 dst_sel:DWORD dst_unused:UNUSED_PAD src0_sel:WORD_1
	v_max_f32_e32 v15, v20, v20
	v_cmp_u_f16_e64 s21, v19, v19
	v_min_f32_e32 v21, v15, v14
	v_max_f32_e32 v15, v15, v14
	v_cndmask_b32_e64 v21, v21, v20, s21
	v_cndmask_b32_e64 v22, v15, v20, s21
	v_cmp_u_f16_sdwa s21, v5, v5 src0_sel:WORD_1 src1_sel:WORD_1
	v_cndmask_b32_e64 v15, v21, v14, s21
	v_cndmask_b32_e64 v5, v22, v14, s21
	v_cmp_class_f32_e64 s23, v15, 0x1f8
	v_cmp_neq_f32_e64 s22, v15, v5
	s_or_b32 s22, s22, s23
	s_and_saveexec_b32 s23, s22
	s_cbranch_execz .LBB433_42
; %bb.41:
	v_sub_f32_e32 v15, v15, v5
	v_mul_f32_e32 v18, 0x3fb8aa3b, v15
	v_cmp_ngt_f32_e64 s22, 0xc2ce8ed0, v15
	v_fma_f32 v19, 0x3fb8aa3b, v15, -v18
	v_rndne_f32_e32 v20, v18
	v_fmamk_f32 v19, v15, 0x32a5705f, v19
	v_sub_f32_e32 v18, v18, v20
	v_add_f32_e32 v18, v18, v19
	v_cvt_i32_f32_e32 v19, v20
	v_exp_f32_e32 v18, v18
	v_ldexp_f32 v18, v18, v19
	v_cndmask_b32_e64 v18, 0, v18, s22
	v_cmp_nlt_f32_e64 s22, 0x42b17218, v15
	v_cndmask_b32_e64 v15, 0x7f800000, v18, s22
	v_add_f32_e32 v20, 1.0, v15
	v_cvt_f64_f32_e32 v[18:19], v20
	v_frexp_exp_i32_f64_e32 v18, v[18:19]
	v_frexp_mant_f32_e32 v19, v20
	v_cmp_gt_f32_e64 s22, 0x3f2aaaab, v19
	v_add_f32_e32 v19, -1.0, v20
	v_sub_f32_e32 v22, v19, v20
	v_sub_f32_e32 v19, v15, v19
	v_add_f32_e32 v22, 1.0, v22
	v_add_f32_e32 v19, v19, v22
	v_subrev_co_ci_u32_e64 v18, null, 0, v18, s22
	s_mov_b32 s22, 0x3e9b6dac
	v_sub_nc_u32_e32 v21, 0, v18
	v_cvt_f32_i32_e32 v18, v18
	v_ldexp_f32 v20, v20, v21
	v_ldexp_f32 v19, v19, v21
	v_add_f32_e32 v23, 1.0, v20
	v_add_f32_e32 v21, -1.0, v20
	v_add_f32_e32 v22, -1.0, v23
	v_add_f32_e32 v24, 1.0, v21
	v_sub_f32_e32 v22, v20, v22
	v_sub_f32_e32 v20, v20, v24
	v_add_f32_e32 v22, v19, v22
	v_add_f32_e32 v19, v19, v20
	;; [unrolled: 1-line block ×4, first 2 shown]
	v_rcp_f32_e32 v20, v24
	v_sub_f32_e32 v23, v23, v24
	v_sub_f32_e32 v21, v21, v25
	v_add_f32_e32 v22, v22, v23
	v_add_f32_e32 v19, v19, v21
	v_mul_f32_e32 v26, v25, v20
	v_mul_f32_e32 v27, v24, v26
	v_fma_f32 v23, v26, v24, -v27
	v_fmac_f32_e32 v23, v26, v22
	v_add_f32_e32 v28, v27, v23
	v_sub_f32_e32 v29, v25, v28
	v_sub_f32_e32 v21, v28, v27
	;; [unrolled: 1-line block ×5, first 2 shown]
	v_add_f32_e32 v19, v19, v25
	v_add_f32_e32 v19, v21, v19
	;; [unrolled: 1-line block ×3, first 2 shown]
	v_mul_f32_e32 v23, v20, v21
	v_sub_f32_e32 v28, v29, v21
	v_mul_f32_e32 v25, v24, v23
	v_add_f32_e32 v19, v19, v28
	v_fma_f32 v24, v23, v24, -v25
	v_fmac_f32_e32 v24, v23, v22
	v_add_f32_e32 v22, v25, v24
	v_sub_f32_e32 v27, v21, v22
	v_sub_f32_e32 v25, v22, v25
	;; [unrolled: 1-line block ×5, first 2 shown]
	v_add_f32_e32 v19, v19, v21
	v_add_f32_e32 v21, v26, v23
	;; [unrolled: 1-line block ×3, first 2 shown]
	v_sub_f32_e32 v22, v21, v26
	v_add_f32_e32 v19, v27, v19
	v_sub_f32_e32 v22, v23, v22
	v_mul_f32_e32 v19, v20, v19
	v_add_f32_e32 v19, v22, v19
	v_add_f32_e32 v20, v21, v19
	v_mul_f32_e32 v22, v20, v20
	v_fmaak_f32 v23, s22, v22, 0x3ecc95a3
	v_mul_f32_e32 v24, v20, v22
	v_cmp_neq_f32_e64 s22, 0x7f800000, v15
	v_fmaak_f32 v22, v22, v23, 0x3f2aaada
	v_ldexp_f32 v23, v20, 1
	v_sub_f32_e32 v20, v20, v21
	v_mul_f32_e32 v22, v24, v22
	v_mul_f32_e32 v24, 0x3f317218, v18
	v_sub_f32_e32 v19, v19, v20
	v_add_f32_e32 v21, v23, v22
	v_ldexp_f32 v19, v19, 1
	v_sub_f32_e32 v20, v21, v23
	v_fma_f32 v23, 0x3f317218, v18, -v24
	v_sub_f32_e32 v20, v22, v20
	v_fmamk_f32 v18, v18, 0xb102e308, v23
	v_add_f32_e32 v19, v19, v20
	v_add_f32_e32 v20, v24, v18
	;; [unrolled: 1-line block ×3, first 2 shown]
	v_sub_f32_e32 v24, v20, v24
	v_add_f32_e32 v23, v20, v22
	v_sub_f32_e32 v21, v22, v21
	v_sub_f32_e32 v18, v18, v24
	;; [unrolled: 1-line block ×6, first 2 shown]
	v_add_f32_e32 v22, v18, v19
	v_sub_f32_e32 v20, v20, v26
	v_add_f32_e32 v20, v21, v20
	v_sub_f32_e32 v21, v22, v18
	;; [unrolled: 2-line block ×3, first 2 shown]
	v_sub_f32_e32 v19, v19, v21
	v_add_f32_e32 v24, v23, v20
	v_sub_f32_e32 v18, v18, v22
	v_sub_f32_e32 v21, v24, v23
	v_add_f32_e32 v18, v19, v18
	v_sub_f32_e32 v19, v20, v21
	v_add_f32_e32 v18, v18, v19
	v_add_f32_e32 v18, v24, v18
	v_cndmask_b32_e64 v18, 0x7f800000, v18, s22
	v_cmp_gt_f32_e64 s22, 0x33800000, |v15|
	v_cndmask_b32_e64 v15, v18, v15, s22
	v_add_f32_e32 v5, v5, v15
	v_cvt_f16_f32_e32 v19, v5
	v_cvt_f32_f16_e32 v20, v19
	v_mov_b32_e32 v18, v19
.LBB433_42:
	s_or_b32 exec_lo, exec_lo, s23
	v_cvt_f32_f16_e32 v5, v6
	v_max_f32_e32 v15, v20, v20
	v_cmp_u_f16_e64 s22, v19, v19
	v_min_f32_e32 v21, v15, v5
	v_max_f32_e32 v15, v15, v5
	v_cndmask_b32_e64 v21, v21, v20, s22
	v_cndmask_b32_e64 v15, v15, v20, s22
	v_cmp_u_f16_e64 s22, v6, v6
	v_cndmask_b32_e64 v21, v21, v5, s22
	v_cndmask_b32_e64 v15, v15, v5, s22
	v_cmp_class_f32_e64 s25, v21, 0x1f8
	v_cmp_neq_f32_e64 s23, v21, v15
	s_or_b32 s23, s23, s25
	s_and_saveexec_b32 s25, s23
	s_cbranch_execz .LBB433_44
; %bb.43:
	v_sub_f32_e32 v18, v21, v15
	v_mul_f32_e32 v19, 0x3fb8aa3b, v18
	v_cmp_ngt_f32_e64 s23, 0xc2ce8ed0, v18
	v_fma_f32 v20, 0x3fb8aa3b, v18, -v19
	v_rndne_f32_e32 v21, v19
	v_fmamk_f32 v20, v18, 0x32a5705f, v20
	v_sub_f32_e32 v19, v19, v21
	v_add_f32_e32 v19, v19, v20
	v_cvt_i32_f32_e32 v20, v21
	v_exp_f32_e32 v19, v19
	v_ldexp_f32 v19, v19, v20
	v_cndmask_b32_e64 v19, 0, v19, s23
	v_cmp_nlt_f32_e64 s23, 0x42b17218, v18
	v_cndmask_b32_e64 v20, 0x7f800000, v19, s23
	v_add_f32_e32 v21, 1.0, v20
	v_cvt_f64_f32_e32 v[18:19], v21
	v_frexp_exp_i32_f64_e32 v18, v[18:19]
	v_frexp_mant_f32_e32 v19, v21
	v_cmp_gt_f32_e64 s23, 0x3f2aaaab, v19
	v_add_f32_e32 v19, -1.0, v21
	v_sub_f32_e32 v23, v19, v21
	v_sub_f32_e32 v19, v20, v19
	v_add_f32_e32 v23, 1.0, v23
	v_add_f32_e32 v19, v19, v23
	v_subrev_co_ci_u32_e64 v18, null, 0, v18, s23
	s_mov_b32 s23, 0x3e9b6dac
	v_sub_nc_u32_e32 v22, 0, v18
	v_cvt_f32_i32_e32 v18, v18
	v_ldexp_f32 v21, v21, v22
	v_ldexp_f32 v19, v19, v22
	v_add_f32_e32 v24, 1.0, v21
	v_add_f32_e32 v22, -1.0, v21
	v_add_f32_e32 v23, -1.0, v24
	v_add_f32_e32 v25, 1.0, v22
	v_sub_f32_e32 v23, v21, v23
	v_sub_f32_e32 v21, v21, v25
	v_add_f32_e32 v23, v19, v23
	v_add_f32_e32 v19, v19, v21
	;; [unrolled: 1-line block ×4, first 2 shown]
	v_rcp_f32_e32 v21, v25
	v_sub_f32_e32 v24, v24, v25
	v_sub_f32_e32 v22, v22, v26
	v_add_f32_e32 v23, v23, v24
	v_add_f32_e32 v19, v19, v22
	v_mul_f32_e32 v27, v26, v21
	v_mul_f32_e32 v28, v25, v27
	v_fma_f32 v24, v27, v25, -v28
	v_fmac_f32_e32 v24, v27, v23
	v_add_f32_e32 v29, v28, v24
	v_sub_f32_e32 v30, v26, v29
	v_sub_f32_e32 v22, v29, v28
	;; [unrolled: 1-line block ×5, first 2 shown]
	v_add_f32_e32 v19, v19, v26
	v_add_f32_e32 v19, v22, v19
	;; [unrolled: 1-line block ×3, first 2 shown]
	v_mul_f32_e32 v24, v21, v22
	v_sub_f32_e32 v29, v30, v22
	v_mul_f32_e32 v26, v25, v24
	v_add_f32_e32 v19, v19, v29
	v_fma_f32 v25, v24, v25, -v26
	v_fmac_f32_e32 v25, v24, v23
	v_add_f32_e32 v23, v26, v25
	v_sub_f32_e32 v28, v22, v23
	v_sub_f32_e32 v26, v23, v26
	;; [unrolled: 1-line block ×5, first 2 shown]
	v_add_f32_e32 v19, v19, v22
	v_add_f32_e32 v22, v27, v24
	;; [unrolled: 1-line block ×3, first 2 shown]
	v_sub_f32_e32 v23, v22, v27
	v_add_f32_e32 v19, v28, v19
	v_sub_f32_e32 v23, v24, v23
	v_mul_f32_e32 v19, v21, v19
	v_add_f32_e32 v19, v23, v19
	v_add_f32_e32 v21, v22, v19
	v_mul_f32_e32 v23, v21, v21
	v_fmaak_f32 v24, s23, v23, 0x3ecc95a3
	v_mul_f32_e32 v25, v21, v23
	v_cmp_neq_f32_e64 s23, 0x7f800000, v20
	v_fmaak_f32 v23, v23, v24, 0x3f2aaada
	v_ldexp_f32 v24, v21, 1
	v_sub_f32_e32 v21, v21, v22
	v_mul_f32_e32 v23, v25, v23
	v_mul_f32_e32 v25, 0x3f317218, v18
	v_sub_f32_e32 v19, v19, v21
	v_add_f32_e32 v22, v24, v23
	v_ldexp_f32 v19, v19, 1
	v_sub_f32_e32 v21, v22, v24
	v_fma_f32 v24, 0x3f317218, v18, -v25
	v_sub_f32_e32 v21, v23, v21
	v_fmamk_f32 v18, v18, 0xb102e308, v24
	v_add_f32_e32 v19, v19, v21
	v_add_f32_e32 v21, v25, v18
	;; [unrolled: 1-line block ×3, first 2 shown]
	v_sub_f32_e32 v25, v21, v25
	v_add_f32_e32 v24, v21, v23
	v_sub_f32_e32 v22, v23, v22
	v_sub_f32_e32 v18, v18, v25
	;; [unrolled: 1-line block ×6, first 2 shown]
	v_add_f32_e32 v23, v18, v19
	v_sub_f32_e32 v21, v21, v27
	v_add_f32_e32 v21, v22, v21
	v_sub_f32_e32 v22, v23, v18
	;; [unrolled: 2-line block ×3, first 2 shown]
	v_sub_f32_e32 v19, v19, v22
	v_add_f32_e32 v25, v24, v21
	v_sub_f32_e32 v18, v18, v23
	v_sub_f32_e32 v22, v25, v24
	v_add_f32_e32 v18, v19, v18
	v_sub_f32_e32 v19, v21, v22
	v_add_f32_e32 v18, v18, v19
	v_add_f32_e32 v18, v25, v18
	v_cndmask_b32_e64 v18, 0x7f800000, v18, s23
	v_cmp_gt_f32_e64 s23, 0x33800000, |v20|
	v_cndmask_b32_e64 v18, v18, v20, s23
	v_add_f32_e32 v15, v15, v18
	v_cvt_f16_f32_e32 v19, v15
	v_cvt_f32_f16_e32 v20, v19
	v_mov_b32_e32 v18, v19
.LBB433_44:
	s_or_b32 exec_lo, exec_lo, s25
	v_cvt_f32_f16_sdwa v15, v6 dst_sel:DWORD dst_unused:UNUSED_PAD src0_sel:WORD_1
	v_max_f32_e32 v21, v20, v20
	v_cmp_u_f16_e64 s23, v19, v19
	v_min_f32_e32 v22, v21, v15
	v_max_f32_e32 v21, v21, v15
	v_cndmask_b32_e64 v19, v22, v20, s23
	v_cndmask_b32_e64 v20, v21, v20, s23
	v_cmp_u_f16_sdwa s23, v6, v6 src0_sel:WORD_1 src1_sel:WORD_1
	v_cndmask_b32_e64 v19, v19, v15, s23
	v_cndmask_b32_e64 v6, v20, v15, s23
	v_cmp_class_f32_e64 s26, v19, 0x1f8
	v_cmp_neq_f32_e64 s25, v19, v6
	s_or_b32 s25, s25, s26
	s_and_saveexec_b32 s26, s25
	s_cbranch_execz .LBB433_46
; %bb.45:
	v_sub_f32_e32 v18, v19, v6
	v_mul_f32_e32 v19, 0x3fb8aa3b, v18
	v_cmp_ngt_f32_e64 s25, 0xc2ce8ed0, v18
	v_fma_f32 v20, 0x3fb8aa3b, v18, -v19
	v_rndne_f32_e32 v21, v19
	v_fmamk_f32 v20, v18, 0x32a5705f, v20
	v_sub_f32_e32 v19, v19, v21
	v_add_f32_e32 v19, v19, v20
	v_cvt_i32_f32_e32 v20, v21
	v_exp_f32_e32 v19, v19
	v_ldexp_f32 v19, v19, v20
	v_cndmask_b32_e64 v19, 0, v19, s25
	v_cmp_nlt_f32_e64 s25, 0x42b17218, v18
	v_cndmask_b32_e64 v20, 0x7f800000, v19, s25
	v_add_f32_e32 v21, 1.0, v20
	v_cvt_f64_f32_e32 v[18:19], v21
	v_frexp_exp_i32_f64_e32 v18, v[18:19]
	v_frexp_mant_f32_e32 v19, v21
	v_cmp_gt_f32_e64 s25, 0x3f2aaaab, v19
	v_add_f32_e32 v19, -1.0, v21
	v_sub_f32_e32 v23, v19, v21
	v_sub_f32_e32 v19, v20, v19
	v_add_f32_e32 v23, 1.0, v23
	v_add_f32_e32 v19, v19, v23
	v_subrev_co_ci_u32_e64 v18, null, 0, v18, s25
	s_mov_b32 s25, 0x3e9b6dac
	v_sub_nc_u32_e32 v22, 0, v18
	v_cvt_f32_i32_e32 v18, v18
	v_ldexp_f32 v21, v21, v22
	v_ldexp_f32 v19, v19, v22
	v_add_f32_e32 v24, 1.0, v21
	v_add_f32_e32 v22, -1.0, v21
	v_add_f32_e32 v23, -1.0, v24
	v_add_f32_e32 v25, 1.0, v22
	v_sub_f32_e32 v23, v21, v23
	v_sub_f32_e32 v21, v21, v25
	v_add_f32_e32 v23, v19, v23
	v_add_f32_e32 v19, v19, v21
	v_add_f32_e32 v25, v24, v23
	v_add_f32_e32 v26, v22, v19
	v_rcp_f32_e32 v21, v25
	v_sub_f32_e32 v24, v24, v25
	v_sub_f32_e32 v22, v22, v26
	v_add_f32_e32 v23, v23, v24
	v_add_f32_e32 v19, v19, v22
	v_mul_f32_e32 v27, v26, v21
	v_mul_f32_e32 v28, v25, v27
	v_fma_f32 v24, v27, v25, -v28
	v_fmac_f32_e32 v24, v27, v23
	v_add_f32_e32 v29, v28, v24
	v_sub_f32_e32 v30, v26, v29
	v_sub_f32_e32 v22, v29, v28
	;; [unrolled: 1-line block ×5, first 2 shown]
	v_add_f32_e32 v19, v19, v26
	v_add_f32_e32 v19, v22, v19
	;; [unrolled: 1-line block ×3, first 2 shown]
	v_mul_f32_e32 v24, v21, v22
	v_sub_f32_e32 v29, v30, v22
	v_mul_f32_e32 v26, v25, v24
	v_add_f32_e32 v19, v19, v29
	v_fma_f32 v25, v24, v25, -v26
	v_fmac_f32_e32 v25, v24, v23
	v_add_f32_e32 v23, v26, v25
	v_sub_f32_e32 v28, v22, v23
	v_sub_f32_e32 v26, v23, v26
	;; [unrolled: 1-line block ×5, first 2 shown]
	v_add_f32_e32 v19, v19, v22
	v_add_f32_e32 v22, v27, v24
	;; [unrolled: 1-line block ×3, first 2 shown]
	v_sub_f32_e32 v23, v22, v27
	v_add_f32_e32 v19, v28, v19
	v_sub_f32_e32 v23, v24, v23
	v_mul_f32_e32 v19, v21, v19
	v_add_f32_e32 v19, v23, v19
	v_add_f32_e32 v21, v22, v19
	v_mul_f32_e32 v23, v21, v21
	v_fmaak_f32 v24, s25, v23, 0x3ecc95a3
	v_mul_f32_e32 v25, v21, v23
	v_cmp_neq_f32_e64 s25, 0x7f800000, v20
	v_fmaak_f32 v23, v23, v24, 0x3f2aaada
	v_ldexp_f32 v24, v21, 1
	v_sub_f32_e32 v21, v21, v22
	v_mul_f32_e32 v23, v25, v23
	v_mul_f32_e32 v25, 0x3f317218, v18
	v_sub_f32_e32 v19, v19, v21
	v_add_f32_e32 v22, v24, v23
	v_ldexp_f32 v19, v19, 1
	v_sub_f32_e32 v21, v22, v24
	v_fma_f32 v24, 0x3f317218, v18, -v25
	v_sub_f32_e32 v21, v23, v21
	v_fmamk_f32 v18, v18, 0xb102e308, v24
	v_add_f32_e32 v19, v19, v21
	v_add_f32_e32 v21, v25, v18
	;; [unrolled: 1-line block ×3, first 2 shown]
	v_sub_f32_e32 v25, v21, v25
	v_add_f32_e32 v24, v21, v23
	v_sub_f32_e32 v22, v23, v22
	v_sub_f32_e32 v18, v18, v25
	v_sub_f32_e32 v26, v24, v21
	v_sub_f32_e32 v19, v19, v22
	v_sub_f32_e32 v27, v24, v26
	v_sub_f32_e32 v22, v23, v26
	v_add_f32_e32 v23, v18, v19
	v_sub_f32_e32 v21, v21, v27
	v_add_f32_e32 v21, v22, v21
	v_sub_f32_e32 v22, v23, v18
	;; [unrolled: 2-line block ×3, first 2 shown]
	v_sub_f32_e32 v19, v19, v22
	v_add_f32_e32 v25, v24, v21
	v_sub_f32_e32 v18, v18, v23
	v_sub_f32_e32 v22, v25, v24
	v_add_f32_e32 v18, v19, v18
	v_sub_f32_e32 v19, v21, v22
	v_add_f32_e32 v18, v18, v19
	v_add_f32_e32 v18, v25, v18
	v_cndmask_b32_e64 v18, 0x7f800000, v18, s25
	v_cmp_gt_f32_e64 s25, 0x33800000, |v20|
	v_cndmask_b32_e64 v18, v18, v20, s25
	v_add_f32_e32 v6, v6, v18
	v_cvt_f16_f32_e32 v18, v6
.LBB433_46:
	s_or_b32 exec_lo, exec_lo, s26
	s_load_dwordx2 s[26:27], s[4:5], 0x18
	v_lshrrev_b32_e32 v6, 4, v0
	s_mov_b32 s25, exec_lo
	v_and_b32_e32 v6, 2, v6
	v_lshl_add_u32 v6, v0, 1, v6
	ds_write_b16 v6, v18
	s_waitcnt lgkmcnt(0)
	s_barrier
	buffer_gl0_inv
	v_cmpx_gt_u32_e32 32, v0
	s_cbranch_execz .LBB433_74
; %bb.47:
	v_lshrrev_b32_e32 v6, 3, v0
	v_lshlrev_b32_e32 v19, 2, v0
	v_and_b32_e32 v6, 6, v6
	v_add_nc_u32_e32 v6, v6, v19
	ds_read_u16 v20, v6 offset:2
	ds_read_u16 v22, v6
	s_waitcnt lgkmcnt(1)
	v_cvt_f32_f16_e32 v23, v20
	s_waitcnt lgkmcnt(0)
	v_cvt_f32_f16_e32 v19, v22
	v_cmp_u_f16_e64 s4, v22, v22
	v_cmp_u_f16_e64 s5, v20, v20
	v_min_f32_e32 v21, v19, v23
	v_max_f32_e32 v24, v19, v23
	v_cndmask_b32_e64 v21, v21, v19, s4
	v_cndmask_b32_e64 v24, v24, v19, s4
	v_cndmask_b32_e64 v21, v21, v23, s5
	v_cndmask_b32_e64 v20, v24, v23, s5
	v_cmp_class_f32_e64 s28, v21, 0x1f8
	v_cmp_neq_f32_e64 s5, v21, v20
	s_or_b32 s5, s5, s28
	s_and_saveexec_b32 s28, s5
	s_cbranch_execz .LBB433_49
; %bb.48:
	v_sub_f32_e32 v21, v21, v20
	v_mul_f32_e32 v22, 0x3fb8aa3b, v21
	v_cmp_ngt_f32_e64 s5, 0xc2ce8ed0, v21
	v_fma_f32 v23, 0x3fb8aa3b, v21, -v22
	v_rndne_f32_e32 v24, v22
	v_fmamk_f32 v23, v21, 0x32a5705f, v23
	v_sub_f32_e32 v22, v22, v24
	v_add_f32_e32 v22, v22, v23
	v_cvt_i32_f32_e32 v23, v24
	v_exp_f32_e32 v22, v22
	v_ldexp_f32 v22, v22, v23
	v_cndmask_b32_e64 v22, 0, v22, s5
	v_cmp_nlt_f32_e64 s5, 0x42b17218, v21
	v_cndmask_b32_e64 v23, 0x7f800000, v22, s5
	v_add_f32_e32 v24, 1.0, v23
	v_cvt_f64_f32_e32 v[21:22], v24
	v_frexp_exp_i32_f64_e32 v21, v[21:22]
	v_frexp_mant_f32_e32 v22, v24
	v_cmp_gt_f32_e64 s5, 0x3f2aaaab, v22
	v_add_f32_e32 v22, -1.0, v24
	v_sub_f32_e32 v26, v22, v24
	v_sub_f32_e32 v22, v23, v22
	v_add_f32_e32 v26, 1.0, v26
	v_add_f32_e32 v22, v22, v26
	v_subrev_co_ci_u32_e64 v21, null, 0, v21, s5
	s_mov_b32 s5, 0x3e9b6dac
	v_sub_nc_u32_e32 v25, 0, v21
	v_cvt_f32_i32_e32 v21, v21
	v_ldexp_f32 v24, v24, v25
	v_ldexp_f32 v22, v22, v25
	v_add_f32_e32 v27, 1.0, v24
	v_add_f32_e32 v25, -1.0, v24
	v_add_f32_e32 v26, -1.0, v27
	v_add_f32_e32 v28, 1.0, v25
	v_sub_f32_e32 v26, v24, v26
	v_sub_f32_e32 v24, v24, v28
	v_add_f32_e32 v26, v22, v26
	v_add_f32_e32 v22, v22, v24
	;; [unrolled: 1-line block ×4, first 2 shown]
	v_rcp_f32_e32 v24, v28
	v_sub_f32_e32 v27, v27, v28
	v_sub_f32_e32 v25, v25, v29
	v_add_f32_e32 v26, v26, v27
	v_add_f32_e32 v22, v22, v25
	v_mul_f32_e32 v30, v29, v24
	v_mul_f32_e32 v31, v28, v30
	v_fma_f32 v27, v30, v28, -v31
	v_fmac_f32_e32 v27, v30, v26
	v_add_f32_e32 v32, v31, v27
	v_sub_f32_e32 v33, v29, v32
	v_sub_f32_e32 v25, v32, v31
	;; [unrolled: 1-line block ×5, first 2 shown]
	v_add_f32_e32 v22, v22, v29
	v_add_f32_e32 v22, v25, v22
	;; [unrolled: 1-line block ×3, first 2 shown]
	v_mul_f32_e32 v27, v24, v25
	v_sub_f32_e32 v32, v33, v25
	v_mul_f32_e32 v29, v28, v27
	v_add_f32_e32 v22, v22, v32
	v_fma_f32 v28, v27, v28, -v29
	v_fmac_f32_e32 v28, v27, v26
	v_add_f32_e32 v26, v29, v28
	v_sub_f32_e32 v31, v25, v26
	v_sub_f32_e32 v29, v26, v29
	;; [unrolled: 1-line block ×5, first 2 shown]
	v_add_f32_e32 v22, v22, v25
	v_add_f32_e32 v25, v30, v27
	;; [unrolled: 1-line block ×3, first 2 shown]
	v_sub_f32_e32 v26, v25, v30
	v_add_f32_e32 v22, v31, v22
	v_sub_f32_e32 v26, v27, v26
	v_mul_f32_e32 v22, v24, v22
	v_add_f32_e32 v22, v26, v22
	v_add_f32_e32 v24, v25, v22
	v_mul_f32_e32 v26, v24, v24
	v_fmaak_f32 v27, s5, v26, 0x3ecc95a3
	v_mul_f32_e32 v28, v24, v26
	v_cmp_neq_f32_e64 s5, 0x7f800000, v23
	v_fmaak_f32 v26, v26, v27, 0x3f2aaada
	v_ldexp_f32 v27, v24, 1
	v_sub_f32_e32 v24, v24, v25
	v_mul_f32_e32 v26, v28, v26
	v_mul_f32_e32 v28, 0x3f317218, v21
	v_sub_f32_e32 v22, v22, v24
	v_add_f32_e32 v25, v27, v26
	v_ldexp_f32 v22, v22, 1
	v_sub_f32_e32 v24, v25, v27
	v_fma_f32 v27, 0x3f317218, v21, -v28
	v_sub_f32_e32 v24, v26, v24
	v_fmamk_f32 v21, v21, 0xb102e308, v27
	v_add_f32_e32 v22, v22, v24
	v_add_f32_e32 v24, v28, v21
	;; [unrolled: 1-line block ×3, first 2 shown]
	v_sub_f32_e32 v28, v24, v28
	v_add_f32_e32 v27, v24, v26
	v_sub_f32_e32 v25, v26, v25
	v_sub_f32_e32 v21, v21, v28
	;; [unrolled: 1-line block ×6, first 2 shown]
	v_add_f32_e32 v26, v21, v22
	v_sub_f32_e32 v24, v24, v30
	v_add_f32_e32 v24, v25, v24
	v_sub_f32_e32 v25, v26, v21
	v_add_f32_e32 v24, v26, v24
	v_sub_f32_e32 v26, v26, v25
	v_sub_f32_e32 v22, v22, v25
	v_add_f32_e32 v28, v27, v24
	v_sub_f32_e32 v21, v21, v26
	v_sub_f32_e32 v25, v28, v27
	v_add_f32_e32 v21, v22, v21
	v_sub_f32_e32 v22, v24, v25
	v_add_f32_e32 v21, v21, v22
	v_add_f32_e32 v21, v28, v21
	v_cndmask_b32_e64 v21, 0x7f800000, v21, s5
	v_cmp_gt_f32_e64 s5, 0x33800000, |v23|
	v_cndmask_b32_e64 v21, v21, v23, s5
	v_add_f32_e32 v20, v20, v21
	v_cvt_f16_f32_e32 v22, v20
.LBB433_49:
	s_or_b32 exec_lo, exec_lo, s28
	v_mbcnt_lo_u32_b32 v20, -1, 0
	v_and_b32_e32 v23, 0xffff, v22
	s_mov_b32 s28, exec_lo
	v_and_b32_e32 v21, 15, v20
	v_mov_b32_dpp v24, v23 row_shr:1 row_mask:0xf bank_mask:0xf
	v_cmpx_ne_u32_e32 0, v21
	s_xor_b32 s28, exec_lo, s28
	s_cbranch_execz .LBB433_53
; %bb.50:
	v_cvt_f32_f16_e32 v23, v24
	v_cvt_f32_f16_e32 v25, v22
	v_cmp_u_f16_e64 s5, v24, v24
	v_min_f32_e32 v26, v23, v25
	v_max_f32_e32 v27, v23, v25
	v_cndmask_b32_e64 v26, v26, v23, s5
	v_cndmask_b32_e64 v27, v27, v23, s5
	v_cmp_u_f16_e64 s5, v22, v22
	v_cndmask_b32_e64 v23, v26, v25, s5
	v_cndmask_b32_e64 v22, v27, v25, s5
	v_cmp_class_f32_e64 s29, v23, 0x1f8
	v_cmp_neq_f32_e64 s5, v23, v22
	s_or_b32 s5, s5, s29
	s_and_saveexec_b32 s29, s5
	s_cbranch_execz .LBB433_52
; %bb.51:
	v_sub_f32_e32 v23, v23, v22
	v_mul_f32_e32 v24, 0x3fb8aa3b, v23
	v_cmp_ngt_f32_e64 s5, 0xc2ce8ed0, v23
	v_fma_f32 v25, 0x3fb8aa3b, v23, -v24
	v_rndne_f32_e32 v26, v24
	v_fmamk_f32 v25, v23, 0x32a5705f, v25
	v_sub_f32_e32 v24, v24, v26
	v_add_f32_e32 v24, v24, v25
	v_cvt_i32_f32_e32 v25, v26
	v_exp_f32_e32 v24, v24
	v_ldexp_f32 v24, v24, v25
	v_cndmask_b32_e64 v24, 0, v24, s5
	v_cmp_nlt_f32_e64 s5, 0x42b17218, v23
	v_cndmask_b32_e64 v25, 0x7f800000, v24, s5
	v_add_f32_e32 v26, 1.0, v25
	v_cvt_f64_f32_e32 v[23:24], v26
	v_frexp_exp_i32_f64_e32 v23, v[23:24]
	v_frexp_mant_f32_e32 v24, v26
	v_cmp_gt_f32_e64 s5, 0x3f2aaaab, v24
	v_add_f32_e32 v24, -1.0, v26
	v_sub_f32_e32 v28, v24, v26
	v_sub_f32_e32 v24, v25, v24
	v_add_f32_e32 v28, 1.0, v28
	v_add_f32_e32 v24, v24, v28
	v_subrev_co_ci_u32_e64 v23, null, 0, v23, s5
	s_mov_b32 s5, 0x3e9b6dac
	v_sub_nc_u32_e32 v27, 0, v23
	v_cvt_f32_i32_e32 v23, v23
	v_ldexp_f32 v26, v26, v27
	v_ldexp_f32 v24, v24, v27
	v_add_f32_e32 v29, 1.0, v26
	v_add_f32_e32 v27, -1.0, v26
	v_add_f32_e32 v28, -1.0, v29
	v_add_f32_e32 v30, 1.0, v27
	v_sub_f32_e32 v28, v26, v28
	v_sub_f32_e32 v26, v26, v30
	v_add_f32_e32 v28, v24, v28
	v_add_f32_e32 v24, v24, v26
	;; [unrolled: 1-line block ×4, first 2 shown]
	v_rcp_f32_e32 v26, v30
	v_sub_f32_e32 v29, v29, v30
	v_sub_f32_e32 v27, v27, v31
	v_add_f32_e32 v28, v28, v29
	v_add_f32_e32 v24, v24, v27
	v_mul_f32_e32 v32, v31, v26
	v_mul_f32_e32 v33, v30, v32
	v_fma_f32 v29, v32, v30, -v33
	v_fmac_f32_e32 v29, v32, v28
	v_add_f32_e32 v34, v33, v29
	v_sub_f32_e32 v35, v31, v34
	v_sub_f32_e32 v27, v34, v33
	;; [unrolled: 1-line block ×5, first 2 shown]
	v_add_f32_e32 v24, v24, v31
	v_add_f32_e32 v24, v27, v24
	;; [unrolled: 1-line block ×3, first 2 shown]
	v_mul_f32_e32 v29, v26, v27
	v_sub_f32_e32 v34, v35, v27
	v_mul_f32_e32 v31, v30, v29
	v_add_f32_e32 v24, v24, v34
	v_fma_f32 v30, v29, v30, -v31
	v_fmac_f32_e32 v30, v29, v28
	v_add_f32_e32 v28, v31, v30
	v_sub_f32_e32 v33, v27, v28
	v_sub_f32_e32 v31, v28, v31
	;; [unrolled: 1-line block ×5, first 2 shown]
	v_add_f32_e32 v24, v24, v27
	v_add_f32_e32 v27, v32, v29
	;; [unrolled: 1-line block ×3, first 2 shown]
	v_sub_f32_e32 v28, v27, v32
	v_add_f32_e32 v24, v33, v24
	v_sub_f32_e32 v28, v29, v28
	v_mul_f32_e32 v24, v26, v24
	v_add_f32_e32 v24, v28, v24
	v_add_f32_e32 v26, v27, v24
	v_mul_f32_e32 v28, v26, v26
	v_fmaak_f32 v29, s5, v28, 0x3ecc95a3
	v_mul_f32_e32 v30, v26, v28
	v_cmp_neq_f32_e64 s5, 0x7f800000, v25
	v_fmaak_f32 v28, v28, v29, 0x3f2aaada
	v_ldexp_f32 v29, v26, 1
	v_sub_f32_e32 v26, v26, v27
	v_mul_f32_e32 v28, v30, v28
	v_mul_f32_e32 v30, 0x3f317218, v23
	v_sub_f32_e32 v24, v24, v26
	v_add_f32_e32 v27, v29, v28
	v_ldexp_f32 v24, v24, 1
	v_sub_f32_e32 v26, v27, v29
	v_fma_f32 v29, 0x3f317218, v23, -v30
	v_sub_f32_e32 v26, v28, v26
	v_fmamk_f32 v23, v23, 0xb102e308, v29
	v_add_f32_e32 v24, v24, v26
	v_add_f32_e32 v26, v30, v23
	;; [unrolled: 1-line block ×3, first 2 shown]
	v_sub_f32_e32 v30, v26, v30
	v_add_f32_e32 v29, v26, v28
	v_sub_f32_e32 v27, v28, v27
	v_sub_f32_e32 v23, v23, v30
	;; [unrolled: 1-line block ×6, first 2 shown]
	v_add_f32_e32 v28, v23, v24
	v_sub_f32_e32 v26, v26, v32
	v_add_f32_e32 v26, v27, v26
	v_sub_f32_e32 v27, v28, v23
	;; [unrolled: 2-line block ×3, first 2 shown]
	v_sub_f32_e32 v24, v24, v27
	v_add_f32_e32 v30, v29, v26
	v_sub_f32_e32 v23, v23, v28
	v_sub_f32_e32 v27, v30, v29
	v_add_f32_e32 v23, v24, v23
	v_sub_f32_e32 v24, v26, v27
	v_add_f32_e32 v23, v23, v24
	v_add_f32_e32 v23, v30, v23
	v_cndmask_b32_e64 v23, 0x7f800000, v23, s5
	v_cmp_gt_f32_e64 s5, 0x33800000, |v25|
	v_cndmask_b32_e64 v23, v23, v25, s5
	v_add_f32_e32 v22, v22, v23
	v_cvt_f16_f32_e32 v24, v22
.LBB433_52:
	s_or_b32 exec_lo, exec_lo, s29
	v_and_b32_e32 v23, 0xffff, v24
	v_mov_b32_e32 v22, v24
.LBB433_53:
	s_or_b32 exec_lo, exec_lo, s28
	v_mov_b32_dpp v24, v23 row_shr:2 row_mask:0xf bank_mask:0xf
	s_mov_b32 s28, exec_lo
	v_cmpx_lt_u32_e32 1, v21
	s_cbranch_execz .LBB433_57
; %bb.54:
	v_cvt_f32_f16_e32 v23, v24
	v_cvt_f32_f16_e32 v25, v22
	v_cmp_u_f16_e64 s5, v24, v24
	v_min_f32_e32 v26, v23, v25
	v_max_f32_e32 v27, v23, v25
	v_cndmask_b32_e64 v26, v26, v23, s5
	v_cndmask_b32_e64 v27, v27, v23, s5
	v_cmp_u_f16_e64 s5, v22, v22
	v_cndmask_b32_e64 v23, v26, v25, s5
	v_cndmask_b32_e64 v22, v27, v25, s5
	v_cmp_class_f32_e64 s29, v23, 0x1f8
	v_cmp_neq_f32_e64 s5, v23, v22
	s_or_b32 s5, s5, s29
	s_and_saveexec_b32 s29, s5
	s_cbranch_execz .LBB433_56
; %bb.55:
	v_sub_f32_e32 v23, v23, v22
	v_mul_f32_e32 v24, 0x3fb8aa3b, v23
	v_cmp_ngt_f32_e64 s5, 0xc2ce8ed0, v23
	v_fma_f32 v25, 0x3fb8aa3b, v23, -v24
	v_rndne_f32_e32 v26, v24
	v_fmamk_f32 v25, v23, 0x32a5705f, v25
	v_sub_f32_e32 v24, v24, v26
	v_add_f32_e32 v24, v24, v25
	v_cvt_i32_f32_e32 v25, v26
	v_exp_f32_e32 v24, v24
	v_ldexp_f32 v24, v24, v25
	v_cndmask_b32_e64 v24, 0, v24, s5
	v_cmp_nlt_f32_e64 s5, 0x42b17218, v23
	v_cndmask_b32_e64 v25, 0x7f800000, v24, s5
	v_add_f32_e32 v26, 1.0, v25
	v_cvt_f64_f32_e32 v[23:24], v26
	v_frexp_exp_i32_f64_e32 v23, v[23:24]
	v_frexp_mant_f32_e32 v24, v26
	v_cmp_gt_f32_e64 s5, 0x3f2aaaab, v24
	v_add_f32_e32 v24, -1.0, v26
	v_sub_f32_e32 v28, v24, v26
	v_sub_f32_e32 v24, v25, v24
	v_add_f32_e32 v28, 1.0, v28
	v_add_f32_e32 v24, v24, v28
	v_subrev_co_ci_u32_e64 v23, null, 0, v23, s5
	s_mov_b32 s5, 0x3e9b6dac
	v_sub_nc_u32_e32 v27, 0, v23
	v_cvt_f32_i32_e32 v23, v23
	v_ldexp_f32 v26, v26, v27
	v_ldexp_f32 v24, v24, v27
	v_add_f32_e32 v29, 1.0, v26
	v_add_f32_e32 v27, -1.0, v26
	v_add_f32_e32 v28, -1.0, v29
	v_add_f32_e32 v30, 1.0, v27
	v_sub_f32_e32 v28, v26, v28
	v_sub_f32_e32 v26, v26, v30
	v_add_f32_e32 v28, v24, v28
	v_add_f32_e32 v24, v24, v26
	;; [unrolled: 1-line block ×4, first 2 shown]
	v_rcp_f32_e32 v26, v30
	v_sub_f32_e32 v29, v29, v30
	v_sub_f32_e32 v27, v27, v31
	v_add_f32_e32 v28, v28, v29
	v_add_f32_e32 v24, v24, v27
	v_mul_f32_e32 v32, v31, v26
	v_mul_f32_e32 v33, v30, v32
	v_fma_f32 v29, v32, v30, -v33
	v_fmac_f32_e32 v29, v32, v28
	v_add_f32_e32 v34, v33, v29
	v_sub_f32_e32 v35, v31, v34
	v_sub_f32_e32 v27, v34, v33
	;; [unrolled: 1-line block ×5, first 2 shown]
	v_add_f32_e32 v24, v24, v31
	v_add_f32_e32 v24, v27, v24
	;; [unrolled: 1-line block ×3, first 2 shown]
	v_mul_f32_e32 v29, v26, v27
	v_sub_f32_e32 v34, v35, v27
	v_mul_f32_e32 v31, v30, v29
	v_add_f32_e32 v24, v24, v34
	v_fma_f32 v30, v29, v30, -v31
	v_fmac_f32_e32 v30, v29, v28
	v_add_f32_e32 v28, v31, v30
	v_sub_f32_e32 v33, v27, v28
	v_sub_f32_e32 v31, v28, v31
	;; [unrolled: 1-line block ×5, first 2 shown]
	v_add_f32_e32 v24, v24, v27
	v_add_f32_e32 v27, v32, v29
	;; [unrolled: 1-line block ×3, first 2 shown]
	v_sub_f32_e32 v28, v27, v32
	v_add_f32_e32 v24, v33, v24
	v_sub_f32_e32 v28, v29, v28
	v_mul_f32_e32 v24, v26, v24
	v_add_f32_e32 v24, v28, v24
	v_add_f32_e32 v26, v27, v24
	v_mul_f32_e32 v28, v26, v26
	v_fmaak_f32 v29, s5, v28, 0x3ecc95a3
	v_mul_f32_e32 v30, v26, v28
	v_cmp_neq_f32_e64 s5, 0x7f800000, v25
	v_fmaak_f32 v28, v28, v29, 0x3f2aaada
	v_ldexp_f32 v29, v26, 1
	v_sub_f32_e32 v26, v26, v27
	v_mul_f32_e32 v28, v30, v28
	v_mul_f32_e32 v30, 0x3f317218, v23
	v_sub_f32_e32 v24, v24, v26
	v_add_f32_e32 v27, v29, v28
	v_ldexp_f32 v24, v24, 1
	v_sub_f32_e32 v26, v27, v29
	v_fma_f32 v29, 0x3f317218, v23, -v30
	v_sub_f32_e32 v26, v28, v26
	v_fmamk_f32 v23, v23, 0xb102e308, v29
	v_add_f32_e32 v24, v24, v26
	v_add_f32_e32 v26, v30, v23
	;; [unrolled: 1-line block ×3, first 2 shown]
	v_sub_f32_e32 v30, v26, v30
	v_add_f32_e32 v29, v26, v28
	v_sub_f32_e32 v27, v28, v27
	v_sub_f32_e32 v23, v23, v30
	v_sub_f32_e32 v31, v29, v26
	v_sub_f32_e32 v24, v24, v27
	v_sub_f32_e32 v32, v29, v31
	v_sub_f32_e32 v27, v28, v31
	v_add_f32_e32 v28, v23, v24
	v_sub_f32_e32 v26, v26, v32
	v_add_f32_e32 v26, v27, v26
	v_sub_f32_e32 v27, v28, v23
	;; [unrolled: 2-line block ×3, first 2 shown]
	v_sub_f32_e32 v24, v24, v27
	v_add_f32_e32 v30, v29, v26
	v_sub_f32_e32 v23, v23, v28
	v_sub_f32_e32 v27, v30, v29
	v_add_f32_e32 v23, v24, v23
	v_sub_f32_e32 v24, v26, v27
	v_add_f32_e32 v23, v23, v24
	v_add_f32_e32 v23, v30, v23
	v_cndmask_b32_e64 v23, 0x7f800000, v23, s5
	v_cmp_gt_f32_e64 s5, 0x33800000, |v25|
	v_cndmask_b32_e64 v23, v23, v25, s5
	v_add_f32_e32 v22, v22, v23
	v_cvt_f16_f32_e32 v24, v22
.LBB433_56:
	s_or_b32 exec_lo, exec_lo, s29
	v_and_b32_e32 v23, 0xffff, v24
	v_mov_b32_e32 v22, v24
.LBB433_57:
	s_or_b32 exec_lo, exec_lo, s28
	v_mov_b32_dpp v24, v23 row_shr:4 row_mask:0xf bank_mask:0xf
	s_mov_b32 s28, exec_lo
	v_cmpx_lt_u32_e32 3, v21
	s_cbranch_execz .LBB433_61
; %bb.58:
	v_cvt_f32_f16_e32 v23, v24
	v_cvt_f32_f16_e32 v25, v22
	v_cmp_u_f16_e64 s5, v24, v24
	v_min_f32_e32 v26, v23, v25
	v_max_f32_e32 v27, v23, v25
	v_cndmask_b32_e64 v26, v26, v23, s5
	v_cndmask_b32_e64 v27, v27, v23, s5
	v_cmp_u_f16_e64 s5, v22, v22
	v_cndmask_b32_e64 v23, v26, v25, s5
	v_cndmask_b32_e64 v22, v27, v25, s5
	v_cmp_class_f32_e64 s29, v23, 0x1f8
	v_cmp_neq_f32_e64 s5, v23, v22
	s_or_b32 s5, s5, s29
	s_and_saveexec_b32 s29, s5
	s_cbranch_execz .LBB433_60
; %bb.59:
	v_sub_f32_e32 v23, v23, v22
	v_mul_f32_e32 v24, 0x3fb8aa3b, v23
	v_cmp_ngt_f32_e64 s5, 0xc2ce8ed0, v23
	v_fma_f32 v25, 0x3fb8aa3b, v23, -v24
	v_rndne_f32_e32 v26, v24
	v_fmamk_f32 v25, v23, 0x32a5705f, v25
	v_sub_f32_e32 v24, v24, v26
	v_add_f32_e32 v24, v24, v25
	v_cvt_i32_f32_e32 v25, v26
	v_exp_f32_e32 v24, v24
	v_ldexp_f32 v24, v24, v25
	v_cndmask_b32_e64 v24, 0, v24, s5
	v_cmp_nlt_f32_e64 s5, 0x42b17218, v23
	v_cndmask_b32_e64 v25, 0x7f800000, v24, s5
	v_add_f32_e32 v26, 1.0, v25
	v_cvt_f64_f32_e32 v[23:24], v26
	v_frexp_exp_i32_f64_e32 v23, v[23:24]
	v_frexp_mant_f32_e32 v24, v26
	v_cmp_gt_f32_e64 s5, 0x3f2aaaab, v24
	v_add_f32_e32 v24, -1.0, v26
	v_sub_f32_e32 v28, v24, v26
	v_sub_f32_e32 v24, v25, v24
	v_add_f32_e32 v28, 1.0, v28
	v_add_f32_e32 v24, v24, v28
	v_subrev_co_ci_u32_e64 v23, null, 0, v23, s5
	s_mov_b32 s5, 0x3e9b6dac
	v_sub_nc_u32_e32 v27, 0, v23
	v_cvt_f32_i32_e32 v23, v23
	v_ldexp_f32 v26, v26, v27
	v_ldexp_f32 v24, v24, v27
	v_add_f32_e32 v29, 1.0, v26
	v_add_f32_e32 v27, -1.0, v26
	v_add_f32_e32 v28, -1.0, v29
	v_add_f32_e32 v30, 1.0, v27
	v_sub_f32_e32 v28, v26, v28
	v_sub_f32_e32 v26, v26, v30
	v_add_f32_e32 v28, v24, v28
	v_add_f32_e32 v24, v24, v26
	;; [unrolled: 1-line block ×4, first 2 shown]
	v_rcp_f32_e32 v26, v30
	v_sub_f32_e32 v29, v29, v30
	v_sub_f32_e32 v27, v27, v31
	v_add_f32_e32 v28, v28, v29
	v_add_f32_e32 v24, v24, v27
	v_mul_f32_e32 v32, v31, v26
	v_mul_f32_e32 v33, v30, v32
	v_fma_f32 v29, v32, v30, -v33
	v_fmac_f32_e32 v29, v32, v28
	v_add_f32_e32 v34, v33, v29
	v_sub_f32_e32 v35, v31, v34
	v_sub_f32_e32 v27, v34, v33
	;; [unrolled: 1-line block ×5, first 2 shown]
	v_add_f32_e32 v24, v24, v31
	v_add_f32_e32 v24, v27, v24
	v_add_f32_e32 v27, v35, v24
	v_mul_f32_e32 v29, v26, v27
	v_sub_f32_e32 v34, v35, v27
	v_mul_f32_e32 v31, v30, v29
	v_add_f32_e32 v24, v24, v34
	v_fma_f32 v30, v29, v30, -v31
	v_fmac_f32_e32 v30, v29, v28
	v_add_f32_e32 v28, v31, v30
	v_sub_f32_e32 v33, v27, v28
	v_sub_f32_e32 v31, v28, v31
	;; [unrolled: 1-line block ×5, first 2 shown]
	v_add_f32_e32 v24, v24, v27
	v_add_f32_e32 v27, v32, v29
	;; [unrolled: 1-line block ×3, first 2 shown]
	v_sub_f32_e32 v28, v27, v32
	v_add_f32_e32 v24, v33, v24
	v_sub_f32_e32 v28, v29, v28
	v_mul_f32_e32 v24, v26, v24
	v_add_f32_e32 v24, v28, v24
	v_add_f32_e32 v26, v27, v24
	v_mul_f32_e32 v28, v26, v26
	v_fmaak_f32 v29, s5, v28, 0x3ecc95a3
	v_mul_f32_e32 v30, v26, v28
	v_cmp_neq_f32_e64 s5, 0x7f800000, v25
	v_fmaak_f32 v28, v28, v29, 0x3f2aaada
	v_ldexp_f32 v29, v26, 1
	v_sub_f32_e32 v26, v26, v27
	v_mul_f32_e32 v28, v30, v28
	v_mul_f32_e32 v30, 0x3f317218, v23
	v_sub_f32_e32 v24, v24, v26
	v_add_f32_e32 v27, v29, v28
	v_ldexp_f32 v24, v24, 1
	v_sub_f32_e32 v26, v27, v29
	v_fma_f32 v29, 0x3f317218, v23, -v30
	v_sub_f32_e32 v26, v28, v26
	v_fmamk_f32 v23, v23, 0xb102e308, v29
	v_add_f32_e32 v24, v24, v26
	v_add_f32_e32 v26, v30, v23
	;; [unrolled: 1-line block ×3, first 2 shown]
	v_sub_f32_e32 v30, v26, v30
	v_add_f32_e32 v29, v26, v28
	v_sub_f32_e32 v27, v28, v27
	v_sub_f32_e32 v23, v23, v30
	;; [unrolled: 1-line block ×6, first 2 shown]
	v_add_f32_e32 v28, v23, v24
	v_sub_f32_e32 v26, v26, v32
	v_add_f32_e32 v26, v27, v26
	v_sub_f32_e32 v27, v28, v23
	;; [unrolled: 2-line block ×3, first 2 shown]
	v_sub_f32_e32 v24, v24, v27
	v_add_f32_e32 v30, v29, v26
	v_sub_f32_e32 v23, v23, v28
	v_sub_f32_e32 v27, v30, v29
	v_add_f32_e32 v23, v24, v23
	v_sub_f32_e32 v24, v26, v27
	v_add_f32_e32 v23, v23, v24
	v_add_f32_e32 v23, v30, v23
	v_cndmask_b32_e64 v23, 0x7f800000, v23, s5
	v_cmp_gt_f32_e64 s5, 0x33800000, |v25|
	v_cndmask_b32_e64 v23, v23, v25, s5
	v_add_f32_e32 v22, v22, v23
	v_cvt_f16_f32_e32 v24, v22
.LBB433_60:
	s_or_b32 exec_lo, exec_lo, s29
	v_and_b32_e32 v23, 0xffff, v24
	v_mov_b32_e32 v22, v24
.LBB433_61:
	s_or_b32 exec_lo, exec_lo, s28
	v_mov_b32_dpp v24, v23 row_shr:8 row_mask:0xf bank_mask:0xf
	s_mov_b32 s28, exec_lo
	v_cmpx_lt_u32_e32 7, v21
	s_cbranch_execz .LBB433_65
; %bb.62:
	v_cvt_f32_f16_e32 v21, v24
	v_cvt_f32_f16_e32 v23, v22
	v_cmp_u_f16_e64 s5, v24, v24
	v_min_f32_e32 v25, v21, v23
	v_max_f32_e32 v26, v21, v23
	v_cndmask_b32_e64 v25, v25, v21, s5
	v_cndmask_b32_e64 v21, v26, v21, s5
	v_cmp_u_f16_e64 s5, v22, v22
	v_cndmask_b32_e64 v22, v25, v23, s5
	v_cndmask_b32_e64 v21, v21, v23, s5
	v_cmp_class_f32_e64 s29, v22, 0x1f8
	v_cmp_neq_f32_e64 s5, v22, v21
	s_or_b32 s5, s5, s29
	s_and_saveexec_b32 s29, s5
	s_cbranch_execz .LBB433_64
; %bb.63:
	v_sub_f32_e32 v22, v22, v21
	v_mul_f32_e32 v23, 0x3fb8aa3b, v22
	v_cmp_ngt_f32_e64 s5, 0xc2ce8ed0, v22
	v_fma_f32 v24, 0x3fb8aa3b, v22, -v23
	v_rndne_f32_e32 v25, v23
	v_fmamk_f32 v24, v22, 0x32a5705f, v24
	v_sub_f32_e32 v23, v23, v25
	v_add_f32_e32 v23, v23, v24
	v_cvt_i32_f32_e32 v24, v25
	v_exp_f32_e32 v23, v23
	v_ldexp_f32 v23, v23, v24
	v_cndmask_b32_e64 v23, 0, v23, s5
	v_cmp_nlt_f32_e64 s5, 0x42b17218, v22
	v_cndmask_b32_e64 v24, 0x7f800000, v23, s5
	v_add_f32_e32 v25, 1.0, v24
	v_cvt_f64_f32_e32 v[22:23], v25
	v_frexp_exp_i32_f64_e32 v22, v[22:23]
	v_frexp_mant_f32_e32 v23, v25
	v_cmp_gt_f32_e64 s5, 0x3f2aaaab, v23
	v_add_f32_e32 v23, -1.0, v25
	v_sub_f32_e32 v27, v23, v25
	v_sub_f32_e32 v23, v24, v23
	v_add_f32_e32 v27, 1.0, v27
	v_add_f32_e32 v23, v23, v27
	v_subrev_co_ci_u32_e64 v22, null, 0, v22, s5
	s_mov_b32 s5, 0x3e9b6dac
	v_sub_nc_u32_e32 v26, 0, v22
	v_cvt_f32_i32_e32 v22, v22
	v_ldexp_f32 v25, v25, v26
	v_ldexp_f32 v23, v23, v26
	v_add_f32_e32 v28, 1.0, v25
	v_add_f32_e32 v26, -1.0, v25
	v_add_f32_e32 v27, -1.0, v28
	v_add_f32_e32 v29, 1.0, v26
	v_sub_f32_e32 v27, v25, v27
	v_sub_f32_e32 v25, v25, v29
	v_add_f32_e32 v27, v23, v27
	v_add_f32_e32 v23, v23, v25
	;; [unrolled: 1-line block ×4, first 2 shown]
	v_rcp_f32_e32 v25, v29
	v_sub_f32_e32 v28, v28, v29
	v_sub_f32_e32 v26, v26, v30
	v_add_f32_e32 v27, v27, v28
	v_add_f32_e32 v23, v23, v26
	v_mul_f32_e32 v31, v30, v25
	v_mul_f32_e32 v32, v29, v31
	v_fma_f32 v28, v31, v29, -v32
	v_fmac_f32_e32 v28, v31, v27
	v_add_f32_e32 v33, v32, v28
	v_sub_f32_e32 v34, v30, v33
	v_sub_f32_e32 v26, v33, v32
	;; [unrolled: 1-line block ×5, first 2 shown]
	v_add_f32_e32 v23, v23, v30
	v_add_f32_e32 v23, v26, v23
	;; [unrolled: 1-line block ×3, first 2 shown]
	v_mul_f32_e32 v28, v25, v26
	v_sub_f32_e32 v33, v34, v26
	v_mul_f32_e32 v30, v29, v28
	v_add_f32_e32 v23, v23, v33
	v_fma_f32 v29, v28, v29, -v30
	v_fmac_f32_e32 v29, v28, v27
	v_add_f32_e32 v27, v30, v29
	v_sub_f32_e32 v32, v26, v27
	v_sub_f32_e32 v30, v27, v30
	;; [unrolled: 1-line block ×5, first 2 shown]
	v_add_f32_e32 v23, v23, v26
	v_add_f32_e32 v26, v31, v28
	;; [unrolled: 1-line block ×3, first 2 shown]
	v_sub_f32_e32 v27, v26, v31
	v_add_f32_e32 v23, v32, v23
	v_sub_f32_e32 v27, v28, v27
	v_mul_f32_e32 v23, v25, v23
	v_add_f32_e32 v23, v27, v23
	v_add_f32_e32 v25, v26, v23
	v_mul_f32_e32 v27, v25, v25
	v_fmaak_f32 v28, s5, v27, 0x3ecc95a3
	v_mul_f32_e32 v29, v25, v27
	v_cmp_neq_f32_e64 s5, 0x7f800000, v24
	v_fmaak_f32 v27, v27, v28, 0x3f2aaada
	v_ldexp_f32 v28, v25, 1
	v_sub_f32_e32 v25, v25, v26
	v_mul_f32_e32 v27, v29, v27
	v_mul_f32_e32 v29, 0x3f317218, v22
	v_sub_f32_e32 v23, v23, v25
	v_add_f32_e32 v26, v28, v27
	v_ldexp_f32 v23, v23, 1
	v_sub_f32_e32 v25, v26, v28
	v_fma_f32 v28, 0x3f317218, v22, -v29
	v_sub_f32_e32 v25, v27, v25
	v_fmamk_f32 v22, v22, 0xb102e308, v28
	v_add_f32_e32 v23, v23, v25
	v_add_f32_e32 v25, v29, v22
	;; [unrolled: 1-line block ×3, first 2 shown]
	v_sub_f32_e32 v29, v25, v29
	v_add_f32_e32 v28, v25, v27
	v_sub_f32_e32 v26, v27, v26
	v_sub_f32_e32 v22, v22, v29
	;; [unrolled: 1-line block ×6, first 2 shown]
	v_add_f32_e32 v27, v22, v23
	v_sub_f32_e32 v25, v25, v31
	v_add_f32_e32 v25, v26, v25
	v_sub_f32_e32 v26, v27, v22
	;; [unrolled: 2-line block ×3, first 2 shown]
	v_sub_f32_e32 v23, v23, v26
	v_add_f32_e32 v29, v28, v25
	v_sub_f32_e32 v22, v22, v27
	v_sub_f32_e32 v26, v29, v28
	v_add_f32_e32 v22, v23, v22
	v_sub_f32_e32 v23, v25, v26
	v_add_f32_e32 v22, v22, v23
	v_add_f32_e32 v22, v29, v22
	v_cndmask_b32_e64 v22, 0x7f800000, v22, s5
	v_cmp_gt_f32_e64 s5, 0x33800000, |v24|
	v_cndmask_b32_e64 v22, v22, v24, s5
	v_add_f32_e32 v21, v21, v22
	v_cvt_f16_f32_e32 v24, v21
.LBB433_64:
	s_or_b32 exec_lo, exec_lo, s29
	v_and_b32_e32 v23, 0xffff, v24
	v_mov_b32_e32 v22, v24
.LBB433_65:
	s_or_b32 exec_lo, exec_lo, s28
	ds_swizzle_b32 v23, v23 offset:swizzle(BROADCAST,32,15)
	v_and_b32_e32 v21, 16, v20
	s_mov_b32 s28, exec_lo
	v_cmpx_ne_u32_e32 0, v21
	s_cbranch_execz .LBB433_69
; %bb.66:
	s_waitcnt lgkmcnt(0)
	v_cvt_f32_f16_e32 v21, v23
	v_cvt_f32_f16_e32 v24, v22
	v_cmp_u_f16_e64 s5, v23, v23
	v_min_f32_e32 v25, v21, v24
	v_max_f32_e32 v26, v21, v24
	v_cndmask_b32_e64 v25, v25, v21, s5
	v_cndmask_b32_e64 v21, v26, v21, s5
	v_cmp_u_f16_e64 s5, v22, v22
	v_cndmask_b32_e64 v22, v25, v24, s5
	v_cndmask_b32_e64 v21, v21, v24, s5
	v_cmp_class_f32_e64 s29, v22, 0x1f8
	v_cmp_neq_f32_e64 s5, v22, v21
	s_or_b32 s5, s5, s29
	s_and_saveexec_b32 s29, s5
	s_cbranch_execz .LBB433_68
; %bb.67:
	v_sub_f32_e32 v22, v22, v21
	v_mul_f32_e32 v23, 0x3fb8aa3b, v22
	v_cmp_ngt_f32_e64 s5, 0xc2ce8ed0, v22
	v_fma_f32 v24, 0x3fb8aa3b, v22, -v23
	v_rndne_f32_e32 v25, v23
	v_fmamk_f32 v24, v22, 0x32a5705f, v24
	v_sub_f32_e32 v23, v23, v25
	v_add_f32_e32 v23, v23, v24
	v_cvt_i32_f32_e32 v24, v25
	v_exp_f32_e32 v23, v23
	v_ldexp_f32 v23, v23, v24
	v_cndmask_b32_e64 v23, 0, v23, s5
	v_cmp_nlt_f32_e64 s5, 0x42b17218, v22
	v_cndmask_b32_e64 v24, 0x7f800000, v23, s5
	v_add_f32_e32 v25, 1.0, v24
	v_cvt_f64_f32_e32 v[22:23], v25
	v_frexp_exp_i32_f64_e32 v22, v[22:23]
	v_frexp_mant_f32_e32 v23, v25
	v_cmp_gt_f32_e64 s5, 0x3f2aaaab, v23
	v_add_f32_e32 v23, -1.0, v25
	v_sub_f32_e32 v27, v23, v25
	v_sub_f32_e32 v23, v24, v23
	v_add_f32_e32 v27, 1.0, v27
	v_add_f32_e32 v23, v23, v27
	v_subrev_co_ci_u32_e64 v22, null, 0, v22, s5
	s_mov_b32 s5, 0x3e9b6dac
	v_sub_nc_u32_e32 v26, 0, v22
	v_cvt_f32_i32_e32 v22, v22
	v_ldexp_f32 v25, v25, v26
	v_ldexp_f32 v23, v23, v26
	v_add_f32_e32 v28, 1.0, v25
	v_add_f32_e32 v26, -1.0, v25
	v_add_f32_e32 v27, -1.0, v28
	v_add_f32_e32 v29, 1.0, v26
	v_sub_f32_e32 v27, v25, v27
	v_sub_f32_e32 v25, v25, v29
	v_add_f32_e32 v27, v23, v27
	v_add_f32_e32 v23, v23, v25
	;; [unrolled: 1-line block ×4, first 2 shown]
	v_rcp_f32_e32 v25, v29
	v_sub_f32_e32 v28, v28, v29
	v_sub_f32_e32 v26, v26, v30
	v_add_f32_e32 v27, v27, v28
	v_add_f32_e32 v23, v23, v26
	v_mul_f32_e32 v31, v30, v25
	v_mul_f32_e32 v32, v29, v31
	v_fma_f32 v28, v31, v29, -v32
	v_fmac_f32_e32 v28, v31, v27
	v_add_f32_e32 v33, v32, v28
	v_sub_f32_e32 v34, v30, v33
	v_sub_f32_e32 v26, v33, v32
	;; [unrolled: 1-line block ×5, first 2 shown]
	v_add_f32_e32 v23, v23, v30
	v_add_f32_e32 v23, v26, v23
	;; [unrolled: 1-line block ×3, first 2 shown]
	v_mul_f32_e32 v28, v25, v26
	v_sub_f32_e32 v33, v34, v26
	v_mul_f32_e32 v30, v29, v28
	v_add_f32_e32 v23, v23, v33
	v_fma_f32 v29, v28, v29, -v30
	v_fmac_f32_e32 v29, v28, v27
	v_add_f32_e32 v27, v30, v29
	v_sub_f32_e32 v32, v26, v27
	v_sub_f32_e32 v30, v27, v30
	;; [unrolled: 1-line block ×5, first 2 shown]
	v_add_f32_e32 v23, v23, v26
	v_add_f32_e32 v26, v31, v28
	;; [unrolled: 1-line block ×3, first 2 shown]
	v_sub_f32_e32 v27, v26, v31
	v_add_f32_e32 v23, v32, v23
	v_sub_f32_e32 v27, v28, v27
	v_mul_f32_e32 v23, v25, v23
	v_add_f32_e32 v23, v27, v23
	v_add_f32_e32 v25, v26, v23
	v_mul_f32_e32 v27, v25, v25
	v_fmaak_f32 v28, s5, v27, 0x3ecc95a3
	v_mul_f32_e32 v29, v25, v27
	v_cmp_neq_f32_e64 s5, 0x7f800000, v24
	v_fmaak_f32 v27, v27, v28, 0x3f2aaada
	v_ldexp_f32 v28, v25, 1
	v_sub_f32_e32 v25, v25, v26
	v_mul_f32_e32 v27, v29, v27
	v_mul_f32_e32 v29, 0x3f317218, v22
	v_sub_f32_e32 v23, v23, v25
	v_add_f32_e32 v26, v28, v27
	v_ldexp_f32 v23, v23, 1
	v_sub_f32_e32 v25, v26, v28
	v_fma_f32 v28, 0x3f317218, v22, -v29
	v_sub_f32_e32 v25, v27, v25
	v_fmamk_f32 v22, v22, 0xb102e308, v28
	v_add_f32_e32 v23, v23, v25
	v_add_f32_e32 v25, v29, v22
	;; [unrolled: 1-line block ×3, first 2 shown]
	v_sub_f32_e32 v29, v25, v29
	v_add_f32_e32 v28, v25, v27
	v_sub_f32_e32 v26, v27, v26
	v_sub_f32_e32 v22, v22, v29
	;; [unrolled: 1-line block ×6, first 2 shown]
	v_add_f32_e32 v27, v22, v23
	v_sub_f32_e32 v25, v25, v31
	v_add_f32_e32 v25, v26, v25
	v_sub_f32_e32 v26, v27, v22
	;; [unrolled: 2-line block ×3, first 2 shown]
	v_sub_f32_e32 v23, v23, v26
	v_add_f32_e32 v29, v28, v25
	v_sub_f32_e32 v22, v22, v27
	v_sub_f32_e32 v26, v29, v28
	v_add_f32_e32 v22, v23, v22
	v_sub_f32_e32 v23, v25, v26
	v_add_f32_e32 v22, v22, v23
	v_add_f32_e32 v22, v29, v22
	v_cndmask_b32_e64 v22, 0x7f800000, v22, s5
	v_cmp_gt_f32_e64 s5, 0x33800000, |v24|
	v_cndmask_b32_e64 v22, v22, v24, s5
	v_add_f32_e32 v21, v21, v22
	v_cvt_f16_f32_e32 v23, v21
.LBB433_68:
	s_or_b32 exec_lo, exec_lo, s29
	v_mov_b32_e32 v22, v23
.LBB433_69:
	s_or_b32 exec_lo, exec_lo, s28
	v_add_nc_u32_e32 v21, -1, v20
	v_cmp_gt_i32_e64 s5, 0, v21
	v_cndmask_b32_e64 v20, v21, v20, s5
	v_and_b32_e32 v21, 0xffff, v22
	v_lshlrev_b32_e32 v20, 2, v20
	ds_bpermute_b32 v20, v20, v21
	v_max_f32_e32 v21, v19, v19
	s_waitcnt lgkmcnt(0)
	v_cvt_f32_f16_e32 v22, v20
	v_cmp_u_f16_e64 s5, v20, v20
	v_min_f32_e32 v23, v22, v21
	v_max_f32_e32 v21, v22, v21
	v_cndmask_b32_e64 v23, v23, v22, s5
	v_cndmask_b32_e64 v22, v21, v22, s5
	;; [unrolled: 1-line block ×4, first 2 shown]
	v_cmp_class_f32_e64 s5, v21, 0x1f8
	v_cmp_neq_f32_e64 s4, v21, v19
	s_or_b32 s4, s4, s5
	s_and_saveexec_b32 s5, s4
	s_cbranch_execz .LBB433_71
; %bb.70:
	v_sub_f32_e32 v20, v21, v19
	v_mul_f32_e32 v21, 0x3fb8aa3b, v20
	v_cmp_ngt_f32_e64 s4, 0xc2ce8ed0, v20
	v_fma_f32 v22, 0x3fb8aa3b, v20, -v21
	v_rndne_f32_e32 v23, v21
	v_fmamk_f32 v22, v20, 0x32a5705f, v22
	v_sub_f32_e32 v21, v21, v23
	v_add_f32_e32 v21, v21, v22
	v_cvt_i32_f32_e32 v22, v23
	v_exp_f32_e32 v21, v21
	v_ldexp_f32 v21, v21, v22
	v_cndmask_b32_e64 v21, 0, v21, s4
	v_cmp_nlt_f32_e64 s4, 0x42b17218, v20
	v_cndmask_b32_e64 v22, 0x7f800000, v21, s4
	v_add_f32_e32 v23, 1.0, v22
	v_cvt_f64_f32_e32 v[20:21], v23
	v_frexp_exp_i32_f64_e32 v20, v[20:21]
	v_frexp_mant_f32_e32 v21, v23
	v_cmp_gt_f32_e64 s4, 0x3f2aaaab, v21
	v_add_f32_e32 v21, -1.0, v23
	v_sub_f32_e32 v25, v21, v23
	v_sub_f32_e32 v21, v22, v21
	v_add_f32_e32 v25, 1.0, v25
	v_add_f32_e32 v21, v21, v25
	v_subrev_co_ci_u32_e64 v20, null, 0, v20, s4
	s_mov_b32 s4, 0x3e9b6dac
	v_sub_nc_u32_e32 v24, 0, v20
	v_cvt_f32_i32_e32 v20, v20
	v_ldexp_f32 v23, v23, v24
	v_ldexp_f32 v21, v21, v24
	v_add_f32_e32 v26, 1.0, v23
	v_add_f32_e32 v24, -1.0, v23
	v_add_f32_e32 v25, -1.0, v26
	v_add_f32_e32 v27, 1.0, v24
	v_sub_f32_e32 v25, v23, v25
	v_sub_f32_e32 v23, v23, v27
	v_add_f32_e32 v25, v21, v25
	v_add_f32_e32 v21, v21, v23
	;; [unrolled: 1-line block ×4, first 2 shown]
	v_rcp_f32_e32 v23, v27
	v_sub_f32_e32 v26, v26, v27
	v_sub_f32_e32 v24, v24, v28
	v_add_f32_e32 v25, v25, v26
	v_add_f32_e32 v21, v21, v24
	v_mul_f32_e32 v29, v28, v23
	v_mul_f32_e32 v30, v27, v29
	v_fma_f32 v26, v29, v27, -v30
	v_fmac_f32_e32 v26, v29, v25
	v_add_f32_e32 v31, v30, v26
	v_sub_f32_e32 v32, v28, v31
	v_sub_f32_e32 v24, v31, v30
	;; [unrolled: 1-line block ×5, first 2 shown]
	v_add_f32_e32 v21, v21, v28
	v_add_f32_e32 v21, v24, v21
	;; [unrolled: 1-line block ×3, first 2 shown]
	v_mul_f32_e32 v26, v23, v24
	v_sub_f32_e32 v31, v32, v24
	v_mul_f32_e32 v28, v27, v26
	v_add_f32_e32 v21, v21, v31
	v_fma_f32 v27, v26, v27, -v28
	v_fmac_f32_e32 v27, v26, v25
	v_add_f32_e32 v25, v28, v27
	v_sub_f32_e32 v30, v24, v25
	v_sub_f32_e32 v28, v25, v28
	v_sub_f32_e32 v24, v24, v30
	v_sub_f32_e32 v24, v24, v25
	v_sub_f32_e32 v25, v28, v27
	v_add_f32_e32 v21, v21, v24
	v_add_f32_e32 v24, v29, v26
	;; [unrolled: 1-line block ×3, first 2 shown]
	v_sub_f32_e32 v25, v24, v29
	v_add_f32_e32 v21, v30, v21
	v_sub_f32_e32 v25, v26, v25
	v_mul_f32_e32 v21, v23, v21
	v_add_f32_e32 v21, v25, v21
	v_add_f32_e32 v23, v24, v21
	v_mul_f32_e32 v25, v23, v23
	v_fmaak_f32 v26, s4, v25, 0x3ecc95a3
	v_mul_f32_e32 v27, v23, v25
	v_cmp_neq_f32_e64 s4, 0x7f800000, v22
	v_fmaak_f32 v25, v25, v26, 0x3f2aaada
	v_ldexp_f32 v26, v23, 1
	v_sub_f32_e32 v23, v23, v24
	v_mul_f32_e32 v25, v27, v25
	v_mul_f32_e32 v27, 0x3f317218, v20
	v_sub_f32_e32 v21, v21, v23
	v_add_f32_e32 v24, v26, v25
	v_ldexp_f32 v21, v21, 1
	v_sub_f32_e32 v23, v24, v26
	v_fma_f32 v26, 0x3f317218, v20, -v27
	v_sub_f32_e32 v23, v25, v23
	v_fmamk_f32 v20, v20, 0xb102e308, v26
	v_add_f32_e32 v21, v21, v23
	v_add_f32_e32 v23, v27, v20
	;; [unrolled: 1-line block ×3, first 2 shown]
	v_sub_f32_e32 v27, v23, v27
	v_add_f32_e32 v26, v23, v25
	v_sub_f32_e32 v24, v25, v24
	v_sub_f32_e32 v20, v20, v27
	;; [unrolled: 1-line block ×6, first 2 shown]
	v_add_f32_e32 v25, v20, v21
	v_sub_f32_e32 v23, v23, v29
	v_add_f32_e32 v23, v24, v23
	v_sub_f32_e32 v24, v25, v20
	;; [unrolled: 2-line block ×3, first 2 shown]
	v_sub_f32_e32 v21, v21, v24
	v_add_f32_e32 v27, v26, v23
	v_sub_f32_e32 v20, v20, v25
	v_sub_f32_e32 v24, v27, v26
	v_add_f32_e32 v20, v21, v20
	v_sub_f32_e32 v21, v23, v24
	v_add_f32_e32 v20, v20, v21
	v_add_f32_e32 v20, v27, v20
	v_cndmask_b32_e64 v20, 0x7f800000, v20, s4
	v_cmp_gt_f32_e64 s4, 0x33800000, |v22|
	v_cndmask_b32_e64 v20, v20, v22, s4
	v_add_f32_e32 v19, v19, v20
	v_cvt_f16_f32_e32 v20, v19
.LBB433_71:
	s_or_b32 exec_lo, exec_lo, s5
	v_cmp_eq_u32_e64 s4, 0, v0
	; wave barrier
	v_cndmask_b32_e64 v19, v20, v18, s4
	ds_write_b16 v6, v19
	; wave barrier
	ds_read_u16 v18, v6 offset:2
	v_cvt_f32_f16_e32 v20, v19
	v_cmp_u_f16_e64 s4, v19, v19
	s_waitcnt lgkmcnt(0)
	v_cvt_f32_f16_e32 v21, v18
	v_min_f32_e32 v22, v20, v21
	v_max_f32_e32 v23, v20, v21
	v_cndmask_b32_e64 v22, v22, v20, s4
	v_cndmask_b32_e64 v23, v23, v20, s4
	v_cmp_u_f16_e64 s4, v18, v18
	v_cndmask_b32_e64 v20, v22, v21, s4
	v_cndmask_b32_e64 v18, v23, v21, s4
	v_cmp_class_f32_e64 s5, v20, 0x1f8
	v_cmp_neq_f32_e64 s4, v20, v18
	s_or_b32 s4, s4, s5
	s_and_saveexec_b32 s5, s4
	s_cbranch_execz .LBB433_73
; %bb.72:
	v_sub_f32_e32 v19, v20, v18
	v_mul_f32_e32 v20, 0x3fb8aa3b, v19
	v_cmp_ngt_f32_e64 s4, 0xc2ce8ed0, v19
	v_fma_f32 v21, 0x3fb8aa3b, v19, -v20
	v_rndne_f32_e32 v22, v20
	v_fmamk_f32 v21, v19, 0x32a5705f, v21
	v_sub_f32_e32 v20, v20, v22
	v_add_f32_e32 v20, v20, v21
	v_cvt_i32_f32_e32 v21, v22
	v_exp_f32_e32 v20, v20
	v_ldexp_f32 v20, v20, v21
	v_cndmask_b32_e64 v20, 0, v20, s4
	v_cmp_nlt_f32_e64 s4, 0x42b17218, v19
	v_cndmask_b32_e64 v21, 0x7f800000, v20, s4
	v_add_f32_e32 v22, 1.0, v21
	v_cvt_f64_f32_e32 v[19:20], v22
	v_frexp_exp_i32_f64_e32 v19, v[19:20]
	v_frexp_mant_f32_e32 v20, v22
	v_cmp_gt_f32_e64 s4, 0x3f2aaaab, v20
	v_add_f32_e32 v20, -1.0, v22
	v_sub_f32_e32 v24, v20, v22
	v_sub_f32_e32 v20, v21, v20
	v_add_f32_e32 v24, 1.0, v24
	v_add_f32_e32 v20, v20, v24
	v_subrev_co_ci_u32_e64 v19, null, 0, v19, s4
	s_mov_b32 s4, 0x3e9b6dac
	v_sub_nc_u32_e32 v23, 0, v19
	v_cvt_f32_i32_e32 v19, v19
	v_ldexp_f32 v22, v22, v23
	v_ldexp_f32 v20, v20, v23
	v_add_f32_e32 v25, 1.0, v22
	v_add_f32_e32 v23, -1.0, v22
	v_add_f32_e32 v24, -1.0, v25
	v_add_f32_e32 v26, 1.0, v23
	v_sub_f32_e32 v24, v22, v24
	v_sub_f32_e32 v22, v22, v26
	v_add_f32_e32 v24, v20, v24
	v_add_f32_e32 v20, v20, v22
	;; [unrolled: 1-line block ×4, first 2 shown]
	v_rcp_f32_e32 v22, v26
	v_sub_f32_e32 v25, v25, v26
	v_sub_f32_e32 v23, v23, v27
	v_add_f32_e32 v24, v24, v25
	v_add_f32_e32 v20, v20, v23
	v_mul_f32_e32 v28, v27, v22
	v_mul_f32_e32 v29, v26, v28
	v_fma_f32 v25, v28, v26, -v29
	v_fmac_f32_e32 v25, v28, v24
	v_add_f32_e32 v30, v29, v25
	v_sub_f32_e32 v31, v27, v30
	v_sub_f32_e32 v23, v30, v29
	;; [unrolled: 1-line block ×5, first 2 shown]
	v_add_f32_e32 v20, v20, v27
	v_add_f32_e32 v20, v23, v20
	;; [unrolled: 1-line block ×3, first 2 shown]
	v_mul_f32_e32 v25, v22, v23
	v_sub_f32_e32 v30, v31, v23
	v_mul_f32_e32 v27, v26, v25
	v_add_f32_e32 v20, v20, v30
	v_fma_f32 v26, v25, v26, -v27
	v_fmac_f32_e32 v26, v25, v24
	v_add_f32_e32 v24, v27, v26
	v_sub_f32_e32 v29, v23, v24
	v_sub_f32_e32 v27, v24, v27
	v_sub_f32_e32 v23, v23, v29
	v_sub_f32_e32 v23, v23, v24
	v_sub_f32_e32 v24, v27, v26
	v_add_f32_e32 v20, v20, v23
	v_add_f32_e32 v23, v28, v25
	;; [unrolled: 1-line block ×3, first 2 shown]
	v_sub_f32_e32 v24, v23, v28
	v_add_f32_e32 v20, v29, v20
	v_sub_f32_e32 v24, v25, v24
	v_mul_f32_e32 v20, v22, v20
	v_add_f32_e32 v20, v24, v20
	v_add_f32_e32 v22, v23, v20
	v_mul_f32_e32 v24, v22, v22
	v_fmaak_f32 v25, s4, v24, 0x3ecc95a3
	v_mul_f32_e32 v26, v22, v24
	v_cmp_neq_f32_e64 s4, 0x7f800000, v21
	v_fmaak_f32 v24, v24, v25, 0x3f2aaada
	v_ldexp_f32 v25, v22, 1
	v_sub_f32_e32 v22, v22, v23
	v_mul_f32_e32 v24, v26, v24
	v_mul_f32_e32 v26, 0x3f317218, v19
	v_sub_f32_e32 v20, v20, v22
	v_add_f32_e32 v23, v25, v24
	v_ldexp_f32 v20, v20, 1
	v_sub_f32_e32 v22, v23, v25
	v_fma_f32 v25, 0x3f317218, v19, -v26
	v_sub_f32_e32 v22, v24, v22
	v_fmamk_f32 v19, v19, 0xb102e308, v25
	v_add_f32_e32 v20, v20, v22
	v_add_f32_e32 v22, v26, v19
	;; [unrolled: 1-line block ×3, first 2 shown]
	v_sub_f32_e32 v26, v22, v26
	v_add_f32_e32 v25, v22, v24
	v_sub_f32_e32 v23, v24, v23
	v_sub_f32_e32 v19, v19, v26
	;; [unrolled: 1-line block ×6, first 2 shown]
	v_add_f32_e32 v24, v19, v20
	v_sub_f32_e32 v22, v22, v28
	v_add_f32_e32 v22, v23, v22
	v_sub_f32_e32 v23, v24, v19
	;; [unrolled: 2-line block ×3, first 2 shown]
	v_sub_f32_e32 v20, v20, v23
	v_add_f32_e32 v26, v25, v22
	v_sub_f32_e32 v19, v19, v24
	v_sub_f32_e32 v23, v26, v25
	v_add_f32_e32 v19, v20, v19
	v_sub_f32_e32 v20, v22, v23
	v_add_f32_e32 v19, v19, v20
	v_add_f32_e32 v19, v26, v19
	v_cndmask_b32_e64 v19, 0x7f800000, v19, s4
	v_cmp_gt_f32_e64 s4, 0x33800000, |v21|
	v_cndmask_b32_e64 v19, v19, v21, s4
	v_add_f32_e32 v18, v18, v19
	v_cvt_f16_f32_e32 v19, v18
.LBB433_73:
	s_or_b32 exec_lo, exec_lo, s5
	ds_write_b16 v6, v19 offset:2
.LBB433_74:
	s_or_b32 exec_lo, exec_lo, s25
	v_mul_u32_u24_e32 v6, 22, v0
	v_mov_b32_e32 v18, v1
	s_mov_b32 s5, exec_lo
	s_waitcnt lgkmcnt(0)
	s_barrier
	buffer_gl0_inv
	v_cmpx_ne_u32_e32 0, v0
	s_cbranch_execz .LBB433_78
; %bb.75:
	v_add_nc_u32_e32 v1, -1, v0
	v_lshrrev_b32_e32 v16, 4, v1
	v_and_b32_e32 v16, 0xffffffe, v16
	v_lshl_add_u32 v1, v1, 1, v16
	v_max_f32_e32 v16, v8, v8
	ds_read_u16 v1, v1
	s_waitcnt lgkmcnt(0)
	v_cvt_f32_f16_e32 v19, v1
	v_cmp_u_f16_e64 s4, v1, v1
	v_min_f32_e32 v17, v19, v16
	v_max_f32_e32 v16, v19, v16
	v_cndmask_b32_e64 v17, v17, v19, s4
	v_cndmask_b32_e64 v18, v16, v19, s4
	;; [unrolled: 1-line block ×4, first 2 shown]
	v_cmp_class_f32_e64 s24, v16, 0x1f8
	v_cmp_neq_f32_e64 s4, v16, v8
	s_or_b32 s4, s4, s24
	s_and_saveexec_b32 s24, s4
	s_cbranch_execz .LBB433_77
; %bb.76:
	v_sub_f32_e32 v1, v16, v8
	v_mul_f32_e32 v16, 0x3fb8aa3b, v1
	v_cmp_ngt_f32_e64 s4, 0xc2ce8ed0, v1
	v_fma_f32 v17, 0x3fb8aa3b, v1, -v16
	v_rndne_f32_e32 v18, v16
	v_fmamk_f32 v17, v1, 0x32a5705f, v17
	v_sub_f32_e32 v16, v16, v18
	v_add_f32_e32 v16, v16, v17
	v_cvt_i32_f32_e32 v17, v18
	v_exp_f32_e32 v16, v16
	v_ldexp_f32 v16, v16, v17
	v_cndmask_b32_e64 v16, 0, v16, s4
	v_cmp_nlt_f32_e64 s4, 0x42b17218, v1
	v_cndmask_b32_e64 v1, 0x7f800000, v16, s4
	v_add_f32_e32 v18, 1.0, v1
	v_cvt_f64_f32_e32 v[16:17], v18
	v_frexp_exp_i32_f64_e32 v16, v[16:17]
	v_frexp_mant_f32_e32 v17, v18
	v_cmp_gt_f32_e64 s4, 0x3f2aaaab, v17
	v_add_f32_e32 v17, -1.0, v18
	v_sub_f32_e32 v20, v17, v18
	v_sub_f32_e32 v17, v1, v17
	v_add_f32_e32 v20, 1.0, v20
	v_add_f32_e32 v17, v17, v20
	v_subrev_co_ci_u32_e64 v16, null, 0, v16, s4
	s_mov_b32 s4, 0x3e9b6dac
	v_sub_nc_u32_e32 v19, 0, v16
	v_cvt_f32_i32_e32 v16, v16
	v_ldexp_f32 v18, v18, v19
	v_ldexp_f32 v17, v17, v19
	v_add_f32_e32 v21, 1.0, v18
	v_add_f32_e32 v19, -1.0, v18
	v_add_f32_e32 v20, -1.0, v21
	v_add_f32_e32 v22, 1.0, v19
	v_sub_f32_e32 v20, v18, v20
	v_sub_f32_e32 v18, v18, v22
	v_add_f32_e32 v20, v17, v20
	v_add_f32_e32 v17, v17, v18
	;; [unrolled: 1-line block ×4, first 2 shown]
	v_rcp_f32_e32 v18, v22
	v_sub_f32_e32 v21, v21, v22
	v_sub_f32_e32 v19, v19, v23
	v_add_f32_e32 v20, v20, v21
	v_add_f32_e32 v17, v17, v19
	v_mul_f32_e32 v24, v23, v18
	v_mul_f32_e32 v25, v22, v24
	v_fma_f32 v21, v24, v22, -v25
	v_fmac_f32_e32 v21, v24, v20
	v_add_f32_e32 v26, v25, v21
	v_sub_f32_e32 v27, v23, v26
	v_sub_f32_e32 v19, v26, v25
	;; [unrolled: 1-line block ×5, first 2 shown]
	v_add_f32_e32 v17, v17, v23
	v_add_f32_e32 v17, v19, v17
	;; [unrolled: 1-line block ×3, first 2 shown]
	v_mul_f32_e32 v21, v18, v19
	v_sub_f32_e32 v26, v27, v19
	v_mul_f32_e32 v23, v22, v21
	v_add_f32_e32 v17, v17, v26
	v_fma_f32 v22, v21, v22, -v23
	v_fmac_f32_e32 v22, v21, v20
	v_add_f32_e32 v20, v23, v22
	v_sub_f32_e32 v25, v19, v20
	v_sub_f32_e32 v23, v20, v23
	;; [unrolled: 1-line block ×5, first 2 shown]
	v_add_f32_e32 v17, v17, v19
	v_add_f32_e32 v19, v24, v21
	;; [unrolled: 1-line block ×3, first 2 shown]
	v_sub_f32_e32 v20, v19, v24
	v_add_f32_e32 v17, v25, v17
	v_sub_f32_e32 v20, v21, v20
	v_mul_f32_e32 v17, v18, v17
	v_add_f32_e32 v17, v20, v17
	v_add_f32_e32 v18, v19, v17
	v_mul_f32_e32 v20, v18, v18
	v_fmaak_f32 v21, s4, v20, 0x3ecc95a3
	v_mul_f32_e32 v22, v18, v20
	v_cmp_neq_f32_e64 s4, 0x7f800000, v1
	v_fmaak_f32 v20, v20, v21, 0x3f2aaada
	v_ldexp_f32 v21, v18, 1
	v_sub_f32_e32 v18, v18, v19
	v_mul_f32_e32 v20, v22, v20
	v_mul_f32_e32 v22, 0x3f317218, v16
	v_sub_f32_e32 v17, v17, v18
	v_add_f32_e32 v19, v21, v20
	v_ldexp_f32 v17, v17, 1
	v_sub_f32_e32 v18, v19, v21
	v_fma_f32 v21, 0x3f317218, v16, -v22
	v_sub_f32_e32 v18, v20, v18
	v_fmamk_f32 v16, v16, 0xb102e308, v21
	v_add_f32_e32 v17, v17, v18
	v_add_f32_e32 v18, v22, v16
	;; [unrolled: 1-line block ×3, first 2 shown]
	v_sub_f32_e32 v22, v18, v22
	v_add_f32_e32 v21, v18, v20
	v_sub_f32_e32 v19, v20, v19
	v_sub_f32_e32 v16, v16, v22
	;; [unrolled: 1-line block ×6, first 2 shown]
	v_add_f32_e32 v20, v16, v17
	v_sub_f32_e32 v18, v18, v24
	v_add_f32_e32 v18, v19, v18
	v_sub_f32_e32 v19, v20, v16
	;; [unrolled: 2-line block ×3, first 2 shown]
	v_sub_f32_e32 v17, v17, v19
	v_add_f32_e32 v22, v21, v18
	v_sub_f32_e32 v16, v16, v20
	v_sub_f32_e32 v19, v22, v21
	v_add_f32_e32 v16, v17, v16
	v_sub_f32_e32 v17, v18, v19
	v_add_f32_e32 v16, v16, v17
	v_add_f32_e32 v16, v22, v16
	v_cndmask_b32_e64 v16, 0x7f800000, v16, s4
	v_cmp_gt_f32_e64 s4, 0x33800000, |v1|
	v_cndmask_b32_e64 v1, v16, v1, s4
	v_add_f32_e32 v1, v8, v1
	v_cvt_f16_f32_e32 v1, v1
	v_cvt_f32_f16_e32 v19, v1
.LBB433_77:
	s_or_b32 exec_lo, exec_lo, s24
	v_max_f32_e32 v8, v9, v9
	v_max_f32_e32 v17, v19, v19
	v_mov_b32_e32 v18, v1
	;;#ASMSTART
	;;#ASMEND
	v_min_f32_e32 v16, v17, v8
	v_max_f32_e32 v17, v17, v8
	v_mov_b32_e32 v8, v19
.LBB433_78:
	s_or_b32 exec_lo, exec_lo, s5
	v_cmp_u_f16_e64 s4, v18, v18
	v_cndmask_b32_e64 v16, v16, v8, s4
	v_cndmask_b32_e64 v19, v17, v8, s4
	;; [unrolled: 1-line block ×4, first 2 shown]
	v_mov_b32_e32 v9, v1
	v_cmp_class_f32_e64 s5, v17, 0x1f8
	v_cmp_neq_f32_e64 s4, v17, v16
	s_or_b32 s4, s4, s5
	s_and_saveexec_b32 s5, s4
	s_cbranch_execz .LBB433_80
; %bb.79:
	v_sub_f32_e32 v8, v17, v16
	v_mul_f32_e32 v9, 0x3fb8aa3b, v8
	v_cmp_ngt_f32_e64 s4, 0xc2ce8ed0, v8
	v_fma_f32 v17, 0x3fb8aa3b, v8, -v9
	v_rndne_f32_e32 v18, v9
	v_fmamk_f32 v17, v8, 0x32a5705f, v17
	v_sub_f32_e32 v9, v9, v18
	v_add_f32_e32 v9, v9, v17
	v_cvt_i32_f32_e32 v17, v18
	v_exp_f32_e32 v9, v9
	v_ldexp_f32 v9, v9, v17
	v_cndmask_b32_e64 v9, 0, v9, s4
	v_cmp_nlt_f32_e64 s4, 0x42b17218, v8
	v_cndmask_b32_e64 v17, 0x7f800000, v9, s4
	v_add_f32_e32 v18, 1.0, v17
	v_cvt_f64_f32_e32 v[8:9], v18
	v_frexp_exp_i32_f64_e32 v8, v[8:9]
	v_frexp_mant_f32_e32 v9, v18
	v_cmp_gt_f32_e64 s4, 0x3f2aaaab, v9
	v_add_f32_e32 v9, -1.0, v18
	v_sub_f32_e32 v20, v9, v18
	v_sub_f32_e32 v9, v17, v9
	v_add_f32_e32 v20, 1.0, v20
	v_add_f32_e32 v9, v9, v20
	v_subrev_co_ci_u32_e64 v8, null, 0, v8, s4
	s_mov_b32 s4, 0x3e9b6dac
	v_sub_nc_u32_e32 v19, 0, v8
	v_cvt_f32_i32_e32 v8, v8
	v_ldexp_f32 v18, v18, v19
	v_ldexp_f32 v9, v9, v19
	v_add_f32_e32 v21, 1.0, v18
	v_add_f32_e32 v19, -1.0, v18
	v_add_f32_e32 v20, -1.0, v21
	v_add_f32_e32 v22, 1.0, v19
	v_sub_f32_e32 v20, v18, v20
	v_sub_f32_e32 v18, v18, v22
	v_add_f32_e32 v20, v9, v20
	v_add_f32_e32 v9, v9, v18
	;; [unrolled: 1-line block ×4, first 2 shown]
	v_rcp_f32_e32 v18, v22
	v_sub_f32_e32 v21, v21, v22
	v_sub_f32_e32 v19, v19, v23
	v_add_f32_e32 v20, v20, v21
	v_add_f32_e32 v9, v9, v19
	v_mul_f32_e32 v24, v23, v18
	v_mul_f32_e32 v25, v22, v24
	v_fma_f32 v21, v24, v22, -v25
	v_fmac_f32_e32 v21, v24, v20
	v_add_f32_e32 v26, v25, v21
	v_sub_f32_e32 v27, v23, v26
	v_sub_f32_e32 v19, v26, v25
	;; [unrolled: 1-line block ×5, first 2 shown]
	v_add_f32_e32 v9, v9, v23
	v_add_f32_e32 v9, v19, v9
	;; [unrolled: 1-line block ×3, first 2 shown]
	v_mul_f32_e32 v21, v18, v19
	v_sub_f32_e32 v26, v27, v19
	v_mul_f32_e32 v23, v22, v21
	v_add_f32_e32 v9, v9, v26
	v_fma_f32 v22, v21, v22, -v23
	v_fmac_f32_e32 v22, v21, v20
	v_add_f32_e32 v20, v23, v22
	v_sub_f32_e32 v25, v19, v20
	v_sub_f32_e32 v23, v20, v23
	v_sub_f32_e32 v19, v19, v25
	v_sub_f32_e32 v19, v19, v20
	v_sub_f32_e32 v20, v23, v22
	v_add_f32_e32 v9, v9, v19
	v_add_f32_e32 v19, v24, v21
	;; [unrolled: 1-line block ×3, first 2 shown]
	v_sub_f32_e32 v20, v19, v24
	v_add_f32_e32 v9, v25, v9
	v_sub_f32_e32 v20, v21, v20
	v_mul_f32_e32 v9, v18, v9
	v_add_f32_e32 v9, v20, v9
	v_add_f32_e32 v18, v19, v9
	v_mul_f32_e32 v20, v18, v18
	v_fmaak_f32 v21, s4, v20, 0x3ecc95a3
	v_mul_f32_e32 v22, v18, v20
	v_cmp_neq_f32_e64 s4, 0x7f800000, v17
	v_fmaak_f32 v20, v20, v21, 0x3f2aaada
	v_ldexp_f32 v21, v18, 1
	v_sub_f32_e32 v18, v18, v19
	v_mul_f32_e32 v20, v22, v20
	v_mul_f32_e32 v22, 0x3f317218, v8
	v_sub_f32_e32 v9, v9, v18
	v_add_f32_e32 v19, v21, v20
	v_ldexp_f32 v9, v9, 1
	v_sub_f32_e32 v18, v19, v21
	v_fma_f32 v21, 0x3f317218, v8, -v22
	v_sub_f32_e32 v18, v20, v18
	v_fmamk_f32 v8, v8, 0xb102e308, v21
	v_add_f32_e32 v9, v9, v18
	v_add_f32_e32 v18, v22, v8
	;; [unrolled: 1-line block ×3, first 2 shown]
	v_sub_f32_e32 v22, v18, v22
	v_add_f32_e32 v21, v18, v20
	v_sub_f32_e32 v19, v20, v19
	v_sub_f32_e32 v8, v8, v22
	;; [unrolled: 1-line block ×6, first 2 shown]
	v_add_f32_e32 v20, v8, v9
	v_sub_f32_e32 v18, v18, v24
	v_add_f32_e32 v18, v19, v18
	v_sub_f32_e32 v19, v20, v8
	;; [unrolled: 2-line block ×3, first 2 shown]
	v_sub_f32_e32 v9, v9, v19
	v_add_f32_e32 v22, v21, v18
	v_sub_f32_e32 v8, v8, v20
	v_sub_f32_e32 v19, v22, v21
	v_add_f32_e32 v8, v9, v8
	v_sub_f32_e32 v9, v18, v19
	v_add_f32_e32 v8, v8, v9
	v_add_f32_e32 v8, v22, v8
	v_cndmask_b32_e64 v8, 0x7f800000, v8, s4
	v_cmp_gt_f32_e64 s4, 0x33800000, |v17|
	v_cndmask_b32_e64 v8, v8, v17, s4
	v_add_f32_e32 v8, v16, v8
	v_cvt_f16_f32_e32 v18, v8
	v_cvt_f32_f16_e32 v8, v18
	v_mov_b32_e32 v9, v18
.LBB433_80:
	s_or_b32 exec_lo, exec_lo, s5
	v_max_f32_e32 v16, v10, v10
	v_max_f32_e32 v17, v8, v8
	v_cmp_u_f16_e64 s4, v18, v18
	v_min_f32_e32 v19, v17, v16
	v_max_f32_e32 v16, v17, v16
	v_cndmask_b32_e64 v17, v19, v8, s4
	v_cndmask_b32_e64 v16, v16, v8, s4
	v_cndmask_b32_e64 v17, v17, v10, s14
	v_cndmask_b32_e64 v16, v16, v10, s14
	v_mov_b32_e32 v10, v9
	v_cmp_class_f32_e64 s5, v17, 0x1f8
	v_cmp_neq_f32_e64 s4, v17, v16
	s_or_b32 s4, s4, s5
	s_and_saveexec_b32 s5, s4
	s_cbranch_execz .LBB433_82
; %bb.81:
	v_sub_f32_e32 v8, v17, v16
	v_mul_f32_e32 v10, 0x3fb8aa3b, v8
	v_cmp_ngt_f32_e64 s4, 0xc2ce8ed0, v8
	v_fma_f32 v17, 0x3fb8aa3b, v8, -v10
	v_rndne_f32_e32 v18, v10
	v_fmamk_f32 v17, v8, 0x32a5705f, v17
	v_sub_f32_e32 v10, v10, v18
	v_add_f32_e32 v10, v10, v17
	v_cvt_i32_f32_e32 v17, v18
	v_exp_f32_e32 v10, v10
	v_ldexp_f32 v10, v10, v17
	v_cndmask_b32_e64 v10, 0, v10, s4
	v_cmp_nlt_f32_e64 s4, 0x42b17218, v8
	v_cndmask_b32_e64 v8, 0x7f800000, v10, s4
	v_add_f32_e32 v10, 1.0, v8
	v_cvt_f64_f32_e32 v[17:18], v10
	v_frexp_exp_i32_f64_e32 v17, v[17:18]
	v_frexp_mant_f32_e32 v18, v10
	v_cmp_gt_f32_e64 s4, 0x3f2aaaab, v18
	v_add_f32_e32 v18, -1.0, v10
	v_sub_f32_e32 v20, v18, v10
	v_sub_f32_e32 v18, v8, v18
	v_add_f32_e32 v20, 1.0, v20
	v_add_f32_e32 v18, v18, v20
	v_subrev_co_ci_u32_e64 v17, null, 0, v17, s4
	s_mov_b32 s4, 0x3e9b6dac
	v_sub_nc_u32_e32 v19, 0, v17
	v_cvt_f32_i32_e32 v17, v17
	v_ldexp_f32 v10, v10, v19
	v_ldexp_f32 v18, v18, v19
	v_add_f32_e32 v21, 1.0, v10
	v_add_f32_e32 v19, -1.0, v10
	v_add_f32_e32 v20, -1.0, v21
	v_add_f32_e32 v22, 1.0, v19
	v_sub_f32_e32 v20, v10, v20
	v_sub_f32_e32 v10, v10, v22
	v_add_f32_e32 v20, v18, v20
	v_add_f32_e32 v10, v18, v10
	v_add_f32_e32 v22, v21, v20
	v_add_f32_e32 v23, v19, v10
	v_rcp_f32_e32 v18, v22
	v_sub_f32_e32 v21, v21, v22
	v_sub_f32_e32 v19, v19, v23
	v_add_f32_e32 v20, v20, v21
	v_add_f32_e32 v10, v10, v19
	v_mul_f32_e32 v24, v23, v18
	v_mul_f32_e32 v25, v22, v24
	v_fma_f32 v21, v24, v22, -v25
	v_fmac_f32_e32 v21, v24, v20
	v_add_f32_e32 v26, v25, v21
	v_sub_f32_e32 v27, v23, v26
	v_sub_f32_e32 v19, v26, v25
	;; [unrolled: 1-line block ×5, first 2 shown]
	v_add_f32_e32 v10, v10, v23
	v_add_f32_e32 v10, v19, v10
	;; [unrolled: 1-line block ×3, first 2 shown]
	v_mul_f32_e32 v21, v18, v19
	v_sub_f32_e32 v26, v27, v19
	v_mul_f32_e32 v23, v22, v21
	v_add_f32_e32 v10, v10, v26
	v_fma_f32 v22, v21, v22, -v23
	v_fmac_f32_e32 v22, v21, v20
	v_add_f32_e32 v20, v23, v22
	v_sub_f32_e32 v25, v19, v20
	v_sub_f32_e32 v23, v20, v23
	v_sub_f32_e32 v19, v19, v25
	v_sub_f32_e32 v19, v19, v20
	v_sub_f32_e32 v20, v23, v22
	v_add_f32_e32 v10, v10, v19
	v_add_f32_e32 v19, v24, v21
	;; [unrolled: 1-line block ×3, first 2 shown]
	v_sub_f32_e32 v20, v19, v24
	v_add_f32_e32 v10, v25, v10
	v_sub_f32_e32 v20, v21, v20
	v_mul_f32_e32 v10, v18, v10
	v_add_f32_e32 v10, v20, v10
	v_add_f32_e32 v18, v19, v10
	v_mul_f32_e32 v20, v18, v18
	v_fmaak_f32 v21, s4, v20, 0x3ecc95a3
	v_mul_f32_e32 v22, v18, v20
	v_cmp_neq_f32_e64 s4, 0x7f800000, v8
	v_fmaak_f32 v20, v20, v21, 0x3f2aaada
	v_ldexp_f32 v21, v18, 1
	v_sub_f32_e32 v18, v18, v19
	v_mul_f32_e32 v20, v22, v20
	v_mul_f32_e32 v22, 0x3f317218, v17
	v_sub_f32_e32 v10, v10, v18
	v_add_f32_e32 v19, v21, v20
	v_ldexp_f32 v10, v10, 1
	v_sub_f32_e32 v18, v19, v21
	v_fma_f32 v21, 0x3f317218, v17, -v22
	v_sub_f32_e32 v18, v20, v18
	v_fmamk_f32 v17, v17, 0xb102e308, v21
	v_add_f32_e32 v10, v10, v18
	v_add_f32_e32 v18, v22, v17
	;; [unrolled: 1-line block ×3, first 2 shown]
	v_sub_f32_e32 v22, v18, v22
	v_add_f32_e32 v21, v18, v20
	v_sub_f32_e32 v19, v20, v19
	v_sub_f32_e32 v17, v17, v22
	;; [unrolled: 1-line block ×6, first 2 shown]
	v_add_f32_e32 v20, v17, v10
	v_sub_f32_e32 v18, v18, v24
	v_add_f32_e32 v18, v19, v18
	v_sub_f32_e32 v19, v20, v17
	;; [unrolled: 2-line block ×3, first 2 shown]
	v_sub_f32_e32 v10, v10, v19
	v_add_f32_e32 v22, v21, v18
	v_sub_f32_e32 v17, v17, v20
	v_sub_f32_e32 v19, v22, v21
	v_add_f32_e32 v10, v10, v17
	v_sub_f32_e32 v17, v18, v19
	v_add_f32_e32 v10, v10, v17
	v_add_f32_e32 v10, v22, v10
	v_cndmask_b32_e64 v10, 0x7f800000, v10, s4
	v_cmp_gt_f32_e64 s4, 0x33800000, |v8|
	v_cndmask_b32_e64 v8, v10, v8, s4
	v_add_f32_e32 v8, v16, v8
	v_cvt_f16_f32_e32 v18, v8
	v_cvt_f32_f16_e32 v8, v18
	v_mov_b32_e32 v10, v18
.LBB433_82:
	s_or_b32 exec_lo, exec_lo, s5
	v_max_f32_e32 v16, v11, v11
	v_max_f32_e32 v17, v8, v8
	v_cmp_u_f16_e64 s4, v18, v18
	v_min_f32_e32 v19, v17, v16
	v_max_f32_e32 v16, v17, v16
	v_cndmask_b32_e64 v17, v19, v8, s4
	v_cndmask_b32_e64 v16, v16, v8, s4
	v_cndmask_b32_e64 v17, v17, v11, s15
	v_cndmask_b32_e64 v16, v16, v11, s15
	v_mov_b32_e32 v11, v10
	v_cmp_class_f32_e64 s5, v17, 0x1f8
	v_cmp_neq_f32_e64 s4, v17, v16
	s_or_b32 s4, s4, s5
	s_and_saveexec_b32 s5, s4
	s_cbranch_execz .LBB433_84
; %bb.83:
	v_sub_f32_e32 v8, v17, v16
	v_mul_f32_e32 v11, 0x3fb8aa3b, v8
	v_cmp_ngt_f32_e64 s4, 0xc2ce8ed0, v8
	v_fma_f32 v17, 0x3fb8aa3b, v8, -v11
	v_rndne_f32_e32 v18, v11
	v_fmamk_f32 v17, v8, 0x32a5705f, v17
	v_sub_f32_e32 v11, v11, v18
	v_add_f32_e32 v11, v11, v17
	v_cvt_i32_f32_e32 v17, v18
	v_exp_f32_e32 v11, v11
	v_ldexp_f32 v11, v11, v17
	v_cndmask_b32_e64 v11, 0, v11, s4
	v_cmp_nlt_f32_e64 s4, 0x42b17218, v8
	v_cndmask_b32_e64 v8, 0x7f800000, v11, s4
	v_add_f32_e32 v11, 1.0, v8
	v_cvt_f64_f32_e32 v[17:18], v11
	v_frexp_exp_i32_f64_e32 v17, v[17:18]
	v_frexp_mant_f32_e32 v18, v11
	v_cmp_gt_f32_e64 s4, 0x3f2aaaab, v18
	v_add_f32_e32 v18, -1.0, v11
	v_sub_f32_e32 v20, v18, v11
	v_sub_f32_e32 v18, v8, v18
	v_add_f32_e32 v20, 1.0, v20
	v_add_f32_e32 v18, v18, v20
	v_subrev_co_ci_u32_e64 v17, null, 0, v17, s4
	s_mov_b32 s4, 0x3e9b6dac
	v_sub_nc_u32_e32 v19, 0, v17
	v_cvt_f32_i32_e32 v17, v17
	v_ldexp_f32 v11, v11, v19
	v_ldexp_f32 v18, v18, v19
	v_add_f32_e32 v21, 1.0, v11
	v_add_f32_e32 v19, -1.0, v11
	v_add_f32_e32 v20, -1.0, v21
	v_add_f32_e32 v22, 1.0, v19
	v_sub_f32_e32 v20, v11, v20
	v_sub_f32_e32 v11, v11, v22
	v_add_f32_e32 v20, v18, v20
	v_add_f32_e32 v11, v18, v11
	;; [unrolled: 1-line block ×4, first 2 shown]
	v_rcp_f32_e32 v18, v22
	v_sub_f32_e32 v21, v21, v22
	v_sub_f32_e32 v19, v19, v23
	v_add_f32_e32 v20, v20, v21
	v_add_f32_e32 v11, v11, v19
	v_mul_f32_e32 v24, v23, v18
	v_mul_f32_e32 v25, v22, v24
	v_fma_f32 v21, v24, v22, -v25
	v_fmac_f32_e32 v21, v24, v20
	v_add_f32_e32 v26, v25, v21
	v_sub_f32_e32 v27, v23, v26
	v_sub_f32_e32 v19, v26, v25
	v_sub_f32_e32 v23, v23, v27
	v_sub_f32_e32 v19, v19, v21
	v_sub_f32_e32 v23, v23, v26
	v_add_f32_e32 v11, v11, v23
	v_add_f32_e32 v11, v19, v11
	;; [unrolled: 1-line block ×3, first 2 shown]
	v_mul_f32_e32 v21, v18, v19
	v_sub_f32_e32 v26, v27, v19
	v_mul_f32_e32 v23, v22, v21
	v_add_f32_e32 v11, v11, v26
	v_fma_f32 v22, v21, v22, -v23
	v_fmac_f32_e32 v22, v21, v20
	v_add_f32_e32 v20, v23, v22
	v_sub_f32_e32 v25, v19, v20
	v_sub_f32_e32 v23, v20, v23
	;; [unrolled: 1-line block ×5, first 2 shown]
	v_add_f32_e32 v11, v11, v19
	v_add_f32_e32 v19, v24, v21
	;; [unrolled: 1-line block ×3, first 2 shown]
	v_sub_f32_e32 v20, v19, v24
	v_add_f32_e32 v11, v25, v11
	v_sub_f32_e32 v20, v21, v20
	v_mul_f32_e32 v11, v18, v11
	v_add_f32_e32 v11, v20, v11
	v_add_f32_e32 v18, v19, v11
	v_mul_f32_e32 v20, v18, v18
	v_fmaak_f32 v21, s4, v20, 0x3ecc95a3
	v_mul_f32_e32 v22, v18, v20
	v_cmp_neq_f32_e64 s4, 0x7f800000, v8
	v_fmaak_f32 v20, v20, v21, 0x3f2aaada
	v_ldexp_f32 v21, v18, 1
	v_sub_f32_e32 v18, v18, v19
	v_mul_f32_e32 v20, v22, v20
	v_mul_f32_e32 v22, 0x3f317218, v17
	v_sub_f32_e32 v11, v11, v18
	v_add_f32_e32 v19, v21, v20
	v_ldexp_f32 v11, v11, 1
	v_sub_f32_e32 v18, v19, v21
	v_fma_f32 v21, 0x3f317218, v17, -v22
	v_sub_f32_e32 v18, v20, v18
	v_fmamk_f32 v17, v17, 0xb102e308, v21
	v_add_f32_e32 v11, v11, v18
	v_add_f32_e32 v18, v22, v17
	v_add_f32_e32 v20, v19, v11
	v_sub_f32_e32 v22, v18, v22
	v_add_f32_e32 v21, v18, v20
	v_sub_f32_e32 v19, v20, v19
	v_sub_f32_e32 v17, v17, v22
	;; [unrolled: 1-line block ×6, first 2 shown]
	v_add_f32_e32 v20, v17, v11
	v_sub_f32_e32 v18, v18, v24
	v_add_f32_e32 v18, v19, v18
	v_sub_f32_e32 v19, v20, v17
	;; [unrolled: 2-line block ×3, first 2 shown]
	v_sub_f32_e32 v11, v11, v19
	v_add_f32_e32 v22, v21, v18
	v_sub_f32_e32 v17, v17, v20
	v_sub_f32_e32 v19, v22, v21
	v_add_f32_e32 v11, v11, v17
	v_sub_f32_e32 v17, v18, v19
	v_add_f32_e32 v11, v11, v17
	v_add_f32_e32 v11, v22, v11
	v_cndmask_b32_e64 v11, 0x7f800000, v11, s4
	v_cmp_gt_f32_e64 s4, 0x33800000, |v8|
	v_cndmask_b32_e64 v8, v11, v8, s4
	v_add_f32_e32 v8, v16, v8
	v_cvt_f16_f32_e32 v18, v8
	v_cvt_f32_f16_e32 v8, v18
	v_mov_b32_e32 v11, v18
.LBB433_84:
	s_or_b32 exec_lo, exec_lo, s5
	v_max_f32_e32 v16, v2, v2
	v_max_f32_e32 v17, v8, v8
	v_cmp_u_f16_e64 s4, v18, v18
	v_min_f32_e32 v19, v17, v16
	v_max_f32_e32 v16, v17, v16
	v_cndmask_b32_e64 v17, v19, v8, s4
	v_cndmask_b32_e64 v16, v16, v8, s4
	v_cndmask_b32_e64 v17, v17, v2, s16
	v_cndmask_b32_e64 v16, v16, v2, s16
	v_mov_b32_e32 v2, v11
	v_cmp_class_f32_e64 s5, v17, 0x1f8
	v_cmp_neq_f32_e64 s4, v17, v16
	s_or_b32 s4, s4, s5
	s_and_saveexec_b32 s5, s4
	s_cbranch_execz .LBB433_86
; %bb.85:
	v_sub_f32_e32 v2, v17, v16
	v_mul_f32_e32 v8, 0x3fb8aa3b, v2
	v_cmp_ngt_f32_e64 s4, 0xc2ce8ed0, v2
	v_fma_f32 v17, 0x3fb8aa3b, v2, -v8
	v_rndne_f32_e32 v18, v8
	v_fmamk_f32 v17, v2, 0x32a5705f, v17
	v_sub_f32_e32 v8, v8, v18
	v_add_f32_e32 v8, v8, v17
	v_cvt_i32_f32_e32 v17, v18
	v_exp_f32_e32 v8, v8
	v_ldexp_f32 v8, v8, v17
	v_cndmask_b32_e64 v8, 0, v8, s4
	v_cmp_nlt_f32_e64 s4, 0x42b17218, v2
	v_cndmask_b32_e64 v2, 0x7f800000, v8, s4
	v_add_f32_e32 v8, 1.0, v2
	v_cvt_f64_f32_e32 v[17:18], v8
	v_frexp_exp_i32_f64_e32 v17, v[17:18]
	v_frexp_mant_f32_e32 v18, v8
	v_cmp_gt_f32_e64 s4, 0x3f2aaaab, v18
	v_add_f32_e32 v18, -1.0, v8
	v_sub_f32_e32 v20, v18, v8
	v_sub_f32_e32 v18, v2, v18
	v_add_f32_e32 v20, 1.0, v20
	v_add_f32_e32 v18, v18, v20
	v_subrev_co_ci_u32_e64 v17, null, 0, v17, s4
	s_mov_b32 s4, 0x3e9b6dac
	v_sub_nc_u32_e32 v19, 0, v17
	v_cvt_f32_i32_e32 v17, v17
	v_ldexp_f32 v8, v8, v19
	v_ldexp_f32 v18, v18, v19
	v_add_f32_e32 v21, 1.0, v8
	v_add_f32_e32 v19, -1.0, v8
	v_add_f32_e32 v20, -1.0, v21
	v_add_f32_e32 v22, 1.0, v19
	v_sub_f32_e32 v20, v8, v20
	v_sub_f32_e32 v8, v8, v22
	v_add_f32_e32 v20, v18, v20
	v_add_f32_e32 v8, v18, v8
	v_add_f32_e32 v22, v21, v20
	v_add_f32_e32 v23, v19, v8
	v_rcp_f32_e32 v18, v22
	v_sub_f32_e32 v21, v21, v22
	v_sub_f32_e32 v19, v19, v23
	v_add_f32_e32 v20, v20, v21
	v_add_f32_e32 v8, v8, v19
	v_mul_f32_e32 v24, v23, v18
	v_mul_f32_e32 v25, v22, v24
	v_fma_f32 v21, v24, v22, -v25
	v_fmac_f32_e32 v21, v24, v20
	v_add_f32_e32 v26, v25, v21
	v_sub_f32_e32 v27, v23, v26
	v_sub_f32_e32 v19, v26, v25
	;; [unrolled: 1-line block ×5, first 2 shown]
	v_add_f32_e32 v8, v8, v23
	v_add_f32_e32 v8, v19, v8
	;; [unrolled: 1-line block ×3, first 2 shown]
	v_mul_f32_e32 v21, v18, v19
	v_sub_f32_e32 v26, v27, v19
	v_mul_f32_e32 v23, v22, v21
	v_add_f32_e32 v8, v8, v26
	v_fma_f32 v22, v21, v22, -v23
	v_fmac_f32_e32 v22, v21, v20
	v_add_f32_e32 v20, v23, v22
	v_sub_f32_e32 v25, v19, v20
	v_sub_f32_e32 v23, v20, v23
	;; [unrolled: 1-line block ×5, first 2 shown]
	v_add_f32_e32 v8, v8, v19
	v_add_f32_e32 v19, v24, v21
	;; [unrolled: 1-line block ×3, first 2 shown]
	v_sub_f32_e32 v20, v19, v24
	v_add_f32_e32 v8, v25, v8
	v_sub_f32_e32 v20, v21, v20
	v_mul_f32_e32 v8, v18, v8
	v_add_f32_e32 v8, v20, v8
	v_add_f32_e32 v18, v19, v8
	v_mul_f32_e32 v20, v18, v18
	v_fmaak_f32 v21, s4, v20, 0x3ecc95a3
	v_mul_f32_e32 v22, v18, v20
	v_cmp_neq_f32_e64 s4, 0x7f800000, v2
	v_fmaak_f32 v20, v20, v21, 0x3f2aaada
	v_ldexp_f32 v21, v18, 1
	v_sub_f32_e32 v18, v18, v19
	v_mul_f32_e32 v20, v22, v20
	v_mul_f32_e32 v22, 0x3f317218, v17
	v_sub_f32_e32 v8, v8, v18
	v_add_f32_e32 v19, v21, v20
	v_ldexp_f32 v8, v8, 1
	v_sub_f32_e32 v18, v19, v21
	v_fma_f32 v21, 0x3f317218, v17, -v22
	v_sub_f32_e32 v18, v20, v18
	v_fmamk_f32 v17, v17, 0xb102e308, v21
	v_add_f32_e32 v8, v8, v18
	v_add_f32_e32 v18, v22, v17
	;; [unrolled: 1-line block ×3, first 2 shown]
	v_sub_f32_e32 v22, v18, v22
	v_add_f32_e32 v21, v18, v20
	v_sub_f32_e32 v19, v20, v19
	v_sub_f32_e32 v17, v17, v22
	;; [unrolled: 1-line block ×6, first 2 shown]
	v_add_f32_e32 v20, v17, v8
	v_sub_f32_e32 v18, v18, v24
	v_add_f32_e32 v18, v19, v18
	v_sub_f32_e32 v19, v20, v17
	;; [unrolled: 2-line block ×3, first 2 shown]
	v_sub_f32_e32 v8, v8, v19
	v_add_f32_e32 v22, v21, v18
	v_sub_f32_e32 v17, v17, v20
	v_sub_f32_e32 v19, v22, v21
	v_add_f32_e32 v8, v8, v17
	v_sub_f32_e32 v17, v18, v19
	v_add_f32_e32 v8, v8, v17
	v_add_f32_e32 v8, v22, v8
	v_cndmask_b32_e64 v8, 0x7f800000, v8, s4
	v_cmp_gt_f32_e64 s4, 0x33800000, |v2|
	v_cndmask_b32_e64 v2, v8, v2, s4
	v_add_f32_e32 v2, v16, v2
	v_cvt_f16_f32_e32 v18, v2
	v_cvt_f32_f16_e32 v8, v18
	v_mov_b32_e32 v2, v18
.LBB433_86:
	s_or_b32 exec_lo, exec_lo, s5
	v_max_f32_e32 v16, v12, v12
	v_max_f32_e32 v17, v8, v8
	v_cmp_u_f16_e64 s4, v18, v18
	v_min_f32_e32 v19, v17, v16
	v_max_f32_e32 v16, v17, v16
	v_cndmask_b32_e64 v17, v19, v8, s4
	v_cndmask_b32_e64 v16, v16, v8, s4
	;; [unrolled: 1-line block ×4, first 2 shown]
	v_mov_b32_e32 v12, v2
	v_cmp_class_f32_e64 s5, v17, 0x1f8
	v_cmp_neq_f32_e64 s4, v17, v16
	s_or_b32 s4, s4, s5
	s_and_saveexec_b32 s5, s4
	s_cbranch_execz .LBB433_88
; %bb.87:
	v_sub_f32_e32 v8, v17, v16
	v_mul_f32_e32 v12, 0x3fb8aa3b, v8
	v_cmp_ngt_f32_e64 s4, 0xc2ce8ed0, v8
	v_fma_f32 v17, 0x3fb8aa3b, v8, -v12
	v_rndne_f32_e32 v18, v12
	v_fmamk_f32 v17, v8, 0x32a5705f, v17
	v_sub_f32_e32 v12, v12, v18
	v_add_f32_e32 v12, v12, v17
	v_cvt_i32_f32_e32 v17, v18
	v_exp_f32_e32 v12, v12
	v_ldexp_f32 v12, v12, v17
	v_cndmask_b32_e64 v12, 0, v12, s4
	v_cmp_nlt_f32_e64 s4, 0x42b17218, v8
	v_cndmask_b32_e64 v8, 0x7f800000, v12, s4
	v_add_f32_e32 v12, 1.0, v8
	v_cvt_f64_f32_e32 v[17:18], v12
	v_frexp_exp_i32_f64_e32 v17, v[17:18]
	v_frexp_mant_f32_e32 v18, v12
	v_cmp_gt_f32_e64 s4, 0x3f2aaaab, v18
	v_add_f32_e32 v18, -1.0, v12
	v_sub_f32_e32 v20, v18, v12
	v_sub_f32_e32 v18, v8, v18
	v_add_f32_e32 v20, 1.0, v20
	v_add_f32_e32 v18, v18, v20
	v_subrev_co_ci_u32_e64 v17, null, 0, v17, s4
	s_mov_b32 s4, 0x3e9b6dac
	v_sub_nc_u32_e32 v19, 0, v17
	v_cvt_f32_i32_e32 v17, v17
	v_ldexp_f32 v12, v12, v19
	v_ldexp_f32 v18, v18, v19
	v_add_f32_e32 v21, 1.0, v12
	v_add_f32_e32 v19, -1.0, v12
	v_add_f32_e32 v20, -1.0, v21
	v_add_f32_e32 v22, 1.0, v19
	v_sub_f32_e32 v20, v12, v20
	v_sub_f32_e32 v12, v12, v22
	v_add_f32_e32 v20, v18, v20
	v_add_f32_e32 v12, v18, v12
	;; [unrolled: 1-line block ×4, first 2 shown]
	v_rcp_f32_e32 v18, v22
	v_sub_f32_e32 v21, v21, v22
	v_sub_f32_e32 v19, v19, v23
	v_add_f32_e32 v20, v20, v21
	v_add_f32_e32 v12, v12, v19
	v_mul_f32_e32 v24, v23, v18
	v_mul_f32_e32 v25, v22, v24
	v_fma_f32 v21, v24, v22, -v25
	v_fmac_f32_e32 v21, v24, v20
	v_add_f32_e32 v26, v25, v21
	v_sub_f32_e32 v27, v23, v26
	v_sub_f32_e32 v19, v26, v25
	;; [unrolled: 1-line block ×5, first 2 shown]
	v_add_f32_e32 v12, v12, v23
	v_add_f32_e32 v12, v19, v12
	v_add_f32_e32 v19, v27, v12
	v_mul_f32_e32 v21, v18, v19
	v_sub_f32_e32 v26, v27, v19
	v_mul_f32_e32 v23, v22, v21
	v_add_f32_e32 v12, v12, v26
	v_fma_f32 v22, v21, v22, -v23
	v_fmac_f32_e32 v22, v21, v20
	v_add_f32_e32 v20, v23, v22
	v_sub_f32_e32 v25, v19, v20
	v_sub_f32_e32 v23, v20, v23
	;; [unrolled: 1-line block ×5, first 2 shown]
	v_add_f32_e32 v12, v12, v19
	v_add_f32_e32 v19, v24, v21
	;; [unrolled: 1-line block ×3, first 2 shown]
	v_sub_f32_e32 v20, v19, v24
	v_add_f32_e32 v12, v25, v12
	v_sub_f32_e32 v20, v21, v20
	v_mul_f32_e32 v12, v18, v12
	v_add_f32_e32 v12, v20, v12
	v_add_f32_e32 v18, v19, v12
	v_mul_f32_e32 v20, v18, v18
	v_fmaak_f32 v21, s4, v20, 0x3ecc95a3
	v_mul_f32_e32 v22, v18, v20
	v_cmp_neq_f32_e64 s4, 0x7f800000, v8
	v_fmaak_f32 v20, v20, v21, 0x3f2aaada
	v_ldexp_f32 v21, v18, 1
	v_sub_f32_e32 v18, v18, v19
	v_mul_f32_e32 v20, v22, v20
	v_mul_f32_e32 v22, 0x3f317218, v17
	v_sub_f32_e32 v12, v12, v18
	v_add_f32_e32 v19, v21, v20
	v_ldexp_f32 v12, v12, 1
	v_sub_f32_e32 v18, v19, v21
	v_fma_f32 v21, 0x3f317218, v17, -v22
	v_sub_f32_e32 v18, v20, v18
	v_fmamk_f32 v17, v17, 0xb102e308, v21
	v_add_f32_e32 v12, v12, v18
	v_add_f32_e32 v18, v22, v17
	;; [unrolled: 1-line block ×3, first 2 shown]
	v_sub_f32_e32 v22, v18, v22
	v_add_f32_e32 v21, v18, v20
	v_sub_f32_e32 v19, v20, v19
	v_sub_f32_e32 v17, v17, v22
	;; [unrolled: 1-line block ×6, first 2 shown]
	v_add_f32_e32 v20, v17, v12
	v_sub_f32_e32 v18, v18, v24
	v_add_f32_e32 v18, v19, v18
	v_sub_f32_e32 v19, v20, v17
	;; [unrolled: 2-line block ×3, first 2 shown]
	v_sub_f32_e32 v12, v12, v19
	v_add_f32_e32 v22, v21, v18
	v_sub_f32_e32 v17, v17, v20
	v_sub_f32_e32 v19, v22, v21
	v_add_f32_e32 v12, v12, v17
	v_sub_f32_e32 v17, v18, v19
	v_add_f32_e32 v12, v12, v17
	v_add_f32_e32 v12, v22, v12
	v_cndmask_b32_e64 v12, 0x7f800000, v12, s4
	v_cmp_gt_f32_e64 s4, 0x33800000, |v8|
	v_cndmask_b32_e64 v8, v12, v8, s4
	v_add_f32_e32 v8, v16, v8
	v_cvt_f16_f32_e32 v18, v8
	v_cvt_f32_f16_e32 v8, v18
	v_mov_b32_e32 v12, v18
.LBB433_88:
	s_or_b32 exec_lo, exec_lo, s5
	v_max_f32_e32 v16, v3, v3
	v_max_f32_e32 v17, v8, v8
	v_cmp_u_f16_e64 s4, v18, v18
	v_min_f32_e32 v19, v17, v16
	v_max_f32_e32 v16, v17, v16
	v_cndmask_b32_e64 v17, v19, v8, s4
	v_cndmask_b32_e64 v16, v16, v8, s4
	;; [unrolled: 1-line block ×4, first 2 shown]
	v_mov_b32_e32 v3, v12
	v_cmp_class_f32_e64 s5, v17, 0x1f8
	v_cmp_neq_f32_e64 s4, v17, v16
	s_or_b32 s4, s4, s5
	s_and_saveexec_b32 s5, s4
	s_cbranch_execz .LBB433_90
; %bb.89:
	v_sub_f32_e32 v3, v17, v16
	v_mul_f32_e32 v8, 0x3fb8aa3b, v3
	v_cmp_ngt_f32_e64 s4, 0xc2ce8ed0, v3
	v_fma_f32 v17, 0x3fb8aa3b, v3, -v8
	v_rndne_f32_e32 v18, v8
	v_fmamk_f32 v17, v3, 0x32a5705f, v17
	v_sub_f32_e32 v8, v8, v18
	v_add_f32_e32 v8, v8, v17
	v_cvt_i32_f32_e32 v17, v18
	v_exp_f32_e32 v8, v8
	v_ldexp_f32 v8, v8, v17
	v_cndmask_b32_e64 v8, 0, v8, s4
	v_cmp_nlt_f32_e64 s4, 0x42b17218, v3
	v_cndmask_b32_e64 v3, 0x7f800000, v8, s4
	v_add_f32_e32 v8, 1.0, v3
	v_cvt_f64_f32_e32 v[17:18], v8
	v_frexp_exp_i32_f64_e32 v17, v[17:18]
	v_frexp_mant_f32_e32 v18, v8
	v_cmp_gt_f32_e64 s4, 0x3f2aaaab, v18
	v_add_f32_e32 v18, -1.0, v8
	v_sub_f32_e32 v20, v18, v8
	v_sub_f32_e32 v18, v3, v18
	v_add_f32_e32 v20, 1.0, v20
	v_add_f32_e32 v18, v18, v20
	v_subrev_co_ci_u32_e64 v17, null, 0, v17, s4
	s_mov_b32 s4, 0x3e9b6dac
	v_sub_nc_u32_e32 v19, 0, v17
	v_cvt_f32_i32_e32 v17, v17
	v_ldexp_f32 v8, v8, v19
	v_ldexp_f32 v18, v18, v19
	v_add_f32_e32 v21, 1.0, v8
	v_add_f32_e32 v19, -1.0, v8
	v_add_f32_e32 v20, -1.0, v21
	v_add_f32_e32 v22, 1.0, v19
	v_sub_f32_e32 v20, v8, v20
	v_sub_f32_e32 v8, v8, v22
	v_add_f32_e32 v20, v18, v20
	v_add_f32_e32 v8, v18, v8
	;; [unrolled: 1-line block ×4, first 2 shown]
	v_rcp_f32_e32 v18, v22
	v_sub_f32_e32 v21, v21, v22
	v_sub_f32_e32 v19, v19, v23
	v_add_f32_e32 v20, v20, v21
	v_add_f32_e32 v8, v8, v19
	v_mul_f32_e32 v24, v23, v18
	v_mul_f32_e32 v25, v22, v24
	v_fma_f32 v21, v24, v22, -v25
	v_fmac_f32_e32 v21, v24, v20
	v_add_f32_e32 v26, v25, v21
	v_sub_f32_e32 v27, v23, v26
	v_sub_f32_e32 v19, v26, v25
	;; [unrolled: 1-line block ×5, first 2 shown]
	v_add_f32_e32 v8, v8, v23
	v_add_f32_e32 v8, v19, v8
	;; [unrolled: 1-line block ×3, first 2 shown]
	v_mul_f32_e32 v21, v18, v19
	v_sub_f32_e32 v26, v27, v19
	v_mul_f32_e32 v23, v22, v21
	v_add_f32_e32 v8, v8, v26
	v_fma_f32 v22, v21, v22, -v23
	v_fmac_f32_e32 v22, v21, v20
	v_add_f32_e32 v20, v23, v22
	v_sub_f32_e32 v25, v19, v20
	v_sub_f32_e32 v23, v20, v23
	;; [unrolled: 1-line block ×5, first 2 shown]
	v_add_f32_e32 v8, v8, v19
	v_add_f32_e32 v19, v24, v21
	;; [unrolled: 1-line block ×3, first 2 shown]
	v_sub_f32_e32 v20, v19, v24
	v_add_f32_e32 v8, v25, v8
	v_sub_f32_e32 v20, v21, v20
	v_mul_f32_e32 v8, v18, v8
	v_add_f32_e32 v8, v20, v8
	v_add_f32_e32 v18, v19, v8
	v_mul_f32_e32 v20, v18, v18
	v_fmaak_f32 v21, s4, v20, 0x3ecc95a3
	v_mul_f32_e32 v22, v18, v20
	v_cmp_neq_f32_e64 s4, 0x7f800000, v3
	v_fmaak_f32 v20, v20, v21, 0x3f2aaada
	v_ldexp_f32 v21, v18, 1
	v_sub_f32_e32 v18, v18, v19
	v_mul_f32_e32 v20, v22, v20
	v_mul_f32_e32 v22, 0x3f317218, v17
	v_sub_f32_e32 v8, v8, v18
	v_add_f32_e32 v19, v21, v20
	v_ldexp_f32 v8, v8, 1
	v_sub_f32_e32 v18, v19, v21
	v_fma_f32 v21, 0x3f317218, v17, -v22
	v_sub_f32_e32 v18, v20, v18
	v_fmamk_f32 v17, v17, 0xb102e308, v21
	v_add_f32_e32 v8, v8, v18
	v_add_f32_e32 v18, v22, v17
	;; [unrolled: 1-line block ×3, first 2 shown]
	v_sub_f32_e32 v22, v18, v22
	v_add_f32_e32 v21, v18, v20
	v_sub_f32_e32 v19, v20, v19
	v_sub_f32_e32 v17, v17, v22
	;; [unrolled: 1-line block ×6, first 2 shown]
	v_add_f32_e32 v20, v17, v8
	v_sub_f32_e32 v18, v18, v24
	v_add_f32_e32 v18, v19, v18
	v_sub_f32_e32 v19, v20, v17
	;; [unrolled: 2-line block ×3, first 2 shown]
	v_sub_f32_e32 v8, v8, v19
	v_add_f32_e32 v22, v21, v18
	v_sub_f32_e32 v17, v17, v20
	v_sub_f32_e32 v19, v22, v21
	v_add_f32_e32 v8, v8, v17
	v_sub_f32_e32 v17, v18, v19
	v_add_f32_e32 v8, v8, v17
	v_add_f32_e32 v8, v22, v8
	v_cndmask_b32_e64 v8, 0x7f800000, v8, s4
	v_cmp_gt_f32_e64 s4, 0x33800000, |v3|
	v_cndmask_b32_e64 v3, v8, v3, s4
	v_add_f32_e32 v3, v16, v3
	v_cvt_f16_f32_e32 v18, v3
	v_cvt_f32_f16_e32 v8, v18
	v_mov_b32_e32 v3, v18
.LBB433_90:
	s_or_b32 exec_lo, exec_lo, s5
	v_max_f32_e32 v16, v13, v13
	v_max_f32_e32 v17, v8, v8
	v_cmp_u_f16_e64 s4, v18, v18
	v_min_f32_e32 v19, v17, v16
	v_max_f32_e32 v16, v17, v16
	v_cndmask_b32_e64 v17, v19, v8, s4
	v_cndmask_b32_e64 v16, v16, v8, s4
	;; [unrolled: 1-line block ×4, first 2 shown]
	v_mov_b32_e32 v13, v3
	v_cmp_class_f32_e64 s5, v17, 0x1f8
	v_cmp_neq_f32_e64 s4, v17, v16
	s_or_b32 s4, s4, s5
	s_and_saveexec_b32 s5, s4
	s_cbranch_execz .LBB433_92
; %bb.91:
	v_sub_f32_e32 v8, v17, v16
	v_mul_f32_e32 v13, 0x3fb8aa3b, v8
	v_cmp_ngt_f32_e64 s4, 0xc2ce8ed0, v8
	v_fma_f32 v17, 0x3fb8aa3b, v8, -v13
	v_rndne_f32_e32 v18, v13
	v_fmamk_f32 v17, v8, 0x32a5705f, v17
	v_sub_f32_e32 v13, v13, v18
	v_add_f32_e32 v13, v13, v17
	v_cvt_i32_f32_e32 v17, v18
	v_exp_f32_e32 v13, v13
	v_ldexp_f32 v13, v13, v17
	v_cndmask_b32_e64 v13, 0, v13, s4
	v_cmp_nlt_f32_e64 s4, 0x42b17218, v8
	v_cndmask_b32_e64 v8, 0x7f800000, v13, s4
	v_add_f32_e32 v13, 1.0, v8
	v_cvt_f64_f32_e32 v[17:18], v13
	v_frexp_exp_i32_f64_e32 v17, v[17:18]
	v_frexp_mant_f32_e32 v18, v13
	v_cmp_gt_f32_e64 s4, 0x3f2aaaab, v18
	v_add_f32_e32 v18, -1.0, v13
	v_sub_f32_e32 v20, v18, v13
	v_sub_f32_e32 v18, v8, v18
	v_add_f32_e32 v20, 1.0, v20
	v_add_f32_e32 v18, v18, v20
	v_subrev_co_ci_u32_e64 v17, null, 0, v17, s4
	s_mov_b32 s4, 0x3e9b6dac
	v_sub_nc_u32_e32 v19, 0, v17
	v_cvt_f32_i32_e32 v17, v17
	v_ldexp_f32 v13, v13, v19
	v_ldexp_f32 v18, v18, v19
	v_add_f32_e32 v21, 1.0, v13
	v_add_f32_e32 v19, -1.0, v13
	v_add_f32_e32 v20, -1.0, v21
	v_add_f32_e32 v22, 1.0, v19
	v_sub_f32_e32 v20, v13, v20
	v_sub_f32_e32 v13, v13, v22
	v_add_f32_e32 v20, v18, v20
	v_add_f32_e32 v13, v18, v13
	;; [unrolled: 1-line block ×4, first 2 shown]
	v_rcp_f32_e32 v18, v22
	v_sub_f32_e32 v21, v21, v22
	v_sub_f32_e32 v19, v19, v23
	v_add_f32_e32 v20, v20, v21
	v_add_f32_e32 v13, v13, v19
	v_mul_f32_e32 v24, v23, v18
	v_mul_f32_e32 v25, v22, v24
	v_fma_f32 v21, v24, v22, -v25
	v_fmac_f32_e32 v21, v24, v20
	v_add_f32_e32 v26, v25, v21
	v_sub_f32_e32 v27, v23, v26
	v_sub_f32_e32 v19, v26, v25
	;; [unrolled: 1-line block ×5, first 2 shown]
	v_add_f32_e32 v13, v13, v23
	v_add_f32_e32 v13, v19, v13
	;; [unrolled: 1-line block ×3, first 2 shown]
	v_mul_f32_e32 v21, v18, v19
	v_sub_f32_e32 v26, v27, v19
	v_mul_f32_e32 v23, v22, v21
	v_add_f32_e32 v13, v13, v26
	v_fma_f32 v22, v21, v22, -v23
	v_fmac_f32_e32 v22, v21, v20
	v_add_f32_e32 v20, v23, v22
	v_sub_f32_e32 v25, v19, v20
	v_sub_f32_e32 v23, v20, v23
	;; [unrolled: 1-line block ×5, first 2 shown]
	v_add_f32_e32 v13, v13, v19
	v_add_f32_e32 v19, v24, v21
	;; [unrolled: 1-line block ×3, first 2 shown]
	v_sub_f32_e32 v20, v19, v24
	v_add_f32_e32 v13, v25, v13
	v_sub_f32_e32 v20, v21, v20
	v_mul_f32_e32 v13, v18, v13
	v_add_f32_e32 v13, v20, v13
	v_add_f32_e32 v18, v19, v13
	v_mul_f32_e32 v20, v18, v18
	v_fmaak_f32 v21, s4, v20, 0x3ecc95a3
	v_mul_f32_e32 v22, v18, v20
	v_cmp_neq_f32_e64 s4, 0x7f800000, v8
	v_fmaak_f32 v20, v20, v21, 0x3f2aaada
	v_ldexp_f32 v21, v18, 1
	v_sub_f32_e32 v18, v18, v19
	v_mul_f32_e32 v20, v22, v20
	v_mul_f32_e32 v22, 0x3f317218, v17
	v_sub_f32_e32 v13, v13, v18
	v_add_f32_e32 v19, v21, v20
	v_ldexp_f32 v13, v13, 1
	v_sub_f32_e32 v18, v19, v21
	v_fma_f32 v21, 0x3f317218, v17, -v22
	v_sub_f32_e32 v18, v20, v18
	v_fmamk_f32 v17, v17, 0xb102e308, v21
	v_add_f32_e32 v13, v13, v18
	v_add_f32_e32 v18, v22, v17
	v_add_f32_e32 v20, v19, v13
	v_sub_f32_e32 v22, v18, v22
	v_add_f32_e32 v21, v18, v20
	v_sub_f32_e32 v19, v20, v19
	v_sub_f32_e32 v17, v17, v22
	;; [unrolled: 1-line block ×6, first 2 shown]
	v_add_f32_e32 v20, v17, v13
	v_sub_f32_e32 v18, v18, v24
	v_add_f32_e32 v18, v19, v18
	v_sub_f32_e32 v19, v20, v17
	;; [unrolled: 2-line block ×3, first 2 shown]
	v_sub_f32_e32 v13, v13, v19
	v_add_f32_e32 v22, v21, v18
	v_sub_f32_e32 v17, v17, v20
	v_sub_f32_e32 v19, v22, v21
	v_add_f32_e32 v13, v13, v17
	v_sub_f32_e32 v17, v18, v19
	v_add_f32_e32 v13, v13, v17
	v_add_f32_e32 v13, v22, v13
	v_cndmask_b32_e64 v13, 0x7f800000, v13, s4
	v_cmp_gt_f32_e64 s4, 0x33800000, |v8|
	v_cndmask_b32_e64 v8, v13, v8, s4
	v_add_f32_e32 v8, v16, v8
	v_cvt_f16_f32_e32 v18, v8
	v_cvt_f32_f16_e32 v8, v18
	v_mov_b32_e32 v13, v18
.LBB433_92:
	s_or_b32 exec_lo, exec_lo, s5
	v_max_f32_e32 v16, v4, v4
	v_max_f32_e32 v17, v8, v8
	v_cmp_u_f16_e64 s4, v18, v18
	v_min_f32_e32 v19, v17, v16
	v_max_f32_e32 v16, v17, v16
	v_cndmask_b32_e64 v17, v19, v8, s4
	v_cndmask_b32_e64 v16, v16, v8, s4
	v_cndmask_b32_e64 v17, v17, v4, s20
	v_cndmask_b32_e64 v16, v16, v4, s20
	v_mov_b32_e32 v4, v13
	v_cmp_class_f32_e64 s5, v17, 0x1f8
	v_cmp_neq_f32_e64 s4, v17, v16
	s_or_b32 s4, s4, s5
	s_and_saveexec_b32 s5, s4
	s_cbranch_execz .LBB433_94
; %bb.93:
	v_sub_f32_e32 v4, v17, v16
	v_mul_f32_e32 v8, 0x3fb8aa3b, v4
	v_cmp_ngt_f32_e64 s4, 0xc2ce8ed0, v4
	v_fma_f32 v17, 0x3fb8aa3b, v4, -v8
	v_rndne_f32_e32 v18, v8
	v_fmamk_f32 v17, v4, 0x32a5705f, v17
	v_sub_f32_e32 v8, v8, v18
	v_add_f32_e32 v8, v8, v17
	v_cvt_i32_f32_e32 v17, v18
	v_exp_f32_e32 v8, v8
	v_ldexp_f32 v8, v8, v17
	v_cndmask_b32_e64 v8, 0, v8, s4
	v_cmp_nlt_f32_e64 s4, 0x42b17218, v4
	v_cndmask_b32_e64 v4, 0x7f800000, v8, s4
	v_add_f32_e32 v8, 1.0, v4
	v_cvt_f64_f32_e32 v[17:18], v8
	v_frexp_exp_i32_f64_e32 v17, v[17:18]
	v_frexp_mant_f32_e32 v18, v8
	v_cmp_gt_f32_e64 s4, 0x3f2aaaab, v18
	v_add_f32_e32 v18, -1.0, v8
	v_sub_f32_e32 v20, v18, v8
	v_sub_f32_e32 v18, v4, v18
	v_add_f32_e32 v20, 1.0, v20
	v_add_f32_e32 v18, v18, v20
	v_subrev_co_ci_u32_e64 v17, null, 0, v17, s4
	s_mov_b32 s4, 0x3e9b6dac
	v_sub_nc_u32_e32 v19, 0, v17
	v_cvt_f32_i32_e32 v17, v17
	v_ldexp_f32 v8, v8, v19
	v_ldexp_f32 v18, v18, v19
	v_add_f32_e32 v21, 1.0, v8
	v_add_f32_e32 v19, -1.0, v8
	v_add_f32_e32 v20, -1.0, v21
	v_add_f32_e32 v22, 1.0, v19
	v_sub_f32_e32 v20, v8, v20
	v_sub_f32_e32 v8, v8, v22
	v_add_f32_e32 v20, v18, v20
	v_add_f32_e32 v8, v18, v8
	;; [unrolled: 1-line block ×4, first 2 shown]
	v_rcp_f32_e32 v18, v22
	v_sub_f32_e32 v21, v21, v22
	v_sub_f32_e32 v19, v19, v23
	v_add_f32_e32 v20, v20, v21
	v_add_f32_e32 v8, v8, v19
	v_mul_f32_e32 v24, v23, v18
	v_mul_f32_e32 v25, v22, v24
	v_fma_f32 v21, v24, v22, -v25
	v_fmac_f32_e32 v21, v24, v20
	v_add_f32_e32 v26, v25, v21
	v_sub_f32_e32 v27, v23, v26
	v_sub_f32_e32 v19, v26, v25
	;; [unrolled: 1-line block ×5, first 2 shown]
	v_add_f32_e32 v8, v8, v23
	v_add_f32_e32 v8, v19, v8
	;; [unrolled: 1-line block ×3, first 2 shown]
	v_mul_f32_e32 v21, v18, v19
	v_sub_f32_e32 v26, v27, v19
	v_mul_f32_e32 v23, v22, v21
	v_add_f32_e32 v8, v8, v26
	v_fma_f32 v22, v21, v22, -v23
	v_fmac_f32_e32 v22, v21, v20
	v_add_f32_e32 v20, v23, v22
	v_sub_f32_e32 v25, v19, v20
	v_sub_f32_e32 v23, v20, v23
	;; [unrolled: 1-line block ×5, first 2 shown]
	v_add_f32_e32 v8, v8, v19
	v_add_f32_e32 v19, v24, v21
	;; [unrolled: 1-line block ×3, first 2 shown]
	v_sub_f32_e32 v20, v19, v24
	v_add_f32_e32 v8, v25, v8
	v_sub_f32_e32 v20, v21, v20
	v_mul_f32_e32 v8, v18, v8
	v_add_f32_e32 v8, v20, v8
	v_add_f32_e32 v18, v19, v8
	v_mul_f32_e32 v20, v18, v18
	v_fmaak_f32 v21, s4, v20, 0x3ecc95a3
	v_mul_f32_e32 v22, v18, v20
	v_cmp_neq_f32_e64 s4, 0x7f800000, v4
	v_fmaak_f32 v20, v20, v21, 0x3f2aaada
	v_ldexp_f32 v21, v18, 1
	v_sub_f32_e32 v18, v18, v19
	v_mul_f32_e32 v20, v22, v20
	v_mul_f32_e32 v22, 0x3f317218, v17
	v_sub_f32_e32 v8, v8, v18
	v_add_f32_e32 v19, v21, v20
	v_ldexp_f32 v8, v8, 1
	v_sub_f32_e32 v18, v19, v21
	v_fma_f32 v21, 0x3f317218, v17, -v22
	v_sub_f32_e32 v18, v20, v18
	v_fmamk_f32 v17, v17, 0xb102e308, v21
	v_add_f32_e32 v8, v8, v18
	v_add_f32_e32 v18, v22, v17
	;; [unrolled: 1-line block ×3, first 2 shown]
	v_sub_f32_e32 v22, v18, v22
	v_add_f32_e32 v21, v18, v20
	v_sub_f32_e32 v19, v20, v19
	v_sub_f32_e32 v17, v17, v22
	;; [unrolled: 1-line block ×6, first 2 shown]
	v_add_f32_e32 v20, v17, v8
	v_sub_f32_e32 v18, v18, v24
	v_add_f32_e32 v18, v19, v18
	v_sub_f32_e32 v19, v20, v17
	;; [unrolled: 2-line block ×3, first 2 shown]
	v_sub_f32_e32 v8, v8, v19
	v_add_f32_e32 v22, v21, v18
	v_sub_f32_e32 v17, v17, v20
	v_sub_f32_e32 v19, v22, v21
	v_add_f32_e32 v8, v8, v17
	v_sub_f32_e32 v17, v18, v19
	v_add_f32_e32 v8, v8, v17
	v_add_f32_e32 v8, v22, v8
	v_cndmask_b32_e64 v8, 0x7f800000, v8, s4
	v_cmp_gt_f32_e64 s4, 0x33800000, |v4|
	v_cndmask_b32_e64 v4, v8, v4, s4
	v_add_f32_e32 v4, v16, v4
	v_cvt_f16_f32_e32 v18, v4
	v_cvt_f32_f16_e32 v8, v18
	v_mov_b32_e32 v4, v18
.LBB433_94:
	s_or_b32 exec_lo, exec_lo, s5
	v_max_f32_e32 v16, v14, v14
	v_max_f32_e32 v17, v8, v8
	v_cmp_u_f16_e64 s4, v18, v18
	v_min_f32_e32 v19, v17, v16
	v_max_f32_e32 v16, v17, v16
	v_cndmask_b32_e64 v17, v19, v8, s4
	v_cndmask_b32_e64 v16, v16, v8, s4
	v_cndmask_b32_e64 v17, v17, v14, s21
	v_cndmask_b32_e64 v16, v16, v14, s21
	v_mov_b32_e32 v14, v4
	v_cmp_class_f32_e64 s5, v17, 0x1f8
	v_cmp_neq_f32_e64 s4, v17, v16
	s_or_b32 s4, s4, s5
	s_and_saveexec_b32 s5, s4
	s_cbranch_execz .LBB433_96
; %bb.95:
	v_sub_f32_e32 v8, v17, v16
	v_mul_f32_e32 v14, 0x3fb8aa3b, v8
	v_cmp_ngt_f32_e64 s4, 0xc2ce8ed0, v8
	v_fma_f32 v17, 0x3fb8aa3b, v8, -v14
	v_rndne_f32_e32 v18, v14
	v_fmamk_f32 v17, v8, 0x32a5705f, v17
	v_sub_f32_e32 v14, v14, v18
	v_add_f32_e32 v14, v14, v17
	v_cvt_i32_f32_e32 v17, v18
	v_exp_f32_e32 v14, v14
	v_ldexp_f32 v14, v14, v17
	v_cndmask_b32_e64 v14, 0, v14, s4
	v_cmp_nlt_f32_e64 s4, 0x42b17218, v8
	v_cndmask_b32_e64 v8, 0x7f800000, v14, s4
	v_add_f32_e32 v14, 1.0, v8
	v_cvt_f64_f32_e32 v[17:18], v14
	v_frexp_exp_i32_f64_e32 v17, v[17:18]
	v_frexp_mant_f32_e32 v18, v14
	v_cmp_gt_f32_e64 s4, 0x3f2aaaab, v18
	v_add_f32_e32 v18, -1.0, v14
	v_sub_f32_e32 v20, v18, v14
	v_sub_f32_e32 v18, v8, v18
	v_add_f32_e32 v20, 1.0, v20
	v_add_f32_e32 v18, v18, v20
	v_subrev_co_ci_u32_e64 v17, null, 0, v17, s4
	s_mov_b32 s4, 0x3e9b6dac
	v_sub_nc_u32_e32 v19, 0, v17
	v_cvt_f32_i32_e32 v17, v17
	v_ldexp_f32 v14, v14, v19
	v_ldexp_f32 v18, v18, v19
	v_add_f32_e32 v21, 1.0, v14
	v_add_f32_e32 v19, -1.0, v14
	v_add_f32_e32 v20, -1.0, v21
	v_add_f32_e32 v22, 1.0, v19
	v_sub_f32_e32 v20, v14, v20
	v_sub_f32_e32 v14, v14, v22
	v_add_f32_e32 v20, v18, v20
	v_add_f32_e32 v14, v18, v14
	;; [unrolled: 1-line block ×4, first 2 shown]
	v_rcp_f32_e32 v18, v22
	v_sub_f32_e32 v21, v21, v22
	v_sub_f32_e32 v19, v19, v23
	v_add_f32_e32 v20, v20, v21
	v_add_f32_e32 v14, v14, v19
	v_mul_f32_e32 v24, v23, v18
	v_mul_f32_e32 v25, v22, v24
	v_fma_f32 v21, v24, v22, -v25
	v_fmac_f32_e32 v21, v24, v20
	v_add_f32_e32 v26, v25, v21
	v_sub_f32_e32 v27, v23, v26
	v_sub_f32_e32 v19, v26, v25
	;; [unrolled: 1-line block ×5, first 2 shown]
	v_add_f32_e32 v14, v14, v23
	v_add_f32_e32 v14, v19, v14
	;; [unrolled: 1-line block ×3, first 2 shown]
	v_mul_f32_e32 v21, v18, v19
	v_sub_f32_e32 v26, v27, v19
	v_mul_f32_e32 v23, v22, v21
	v_add_f32_e32 v14, v14, v26
	v_fma_f32 v22, v21, v22, -v23
	v_fmac_f32_e32 v22, v21, v20
	v_add_f32_e32 v20, v23, v22
	v_sub_f32_e32 v25, v19, v20
	v_sub_f32_e32 v23, v20, v23
	;; [unrolled: 1-line block ×5, first 2 shown]
	v_add_f32_e32 v14, v14, v19
	v_add_f32_e32 v19, v24, v21
	;; [unrolled: 1-line block ×3, first 2 shown]
	v_sub_f32_e32 v20, v19, v24
	v_add_f32_e32 v14, v25, v14
	v_sub_f32_e32 v20, v21, v20
	v_mul_f32_e32 v14, v18, v14
	v_add_f32_e32 v14, v20, v14
	v_add_f32_e32 v18, v19, v14
	v_mul_f32_e32 v20, v18, v18
	v_fmaak_f32 v21, s4, v20, 0x3ecc95a3
	v_mul_f32_e32 v22, v18, v20
	v_cmp_neq_f32_e64 s4, 0x7f800000, v8
	v_fmaak_f32 v20, v20, v21, 0x3f2aaada
	v_ldexp_f32 v21, v18, 1
	v_sub_f32_e32 v18, v18, v19
	v_mul_f32_e32 v20, v22, v20
	v_mul_f32_e32 v22, 0x3f317218, v17
	v_sub_f32_e32 v14, v14, v18
	v_add_f32_e32 v19, v21, v20
	v_ldexp_f32 v14, v14, 1
	v_sub_f32_e32 v18, v19, v21
	v_fma_f32 v21, 0x3f317218, v17, -v22
	v_sub_f32_e32 v18, v20, v18
	v_fmamk_f32 v17, v17, 0xb102e308, v21
	v_add_f32_e32 v14, v14, v18
	v_add_f32_e32 v18, v22, v17
	;; [unrolled: 1-line block ×3, first 2 shown]
	v_sub_f32_e32 v22, v18, v22
	v_add_f32_e32 v21, v18, v20
	v_sub_f32_e32 v19, v20, v19
	v_sub_f32_e32 v17, v17, v22
	;; [unrolled: 1-line block ×6, first 2 shown]
	v_add_f32_e32 v20, v17, v14
	v_sub_f32_e32 v18, v18, v24
	v_add_f32_e32 v18, v19, v18
	v_sub_f32_e32 v19, v20, v17
	;; [unrolled: 2-line block ×3, first 2 shown]
	v_sub_f32_e32 v14, v14, v19
	v_add_f32_e32 v22, v21, v18
	v_sub_f32_e32 v17, v17, v20
	v_sub_f32_e32 v19, v22, v21
	v_add_f32_e32 v14, v14, v17
	v_sub_f32_e32 v17, v18, v19
	v_add_f32_e32 v14, v14, v17
	v_add_f32_e32 v14, v22, v14
	v_cndmask_b32_e64 v14, 0x7f800000, v14, s4
	v_cmp_gt_f32_e64 s4, 0x33800000, |v8|
	v_cndmask_b32_e64 v8, v14, v8, s4
	v_add_f32_e32 v8, v16, v8
	v_cvt_f16_f32_e32 v18, v8
	v_cvt_f32_f16_e32 v8, v18
	v_mov_b32_e32 v14, v18
.LBB433_96:
	s_or_b32 exec_lo, exec_lo, s5
	v_max_f32_e32 v16, v5, v5
	v_max_f32_e32 v17, v8, v8
	v_cmp_u_f16_e64 s4, v18, v18
	v_min_f32_e32 v19, v17, v16
	v_max_f32_e32 v16, v17, v16
	v_cndmask_b32_e64 v17, v19, v8, s4
	v_cndmask_b32_e64 v16, v16, v8, s4
	;; [unrolled: 1-line block ×4, first 2 shown]
	v_mov_b32_e32 v5, v14
	v_cmp_class_f32_e64 s5, v17, 0x1f8
	v_cmp_neq_f32_e64 s4, v17, v16
	s_or_b32 s4, s4, s5
	s_and_saveexec_b32 s5, s4
	s_cbranch_execz .LBB433_98
; %bb.97:
	v_sub_f32_e32 v5, v17, v16
	v_mul_f32_e32 v8, 0x3fb8aa3b, v5
	v_cmp_ngt_f32_e64 s4, 0xc2ce8ed0, v5
	v_fma_f32 v17, 0x3fb8aa3b, v5, -v8
	v_rndne_f32_e32 v18, v8
	v_fmamk_f32 v17, v5, 0x32a5705f, v17
	v_sub_f32_e32 v8, v8, v18
	v_add_f32_e32 v8, v8, v17
	v_cvt_i32_f32_e32 v17, v18
	v_exp_f32_e32 v8, v8
	v_ldexp_f32 v8, v8, v17
	v_cndmask_b32_e64 v8, 0, v8, s4
	v_cmp_nlt_f32_e64 s4, 0x42b17218, v5
	v_cndmask_b32_e64 v5, 0x7f800000, v8, s4
	v_add_f32_e32 v8, 1.0, v5
	v_cvt_f64_f32_e32 v[17:18], v8
	v_frexp_exp_i32_f64_e32 v17, v[17:18]
	v_frexp_mant_f32_e32 v18, v8
	v_cmp_gt_f32_e64 s4, 0x3f2aaaab, v18
	v_add_f32_e32 v18, -1.0, v8
	v_sub_f32_e32 v20, v18, v8
	v_sub_f32_e32 v18, v5, v18
	v_add_f32_e32 v20, 1.0, v20
	v_add_f32_e32 v18, v18, v20
	v_subrev_co_ci_u32_e64 v17, null, 0, v17, s4
	s_mov_b32 s4, 0x3e9b6dac
	v_sub_nc_u32_e32 v19, 0, v17
	v_cvt_f32_i32_e32 v17, v17
	v_ldexp_f32 v8, v8, v19
	v_ldexp_f32 v18, v18, v19
	v_add_f32_e32 v21, 1.0, v8
	v_add_f32_e32 v19, -1.0, v8
	v_add_f32_e32 v20, -1.0, v21
	v_add_f32_e32 v22, 1.0, v19
	v_sub_f32_e32 v20, v8, v20
	v_sub_f32_e32 v8, v8, v22
	v_add_f32_e32 v20, v18, v20
	v_add_f32_e32 v8, v18, v8
	v_add_f32_e32 v22, v21, v20
	v_add_f32_e32 v23, v19, v8
	v_rcp_f32_e32 v18, v22
	v_sub_f32_e32 v21, v21, v22
	v_sub_f32_e32 v19, v19, v23
	v_add_f32_e32 v20, v20, v21
	v_add_f32_e32 v8, v8, v19
	v_mul_f32_e32 v24, v23, v18
	v_mul_f32_e32 v25, v22, v24
	v_fma_f32 v21, v24, v22, -v25
	v_fmac_f32_e32 v21, v24, v20
	v_add_f32_e32 v26, v25, v21
	v_sub_f32_e32 v27, v23, v26
	v_sub_f32_e32 v19, v26, v25
	;; [unrolled: 1-line block ×5, first 2 shown]
	v_add_f32_e32 v8, v8, v23
	v_add_f32_e32 v8, v19, v8
	;; [unrolled: 1-line block ×3, first 2 shown]
	v_mul_f32_e32 v21, v18, v19
	v_sub_f32_e32 v26, v27, v19
	v_mul_f32_e32 v23, v22, v21
	v_add_f32_e32 v8, v8, v26
	v_fma_f32 v22, v21, v22, -v23
	v_fmac_f32_e32 v22, v21, v20
	v_add_f32_e32 v20, v23, v22
	v_sub_f32_e32 v25, v19, v20
	v_sub_f32_e32 v23, v20, v23
	;; [unrolled: 1-line block ×5, first 2 shown]
	v_add_f32_e32 v8, v8, v19
	v_add_f32_e32 v19, v24, v21
	;; [unrolled: 1-line block ×3, first 2 shown]
	v_sub_f32_e32 v20, v19, v24
	v_add_f32_e32 v8, v25, v8
	v_sub_f32_e32 v20, v21, v20
	v_mul_f32_e32 v8, v18, v8
	v_add_f32_e32 v8, v20, v8
	v_add_f32_e32 v18, v19, v8
	v_mul_f32_e32 v20, v18, v18
	v_fmaak_f32 v21, s4, v20, 0x3ecc95a3
	v_mul_f32_e32 v22, v18, v20
	v_cmp_neq_f32_e64 s4, 0x7f800000, v5
	v_fmaak_f32 v20, v20, v21, 0x3f2aaada
	v_ldexp_f32 v21, v18, 1
	v_sub_f32_e32 v18, v18, v19
	v_mul_f32_e32 v20, v22, v20
	v_mul_f32_e32 v22, 0x3f317218, v17
	v_sub_f32_e32 v8, v8, v18
	v_add_f32_e32 v19, v21, v20
	v_ldexp_f32 v8, v8, 1
	v_sub_f32_e32 v18, v19, v21
	v_fma_f32 v21, 0x3f317218, v17, -v22
	v_sub_f32_e32 v18, v20, v18
	v_fmamk_f32 v17, v17, 0xb102e308, v21
	v_add_f32_e32 v8, v8, v18
	v_add_f32_e32 v18, v22, v17
	;; [unrolled: 1-line block ×3, first 2 shown]
	v_sub_f32_e32 v22, v18, v22
	v_add_f32_e32 v21, v18, v20
	v_sub_f32_e32 v19, v20, v19
	v_sub_f32_e32 v17, v17, v22
	;; [unrolled: 1-line block ×6, first 2 shown]
	v_add_f32_e32 v20, v17, v8
	v_sub_f32_e32 v18, v18, v24
	v_add_f32_e32 v18, v19, v18
	v_sub_f32_e32 v19, v20, v17
	;; [unrolled: 2-line block ×3, first 2 shown]
	v_sub_f32_e32 v8, v8, v19
	v_add_f32_e32 v22, v21, v18
	v_sub_f32_e32 v17, v17, v20
	v_sub_f32_e32 v19, v22, v21
	v_add_f32_e32 v8, v8, v17
	v_sub_f32_e32 v17, v18, v19
	v_add_f32_e32 v8, v8, v17
	v_add_f32_e32 v8, v22, v8
	v_cndmask_b32_e64 v8, 0x7f800000, v8, s4
	v_cmp_gt_f32_e64 s4, 0x33800000, |v5|
	v_cndmask_b32_e64 v5, v8, v5, s4
	v_add_f32_e32 v5, v16, v5
	v_cvt_f16_f32_e32 v18, v5
	v_cvt_f32_f16_e32 v8, v18
	v_mov_b32_e32 v5, v18
.LBB433_98:
	s_or_b32 exec_lo, exec_lo, s5
	v_max_f32_e32 v16, v15, v15
	v_max_f32_e32 v17, v8, v8
	v_cmp_u_f16_e64 s4, v18, v18
	v_min_f32_e32 v19, v17, v16
	v_max_f32_e32 v16, v17, v16
	v_cndmask_b32_e64 v17, v19, v8, s4
	v_cndmask_b32_e64 v8, v16, v8, s4
	;; [unrolled: 1-line block ×4, first 2 shown]
	v_mov_b32_e32 v15, v5
	v_cmp_class_f32_e64 s5, v16, 0x1f8
	v_cmp_neq_f32_e64 s4, v16, v8
	s_or_b32 s4, s4, s5
	s_and_saveexec_b32 s5, s4
	s_cbranch_execz .LBB433_100
; %bb.99:
	v_sub_f32_e32 v15, v16, v8
	v_mul_f32_e32 v16, 0x3fb8aa3b, v15
	v_cmp_ngt_f32_e64 s4, 0xc2ce8ed0, v15
	v_fma_f32 v17, 0x3fb8aa3b, v15, -v16
	v_rndne_f32_e32 v18, v16
	v_fmamk_f32 v17, v15, 0x32a5705f, v17
	v_sub_f32_e32 v16, v16, v18
	v_add_f32_e32 v16, v16, v17
	v_cvt_i32_f32_e32 v17, v18
	v_exp_f32_e32 v16, v16
	v_ldexp_f32 v16, v16, v17
	v_cndmask_b32_e64 v16, 0, v16, s4
	v_cmp_nlt_f32_e64 s4, 0x42b17218, v15
	v_cndmask_b32_e64 v17, 0x7f800000, v16, s4
	v_add_f32_e32 v18, 1.0, v17
	v_cvt_f64_f32_e32 v[15:16], v18
	v_frexp_exp_i32_f64_e32 v15, v[15:16]
	v_frexp_mant_f32_e32 v16, v18
	v_cmp_gt_f32_e64 s4, 0x3f2aaaab, v16
	v_add_f32_e32 v16, -1.0, v18
	v_sub_f32_e32 v20, v16, v18
	v_sub_f32_e32 v16, v17, v16
	v_add_f32_e32 v20, 1.0, v20
	v_add_f32_e32 v16, v16, v20
	v_subrev_co_ci_u32_e64 v15, null, 0, v15, s4
	s_mov_b32 s4, 0x3e9b6dac
	v_sub_nc_u32_e32 v19, 0, v15
	v_cvt_f32_i32_e32 v15, v15
	v_ldexp_f32 v18, v18, v19
	v_ldexp_f32 v16, v16, v19
	v_add_f32_e32 v21, 1.0, v18
	v_add_f32_e32 v19, -1.0, v18
	v_add_f32_e32 v20, -1.0, v21
	v_add_f32_e32 v22, 1.0, v19
	v_sub_f32_e32 v20, v18, v20
	v_sub_f32_e32 v18, v18, v22
	v_add_f32_e32 v20, v16, v20
	v_add_f32_e32 v16, v16, v18
	;; [unrolled: 1-line block ×4, first 2 shown]
	v_rcp_f32_e32 v18, v22
	v_sub_f32_e32 v21, v21, v22
	v_sub_f32_e32 v19, v19, v23
	v_add_f32_e32 v20, v20, v21
	v_add_f32_e32 v16, v16, v19
	v_mul_f32_e32 v24, v23, v18
	v_mul_f32_e32 v25, v22, v24
	v_fma_f32 v21, v24, v22, -v25
	v_fmac_f32_e32 v21, v24, v20
	v_add_f32_e32 v26, v25, v21
	v_sub_f32_e32 v27, v23, v26
	v_sub_f32_e32 v19, v26, v25
	;; [unrolled: 1-line block ×5, first 2 shown]
	v_add_f32_e32 v16, v16, v23
	v_add_f32_e32 v16, v19, v16
	;; [unrolled: 1-line block ×3, first 2 shown]
	v_mul_f32_e32 v21, v18, v19
	v_sub_f32_e32 v26, v27, v19
	v_mul_f32_e32 v23, v22, v21
	v_add_f32_e32 v16, v16, v26
	v_fma_f32 v22, v21, v22, -v23
	v_fmac_f32_e32 v22, v21, v20
	v_add_f32_e32 v20, v23, v22
	v_sub_f32_e32 v25, v19, v20
	v_sub_f32_e32 v23, v20, v23
	;; [unrolled: 1-line block ×5, first 2 shown]
	v_add_f32_e32 v16, v16, v19
	v_add_f32_e32 v19, v24, v21
	;; [unrolled: 1-line block ×3, first 2 shown]
	v_sub_f32_e32 v20, v19, v24
	v_add_f32_e32 v16, v25, v16
	v_sub_f32_e32 v20, v21, v20
	v_mul_f32_e32 v16, v18, v16
	v_add_f32_e32 v16, v20, v16
	v_add_f32_e32 v18, v19, v16
	v_mul_f32_e32 v20, v18, v18
	v_fmaak_f32 v21, s4, v20, 0x3ecc95a3
	v_mul_f32_e32 v22, v18, v20
	v_cmp_neq_f32_e64 s4, 0x7f800000, v17
	v_fmaak_f32 v20, v20, v21, 0x3f2aaada
	v_ldexp_f32 v21, v18, 1
	v_sub_f32_e32 v18, v18, v19
	v_mul_f32_e32 v20, v22, v20
	v_mul_f32_e32 v22, 0x3f317218, v15
	v_sub_f32_e32 v16, v16, v18
	v_add_f32_e32 v19, v21, v20
	v_ldexp_f32 v16, v16, 1
	v_sub_f32_e32 v18, v19, v21
	v_fma_f32 v21, 0x3f317218, v15, -v22
	v_sub_f32_e32 v18, v20, v18
	v_fmamk_f32 v15, v15, 0xb102e308, v21
	v_add_f32_e32 v16, v16, v18
	v_add_f32_e32 v18, v22, v15
	v_add_f32_e32 v20, v19, v16
	v_sub_f32_e32 v22, v18, v22
	v_add_f32_e32 v21, v18, v20
	v_sub_f32_e32 v19, v20, v19
	v_sub_f32_e32 v15, v15, v22
	;; [unrolled: 1-line block ×6, first 2 shown]
	v_add_f32_e32 v20, v15, v16
	v_sub_f32_e32 v18, v18, v24
	v_add_f32_e32 v18, v19, v18
	v_sub_f32_e32 v19, v20, v15
	;; [unrolled: 2-line block ×3, first 2 shown]
	v_sub_f32_e32 v16, v16, v19
	v_add_f32_e32 v22, v21, v18
	v_sub_f32_e32 v15, v15, v20
	v_sub_f32_e32 v19, v22, v21
	v_add_f32_e32 v15, v16, v15
	v_sub_f32_e32 v16, v18, v19
	v_add_f32_e32 v15, v15, v16
	v_add_f32_e32 v15, v22, v15
	v_cndmask_b32_e64 v15, 0x7f800000, v15, s4
	v_cmp_gt_f32_e64 s4, 0x33800000, |v17|
	v_cndmask_b32_e64 v15, v15, v17, s4
	v_add_f32_e32 v8, v8, v15
	v_cvt_f16_f32_e32 v15, v8
.LBB433_100:
	s_or_b32 exec_lo, exec_lo, s5
	v_add_nc_u32_e32 v6, v7, v6
	v_perm_b32 v3, v13, v3, 0x5040100
	v_perm_b32 v2, v12, v2, 0x5040100
	;; [unrolled: 1-line block ×6, first 2 shown]
	s_barrier
	buffer_gl0_inv
	ds_write2_b64 v6, v[9:10], v[2:3] offset1:1
	ds_write_b64 v6, v[4:5] offset:16
	s_waitcnt lgkmcnt(0)
	s_barrier
	buffer_gl0_inv
	ds_read_u16 v13, v7 offset:128
	ds_read_u16 v12, v7 offset:256
	;; [unrolled: 1-line block ×11, first 2 shown]
	v_lshlrev_b32_e32 v0, 1, v0
	v_add_co_u32 v0, s4, s26, v0
	v_add_co_ci_u32_e64 v1, null, s27, 0, s4
	s_and_saveexec_b32 s4, vcc_lo
	s_cbranch_execnz .LBB433_113
; %bb.101:
	s_or_b32 exec_lo, exec_lo, s4
	s_and_saveexec_b32 s4, s0
	s_cbranch_execnz .LBB433_114
.LBB433_102:
	s_or_b32 exec_lo, exec_lo, s4
	s_and_saveexec_b32 s0, s1
	s_cbranch_execnz .LBB433_115
.LBB433_103:
	s_or_b32 exec_lo, exec_lo, s0
	s_and_saveexec_b32 s0, s2
	s_cbranch_execnz .LBB433_116
.LBB433_104:
	s_or_b32 exec_lo, exec_lo, s0
	s_and_saveexec_b32 s0, s3
	s_cbranch_execnz .LBB433_117
.LBB433_105:
	s_or_b32 exec_lo, exec_lo, s0
	s_and_saveexec_b32 s0, s6
	s_cbranch_execnz .LBB433_118
.LBB433_106:
	s_or_b32 exec_lo, exec_lo, s0
	s_and_saveexec_b32 s0, s7
	s_cbranch_execnz .LBB433_119
.LBB433_107:
	s_or_b32 exec_lo, exec_lo, s0
	s_and_saveexec_b32 s0, s8
	s_cbranch_execnz .LBB433_120
.LBB433_108:
	s_or_b32 exec_lo, exec_lo, s0
	s_and_saveexec_b32 s0, s9
	s_cbranch_execnz .LBB433_121
.LBB433_109:
	s_or_b32 exec_lo, exec_lo, s0
	s_and_saveexec_b32 s0, s10
	s_cbranch_execnz .LBB433_122
.LBB433_110:
	s_or_b32 exec_lo, exec_lo, s0
	s_and_saveexec_b32 s0, s11
	s_cbranch_execnz .LBB433_123
.LBB433_111:
	s_or_b32 exec_lo, exec_lo, s0
	s_and_saveexec_b32 s0, s12
	s_cbranch_execnz .LBB433_124
.LBB433_112:
	s_endpgm
.LBB433_113:
	ds_read_u16 v7, v7
	s_waitcnt lgkmcnt(0)
	global_store_short v[0:1], v7, off
	s_or_b32 exec_lo, exec_lo, s4
	s_and_saveexec_b32 s4, s0
	s_cbranch_execz .LBB433_102
.LBB433_114:
	s_waitcnt lgkmcnt(10)
	global_store_short v[0:1], v13, off offset:128
	s_or_b32 exec_lo, exec_lo, s4
	s_and_saveexec_b32 s0, s1
	s_cbranch_execz .LBB433_103
.LBB433_115:
	s_waitcnt lgkmcnt(9)
	global_store_short v[0:1], v12, off offset:256
	s_or_b32 exec_lo, exec_lo, s0
	s_and_saveexec_b32 s0, s2
	s_cbranch_execz .LBB433_104
.LBB433_116:
	s_waitcnt lgkmcnt(8)
	global_store_short v[0:1], v11, off offset:384
	s_or_b32 exec_lo, exec_lo, s0
	s_and_saveexec_b32 s0, s3
	s_cbranch_execz .LBB433_105
.LBB433_117:
	s_waitcnt lgkmcnt(7)
	global_store_short v[0:1], v10, off offset:512
	s_or_b32 exec_lo, exec_lo, s0
	s_and_saveexec_b32 s0, s6
	s_cbranch_execz .LBB433_106
.LBB433_118:
	s_waitcnt lgkmcnt(6)
	global_store_short v[0:1], v9, off offset:640
	s_or_b32 exec_lo, exec_lo, s0
	s_and_saveexec_b32 s0, s7
	s_cbranch_execz .LBB433_107
.LBB433_119:
	s_waitcnt lgkmcnt(5)
	global_store_short v[0:1], v8, off offset:768
	s_or_b32 exec_lo, exec_lo, s0
	s_and_saveexec_b32 s0, s8
	s_cbranch_execz .LBB433_108
.LBB433_120:
	s_waitcnt lgkmcnt(4)
	global_store_short v[0:1], v6, off offset:896
	s_or_b32 exec_lo, exec_lo, s0
	s_and_saveexec_b32 s0, s9
	s_cbranch_execz .LBB433_109
.LBB433_121:
	s_waitcnt lgkmcnt(3)
	global_store_short v[0:1], v5, off offset:1024
	s_or_b32 exec_lo, exec_lo, s0
	s_and_saveexec_b32 s0, s10
	s_cbranch_execz .LBB433_110
.LBB433_122:
	s_waitcnt lgkmcnt(2)
	global_store_short v[0:1], v4, off offset:1152
	s_or_b32 exec_lo, exec_lo, s0
	s_and_saveexec_b32 s0, s11
	s_cbranch_execz .LBB433_111
.LBB433_123:
	s_waitcnt lgkmcnt(1)
	global_store_short v[0:1], v3, off offset:1280
	s_or_b32 exec_lo, exec_lo, s0
	s_and_saveexec_b32 s0, s12
	s_cbranch_execz .LBB433_112
.LBB433_124:
	s_waitcnt lgkmcnt(0)
	global_store_short v[0:1], v2, off offset:1408
	s_endpgm
	.section	.rodata,"a",@progbits
	.p2align	6, 0x0
	.amdhsa_kernel _ZN7rocprim17ROCPRIM_400000_NS6detail17trampoline_kernelINS0_14default_configENS1_20scan_config_selectorIN3c104HalfEEEZZNS1_9scan_implILNS1_25lookback_scan_determinismE0ELb0ELb0ES3_PKS6_PS6_S6_ZZZN2at6native31launch_logcumsumexp_cuda_kernelERKNSD_10TensorBaseESH_lENKUlvE_clEvENKUlvE3_clEvEUlS6_S6_E_S6_EEDaPvRmT3_T4_T5_mT6_P12ihipStream_tbENKUlT_T0_E_clISt17integral_constantIbLb0EESX_IbLb1EEEEDaST_SU_EUlST_E0_NS1_11comp_targetILNS1_3genE8ELNS1_11target_archE1030ELNS1_3gpuE2ELNS1_3repE0EEENS1_30default_config_static_selectorELNS0_4arch9wavefront6targetE0EEEvT1_
		.amdhsa_group_segment_fixed_size 1536
		.amdhsa_private_segment_fixed_size 0
		.amdhsa_kernarg_size 32
		.amdhsa_user_sgpr_count 6
		.amdhsa_user_sgpr_private_segment_buffer 1
		.amdhsa_user_sgpr_dispatch_ptr 0
		.amdhsa_user_sgpr_queue_ptr 0
		.amdhsa_user_sgpr_kernarg_segment_ptr 1
		.amdhsa_user_sgpr_dispatch_id 0
		.amdhsa_user_sgpr_flat_scratch_init 0
		.amdhsa_user_sgpr_private_segment_size 0
		.amdhsa_wavefront_size32 1
		.amdhsa_uses_dynamic_stack 0
		.amdhsa_system_sgpr_private_segment_wavefront_offset 0
		.amdhsa_system_sgpr_workgroup_id_x 1
		.amdhsa_system_sgpr_workgroup_id_y 0
		.amdhsa_system_sgpr_workgroup_id_z 0
		.amdhsa_system_sgpr_workgroup_info 0
		.amdhsa_system_vgpr_workitem_id 0
		.amdhsa_next_free_vgpr 36
		.amdhsa_next_free_sgpr 30
		.amdhsa_reserve_vcc 1
		.amdhsa_reserve_flat_scratch 0
		.amdhsa_float_round_mode_32 0
		.amdhsa_float_round_mode_16_64 0
		.amdhsa_float_denorm_mode_32 3
		.amdhsa_float_denorm_mode_16_64 3
		.amdhsa_dx10_clamp 1
		.amdhsa_ieee_mode 1
		.amdhsa_fp16_overflow 0
		.amdhsa_workgroup_processor_mode 1
		.amdhsa_memory_ordered 1
		.amdhsa_forward_progress 1
		.amdhsa_shared_vgpr_count 0
		.amdhsa_exception_fp_ieee_invalid_op 0
		.amdhsa_exception_fp_denorm_src 0
		.amdhsa_exception_fp_ieee_div_zero 0
		.amdhsa_exception_fp_ieee_overflow 0
		.amdhsa_exception_fp_ieee_underflow 0
		.amdhsa_exception_fp_ieee_inexact 0
		.amdhsa_exception_int_div_zero 0
	.end_amdhsa_kernel
	.section	.text._ZN7rocprim17ROCPRIM_400000_NS6detail17trampoline_kernelINS0_14default_configENS1_20scan_config_selectorIN3c104HalfEEEZZNS1_9scan_implILNS1_25lookback_scan_determinismE0ELb0ELb0ES3_PKS6_PS6_S6_ZZZN2at6native31launch_logcumsumexp_cuda_kernelERKNSD_10TensorBaseESH_lENKUlvE_clEvENKUlvE3_clEvEUlS6_S6_E_S6_EEDaPvRmT3_T4_T5_mT6_P12ihipStream_tbENKUlT_T0_E_clISt17integral_constantIbLb0EESX_IbLb1EEEEDaST_SU_EUlST_E0_NS1_11comp_targetILNS1_3genE8ELNS1_11target_archE1030ELNS1_3gpuE2ELNS1_3repE0EEENS1_30default_config_static_selectorELNS0_4arch9wavefront6targetE0EEEvT1_,"axG",@progbits,_ZN7rocprim17ROCPRIM_400000_NS6detail17trampoline_kernelINS0_14default_configENS1_20scan_config_selectorIN3c104HalfEEEZZNS1_9scan_implILNS1_25lookback_scan_determinismE0ELb0ELb0ES3_PKS6_PS6_S6_ZZZN2at6native31launch_logcumsumexp_cuda_kernelERKNSD_10TensorBaseESH_lENKUlvE_clEvENKUlvE3_clEvEUlS6_S6_E_S6_EEDaPvRmT3_T4_T5_mT6_P12ihipStream_tbENKUlT_T0_E_clISt17integral_constantIbLb0EESX_IbLb1EEEEDaST_SU_EUlST_E0_NS1_11comp_targetILNS1_3genE8ELNS1_11target_archE1030ELNS1_3gpuE2ELNS1_3repE0EEENS1_30default_config_static_selectorELNS0_4arch9wavefront6targetE0EEEvT1_,comdat
.Lfunc_end433:
	.size	_ZN7rocprim17ROCPRIM_400000_NS6detail17trampoline_kernelINS0_14default_configENS1_20scan_config_selectorIN3c104HalfEEEZZNS1_9scan_implILNS1_25lookback_scan_determinismE0ELb0ELb0ES3_PKS6_PS6_S6_ZZZN2at6native31launch_logcumsumexp_cuda_kernelERKNSD_10TensorBaseESH_lENKUlvE_clEvENKUlvE3_clEvEUlS6_S6_E_S6_EEDaPvRmT3_T4_T5_mT6_P12ihipStream_tbENKUlT_T0_E_clISt17integral_constantIbLb0EESX_IbLb1EEEEDaST_SU_EUlST_E0_NS1_11comp_targetILNS1_3genE8ELNS1_11target_archE1030ELNS1_3gpuE2ELNS1_3repE0EEENS1_30default_config_static_selectorELNS0_4arch9wavefront6targetE0EEEvT1_, .Lfunc_end433-_ZN7rocprim17ROCPRIM_400000_NS6detail17trampoline_kernelINS0_14default_configENS1_20scan_config_selectorIN3c104HalfEEEZZNS1_9scan_implILNS1_25lookback_scan_determinismE0ELb0ELb0ES3_PKS6_PS6_S6_ZZZN2at6native31launch_logcumsumexp_cuda_kernelERKNSD_10TensorBaseESH_lENKUlvE_clEvENKUlvE3_clEvEUlS6_S6_E_S6_EEDaPvRmT3_T4_T5_mT6_P12ihipStream_tbENKUlT_T0_E_clISt17integral_constantIbLb0EESX_IbLb1EEEEDaST_SU_EUlST_E0_NS1_11comp_targetILNS1_3genE8ELNS1_11target_archE1030ELNS1_3gpuE2ELNS1_3repE0EEENS1_30default_config_static_selectorELNS0_4arch9wavefront6targetE0EEEvT1_
                                        ; -- End function
	.set _ZN7rocprim17ROCPRIM_400000_NS6detail17trampoline_kernelINS0_14default_configENS1_20scan_config_selectorIN3c104HalfEEEZZNS1_9scan_implILNS1_25lookback_scan_determinismE0ELb0ELb0ES3_PKS6_PS6_S6_ZZZN2at6native31launch_logcumsumexp_cuda_kernelERKNSD_10TensorBaseESH_lENKUlvE_clEvENKUlvE3_clEvEUlS6_S6_E_S6_EEDaPvRmT3_T4_T5_mT6_P12ihipStream_tbENKUlT_T0_E_clISt17integral_constantIbLb0EESX_IbLb1EEEEDaST_SU_EUlST_E0_NS1_11comp_targetILNS1_3genE8ELNS1_11target_archE1030ELNS1_3gpuE2ELNS1_3repE0EEENS1_30default_config_static_selectorELNS0_4arch9wavefront6targetE0EEEvT1_.num_vgpr, 36
	.set _ZN7rocprim17ROCPRIM_400000_NS6detail17trampoline_kernelINS0_14default_configENS1_20scan_config_selectorIN3c104HalfEEEZZNS1_9scan_implILNS1_25lookback_scan_determinismE0ELb0ELb0ES3_PKS6_PS6_S6_ZZZN2at6native31launch_logcumsumexp_cuda_kernelERKNSD_10TensorBaseESH_lENKUlvE_clEvENKUlvE3_clEvEUlS6_S6_E_S6_EEDaPvRmT3_T4_T5_mT6_P12ihipStream_tbENKUlT_T0_E_clISt17integral_constantIbLb0EESX_IbLb1EEEEDaST_SU_EUlST_E0_NS1_11comp_targetILNS1_3genE8ELNS1_11target_archE1030ELNS1_3gpuE2ELNS1_3repE0EEENS1_30default_config_static_selectorELNS0_4arch9wavefront6targetE0EEEvT1_.num_agpr, 0
	.set _ZN7rocprim17ROCPRIM_400000_NS6detail17trampoline_kernelINS0_14default_configENS1_20scan_config_selectorIN3c104HalfEEEZZNS1_9scan_implILNS1_25lookback_scan_determinismE0ELb0ELb0ES3_PKS6_PS6_S6_ZZZN2at6native31launch_logcumsumexp_cuda_kernelERKNSD_10TensorBaseESH_lENKUlvE_clEvENKUlvE3_clEvEUlS6_S6_E_S6_EEDaPvRmT3_T4_T5_mT6_P12ihipStream_tbENKUlT_T0_E_clISt17integral_constantIbLb0EESX_IbLb1EEEEDaST_SU_EUlST_E0_NS1_11comp_targetILNS1_3genE8ELNS1_11target_archE1030ELNS1_3gpuE2ELNS1_3repE0EEENS1_30default_config_static_selectorELNS0_4arch9wavefront6targetE0EEEvT1_.numbered_sgpr, 30
	.set _ZN7rocprim17ROCPRIM_400000_NS6detail17trampoline_kernelINS0_14default_configENS1_20scan_config_selectorIN3c104HalfEEEZZNS1_9scan_implILNS1_25lookback_scan_determinismE0ELb0ELb0ES3_PKS6_PS6_S6_ZZZN2at6native31launch_logcumsumexp_cuda_kernelERKNSD_10TensorBaseESH_lENKUlvE_clEvENKUlvE3_clEvEUlS6_S6_E_S6_EEDaPvRmT3_T4_T5_mT6_P12ihipStream_tbENKUlT_T0_E_clISt17integral_constantIbLb0EESX_IbLb1EEEEDaST_SU_EUlST_E0_NS1_11comp_targetILNS1_3genE8ELNS1_11target_archE1030ELNS1_3gpuE2ELNS1_3repE0EEENS1_30default_config_static_selectorELNS0_4arch9wavefront6targetE0EEEvT1_.num_named_barrier, 0
	.set _ZN7rocprim17ROCPRIM_400000_NS6detail17trampoline_kernelINS0_14default_configENS1_20scan_config_selectorIN3c104HalfEEEZZNS1_9scan_implILNS1_25lookback_scan_determinismE0ELb0ELb0ES3_PKS6_PS6_S6_ZZZN2at6native31launch_logcumsumexp_cuda_kernelERKNSD_10TensorBaseESH_lENKUlvE_clEvENKUlvE3_clEvEUlS6_S6_E_S6_EEDaPvRmT3_T4_T5_mT6_P12ihipStream_tbENKUlT_T0_E_clISt17integral_constantIbLb0EESX_IbLb1EEEEDaST_SU_EUlST_E0_NS1_11comp_targetILNS1_3genE8ELNS1_11target_archE1030ELNS1_3gpuE2ELNS1_3repE0EEENS1_30default_config_static_selectorELNS0_4arch9wavefront6targetE0EEEvT1_.private_seg_size, 0
	.set _ZN7rocprim17ROCPRIM_400000_NS6detail17trampoline_kernelINS0_14default_configENS1_20scan_config_selectorIN3c104HalfEEEZZNS1_9scan_implILNS1_25lookback_scan_determinismE0ELb0ELb0ES3_PKS6_PS6_S6_ZZZN2at6native31launch_logcumsumexp_cuda_kernelERKNSD_10TensorBaseESH_lENKUlvE_clEvENKUlvE3_clEvEUlS6_S6_E_S6_EEDaPvRmT3_T4_T5_mT6_P12ihipStream_tbENKUlT_T0_E_clISt17integral_constantIbLb0EESX_IbLb1EEEEDaST_SU_EUlST_E0_NS1_11comp_targetILNS1_3genE8ELNS1_11target_archE1030ELNS1_3gpuE2ELNS1_3repE0EEENS1_30default_config_static_selectorELNS0_4arch9wavefront6targetE0EEEvT1_.uses_vcc, 1
	.set _ZN7rocprim17ROCPRIM_400000_NS6detail17trampoline_kernelINS0_14default_configENS1_20scan_config_selectorIN3c104HalfEEEZZNS1_9scan_implILNS1_25lookback_scan_determinismE0ELb0ELb0ES3_PKS6_PS6_S6_ZZZN2at6native31launch_logcumsumexp_cuda_kernelERKNSD_10TensorBaseESH_lENKUlvE_clEvENKUlvE3_clEvEUlS6_S6_E_S6_EEDaPvRmT3_T4_T5_mT6_P12ihipStream_tbENKUlT_T0_E_clISt17integral_constantIbLb0EESX_IbLb1EEEEDaST_SU_EUlST_E0_NS1_11comp_targetILNS1_3genE8ELNS1_11target_archE1030ELNS1_3gpuE2ELNS1_3repE0EEENS1_30default_config_static_selectorELNS0_4arch9wavefront6targetE0EEEvT1_.uses_flat_scratch, 0
	.set _ZN7rocprim17ROCPRIM_400000_NS6detail17trampoline_kernelINS0_14default_configENS1_20scan_config_selectorIN3c104HalfEEEZZNS1_9scan_implILNS1_25lookback_scan_determinismE0ELb0ELb0ES3_PKS6_PS6_S6_ZZZN2at6native31launch_logcumsumexp_cuda_kernelERKNSD_10TensorBaseESH_lENKUlvE_clEvENKUlvE3_clEvEUlS6_S6_E_S6_EEDaPvRmT3_T4_T5_mT6_P12ihipStream_tbENKUlT_T0_E_clISt17integral_constantIbLb0EESX_IbLb1EEEEDaST_SU_EUlST_E0_NS1_11comp_targetILNS1_3genE8ELNS1_11target_archE1030ELNS1_3gpuE2ELNS1_3repE0EEENS1_30default_config_static_selectorELNS0_4arch9wavefront6targetE0EEEvT1_.has_dyn_sized_stack, 0
	.set _ZN7rocprim17ROCPRIM_400000_NS6detail17trampoline_kernelINS0_14default_configENS1_20scan_config_selectorIN3c104HalfEEEZZNS1_9scan_implILNS1_25lookback_scan_determinismE0ELb0ELb0ES3_PKS6_PS6_S6_ZZZN2at6native31launch_logcumsumexp_cuda_kernelERKNSD_10TensorBaseESH_lENKUlvE_clEvENKUlvE3_clEvEUlS6_S6_E_S6_EEDaPvRmT3_T4_T5_mT6_P12ihipStream_tbENKUlT_T0_E_clISt17integral_constantIbLb0EESX_IbLb1EEEEDaST_SU_EUlST_E0_NS1_11comp_targetILNS1_3genE8ELNS1_11target_archE1030ELNS1_3gpuE2ELNS1_3repE0EEENS1_30default_config_static_selectorELNS0_4arch9wavefront6targetE0EEEvT1_.has_recursion, 0
	.set _ZN7rocprim17ROCPRIM_400000_NS6detail17trampoline_kernelINS0_14default_configENS1_20scan_config_selectorIN3c104HalfEEEZZNS1_9scan_implILNS1_25lookback_scan_determinismE0ELb0ELb0ES3_PKS6_PS6_S6_ZZZN2at6native31launch_logcumsumexp_cuda_kernelERKNSD_10TensorBaseESH_lENKUlvE_clEvENKUlvE3_clEvEUlS6_S6_E_S6_EEDaPvRmT3_T4_T5_mT6_P12ihipStream_tbENKUlT_T0_E_clISt17integral_constantIbLb0EESX_IbLb1EEEEDaST_SU_EUlST_E0_NS1_11comp_targetILNS1_3genE8ELNS1_11target_archE1030ELNS1_3gpuE2ELNS1_3repE0EEENS1_30default_config_static_selectorELNS0_4arch9wavefront6targetE0EEEvT1_.has_indirect_call, 0
	.section	.AMDGPU.csdata,"",@progbits
; Kernel info:
; codeLenInByte = 24888
; TotalNumSgprs: 32
; NumVgprs: 36
; ScratchSize: 0
; MemoryBound: 0
; FloatMode: 240
; IeeeMode: 1
; LDSByteSize: 1536 bytes/workgroup (compile time only)
; SGPRBlocks: 0
; VGPRBlocks: 4
; NumSGPRsForWavesPerEU: 32
; NumVGPRsForWavesPerEU: 36
; Occupancy: 16
; WaveLimiterHint : 0
; COMPUTE_PGM_RSRC2:SCRATCH_EN: 0
; COMPUTE_PGM_RSRC2:USER_SGPR: 6
; COMPUTE_PGM_RSRC2:TRAP_HANDLER: 0
; COMPUTE_PGM_RSRC2:TGID_X_EN: 1
; COMPUTE_PGM_RSRC2:TGID_Y_EN: 0
; COMPUTE_PGM_RSRC2:TGID_Z_EN: 0
; COMPUTE_PGM_RSRC2:TIDIG_COMP_CNT: 0
	.section	.text._ZN2at6native32tensor_kernel_scan_innermost_dimIN3c104HalfEZZZNS0_31launch_logcumsumexp_cuda_kernelERKNS_10TensorBaseES6_lENKUlvE_clEvENKUlvE3_clEvEUlS3_S3_E_EEvPT_PKSA_jjjSA_T0_,"axG",@progbits,_ZN2at6native32tensor_kernel_scan_innermost_dimIN3c104HalfEZZZNS0_31launch_logcumsumexp_cuda_kernelERKNS_10TensorBaseES6_lENKUlvE_clEvENKUlvE3_clEvEUlS3_S3_E_EEvPT_PKSA_jjjSA_T0_,comdat
	.globl	_ZN2at6native32tensor_kernel_scan_innermost_dimIN3c104HalfEZZZNS0_31launch_logcumsumexp_cuda_kernelERKNS_10TensorBaseES6_lENKUlvE_clEvENKUlvE3_clEvEUlS3_S3_E_EEvPT_PKSA_jjjSA_T0_ ; -- Begin function _ZN2at6native32tensor_kernel_scan_innermost_dimIN3c104HalfEZZZNS0_31launch_logcumsumexp_cuda_kernelERKNS_10TensorBaseES6_lENKUlvE_clEvENKUlvE3_clEvEUlS3_S3_E_EEvPT_PKSA_jjjSA_T0_
	.p2align	8
	.type	_ZN2at6native32tensor_kernel_scan_innermost_dimIN3c104HalfEZZZNS0_31launch_logcumsumexp_cuda_kernelERKNS_10TensorBaseES6_lENKUlvE_clEvENKUlvE3_clEvEUlS3_S3_E_EEvPT_PKSA_jjjSA_T0_,@function
_ZN2at6native32tensor_kernel_scan_innermost_dimIN3c104HalfEZZZNS0_31launch_logcumsumexp_cuda_kernelERKNS_10TensorBaseES6_lENKUlvE_clEvENKUlvE3_clEvEUlS3_S3_E_EEvPT_PKSA_jjjSA_T0_: ; @_ZN2at6native32tensor_kernel_scan_innermost_dimIN3c104HalfEZZZNS0_31launch_logcumsumexp_cuda_kernelERKNS_10TensorBaseES6_lENKUlvE_clEvENKUlvE3_clEvEUlS3_S3_E_EEvPT_PKSA_jjjSA_T0_
; %bb.0:
	s_load_dwordx8 s[8:15], s[4:5], 0x0
	v_mov_b32_e32 v2, v1
	s_waitcnt lgkmcnt(0)
	s_lshl_b32 s3, 2, s14
	s_mul_hi_u32 s0, s12, s13
	v_mul_lo_u32 v1, s3, v2
	s_cmp_lg_u32 s0, 0
	s_mov_b32 s0, -1
	v_lshl_add_u32 v10, v1, 1, 0
	s_cbranch_scc1 .LBB434_30
; %bb.1:
	s_load_dword s2, s[4:5], 0x2c
	s_add_u32 s0, s4, 32
	s_addc_u32 s1, s5, 0
	s_waitcnt lgkmcnt(0)
	s_lshr_b32 s2, s2, 16
	s_mul_i32 s7, s6, s2
	s_cmp_ge_u32 s7, s12
	s_cbranch_scc1 .LBB434_29
; %bb.2:
	s_load_dword s19, s[0:1], 0x0
	s_lshl_b32 s16, 1, s14
	v_lshl_add_u32 v1, v0, 1, v10
	s_cmp_lg_u32 s13, 0
	v_cmp_eq_u32_e64 s0, 0, v0
	s_cselect_b32 s17, -1, 0
	s_lshl_b32 s1, s3, 1
	v_mov_b32_e32 v4, 0
	v_lshl_add_u32 v7, s16, 1, v1
	v_add3_u32 v8, v10, s1, -2
	s_add_i32 s18, s14, 1
	s_mov_b32 s20, 0x3e9b6dac
	s_waitcnt lgkmcnt(0)
	s_mul_i32 s19, s19, s2
	s_branch .LBB434_4
.LBB434_3:                              ;   in Loop: Header=BB434_4 Depth=1
	s_add_i32 s7, s7, s19
	s_cmp_ge_u32 s7, s12
	s_cbranch_scc1 .LBB434_29
.LBB434_4:                              ; =>This Loop Header: Depth=1
                                        ;     Child Loop BB434_7 Depth 2
                                        ;       Child Loop BB434_19 Depth 3
	s_andn2_b32 vcc_lo, exec_lo, s17
	s_cbranch_vccnz .LBB434_3
; %bb.5:                                ;   in Loop: Header=BB434_4 Depth=1
	v_add_nc_u32_e32 v9, s7, v2
	v_mov_b32_e32 v14, s15
	s_mov_b32 s21, 0
	v_mul_lo_u32 v3, v9, s13
	v_cmp_gt_u32_e32 vcc_lo, s12, v9
	v_cmp_le_u32_e64 s1, s12, v9
	v_lshlrev_b64 v[5:6], 1, v[3:4]
	v_add_co_u32 v9, s2, s10, v5
	v_add_co_ci_u32_e64 v11, null, s11, v6, s2
	v_add_co_u32 v12, s2, s8, v5
	v_add_co_ci_u32_e64 v13, null, s9, v6, s2
	s_branch .LBB434_7
.LBB434_6:                              ;   in Loop: Header=BB434_7 Depth=2
	s_or_b32 exec_lo, exec_lo, s22
	ds_read_u16 v14, v8
	s_add_i32 s21, s21, s3
	s_waitcnt lgkmcnt(0)
	s_waitcnt_vscnt null, 0x0
	s_cmp_ge_u32 s21, s13
	s_barrier
	buffer_gl0_inv
	s_cbranch_scc1 .LBB434_3
.LBB434_7:                              ;   Parent Loop BB434_4 Depth=1
                                        ; =>  This Loop Header: Depth=2
                                        ;       Child Loop BB434_19 Depth 3
	v_add_nc_u32_e32 v3, s21, v0
	v_add_nc_u32_e32 v5, s16, v3
	s_and_saveexec_b32 s22, vcc_lo
	s_cbranch_execz .LBB434_16
; %bb.8:                                ;   in Loop: Header=BB434_7 Depth=2
	v_mov_b32_e32 v6, s15
	s_mov_b32 s23, exec_lo
	v_cmpx_gt_u32_e64 s13, v3
	s_cbranch_execz .LBB434_10
; %bb.9:                                ;   in Loop: Header=BB434_7 Depth=2
	v_lshlrev_b64 v[15:16], 1, v[3:4]
	v_add_co_u32 v15, s2, v9, v15
	v_add_co_ci_u32_e64 v16, null, v11, v16, s2
	global_load_ushort v6, v[15:16], off
.LBB434_10:                             ;   in Loop: Header=BB434_7 Depth=2
	s_or_b32 exec_lo, exec_lo, s23
	v_mov_b32_e32 v15, s15
	s_mov_b32 s23, exec_lo
	s_waitcnt vmcnt(0)
	ds_write_b16 v1, v6
	v_cmpx_gt_u32_e64 s13, v5
	s_cbranch_execz .LBB434_12
; %bb.11:                               ;   in Loop: Header=BB434_7 Depth=2
	v_mov_b32_e32 v6, v4
	v_lshlrev_b64 v[15:16], 1, v[5:6]
	v_add_co_u32 v15, s2, v9, v15
	v_add_co_ci_u32_e64 v16, null, v11, v16, s2
	global_load_ushort v15, v[15:16], off
.LBB434_12:                             ;   in Loop: Header=BB434_7 Depth=2
	s_or_b32 exec_lo, exec_lo, s23
	s_waitcnt vmcnt(0)
	ds_write_b16 v7, v15
	s_and_b32 exec_lo, exec_lo, s0
	s_cbranch_execz .LBB434_16
; %bb.13:                               ;   in Loop: Header=BB434_7 Depth=2
	ds_read_u16 v15, v10
	v_cvt_f32_f16_e32 v6, v14
	s_waitcnt lgkmcnt(0)
	v_cvt_f32_f16_e32 v16, v15
	v_cmp_u_f16_e64 s2, v15, v15
	v_min_f32_e32 v17, v16, v6
	v_max_f32_e32 v18, v16, v6
	v_cndmask_b32_e64 v17, v17, v16, s2
	v_cndmask_b32_e64 v16, v18, v16, s2
	v_cmp_u_f16_e64 s2, v14, v14
	v_cndmask_b32_e64 v14, v17, v6, s2
	v_cndmask_b32_e64 v6, v16, v6, s2
	v_cmp_class_f32_e64 s23, v14, 0x1f8
	v_cmp_neq_f32_e64 s2, v14, v6
	s_or_b32 s2, s2, s23
	s_and_saveexec_b32 s23, s2
	s_cbranch_execz .LBB434_15
; %bb.14:                               ;   in Loop: Header=BB434_7 Depth=2
	v_sub_f32_e32 v14, v14, v6
	v_mul_f32_e32 v15, 0x3fb8aa3b, v14
	v_cmp_ngt_f32_e64 s2, 0xc2ce8ed0, v14
	v_fma_f32 v16, 0x3fb8aa3b, v14, -v15
	v_rndne_f32_e32 v17, v15
	v_fmac_f32_e32 v16, 0x32a5705f, v14
	v_sub_f32_e32 v15, v15, v17
	v_add_f32_e32 v15, v15, v16
	v_cvt_i32_f32_e32 v16, v17
	v_exp_f32_e32 v15, v15
	v_ldexp_f32 v15, v15, v16
	v_cndmask_b32_e64 v15, 0, v15, s2
	v_cmp_nlt_f32_e64 s2, 0x42b17218, v14
	v_cndmask_b32_e64 v16, 0x7f800000, v15, s2
	v_add_f32_e32 v17, 1.0, v16
	v_cvt_f64_f32_e32 v[14:15], v17
	v_frexp_exp_i32_f64_e32 v14, v[14:15]
	v_frexp_mant_f32_e32 v15, v17
	v_cmp_gt_f32_e64 s2, 0x3f2aaaab, v15
	v_add_f32_e32 v15, -1.0, v17
	v_sub_f32_e32 v19, v15, v17
	v_sub_f32_e32 v15, v16, v15
	v_add_f32_e32 v19, 1.0, v19
	v_add_f32_e32 v15, v15, v19
	v_subrev_co_ci_u32_e64 v14, null, 0, v14, s2
	v_cmp_neq_f32_e64 s2, 0x7f800000, v16
	v_sub_nc_u32_e32 v18, 0, v14
	v_cvt_f32_i32_e32 v14, v14
	v_ldexp_f32 v17, v17, v18
	v_ldexp_f32 v15, v15, v18
	v_add_f32_e32 v20, 1.0, v17
	v_add_f32_e32 v18, -1.0, v17
	v_add_f32_e32 v19, -1.0, v20
	v_add_f32_e32 v21, 1.0, v18
	v_sub_f32_e32 v19, v17, v19
	v_sub_f32_e32 v17, v17, v21
	v_add_f32_e32 v19, v15, v19
	v_add_f32_e32 v15, v15, v17
	;; [unrolled: 1-line block ×4, first 2 shown]
	v_rcp_f32_e32 v17, v21
	v_sub_f32_e32 v20, v20, v21
	v_sub_f32_e32 v18, v18, v22
	v_add_f32_e32 v19, v19, v20
	v_add_f32_e32 v15, v15, v18
	v_mul_f32_e32 v23, v22, v17
	v_mul_f32_e32 v24, v21, v23
	v_fma_f32 v20, v23, v21, -v24
	v_fmac_f32_e32 v20, v23, v19
	v_add_f32_e32 v25, v24, v20
	v_sub_f32_e32 v26, v22, v25
	v_sub_f32_e32 v18, v25, v24
	;; [unrolled: 1-line block ×5, first 2 shown]
	v_add_f32_e32 v15, v15, v22
	v_add_f32_e32 v15, v18, v15
	;; [unrolled: 1-line block ×3, first 2 shown]
	v_mul_f32_e32 v20, v17, v18
	v_sub_f32_e32 v25, v26, v18
	v_mul_f32_e32 v22, v21, v20
	v_add_f32_e32 v15, v15, v25
	v_fma_f32 v21, v20, v21, -v22
	v_fmac_f32_e32 v21, v20, v19
	v_add_f32_e32 v19, v22, v21
	v_sub_f32_e32 v24, v18, v19
	v_sub_f32_e32 v22, v19, v22
	;; [unrolled: 1-line block ×5, first 2 shown]
	v_add_f32_e32 v15, v15, v18
	v_add_f32_e32 v18, v23, v20
	;; [unrolled: 1-line block ×3, first 2 shown]
	v_sub_f32_e32 v19, v18, v23
	v_add_f32_e32 v15, v24, v15
	v_sub_f32_e32 v19, v20, v19
	v_mul_f32_e32 v15, v17, v15
	v_add_f32_e32 v15, v19, v15
	v_add_f32_e32 v17, v18, v15
	v_mul_f32_e32 v19, v17, v17
	v_fmaak_f32 v20, s20, v19, 0x3ecc95a3
	v_mul_f32_e32 v21, v17, v19
	v_fmaak_f32 v19, v19, v20, 0x3f2aaada
	v_ldexp_f32 v20, v17, 1
	v_sub_f32_e32 v17, v17, v18
	v_mul_f32_e32 v19, v21, v19
	v_mul_f32_e32 v21, 0x3f317218, v14
	v_sub_f32_e32 v15, v15, v17
	v_add_f32_e32 v18, v20, v19
	v_ldexp_f32 v15, v15, 1
	v_sub_f32_e32 v17, v18, v20
	v_fma_f32 v20, 0x3f317218, v14, -v21
	v_sub_f32_e32 v17, v19, v17
	v_fmac_f32_e32 v20, 0xb102e308, v14
	v_add_f32_e32 v14, v15, v17
	v_add_f32_e32 v15, v21, v20
	;; [unrolled: 1-line block ×3, first 2 shown]
	v_sub_f32_e32 v21, v15, v21
	v_add_f32_e32 v19, v15, v17
	v_sub_f32_e32 v18, v17, v18
	v_sub_f32_e32 v20, v20, v21
	;; [unrolled: 1-line block ×6, first 2 shown]
	v_add_f32_e32 v18, v20, v14
	v_sub_f32_e32 v15, v15, v23
	v_add_f32_e32 v15, v17, v15
	v_sub_f32_e32 v17, v18, v20
	;; [unrolled: 2-line block ×3, first 2 shown]
	v_sub_f32_e32 v14, v14, v17
	v_add_f32_e32 v21, v19, v15
	v_sub_f32_e32 v18, v20, v18
	v_sub_f32_e32 v17, v21, v19
	v_add_f32_e32 v14, v14, v18
	v_sub_f32_e32 v15, v15, v17
	v_add_f32_e32 v14, v14, v15
	v_add_f32_e32 v14, v21, v14
	v_cndmask_b32_e64 v14, 0x7f800000, v14, s2
	v_cmp_gt_f32_e64 s2, 0x33800000, |v16|
	v_cndmask_b32_e64 v14, v14, v16, s2
	v_add_f32_e32 v6, v6, v14
	v_cvt_f16_f32_e32 v15, v6
.LBB434_15:                             ;   in Loop: Header=BB434_7 Depth=2
	s_or_b32 exec_lo, exec_lo, s23
	ds_write_b16 v10, v15
.LBB434_16:                             ;   in Loop: Header=BB434_7 Depth=2
	s_or_b32 exec_lo, exec_lo, s22
	v_mov_b32_e32 v14, 0
	s_mov_b32 s22, 0
	s_waitcnt lgkmcnt(0)
	s_barrier
	buffer_gl0_inv
	s_branch .LBB434_19
.LBB434_17:                             ;   in Loop: Header=BB434_19 Depth=3
	s_or_b32 exec_lo, exec_lo, s24
	ds_write_b16 v14, v16
.LBB434_18:                             ;   in Loop: Header=BB434_19 Depth=3
	s_or_b32 exec_lo, exec_lo, s23
	v_cmp_eq_u32_e64 s2, s18, v6
	v_mov_b32_e32 v14, v6
	s_waitcnt lgkmcnt(0)
	s_barrier
	buffer_gl0_inv
	s_or_b32 s22, s2, s22
	s_andn2_b32 exec_lo, exec_lo, s22
	s_cbranch_execz .LBB434_24
.LBB434_19:                             ;   Parent Loop BB434_4 Depth=1
                                        ;     Parent Loop BB434_7 Depth=2
                                        ; =>    This Inner Loop Header: Depth=3
	v_add_nc_u32_e32 v6, 1, v14
	s_and_saveexec_b32 s2, s1
	s_xor_b32 s2, exec_lo, s2
; %bb.20:                               ;   in Loop: Header=BB434_19 Depth=3
	v_add_nc_u32_e32 v6, 1, v14
                                        ; implicit-def: $vgpr14
; %bb.21:                               ;   in Loop: Header=BB434_19 Depth=3
	s_andn2_saveexec_b32 s23, s2
	s_cbranch_execz .LBB434_18
; %bb.22:                               ;   in Loop: Header=BB434_19 Depth=3
	v_lshlrev_b32_e64 v15, v14, 1
	v_lshrrev_b32_e32 v16, v14, v0
	v_bfm_b32 v14, v14, 0
	v_lshl_or_b32 v15, v16, v6, v15
	v_and_b32_e32 v14, v14, v0
	v_lshl_add_u32 v15, v15, 1, v10
	v_lshl_add_u32 v14, v14, 1, v15
	v_add_nc_u32_e32 v15, -2, v15
	ds_read_u16 v16, v14
	ds_read_u16 v15, v15
	s_waitcnt lgkmcnt(1)
	v_cvt_f32_f16_e32 v17, v16
	s_waitcnt lgkmcnt(0)
	v_cvt_f32_f16_e32 v18, v15
	v_cmp_u_f16_e64 s2, v16, v16
	v_min_f32_e32 v19, v17, v18
	v_max_f32_e32 v20, v17, v18
	v_cndmask_b32_e64 v19, v19, v17, s2
	v_cndmask_b32_e64 v20, v20, v17, s2
	v_cmp_u_f16_e64 s2, v15, v15
	v_cndmask_b32_e64 v17, v19, v18, s2
	v_cndmask_b32_e64 v15, v20, v18, s2
	v_cmp_class_f32_e64 s24, v17, 0x1f8
	v_cmp_neq_f32_e64 s2, v17, v15
	s_or_b32 s2, s2, s24
	s_and_saveexec_b32 s24, s2
	s_cbranch_execz .LBB434_17
; %bb.23:                               ;   in Loop: Header=BB434_19 Depth=3
	v_sub_f32_e32 v16, v17, v15
	v_mul_f32_e32 v17, 0x3fb8aa3b, v16
	v_cmp_ngt_f32_e64 s2, 0xc2ce8ed0, v16
	v_fma_f32 v18, 0x3fb8aa3b, v16, -v17
	v_rndne_f32_e32 v19, v17
	v_fmac_f32_e32 v18, 0x32a5705f, v16
	v_sub_f32_e32 v17, v17, v19
	v_add_f32_e32 v17, v17, v18
	v_cvt_i32_f32_e32 v18, v19
	v_exp_f32_e32 v17, v17
	v_ldexp_f32 v17, v17, v18
	v_cndmask_b32_e64 v17, 0, v17, s2
	v_cmp_nlt_f32_e64 s2, 0x42b17218, v16
	v_cndmask_b32_e64 v18, 0x7f800000, v17, s2
	v_add_f32_e32 v19, 1.0, v18
	v_cvt_f64_f32_e32 v[16:17], v19
	v_frexp_exp_i32_f64_e32 v16, v[16:17]
	v_frexp_mant_f32_e32 v17, v19
	v_cmp_gt_f32_e64 s2, 0x3f2aaaab, v17
	v_add_f32_e32 v17, -1.0, v19
	v_sub_f32_e32 v21, v17, v19
	v_sub_f32_e32 v17, v18, v17
	v_add_f32_e32 v21, 1.0, v21
	v_add_f32_e32 v17, v17, v21
	v_subrev_co_ci_u32_e64 v16, null, 0, v16, s2
	v_cmp_neq_f32_e64 s2, 0x7f800000, v18
	v_sub_nc_u32_e32 v20, 0, v16
	v_cvt_f32_i32_e32 v16, v16
	v_ldexp_f32 v19, v19, v20
	v_ldexp_f32 v17, v17, v20
	v_add_f32_e32 v22, 1.0, v19
	v_add_f32_e32 v20, -1.0, v19
	v_add_f32_e32 v21, -1.0, v22
	v_add_f32_e32 v23, 1.0, v20
	v_sub_f32_e32 v21, v19, v21
	v_sub_f32_e32 v19, v19, v23
	v_add_f32_e32 v21, v17, v21
	v_add_f32_e32 v17, v17, v19
	;; [unrolled: 1-line block ×4, first 2 shown]
	v_rcp_f32_e32 v19, v23
	v_sub_f32_e32 v22, v22, v23
	v_sub_f32_e32 v20, v20, v24
	v_add_f32_e32 v21, v21, v22
	v_add_f32_e32 v17, v17, v20
	v_mul_f32_e32 v25, v24, v19
	v_mul_f32_e32 v26, v23, v25
	v_fma_f32 v22, v25, v23, -v26
	v_fmac_f32_e32 v22, v25, v21
	v_add_f32_e32 v27, v26, v22
	v_sub_f32_e32 v28, v24, v27
	v_sub_f32_e32 v20, v27, v26
	;; [unrolled: 1-line block ×5, first 2 shown]
	v_add_f32_e32 v17, v17, v24
	v_add_f32_e32 v17, v20, v17
	;; [unrolled: 1-line block ×3, first 2 shown]
	v_mul_f32_e32 v22, v19, v20
	v_sub_f32_e32 v27, v28, v20
	v_mul_f32_e32 v24, v23, v22
	v_add_f32_e32 v17, v17, v27
	v_fma_f32 v23, v22, v23, -v24
	v_fmac_f32_e32 v23, v22, v21
	v_add_f32_e32 v21, v24, v23
	v_sub_f32_e32 v26, v20, v21
	v_sub_f32_e32 v24, v21, v24
	;; [unrolled: 1-line block ×5, first 2 shown]
	v_add_f32_e32 v17, v17, v20
	v_add_f32_e32 v20, v25, v22
	;; [unrolled: 1-line block ×3, first 2 shown]
	v_sub_f32_e32 v21, v20, v25
	v_add_f32_e32 v17, v26, v17
	v_sub_f32_e32 v21, v22, v21
	v_mul_f32_e32 v17, v19, v17
	v_add_f32_e32 v17, v21, v17
	v_add_f32_e32 v19, v20, v17
	v_mul_f32_e32 v21, v19, v19
	v_fmaak_f32 v22, s20, v21, 0x3ecc95a3
	v_mul_f32_e32 v23, v19, v21
	v_fmaak_f32 v21, v21, v22, 0x3f2aaada
	v_ldexp_f32 v22, v19, 1
	v_sub_f32_e32 v19, v19, v20
	v_mul_f32_e32 v21, v23, v21
	v_mul_f32_e32 v23, 0x3f317218, v16
	v_sub_f32_e32 v17, v17, v19
	v_add_f32_e32 v20, v22, v21
	v_ldexp_f32 v17, v17, 1
	v_sub_f32_e32 v19, v20, v22
	v_fma_f32 v22, 0x3f317218, v16, -v23
	v_sub_f32_e32 v19, v21, v19
	v_fmac_f32_e32 v22, 0xb102e308, v16
	v_add_f32_e32 v16, v17, v19
	v_add_f32_e32 v17, v23, v22
	;; [unrolled: 1-line block ×3, first 2 shown]
	v_sub_f32_e32 v23, v17, v23
	v_add_f32_e32 v21, v17, v19
	v_sub_f32_e32 v20, v19, v20
	v_sub_f32_e32 v22, v22, v23
	;; [unrolled: 1-line block ×6, first 2 shown]
	v_add_f32_e32 v20, v22, v16
	v_sub_f32_e32 v17, v17, v25
	v_add_f32_e32 v17, v19, v17
	v_sub_f32_e32 v19, v20, v22
	;; [unrolled: 2-line block ×3, first 2 shown]
	v_sub_f32_e32 v16, v16, v19
	v_add_f32_e32 v23, v21, v17
	v_sub_f32_e32 v20, v22, v20
	v_sub_f32_e32 v19, v23, v21
	v_add_f32_e32 v16, v16, v20
	v_sub_f32_e32 v17, v17, v19
	v_add_f32_e32 v16, v16, v17
	v_add_f32_e32 v16, v23, v16
	v_cndmask_b32_e64 v16, 0x7f800000, v16, s2
	v_cmp_gt_f32_e64 s2, 0x33800000, |v18|
	v_cndmask_b32_e64 v16, v16, v18, s2
	v_add_f32_e32 v15, v15, v16
	v_cvt_f16_f32_e32 v16, v15
	s_branch .LBB434_17
.LBB434_24:                             ;   in Loop: Header=BB434_7 Depth=2
	s_or_b32 exec_lo, exec_lo, s22
	s_and_saveexec_b32 s22, vcc_lo
	s_cbranch_execz .LBB434_6
; %bb.25:                               ;   in Loop: Header=BB434_7 Depth=2
	s_mov_b32 s23, exec_lo
	v_cmpx_gt_u32_e64 s13, v3
	s_cbranch_execz .LBB434_27
; %bb.26:                               ;   in Loop: Header=BB434_7 Depth=2
	ds_read_u16 v6, v1
	v_lshlrev_b64 v[14:15], 1, v[3:4]
	v_add_co_u32 v14, s2, v12, v14
	v_add_co_ci_u32_e64 v15, null, v13, v15, s2
	s_waitcnt lgkmcnt(0)
	global_store_short v[14:15], v6, off
.LBB434_27:                             ;   in Loop: Header=BB434_7 Depth=2
	s_or_b32 exec_lo, exec_lo, s23
	v_cmp_gt_u32_e64 s2, s13, v5
	s_and_b32 exec_lo, exec_lo, s2
	s_cbranch_execz .LBB434_6
; %bb.28:                               ;   in Loop: Header=BB434_7 Depth=2
	ds_read_u16 v3, v7
	v_mov_b32_e32 v6, v4
	v_lshlrev_b64 v[5:6], 1, v[5:6]
	v_add_co_u32 v5, s2, v12, v5
	v_add_co_ci_u32_e64 v6, null, v13, v6, s2
	s_waitcnt lgkmcnt(0)
	global_store_short v[5:6], v3, off
	s_branch .LBB434_6
.LBB434_29:
	s_mov_b32 s0, 0
.LBB434_30:
	s_andn2_b32 vcc_lo, exec_lo, s0
	s_cbranch_vccnz .LBB434_61
; %bb.31:
	s_load_dword s2, s[4:5], 0x2c
	s_add_u32 s0, s4, 32
	s_addc_u32 s1, s5, 0
	s_mov_b32 s5, 0
	s_mov_b32 s4, s12
	s_waitcnt lgkmcnt(0)
	s_lshr_b32 s2, s2, 16
	s_mul_hi_u32 s7, s2, s6
	s_mul_i32 s6, s2, s6
	v_cmp_ge_u64_e64 s3, s[6:7], s[4:5]
	s_and_b32 vcc_lo, exec_lo, s3
	s_cbranch_vccnz .LBB434_61
; %bb.32:
	s_load_dword s1, s[0:1], 0x0
	s_lshl_b32 s16, 1, s14
	s_and_b32 s2, 0xffff, s2
	s_ashr_i32 s17, s16, 31
	s_cmp_lg_u32 s13, 0
	v_lshl_add_u32 v11, v0, 1, v10
	s_mov_b32 s18, s13
	s_cselect_b32 s3, -1, 0
	s_lshl_b64 s[12:13], s[16:17], 1
	v_mov_b32_e32 v1, 0
	s_lshl_b32 s20, s12, 1
	v_cmp_eq_u32_e64 s0, 0, v0
	v_lshl_add_u32 v12, s16, 1, v11
	v_add3_u32 v13, v10, s20, -2
	s_mov_b32 s19, s5
	s_add_i32 s14, s14, 1
	s_mov_b32 s23, 0x3e9b6dac
	s_waitcnt lgkmcnt(0)
	s_mul_i32 s22, s1, s2
	s_branch .LBB434_34
.LBB434_33:                             ;   in Loop: Header=BB434_34 Depth=1
	s_add_u32 s6, s6, s22
	s_addc_u32 s7, s7, 0
	v_cmp_ge_u64_e64 s1, s[6:7], s[4:5]
	s_and_b32 vcc_lo, exec_lo, s1
	s_cbranch_vccnz .LBB434_61
.LBB434_34:                             ; =>This Loop Header: Depth=1
                                        ;     Child Loop BB434_37 Depth 2
                                        ;       Child Loop BB434_49 Depth 3
	s_andn2_b32 vcc_lo, exec_lo, s3
	s_cbranch_vccnz .LBB434_33
; %bb.35:                               ;   in Loop: Header=BB434_34 Depth=1
	v_add_co_u32 v3, s1, s6, v2
	v_add_co_ci_u32_e64 v4, null, s7, 0, s1
	s_mov_b64 s[20:21], 0
	v_mad_u64_u32 v[5:6], null, v3, s18, 0
	v_cmp_gt_u64_e64 s1, s[4:5], v[3:4]
	v_cmp_le_u64_e64 s2, s[4:5], v[3:4]
	v_mad_u64_u32 v[6:7], null, v4, s18, v[6:7]
	v_mov_b32_e32 v7, s15
	v_lshlrev_b64 v[5:6], 1, v[5:6]
	v_add_co_u32 v14, vcc_lo, s10, v5
	v_add_co_ci_u32_e64 v15, null, s11, v6, vcc_lo
	v_add_co_u32 v16, vcc_lo, s8, v5
	v_add_co_ci_u32_e64 v17, null, s9, v6, vcc_lo
	s_branch .LBB434_37
.LBB434_36:                             ;   in Loop: Header=BB434_37 Depth=2
	s_or_b32 exec_lo, exec_lo, s24
	ds_read_u16 v7, v13
	s_add_u32 s20, s20, s12
	s_addc_u32 s21, s21, s13
	s_waitcnt lgkmcnt(0)
	s_waitcnt_vscnt null, 0x0
	v_cmp_ge_u64_e64 s24, s[20:21], s[18:19]
	s_barrier
	buffer_gl0_inv
	s_and_b32 vcc_lo, exec_lo, s24
	s_cbranch_vccnz .LBB434_33
.LBB434_37:                             ;   Parent Loop BB434_34 Depth=1
                                        ; =>  This Loop Header: Depth=2
                                        ;       Child Loop BB434_49 Depth 3
	v_add_co_u32 v5, s24, s20, v0
	v_add_co_ci_u32_e64 v6, null, s21, 0, s24
	v_add_co_u32 v3, vcc_lo, v5, s16
	v_add_co_ci_u32_e64 v4, null, s17, v6, vcc_lo
	s_and_saveexec_b32 s24, s1
	s_cbranch_execz .LBB434_46
; %bb.38:                               ;   in Loop: Header=BB434_37 Depth=2
	v_mov_b32_e32 v8, s15
	s_mov_b32 s25, exec_lo
	v_cmpx_gt_u64_e64 s[18:19], v[5:6]
	s_cbranch_execz .LBB434_40
; %bb.39:                               ;   in Loop: Header=BB434_37 Depth=2
	v_lshlrev_b64 v[8:9], 1, v[5:6]
	v_add_co_u32 v8, vcc_lo, v14, v8
	v_add_co_ci_u32_e64 v9, null, v15, v9, vcc_lo
	global_load_ushort v8, v[8:9], off
.LBB434_40:                             ;   in Loop: Header=BB434_37 Depth=2
	s_or_b32 exec_lo, exec_lo, s25
	v_mov_b32_e32 v9, s15
	s_mov_b32 s25, exec_lo
	s_waitcnt vmcnt(0)
	ds_write_b16 v11, v8
	v_cmpx_gt_u64_e64 s[18:19], v[3:4]
	s_cbranch_execz .LBB434_42
; %bb.41:                               ;   in Loop: Header=BB434_37 Depth=2
	v_lshlrev_b64 v[8:9], 1, v[3:4]
	v_add_co_u32 v8, vcc_lo, v14, v8
	v_add_co_ci_u32_e64 v9, null, v15, v9, vcc_lo
	global_load_ushort v9, v[8:9], off
.LBB434_42:                             ;   in Loop: Header=BB434_37 Depth=2
	s_or_b32 exec_lo, exec_lo, s25
	s_waitcnt vmcnt(0)
	ds_write_b16 v12, v9
	s_and_b32 exec_lo, exec_lo, s0
	s_cbranch_execz .LBB434_46
; %bb.43:                               ;   in Loop: Header=BB434_37 Depth=2
	ds_read_u16 v8, v10
	v_cvt_f32_f16_e32 v18, v7
	s_waitcnt lgkmcnt(0)
	v_cvt_f32_f16_e32 v9, v8
	v_cmp_u_f16_e32 vcc_lo, v8, v8
	v_min_f32_e32 v19, v9, v18
	v_max_f32_e32 v20, v9, v18
	v_cndmask_b32_e32 v19, v19, v9, vcc_lo
	v_cndmask_b32_e32 v20, v20, v9, vcc_lo
	v_cmp_u_f16_e32 vcc_lo, v7, v7
	v_cndmask_b32_e32 v9, v19, v18, vcc_lo
	v_cndmask_b32_e32 v7, v20, v18, vcc_lo
	v_cmp_class_f32_e64 s25, v9, 0x1f8
	v_cmp_neq_f32_e32 vcc_lo, v9, v7
	s_or_b32 s26, vcc_lo, s25
	s_and_saveexec_b32 s25, s26
	s_cbranch_execz .LBB434_45
; %bb.44:                               ;   in Loop: Header=BB434_37 Depth=2
	v_sub_f32_e32 v8, v9, v7
	v_mul_f32_e32 v9, 0x3fb8aa3b, v8
	v_cmp_ngt_f32_e32 vcc_lo, 0xc2ce8ed0, v8
	v_fma_f32 v18, 0x3fb8aa3b, v8, -v9
	v_rndne_f32_e32 v19, v9
	v_fmac_f32_e32 v18, 0x32a5705f, v8
	v_sub_f32_e32 v9, v9, v19
	v_add_f32_e32 v9, v9, v18
	v_cvt_i32_f32_e32 v18, v19
	v_exp_f32_e32 v9, v9
	v_ldexp_f32 v9, v9, v18
	v_cndmask_b32_e32 v9, 0, v9, vcc_lo
	v_cmp_nlt_f32_e32 vcc_lo, 0x42b17218, v8
	v_cndmask_b32_e32 v18, 0x7f800000, v9, vcc_lo
	v_add_f32_e32 v19, 1.0, v18
	v_cvt_f64_f32_e32 v[8:9], v19
	v_frexp_exp_i32_f64_e32 v8, v[8:9]
	v_frexp_mant_f32_e32 v9, v19
	v_cmp_gt_f32_e32 vcc_lo, 0x3f2aaaab, v9
	v_add_f32_e32 v9, -1.0, v19
	v_sub_f32_e32 v21, v9, v19
	v_sub_f32_e32 v9, v18, v9
	v_add_f32_e32 v21, 1.0, v21
	v_add_f32_e32 v9, v9, v21
	v_subrev_co_ci_u32_e64 v8, null, 0, v8, vcc_lo
	v_cmp_neq_f32_e32 vcc_lo, 0x7f800000, v18
	v_sub_nc_u32_e32 v20, 0, v8
	v_cvt_f32_i32_e32 v8, v8
	v_ldexp_f32 v19, v19, v20
	v_ldexp_f32 v9, v9, v20
	v_add_f32_e32 v22, 1.0, v19
	v_add_f32_e32 v20, -1.0, v19
	v_add_f32_e32 v21, -1.0, v22
	v_add_f32_e32 v23, 1.0, v20
	v_sub_f32_e32 v21, v19, v21
	v_sub_f32_e32 v19, v19, v23
	v_add_f32_e32 v21, v9, v21
	v_add_f32_e32 v9, v9, v19
	;; [unrolled: 1-line block ×4, first 2 shown]
	v_rcp_f32_e32 v19, v23
	v_sub_f32_e32 v22, v22, v23
	v_sub_f32_e32 v20, v20, v24
	v_add_f32_e32 v21, v21, v22
	v_add_f32_e32 v9, v9, v20
	v_mul_f32_e32 v25, v24, v19
	v_mul_f32_e32 v26, v23, v25
	v_fma_f32 v22, v25, v23, -v26
	v_fmac_f32_e32 v22, v25, v21
	v_add_f32_e32 v27, v26, v22
	v_sub_f32_e32 v28, v24, v27
	v_sub_f32_e32 v20, v27, v26
	;; [unrolled: 1-line block ×5, first 2 shown]
	v_add_f32_e32 v9, v9, v24
	v_add_f32_e32 v9, v20, v9
	;; [unrolled: 1-line block ×3, first 2 shown]
	v_mul_f32_e32 v22, v19, v20
	v_sub_f32_e32 v27, v28, v20
	v_mul_f32_e32 v24, v23, v22
	v_add_f32_e32 v9, v9, v27
	v_fma_f32 v23, v22, v23, -v24
	v_fmac_f32_e32 v23, v22, v21
	v_add_f32_e32 v21, v24, v23
	v_sub_f32_e32 v26, v20, v21
	v_sub_f32_e32 v24, v21, v24
	;; [unrolled: 1-line block ×5, first 2 shown]
	v_add_f32_e32 v9, v9, v20
	v_add_f32_e32 v20, v25, v22
	v_add_f32_e32 v9, v21, v9
	v_sub_f32_e32 v21, v20, v25
	v_add_f32_e32 v9, v26, v9
	v_sub_f32_e32 v21, v22, v21
	v_mul_f32_e32 v9, v19, v9
	v_add_f32_e32 v9, v21, v9
	v_add_f32_e32 v19, v20, v9
	v_mul_f32_e32 v21, v19, v19
	v_fmaak_f32 v22, s23, v21, 0x3ecc95a3
	v_mul_f32_e32 v23, v19, v21
	v_fmaak_f32 v21, v21, v22, 0x3f2aaada
	v_ldexp_f32 v22, v19, 1
	v_sub_f32_e32 v19, v19, v20
	v_mul_f32_e32 v21, v23, v21
	v_mul_f32_e32 v23, 0x3f317218, v8
	v_sub_f32_e32 v9, v9, v19
	v_add_f32_e32 v20, v22, v21
	v_ldexp_f32 v9, v9, 1
	v_sub_f32_e32 v19, v20, v22
	v_fma_f32 v22, 0x3f317218, v8, -v23
	v_sub_f32_e32 v19, v21, v19
	v_fmac_f32_e32 v22, 0xb102e308, v8
	v_add_f32_e32 v8, v9, v19
	v_add_f32_e32 v9, v23, v22
	;; [unrolled: 1-line block ×3, first 2 shown]
	v_sub_f32_e32 v23, v9, v23
	v_add_f32_e32 v21, v9, v19
	v_sub_f32_e32 v20, v19, v20
	v_sub_f32_e32 v22, v22, v23
	;; [unrolled: 1-line block ×6, first 2 shown]
	v_add_f32_e32 v20, v22, v8
	v_sub_f32_e32 v9, v9, v25
	v_add_f32_e32 v9, v19, v9
	v_sub_f32_e32 v19, v20, v22
	v_add_f32_e32 v9, v20, v9
	v_sub_f32_e32 v20, v20, v19
	v_sub_f32_e32 v8, v8, v19
	v_add_f32_e32 v23, v21, v9
	v_sub_f32_e32 v20, v22, v20
	v_sub_f32_e32 v19, v23, v21
	v_add_f32_e32 v8, v8, v20
	v_sub_f32_e32 v9, v9, v19
	v_add_f32_e32 v8, v8, v9
	v_add_f32_e32 v8, v23, v8
	v_cndmask_b32_e32 v8, 0x7f800000, v8, vcc_lo
	v_cmp_gt_f32_e64 vcc_lo, 0x33800000, |v18|
	v_cndmask_b32_e32 v8, v8, v18, vcc_lo
	v_add_f32_e32 v7, v7, v8
	v_cvt_f16_f32_e32 v8, v7
.LBB434_45:                             ;   in Loop: Header=BB434_37 Depth=2
	s_or_b32 exec_lo, exec_lo, s25
	ds_write_b16 v10, v8
.LBB434_46:                             ;   in Loop: Header=BB434_37 Depth=2
	s_or_b32 exec_lo, exec_lo, s24
	v_mov_b32_e32 v19, 0
	s_mov_b32 s24, 0
	s_waitcnt lgkmcnt(0)
	s_barrier
	buffer_gl0_inv
	s_branch .LBB434_49
.LBB434_47:                             ;   in Loop: Header=BB434_49 Depth=3
	s_or_b32 exec_lo, exec_lo, s26
	ds_write_b16 v7, v9
.LBB434_48:                             ;   in Loop: Header=BB434_49 Depth=3
	s_or_b32 exec_lo, exec_lo, s25
	v_cmp_eq_u32_e32 vcc_lo, s14, v18
	v_mov_b32_e32 v19, v18
	s_waitcnt lgkmcnt(0)
	s_barrier
	buffer_gl0_inv
	s_or_b32 s24, vcc_lo, s24
	s_andn2_b32 exec_lo, exec_lo, s24
	s_cbranch_execz .LBB434_56
.LBB434_49:                             ;   Parent Loop BB434_34 Depth=1
                                        ;     Parent Loop BB434_37 Depth=2
                                        ; =>    This Inner Loop Header: Depth=3
	v_add_nc_u32_e32 v18, 1, v19
	s_and_saveexec_b32 s25, s2
	s_xor_b32 s25, exec_lo, s25
; %bb.50:                               ;   in Loop: Header=BB434_49 Depth=3
	v_add_nc_u32_e32 v18, 1, v19
                                        ; implicit-def: $vgpr19
; %bb.51:                               ;   in Loop: Header=BB434_49 Depth=3
	s_andn2_saveexec_b32 s25, s25
	s_cbranch_execz .LBB434_48
; %bb.52:                               ;   in Loop: Header=BB434_49 Depth=3
	v_lshlrev_b32_e64 v7, v19, 1
	v_ashrrev_i32_e32 v8, 31, v7
	v_cmp_ge_u64_e32 vcc_lo, v[0:1], v[7:8]
	v_mov_b32_e32 v9, v1
	v_mov_b32_e32 v8, v0
	s_and_saveexec_b32 s26, vcc_lo
	s_cbranch_execz .LBB434_54
; %bb.53:                               ;   in Loop: Header=BB434_49 Depth=3
	v_cvt_f32_u32_e32 v8, v7
	v_sub_nc_u32_e32 v9, 0, v7
	v_rcp_iflag_f32_e32 v8, v8
	v_mul_f32_e32 v8, 0x4f7ffffe, v8
	v_cvt_u32_f32_e32 v8, v8
	v_mul_lo_u32 v9, v9, v8
	v_mul_hi_u32 v9, v8, v9
	v_add_nc_u32_e32 v8, v8, v9
	v_mul_hi_u32 v8, v0, v8
	v_mul_lo_u32 v8, v8, v7
	v_sub_nc_u32_e32 v8, v0, v8
	v_sub_nc_u32_e32 v9, v8, v7
	v_cmp_ge_u32_e32 vcc_lo, v8, v7
	v_cndmask_b32_e32 v8, v8, v9, vcc_lo
	v_sub_nc_u32_e32 v9, v8, v7
	v_cmp_ge_u32_e32 vcc_lo, v8, v7
	v_cndmask_b32_e32 v8, v8, v9, vcc_lo
.LBB434_54:                             ;   in Loop: Header=BB434_49 Depth=3
	s_or_b32 exec_lo, exec_lo, s26
	v_lshrrev_b32_e32 v9, v19, v0
	v_lshl_or_b32 v7, v9, v18, v7
	v_lshl_add_u32 v9, v7, 1, v10
	v_lshl_add_u32 v7, v8, 1, v9
	v_add_nc_u32_e32 v8, -2, v9
	ds_read_u16 v9, v7
	ds_read_u16 v8, v8
	s_waitcnt lgkmcnt(1)
	v_cvt_f32_f16_e32 v19, v9
	s_waitcnt lgkmcnt(0)
	v_cvt_f32_f16_e32 v20, v8
	v_cmp_u_f16_e32 vcc_lo, v9, v9
	v_min_f32_e32 v21, v19, v20
	v_max_f32_e32 v22, v19, v20
	v_cndmask_b32_e32 v21, v21, v19, vcc_lo
	v_cndmask_b32_e32 v22, v22, v19, vcc_lo
	v_cmp_u_f16_e32 vcc_lo, v8, v8
	v_cndmask_b32_e32 v19, v21, v20, vcc_lo
	v_cndmask_b32_e32 v8, v22, v20, vcc_lo
	v_cmp_class_f32_e64 s26, v19, 0x1f8
	v_cmp_neq_f32_e32 vcc_lo, v19, v8
	s_or_b32 s27, vcc_lo, s26
	s_and_saveexec_b32 s26, s27
	s_cbranch_execz .LBB434_47
; %bb.55:                               ;   in Loop: Header=BB434_49 Depth=3
	v_sub_f32_e32 v9, v19, v8
	v_mul_f32_e32 v19, 0x3fb8aa3b, v9
	v_cmp_ngt_f32_e32 vcc_lo, 0xc2ce8ed0, v9
	v_fma_f32 v20, 0x3fb8aa3b, v9, -v19
	v_rndne_f32_e32 v21, v19
	v_fmac_f32_e32 v20, 0x32a5705f, v9
	v_sub_f32_e32 v19, v19, v21
	v_add_f32_e32 v19, v19, v20
	v_cvt_i32_f32_e32 v20, v21
	v_exp_f32_e32 v19, v19
	v_ldexp_f32 v19, v19, v20
	v_cndmask_b32_e32 v19, 0, v19, vcc_lo
	v_cmp_nlt_f32_e32 vcc_lo, 0x42b17218, v9
	v_cndmask_b32_e32 v9, 0x7f800000, v19, vcc_lo
	v_add_f32_e32 v21, 1.0, v9
	v_cvt_f64_f32_e32 v[19:20], v21
	v_frexp_exp_i32_f64_e32 v19, v[19:20]
	v_frexp_mant_f32_e32 v20, v21
	v_cmp_gt_f32_e32 vcc_lo, 0x3f2aaaab, v20
	v_add_f32_e32 v20, -1.0, v21
	v_sub_f32_e32 v23, v20, v21
	v_sub_f32_e32 v20, v9, v20
	v_add_f32_e32 v23, 1.0, v23
	v_add_f32_e32 v20, v20, v23
	v_subrev_co_ci_u32_e64 v19, null, 0, v19, vcc_lo
	v_cmp_neq_f32_e32 vcc_lo, 0x7f800000, v9
	v_sub_nc_u32_e32 v22, 0, v19
	v_cvt_f32_i32_e32 v19, v19
	v_ldexp_f32 v21, v21, v22
	v_ldexp_f32 v20, v20, v22
	v_add_f32_e32 v24, 1.0, v21
	v_add_f32_e32 v22, -1.0, v21
	v_add_f32_e32 v23, -1.0, v24
	v_add_f32_e32 v25, 1.0, v22
	v_sub_f32_e32 v23, v21, v23
	v_sub_f32_e32 v21, v21, v25
	v_add_f32_e32 v23, v20, v23
	v_add_f32_e32 v20, v20, v21
	;; [unrolled: 1-line block ×4, first 2 shown]
	v_rcp_f32_e32 v21, v25
	v_sub_f32_e32 v24, v24, v25
	v_sub_f32_e32 v22, v22, v26
	v_add_f32_e32 v23, v23, v24
	v_add_f32_e32 v20, v20, v22
	v_mul_f32_e32 v27, v26, v21
	v_mul_f32_e32 v28, v25, v27
	v_fma_f32 v24, v27, v25, -v28
	v_fmac_f32_e32 v24, v27, v23
	v_add_f32_e32 v29, v28, v24
	v_sub_f32_e32 v30, v26, v29
	v_sub_f32_e32 v22, v29, v28
	;; [unrolled: 1-line block ×5, first 2 shown]
	v_add_f32_e32 v20, v20, v26
	v_add_f32_e32 v20, v22, v20
	;; [unrolled: 1-line block ×3, first 2 shown]
	v_mul_f32_e32 v24, v21, v22
	v_sub_f32_e32 v29, v30, v22
	v_mul_f32_e32 v26, v25, v24
	v_add_f32_e32 v20, v20, v29
	v_fma_f32 v25, v24, v25, -v26
	v_fmac_f32_e32 v25, v24, v23
	v_add_f32_e32 v23, v26, v25
	v_sub_f32_e32 v28, v22, v23
	v_sub_f32_e32 v26, v23, v26
	;; [unrolled: 1-line block ×5, first 2 shown]
	v_add_f32_e32 v20, v20, v22
	v_add_f32_e32 v22, v27, v24
	;; [unrolled: 1-line block ×3, first 2 shown]
	v_sub_f32_e32 v23, v22, v27
	v_add_f32_e32 v20, v28, v20
	v_sub_f32_e32 v23, v24, v23
	v_mul_f32_e32 v20, v21, v20
	v_add_f32_e32 v20, v23, v20
	v_add_f32_e32 v21, v22, v20
	v_mul_f32_e32 v23, v21, v21
	v_fmaak_f32 v24, s23, v23, 0x3ecc95a3
	v_mul_f32_e32 v25, v21, v23
	v_fmaak_f32 v23, v23, v24, 0x3f2aaada
	v_ldexp_f32 v24, v21, 1
	v_sub_f32_e32 v21, v21, v22
	v_mul_f32_e32 v23, v25, v23
	v_mul_f32_e32 v25, 0x3f317218, v19
	v_sub_f32_e32 v20, v20, v21
	v_add_f32_e32 v22, v24, v23
	v_ldexp_f32 v20, v20, 1
	v_sub_f32_e32 v21, v22, v24
	v_fma_f32 v24, 0x3f317218, v19, -v25
	v_sub_f32_e32 v21, v23, v21
	v_fmac_f32_e32 v24, 0xb102e308, v19
	v_add_f32_e32 v19, v20, v21
	v_add_f32_e32 v20, v25, v24
	;; [unrolled: 1-line block ×3, first 2 shown]
	v_sub_f32_e32 v25, v20, v25
	v_add_f32_e32 v23, v20, v21
	v_sub_f32_e32 v22, v21, v22
	v_sub_f32_e32 v24, v24, v25
	;; [unrolled: 1-line block ×6, first 2 shown]
	v_add_f32_e32 v22, v24, v19
	v_sub_f32_e32 v20, v20, v27
	v_add_f32_e32 v20, v21, v20
	v_sub_f32_e32 v21, v22, v24
	;; [unrolled: 2-line block ×3, first 2 shown]
	v_sub_f32_e32 v19, v19, v21
	v_add_f32_e32 v25, v23, v20
	v_sub_f32_e32 v22, v24, v22
	v_sub_f32_e32 v21, v25, v23
	v_add_f32_e32 v19, v19, v22
	v_sub_f32_e32 v20, v20, v21
	v_add_f32_e32 v19, v19, v20
	v_add_f32_e32 v19, v25, v19
	v_cndmask_b32_e32 v19, 0x7f800000, v19, vcc_lo
	v_cmp_gt_f32_e64 vcc_lo, 0x33800000, |v9|
	v_cndmask_b32_e32 v9, v19, v9, vcc_lo
	v_add_f32_e32 v8, v8, v9
	v_cvt_f16_f32_e32 v9, v8
	s_branch .LBB434_47
.LBB434_56:                             ;   in Loop: Header=BB434_37 Depth=2
	s_or_b32 exec_lo, exec_lo, s24
	s_and_saveexec_b32 s24, s1
	s_cbranch_execz .LBB434_36
; %bb.57:                               ;   in Loop: Header=BB434_37 Depth=2
	s_mov_b32 s25, exec_lo
	v_cmpx_gt_u64_e64 s[18:19], v[5:6]
	s_cbranch_execz .LBB434_59
; %bb.58:                               ;   in Loop: Header=BB434_37 Depth=2
	ds_read_u16 v7, v11
	v_lshlrev_b64 v[5:6], 1, v[5:6]
	v_add_co_u32 v5, vcc_lo, v16, v5
	v_add_co_ci_u32_e64 v6, null, v17, v6, vcc_lo
	s_waitcnt lgkmcnt(0)
	global_store_short v[5:6], v7, off
.LBB434_59:                             ;   in Loop: Header=BB434_37 Depth=2
	s_or_b32 exec_lo, exec_lo, s25
	v_cmp_gt_u64_e32 vcc_lo, s[18:19], v[3:4]
	s_and_b32 exec_lo, exec_lo, vcc_lo
	s_cbranch_execz .LBB434_36
; %bb.60:                               ;   in Loop: Header=BB434_37 Depth=2
	ds_read_u16 v5, v12
	v_lshlrev_b64 v[3:4], 1, v[3:4]
	v_add_co_u32 v3, vcc_lo, v16, v3
	v_add_co_ci_u32_e64 v4, null, v17, v4, vcc_lo
	s_waitcnt lgkmcnt(0)
	global_store_short v[3:4], v5, off
	s_branch .LBB434_36
.LBB434_61:
	s_endpgm
	.section	.rodata,"a",@progbits
	.p2align	6, 0x0
	.amdhsa_kernel _ZN2at6native32tensor_kernel_scan_innermost_dimIN3c104HalfEZZZNS0_31launch_logcumsumexp_cuda_kernelERKNS_10TensorBaseES6_lENKUlvE_clEvENKUlvE3_clEvEUlS3_S3_E_EEvPT_PKSA_jjjSA_T0_
		.amdhsa_group_segment_fixed_size 0
		.amdhsa_private_segment_fixed_size 0
		.amdhsa_kernarg_size 288
		.amdhsa_user_sgpr_count 6
		.amdhsa_user_sgpr_private_segment_buffer 1
		.amdhsa_user_sgpr_dispatch_ptr 0
		.amdhsa_user_sgpr_queue_ptr 0
		.amdhsa_user_sgpr_kernarg_segment_ptr 1
		.amdhsa_user_sgpr_dispatch_id 0
		.amdhsa_user_sgpr_flat_scratch_init 0
		.amdhsa_user_sgpr_private_segment_size 0
		.amdhsa_wavefront_size32 1
		.amdhsa_uses_dynamic_stack 0
		.amdhsa_system_sgpr_private_segment_wavefront_offset 0
		.amdhsa_system_sgpr_workgroup_id_x 1
		.amdhsa_system_sgpr_workgroup_id_y 0
		.amdhsa_system_sgpr_workgroup_id_z 0
		.amdhsa_system_sgpr_workgroup_info 0
		.amdhsa_system_vgpr_workitem_id 1
		.amdhsa_next_free_vgpr 31
		.amdhsa_next_free_sgpr 28
		.amdhsa_reserve_vcc 1
		.amdhsa_reserve_flat_scratch 0
		.amdhsa_float_round_mode_32 0
		.amdhsa_float_round_mode_16_64 0
		.amdhsa_float_denorm_mode_32 3
		.amdhsa_float_denorm_mode_16_64 3
		.amdhsa_dx10_clamp 1
		.amdhsa_ieee_mode 1
		.amdhsa_fp16_overflow 0
		.amdhsa_workgroup_processor_mode 1
		.amdhsa_memory_ordered 1
		.amdhsa_forward_progress 1
		.amdhsa_shared_vgpr_count 0
		.amdhsa_exception_fp_ieee_invalid_op 0
		.amdhsa_exception_fp_denorm_src 0
		.amdhsa_exception_fp_ieee_div_zero 0
		.amdhsa_exception_fp_ieee_overflow 0
		.amdhsa_exception_fp_ieee_underflow 0
		.amdhsa_exception_fp_ieee_inexact 0
		.amdhsa_exception_int_div_zero 0
	.end_amdhsa_kernel
	.section	.text._ZN2at6native32tensor_kernel_scan_innermost_dimIN3c104HalfEZZZNS0_31launch_logcumsumexp_cuda_kernelERKNS_10TensorBaseES6_lENKUlvE_clEvENKUlvE3_clEvEUlS3_S3_E_EEvPT_PKSA_jjjSA_T0_,"axG",@progbits,_ZN2at6native32tensor_kernel_scan_innermost_dimIN3c104HalfEZZZNS0_31launch_logcumsumexp_cuda_kernelERKNS_10TensorBaseES6_lENKUlvE_clEvENKUlvE3_clEvEUlS3_S3_E_EEvPT_PKSA_jjjSA_T0_,comdat
.Lfunc_end434:
	.size	_ZN2at6native32tensor_kernel_scan_innermost_dimIN3c104HalfEZZZNS0_31launch_logcumsumexp_cuda_kernelERKNS_10TensorBaseES6_lENKUlvE_clEvENKUlvE3_clEvEUlS3_S3_E_EEvPT_PKSA_jjjSA_T0_, .Lfunc_end434-_ZN2at6native32tensor_kernel_scan_innermost_dimIN3c104HalfEZZZNS0_31launch_logcumsumexp_cuda_kernelERKNS_10TensorBaseES6_lENKUlvE_clEvENKUlvE3_clEvEUlS3_S3_E_EEvPT_PKSA_jjjSA_T0_
                                        ; -- End function
	.set _ZN2at6native32tensor_kernel_scan_innermost_dimIN3c104HalfEZZZNS0_31launch_logcumsumexp_cuda_kernelERKNS_10TensorBaseES6_lENKUlvE_clEvENKUlvE3_clEvEUlS3_S3_E_EEvPT_PKSA_jjjSA_T0_.num_vgpr, 31
	.set _ZN2at6native32tensor_kernel_scan_innermost_dimIN3c104HalfEZZZNS0_31launch_logcumsumexp_cuda_kernelERKNS_10TensorBaseES6_lENKUlvE_clEvENKUlvE3_clEvEUlS3_S3_E_EEvPT_PKSA_jjjSA_T0_.num_agpr, 0
	.set _ZN2at6native32tensor_kernel_scan_innermost_dimIN3c104HalfEZZZNS0_31launch_logcumsumexp_cuda_kernelERKNS_10TensorBaseES6_lENKUlvE_clEvENKUlvE3_clEvEUlS3_S3_E_EEvPT_PKSA_jjjSA_T0_.numbered_sgpr, 28
	.set _ZN2at6native32tensor_kernel_scan_innermost_dimIN3c104HalfEZZZNS0_31launch_logcumsumexp_cuda_kernelERKNS_10TensorBaseES6_lENKUlvE_clEvENKUlvE3_clEvEUlS3_S3_E_EEvPT_PKSA_jjjSA_T0_.num_named_barrier, 0
	.set _ZN2at6native32tensor_kernel_scan_innermost_dimIN3c104HalfEZZZNS0_31launch_logcumsumexp_cuda_kernelERKNS_10TensorBaseES6_lENKUlvE_clEvENKUlvE3_clEvEUlS3_S3_E_EEvPT_PKSA_jjjSA_T0_.private_seg_size, 0
	.set _ZN2at6native32tensor_kernel_scan_innermost_dimIN3c104HalfEZZZNS0_31launch_logcumsumexp_cuda_kernelERKNS_10TensorBaseES6_lENKUlvE_clEvENKUlvE3_clEvEUlS3_S3_E_EEvPT_PKSA_jjjSA_T0_.uses_vcc, 1
	.set _ZN2at6native32tensor_kernel_scan_innermost_dimIN3c104HalfEZZZNS0_31launch_logcumsumexp_cuda_kernelERKNS_10TensorBaseES6_lENKUlvE_clEvENKUlvE3_clEvEUlS3_S3_E_EEvPT_PKSA_jjjSA_T0_.uses_flat_scratch, 0
	.set _ZN2at6native32tensor_kernel_scan_innermost_dimIN3c104HalfEZZZNS0_31launch_logcumsumexp_cuda_kernelERKNS_10TensorBaseES6_lENKUlvE_clEvENKUlvE3_clEvEUlS3_S3_E_EEvPT_PKSA_jjjSA_T0_.has_dyn_sized_stack, 0
	.set _ZN2at6native32tensor_kernel_scan_innermost_dimIN3c104HalfEZZZNS0_31launch_logcumsumexp_cuda_kernelERKNS_10TensorBaseES6_lENKUlvE_clEvENKUlvE3_clEvEUlS3_S3_E_EEvPT_PKSA_jjjSA_T0_.has_recursion, 0
	.set _ZN2at6native32tensor_kernel_scan_innermost_dimIN3c104HalfEZZZNS0_31launch_logcumsumexp_cuda_kernelERKNS_10TensorBaseES6_lENKUlvE_clEvENKUlvE3_clEvEUlS3_S3_E_EEvPT_PKSA_jjjSA_T0_.has_indirect_call, 0
	.section	.AMDGPU.csdata,"",@progbits
; Kernel info:
; codeLenInByte = 4632
; TotalNumSgprs: 30
; NumVgprs: 31
; ScratchSize: 0
; MemoryBound: 0
; FloatMode: 240
; IeeeMode: 1
; LDSByteSize: 0 bytes/workgroup (compile time only)
; SGPRBlocks: 0
; VGPRBlocks: 3
; NumSGPRsForWavesPerEU: 30
; NumVGPRsForWavesPerEU: 31
; Occupancy: 16
; WaveLimiterHint : 0
; COMPUTE_PGM_RSRC2:SCRATCH_EN: 0
; COMPUTE_PGM_RSRC2:USER_SGPR: 6
; COMPUTE_PGM_RSRC2:TRAP_HANDLER: 0
; COMPUTE_PGM_RSRC2:TGID_X_EN: 1
; COMPUTE_PGM_RSRC2:TGID_Y_EN: 0
; COMPUTE_PGM_RSRC2:TGID_Z_EN: 0
; COMPUTE_PGM_RSRC2:TIDIG_COMP_CNT: 1
	.section	.text._ZN2at6native28tensor_kernel_scan_outer_dimIN3c104HalfEjZZZNS0_31launch_logcumsumexp_cuda_kernelERKNS_10TensorBaseES6_lENKUlvE_clEvENKUlvE3_clEvEUlS3_S3_E_EEvPT_PKSA_jjjSA_T1_,"axG",@progbits,_ZN2at6native28tensor_kernel_scan_outer_dimIN3c104HalfEjZZZNS0_31launch_logcumsumexp_cuda_kernelERKNS_10TensorBaseES6_lENKUlvE_clEvENKUlvE3_clEvEUlS3_S3_E_EEvPT_PKSA_jjjSA_T1_,comdat
	.globl	_ZN2at6native28tensor_kernel_scan_outer_dimIN3c104HalfEjZZZNS0_31launch_logcumsumexp_cuda_kernelERKNS_10TensorBaseES6_lENKUlvE_clEvENKUlvE3_clEvEUlS3_S3_E_EEvPT_PKSA_jjjSA_T1_ ; -- Begin function _ZN2at6native28tensor_kernel_scan_outer_dimIN3c104HalfEjZZZNS0_31launch_logcumsumexp_cuda_kernelERKNS_10TensorBaseES6_lENKUlvE_clEvENKUlvE3_clEvEUlS3_S3_E_EEvPT_PKSA_jjjSA_T1_
	.p2align	8
	.type	_ZN2at6native28tensor_kernel_scan_outer_dimIN3c104HalfEjZZZNS0_31launch_logcumsumexp_cuda_kernelERKNS_10TensorBaseES6_lENKUlvE_clEvENKUlvE3_clEvEUlS3_S3_E_EEvPT_PKSA_jjjSA_T1_,@function
_ZN2at6native28tensor_kernel_scan_outer_dimIN3c104HalfEjZZZNS0_31launch_logcumsumexp_cuda_kernelERKNS_10TensorBaseES6_lENKUlvE_clEvENKUlvE3_clEvEUlS3_S3_E_EEvPT_PKSA_jjjSA_T1_: ; @_ZN2at6native28tensor_kernel_scan_outer_dimIN3c104HalfEjZZZNS0_31launch_logcumsumexp_cuda_kernelERKNS_10TensorBaseES6_lENKUlvE_clEvENKUlvE3_clEvEUlS3_S3_E_EEvPT_PKSA_jjjSA_T1_
; %bb.0:
	s_load_dwordx4 s[8:11], s[4:5], 0x10
	s_waitcnt lgkmcnt(0)
	s_cmp_ge_u32 s6, s8
	s_cbranch_scc1 .LBB435_11
; %bb.1:
	s_clause 0x2
	s_load_dword s0, s[4:5], 0x2c
	s_load_dword s1, s[4:5], 0x20
	s_load_dwordx4 s[12:15], s[4:5], 0x0
	s_add_u32 s2, s4, 32
	s_addc_u32 s3, s5, 0
	s_mul_i32 s4, s6, s10
	v_mov_b32_e32 v2, 0
	s_mov_b32 s17, 0
	s_mov_b32 s16, s9
	s_mul_i32 s18, s4, s9
	s_mov_b32 s22, 0x3e9b6dac
	s_waitcnt lgkmcnt(0)
	s_and_b32 s20, s0, 0xffff
	s_cmp_lg_u32 s10, 0
	v_mad_u64_u32 v[0:1], null, s7, s20, v[0:1]
	s_mul_i32 s7, s1, s10
	s_cselect_b32 s21, -1, 0
	s_mul_i32 s7, s7, s9
	s_lshl_b64 s[4:5], s[16:17], 1
	s_mov_b32 s16, s18
	v_cmp_gt_u32_e64 s0, s9, v0
	s_branch .LBB435_3
.LBB435_2:                              ;   in Loop: Header=BB435_3 Depth=1
	s_or_b32 exec_lo, exec_lo, s23
	s_add_i32 s6, s1, s6
	s_add_i32 s16, s16, s7
	s_cmp_ge_u32 s6, s8
	s_cbranch_scc1 .LBB435_11
.LBB435_3:                              ; =>This Loop Header: Depth=1
                                        ;     Child Loop BB435_6 Depth 2
                                        ;       Child Loop BB435_9 Depth 3
	s_and_saveexec_b32 s23, s0
	s_cbranch_execz .LBB435_2
; %bb.4:                                ;   in Loop: Header=BB435_3 Depth=1
	s_load_dword s24, s[2:3], 0x4
	v_mov_b32_e32 v1, v0
	s_lshl_b64 s[18:19], s[16:17], 1
	s_mov_b32 s25, 0
	s_waitcnt lgkmcnt(0)
	s_mul_i32 s24, s24, s20
	s_branch .LBB435_6
.LBB435_5:                              ;   in Loop: Header=BB435_6 Depth=2
	v_add_nc_u32_e32 v1, s24, v1
	v_cmp_le_u32_e32 vcc_lo, s9, v1
	s_or_b32 s25, vcc_lo, s25
	s_andn2_b32 exec_lo, exec_lo, s25
	s_cbranch_execz .LBB435_2
.LBB435_6:                              ;   Parent Loop BB435_3 Depth=1
                                        ; =>  This Loop Header: Depth=2
                                        ;       Child Loop BB435_9 Depth 3
	s_andn2_b32 vcc_lo, exec_lo, s21
	s_cbranch_vccnz .LBB435_5
; %bb.7:                                ;   in Loop: Header=BB435_6 Depth=2
	v_lshlrev_b64 v[3:4], 1, v[1:2]
	v_mov_b32_e32 v6, s11
	s_mov_b32 s26, s10
	v_add_co_u32 v3, vcc_lo, s18, v3
	v_add_co_ci_u32_e64 v4, null, s19, v4, vcc_lo
	s_branch .LBB435_9
.LBB435_8:                              ;   in Loop: Header=BB435_9 Depth=3
	s_or_b32 exec_lo, exec_lo, s27
	v_add_co_u32 v7, vcc_lo, s12, v3
	v_add_co_ci_u32_e64 v8, null, s13, v4, vcc_lo
	v_add_co_u32 v3, vcc_lo, v3, s4
	v_add_co_ci_u32_e64 v4, null, s5, v4, vcc_lo
	s_add_i32 s26, s26, -1
	global_store_short v[7:8], v6, off
	s_cmp_eq_u32 s26, 0
	s_cbranch_scc1 .LBB435_5
.LBB435_9:                              ;   Parent Loop BB435_3 Depth=1
                                        ;     Parent Loop BB435_6 Depth=2
                                        ; =>    This Inner Loop Header: Depth=3
	v_add_co_u32 v7, vcc_lo, s14, v3
	v_add_co_ci_u32_e64 v8, null, s15, v4, vcc_lo
	v_cmp_u_f16_e32 vcc_lo, v6, v6
	global_load_ushort v5, v[7:8], off
	v_cvt_f32_f16_e32 v7, v6
	s_waitcnt vmcnt(0)
	v_cvt_f32_f16_e32 v8, v5
	v_min_f32_e32 v9, v7, v8
	v_max_f32_e32 v10, v7, v8
	v_cndmask_b32_e32 v9, v9, v7, vcc_lo
	v_cndmask_b32_e32 v10, v10, v7, vcc_lo
	v_cmp_u_f16_e32 vcc_lo, v5, v5
	v_cndmask_b32_e32 v7, v9, v8, vcc_lo
	v_cndmask_b32_e32 v5, v10, v8, vcc_lo
	v_cmp_class_f32_e64 s27, v7, 0x1f8
	v_cmp_neq_f32_e32 vcc_lo, v7, v5
	s_or_b32 s28, vcc_lo, s27
	s_and_saveexec_b32 s27, s28
	s_cbranch_execz .LBB435_8
; %bb.10:                               ;   in Loop: Header=BB435_9 Depth=3
	v_sub_f32_e32 v6, v7, v5
	v_mul_f32_e32 v7, 0x3fb8aa3b, v6
	v_cmp_ngt_f32_e32 vcc_lo, 0xc2ce8ed0, v6
	v_fma_f32 v8, 0x3fb8aa3b, v6, -v7
	v_rndne_f32_e32 v9, v7
	v_fmac_f32_e32 v8, 0x32a5705f, v6
	v_sub_f32_e32 v7, v7, v9
	v_add_f32_e32 v7, v7, v8
	v_cvt_i32_f32_e32 v8, v9
	v_exp_f32_e32 v7, v7
	v_ldexp_f32 v7, v7, v8
	v_cndmask_b32_e32 v7, 0, v7, vcc_lo
	v_cmp_nlt_f32_e32 vcc_lo, 0x42b17218, v6
	v_cndmask_b32_e32 v8, 0x7f800000, v7, vcc_lo
	v_add_f32_e32 v9, 1.0, v8
	v_cvt_f64_f32_e32 v[6:7], v9
	v_frexp_exp_i32_f64_e32 v6, v[6:7]
	v_frexp_mant_f32_e32 v7, v9
	v_cmp_gt_f32_e32 vcc_lo, 0x3f2aaaab, v7
	v_add_f32_e32 v7, -1.0, v9
	v_sub_f32_e32 v11, v7, v9
	v_sub_f32_e32 v7, v8, v7
	v_add_f32_e32 v11, 1.0, v11
	v_add_f32_e32 v7, v7, v11
	v_subrev_co_ci_u32_e64 v6, null, 0, v6, vcc_lo
	v_cmp_neq_f32_e32 vcc_lo, 0x7f800000, v8
	v_sub_nc_u32_e32 v10, 0, v6
	v_cvt_f32_i32_e32 v6, v6
	v_ldexp_f32 v9, v9, v10
	v_ldexp_f32 v7, v7, v10
	v_add_f32_e32 v12, 1.0, v9
	v_add_f32_e32 v10, -1.0, v9
	v_add_f32_e32 v11, -1.0, v12
	v_add_f32_e32 v13, 1.0, v10
	v_sub_f32_e32 v11, v9, v11
	v_sub_f32_e32 v9, v9, v13
	v_add_f32_e32 v11, v7, v11
	v_add_f32_e32 v7, v7, v9
	;; [unrolled: 1-line block ×4, first 2 shown]
	v_rcp_f32_e32 v9, v13
	v_sub_f32_e32 v12, v12, v13
	v_sub_f32_e32 v10, v10, v14
	v_add_f32_e32 v11, v11, v12
	v_add_f32_e32 v7, v7, v10
	v_mul_f32_e32 v15, v14, v9
	v_mul_f32_e32 v16, v13, v15
	v_fma_f32 v12, v15, v13, -v16
	v_fmac_f32_e32 v12, v15, v11
	v_add_f32_e32 v17, v16, v12
	v_sub_f32_e32 v18, v14, v17
	v_sub_f32_e32 v10, v17, v16
	;; [unrolled: 1-line block ×5, first 2 shown]
	v_add_f32_e32 v7, v7, v14
	v_add_f32_e32 v7, v10, v7
	;; [unrolled: 1-line block ×3, first 2 shown]
	v_mul_f32_e32 v12, v9, v10
	v_sub_f32_e32 v17, v18, v10
	v_mul_f32_e32 v14, v13, v12
	v_add_f32_e32 v7, v7, v17
	v_fma_f32 v13, v12, v13, -v14
	v_fmac_f32_e32 v13, v12, v11
	v_add_f32_e32 v11, v14, v13
	v_sub_f32_e32 v16, v10, v11
	v_sub_f32_e32 v14, v11, v14
	;; [unrolled: 1-line block ×5, first 2 shown]
	v_add_f32_e32 v7, v7, v10
	v_add_f32_e32 v10, v15, v12
	;; [unrolled: 1-line block ×3, first 2 shown]
	v_sub_f32_e32 v11, v10, v15
	v_add_f32_e32 v7, v16, v7
	v_sub_f32_e32 v11, v12, v11
	v_mul_f32_e32 v7, v9, v7
	v_add_f32_e32 v7, v11, v7
	v_add_f32_e32 v9, v10, v7
	v_mul_f32_e32 v11, v9, v9
	v_fmaak_f32 v12, s22, v11, 0x3ecc95a3
	v_mul_f32_e32 v13, v9, v11
	v_fmaak_f32 v11, v11, v12, 0x3f2aaada
	v_ldexp_f32 v12, v9, 1
	v_sub_f32_e32 v9, v9, v10
	v_mul_f32_e32 v11, v13, v11
	v_mul_f32_e32 v13, 0x3f317218, v6
	v_sub_f32_e32 v7, v7, v9
	v_add_f32_e32 v10, v12, v11
	v_ldexp_f32 v7, v7, 1
	v_sub_f32_e32 v9, v10, v12
	v_fma_f32 v12, 0x3f317218, v6, -v13
	v_sub_f32_e32 v9, v11, v9
	v_fmac_f32_e32 v12, 0xb102e308, v6
	v_add_f32_e32 v6, v7, v9
	v_add_f32_e32 v7, v13, v12
	;; [unrolled: 1-line block ×3, first 2 shown]
	v_sub_f32_e32 v13, v7, v13
	v_add_f32_e32 v11, v7, v9
	v_sub_f32_e32 v10, v9, v10
	v_sub_f32_e32 v12, v12, v13
	;; [unrolled: 1-line block ×6, first 2 shown]
	v_add_f32_e32 v10, v12, v6
	v_sub_f32_e32 v7, v7, v15
	v_add_f32_e32 v7, v9, v7
	v_sub_f32_e32 v9, v10, v12
	;; [unrolled: 2-line block ×3, first 2 shown]
	v_sub_f32_e32 v6, v6, v9
	v_add_f32_e32 v13, v11, v7
	v_sub_f32_e32 v10, v12, v10
	v_sub_f32_e32 v9, v13, v11
	v_add_f32_e32 v6, v6, v10
	v_sub_f32_e32 v7, v7, v9
	v_add_f32_e32 v6, v6, v7
	v_add_f32_e32 v6, v13, v6
	v_cndmask_b32_e32 v6, 0x7f800000, v6, vcc_lo
	v_cmp_gt_f32_e64 vcc_lo, 0x33800000, |v8|
	v_cndmask_b32_e32 v6, v6, v8, vcc_lo
	v_add_f32_e32 v5, v5, v6
	v_cvt_f16_f32_e32 v6, v5
	s_branch .LBB435_8
.LBB435_11:
	s_endpgm
	.section	.rodata,"a",@progbits
	.p2align	6, 0x0
	.amdhsa_kernel _ZN2at6native28tensor_kernel_scan_outer_dimIN3c104HalfEjZZZNS0_31launch_logcumsumexp_cuda_kernelERKNS_10TensorBaseES6_lENKUlvE_clEvENKUlvE3_clEvEUlS3_S3_E_EEvPT_PKSA_jjjSA_T1_
		.amdhsa_group_segment_fixed_size 0
		.amdhsa_private_segment_fixed_size 0
		.amdhsa_kernarg_size 288
		.amdhsa_user_sgpr_count 6
		.amdhsa_user_sgpr_private_segment_buffer 1
		.amdhsa_user_sgpr_dispatch_ptr 0
		.amdhsa_user_sgpr_queue_ptr 0
		.amdhsa_user_sgpr_kernarg_segment_ptr 1
		.amdhsa_user_sgpr_dispatch_id 0
		.amdhsa_user_sgpr_flat_scratch_init 0
		.amdhsa_user_sgpr_private_segment_size 0
		.amdhsa_wavefront_size32 1
		.amdhsa_uses_dynamic_stack 0
		.amdhsa_system_sgpr_private_segment_wavefront_offset 0
		.amdhsa_system_sgpr_workgroup_id_x 1
		.amdhsa_system_sgpr_workgroup_id_y 1
		.amdhsa_system_sgpr_workgroup_id_z 0
		.amdhsa_system_sgpr_workgroup_info 0
		.amdhsa_system_vgpr_workitem_id 0
		.amdhsa_next_free_vgpr 19
		.amdhsa_next_free_sgpr 29
		.amdhsa_reserve_vcc 1
		.amdhsa_reserve_flat_scratch 0
		.amdhsa_float_round_mode_32 0
		.amdhsa_float_round_mode_16_64 0
		.amdhsa_float_denorm_mode_32 3
		.amdhsa_float_denorm_mode_16_64 3
		.amdhsa_dx10_clamp 1
		.amdhsa_ieee_mode 1
		.amdhsa_fp16_overflow 0
		.amdhsa_workgroup_processor_mode 1
		.amdhsa_memory_ordered 1
		.amdhsa_forward_progress 1
		.amdhsa_shared_vgpr_count 0
		.amdhsa_exception_fp_ieee_invalid_op 0
		.amdhsa_exception_fp_denorm_src 0
		.amdhsa_exception_fp_ieee_div_zero 0
		.amdhsa_exception_fp_ieee_overflow 0
		.amdhsa_exception_fp_ieee_underflow 0
		.amdhsa_exception_fp_ieee_inexact 0
		.amdhsa_exception_int_div_zero 0
	.end_amdhsa_kernel
	.section	.text._ZN2at6native28tensor_kernel_scan_outer_dimIN3c104HalfEjZZZNS0_31launch_logcumsumexp_cuda_kernelERKNS_10TensorBaseES6_lENKUlvE_clEvENKUlvE3_clEvEUlS3_S3_E_EEvPT_PKSA_jjjSA_T1_,"axG",@progbits,_ZN2at6native28tensor_kernel_scan_outer_dimIN3c104HalfEjZZZNS0_31launch_logcumsumexp_cuda_kernelERKNS_10TensorBaseES6_lENKUlvE_clEvENKUlvE3_clEvEUlS3_S3_E_EEvPT_PKSA_jjjSA_T1_,comdat
.Lfunc_end435:
	.size	_ZN2at6native28tensor_kernel_scan_outer_dimIN3c104HalfEjZZZNS0_31launch_logcumsumexp_cuda_kernelERKNS_10TensorBaseES6_lENKUlvE_clEvENKUlvE3_clEvEUlS3_S3_E_EEvPT_PKSA_jjjSA_T1_, .Lfunc_end435-_ZN2at6native28tensor_kernel_scan_outer_dimIN3c104HalfEjZZZNS0_31launch_logcumsumexp_cuda_kernelERKNS_10TensorBaseES6_lENKUlvE_clEvENKUlvE3_clEvEUlS3_S3_E_EEvPT_PKSA_jjjSA_T1_
                                        ; -- End function
	.set _ZN2at6native28tensor_kernel_scan_outer_dimIN3c104HalfEjZZZNS0_31launch_logcumsumexp_cuda_kernelERKNS_10TensorBaseES6_lENKUlvE_clEvENKUlvE3_clEvEUlS3_S3_E_EEvPT_PKSA_jjjSA_T1_.num_vgpr, 19
	.set _ZN2at6native28tensor_kernel_scan_outer_dimIN3c104HalfEjZZZNS0_31launch_logcumsumexp_cuda_kernelERKNS_10TensorBaseES6_lENKUlvE_clEvENKUlvE3_clEvEUlS3_S3_E_EEvPT_PKSA_jjjSA_T1_.num_agpr, 0
	.set _ZN2at6native28tensor_kernel_scan_outer_dimIN3c104HalfEjZZZNS0_31launch_logcumsumexp_cuda_kernelERKNS_10TensorBaseES6_lENKUlvE_clEvENKUlvE3_clEvEUlS3_S3_E_EEvPT_PKSA_jjjSA_T1_.numbered_sgpr, 29
	.set _ZN2at6native28tensor_kernel_scan_outer_dimIN3c104HalfEjZZZNS0_31launch_logcumsumexp_cuda_kernelERKNS_10TensorBaseES6_lENKUlvE_clEvENKUlvE3_clEvEUlS3_S3_E_EEvPT_PKSA_jjjSA_T1_.num_named_barrier, 0
	.set _ZN2at6native28tensor_kernel_scan_outer_dimIN3c104HalfEjZZZNS0_31launch_logcumsumexp_cuda_kernelERKNS_10TensorBaseES6_lENKUlvE_clEvENKUlvE3_clEvEUlS3_S3_E_EEvPT_PKSA_jjjSA_T1_.private_seg_size, 0
	.set _ZN2at6native28tensor_kernel_scan_outer_dimIN3c104HalfEjZZZNS0_31launch_logcumsumexp_cuda_kernelERKNS_10TensorBaseES6_lENKUlvE_clEvENKUlvE3_clEvEUlS3_S3_E_EEvPT_PKSA_jjjSA_T1_.uses_vcc, 1
	.set _ZN2at6native28tensor_kernel_scan_outer_dimIN3c104HalfEjZZZNS0_31launch_logcumsumexp_cuda_kernelERKNS_10TensorBaseES6_lENKUlvE_clEvENKUlvE3_clEvEUlS3_S3_E_EEvPT_PKSA_jjjSA_T1_.uses_flat_scratch, 0
	.set _ZN2at6native28tensor_kernel_scan_outer_dimIN3c104HalfEjZZZNS0_31launch_logcumsumexp_cuda_kernelERKNS_10TensorBaseES6_lENKUlvE_clEvENKUlvE3_clEvEUlS3_S3_E_EEvPT_PKSA_jjjSA_T1_.has_dyn_sized_stack, 0
	.set _ZN2at6native28tensor_kernel_scan_outer_dimIN3c104HalfEjZZZNS0_31launch_logcumsumexp_cuda_kernelERKNS_10TensorBaseES6_lENKUlvE_clEvENKUlvE3_clEvEUlS3_S3_E_EEvPT_PKSA_jjjSA_T1_.has_recursion, 0
	.set _ZN2at6native28tensor_kernel_scan_outer_dimIN3c104HalfEjZZZNS0_31launch_logcumsumexp_cuda_kernelERKNS_10TensorBaseES6_lENKUlvE_clEvENKUlvE3_clEvEUlS3_S3_E_EEvPT_PKSA_jjjSA_T1_.has_indirect_call, 0
	.section	.AMDGPU.csdata,"",@progbits
; Kernel info:
; codeLenInByte = 1024
; TotalNumSgprs: 31
; NumVgprs: 19
; ScratchSize: 0
; MemoryBound: 0
; FloatMode: 240
; IeeeMode: 1
; LDSByteSize: 0 bytes/workgroup (compile time only)
; SGPRBlocks: 0
; VGPRBlocks: 2
; NumSGPRsForWavesPerEU: 31
; NumVGPRsForWavesPerEU: 19
; Occupancy: 16
; WaveLimiterHint : 0
; COMPUTE_PGM_RSRC2:SCRATCH_EN: 0
; COMPUTE_PGM_RSRC2:USER_SGPR: 6
; COMPUTE_PGM_RSRC2:TRAP_HANDLER: 0
; COMPUTE_PGM_RSRC2:TGID_X_EN: 1
; COMPUTE_PGM_RSRC2:TGID_Y_EN: 1
; COMPUTE_PGM_RSRC2:TGID_Z_EN: 0
; COMPUTE_PGM_RSRC2:TIDIG_COMP_CNT: 0
	.section	.text._ZN2at6native28tensor_kernel_scan_outer_dimIN3c104HalfEmZZZNS0_31launch_logcumsumexp_cuda_kernelERKNS_10TensorBaseES6_lENKUlvE_clEvENKUlvE3_clEvEUlS3_S3_E_EEvPT_PKSA_jjjSA_T1_,"axG",@progbits,_ZN2at6native28tensor_kernel_scan_outer_dimIN3c104HalfEmZZZNS0_31launch_logcumsumexp_cuda_kernelERKNS_10TensorBaseES6_lENKUlvE_clEvENKUlvE3_clEvEUlS3_S3_E_EEvPT_PKSA_jjjSA_T1_,comdat
	.globl	_ZN2at6native28tensor_kernel_scan_outer_dimIN3c104HalfEmZZZNS0_31launch_logcumsumexp_cuda_kernelERKNS_10TensorBaseES6_lENKUlvE_clEvENKUlvE3_clEvEUlS3_S3_E_EEvPT_PKSA_jjjSA_T1_ ; -- Begin function _ZN2at6native28tensor_kernel_scan_outer_dimIN3c104HalfEmZZZNS0_31launch_logcumsumexp_cuda_kernelERKNS_10TensorBaseES6_lENKUlvE_clEvENKUlvE3_clEvEUlS3_S3_E_EEvPT_PKSA_jjjSA_T1_
	.p2align	8
	.type	_ZN2at6native28tensor_kernel_scan_outer_dimIN3c104HalfEmZZZNS0_31launch_logcumsumexp_cuda_kernelERKNS_10TensorBaseES6_lENKUlvE_clEvENKUlvE3_clEvEUlS3_S3_E_EEvPT_PKSA_jjjSA_T1_,@function
_ZN2at6native28tensor_kernel_scan_outer_dimIN3c104HalfEmZZZNS0_31launch_logcumsumexp_cuda_kernelERKNS_10TensorBaseES6_lENKUlvE_clEvENKUlvE3_clEvEUlS3_S3_E_EEvPT_PKSA_jjjSA_T1_: ; @_ZN2at6native28tensor_kernel_scan_outer_dimIN3c104HalfEmZZZNS0_31launch_logcumsumexp_cuda_kernelERKNS_10TensorBaseES6_lENKUlvE_clEvENKUlvE3_clEvEUlS3_S3_E_EEvPT_PKSA_jjjSA_T1_
; %bb.0:
	s_load_dwordx4 s[8:11], s[4:5], 0x10
	s_waitcnt lgkmcnt(0)
	s_cmp_ge_u32 s6, s8
	s_cbranch_scc1 .LBB436_11
; %bb.1:
	s_clause 0x2
	s_load_dword s0, s[4:5], 0x2c
	s_load_dwordx4 s[12:15], s[4:5], 0x0
	s_load_dword s1, s[4:5], 0x20
	s_add_u32 s2, s4, 32
	s_addc_u32 s3, s5, 0
	v_mov_b32_e32 v2, 0
	s_mov_b32 s17, 0
	s_mov_b32 s16, s9
	s_mul_hi_u32 s5, s10, s9
	s_mul_i32 s4, s10, s9
	s_mov_b32 s19, 0x3e9b6dac
	s_waitcnt lgkmcnt(0)
	s_and_b32 s18, s0, 0xffff
	s_cmp_lg_u32 s10, 0
	v_mad_u64_u32 v[0:1], null, s7, s18, v[0:1]
	s_cselect_b32 s7, -1, 0
	s_lshl_b64 s[4:5], s[4:5], 1
	s_lshl_b64 s[16:17], s[16:17], 1
	v_cmp_gt_u32_e64 s0, s9, v0
	s_branch .LBB436_3
.LBB436_2:                              ;   in Loop: Header=BB436_3 Depth=1
	s_or_b32 exec_lo, exec_lo, s20
	s_add_i32 s6, s6, s1
	s_cmp_ge_u32 s6, s8
	s_cbranch_scc1 .LBB436_11
.LBB436_3:                              ; =>This Loop Header: Depth=1
                                        ;     Child Loop BB436_6 Depth 2
                                        ;       Child Loop BB436_9 Depth 3
	s_and_saveexec_b32 s20, s0
	s_cbranch_execz .LBB436_2
; %bb.4:                                ;   in Loop: Header=BB436_3 Depth=1
	s_load_dword s23, s[2:3], 0x4
	v_mov_b32_e32 v1, v0
	s_mul_i32 s22, s5, s6
	s_mul_hi_u32 s24, s4, s6
	s_mul_i32 s21, s4, s6
	s_add_i32 s22, s24, s22
	s_mov_b32 s24, 0
	s_waitcnt lgkmcnt(0)
	s_mul_i32 s23, s23, s18
	s_branch .LBB436_6
.LBB436_5:                              ;   in Loop: Header=BB436_6 Depth=2
	v_add_nc_u32_e32 v1, s23, v1
	v_cmp_le_u32_e32 vcc_lo, s9, v1
	s_or_b32 s24, vcc_lo, s24
	s_andn2_b32 exec_lo, exec_lo, s24
	s_cbranch_execz .LBB436_2
.LBB436_6:                              ;   Parent Loop BB436_3 Depth=1
                                        ; =>  This Loop Header: Depth=2
                                        ;       Child Loop BB436_9 Depth 3
	s_andn2_b32 vcc_lo, exec_lo, s7
	s_cbranch_vccnz .LBB436_5
; %bb.7:                                ;   in Loop: Header=BB436_6 Depth=2
	v_lshlrev_b64 v[3:4], 1, v[1:2]
	v_mov_b32_e32 v6, s11
	s_mov_b32 s25, s10
	v_add_co_u32 v3, vcc_lo, s21, v3
	v_add_co_ci_u32_e64 v4, null, s22, v4, vcc_lo
	s_branch .LBB436_9
.LBB436_8:                              ;   in Loop: Header=BB436_9 Depth=3
	s_or_b32 exec_lo, exec_lo, s26
	v_add_co_u32 v7, vcc_lo, s12, v3
	v_add_co_ci_u32_e64 v8, null, s13, v4, vcc_lo
	v_add_co_u32 v3, vcc_lo, v3, s16
	v_add_co_ci_u32_e64 v4, null, s17, v4, vcc_lo
	s_add_i32 s25, s25, -1
	global_store_short v[7:8], v6, off
	s_cmp_eq_u32 s25, 0
	s_cbranch_scc1 .LBB436_5
.LBB436_9:                              ;   Parent Loop BB436_3 Depth=1
                                        ;     Parent Loop BB436_6 Depth=2
                                        ; =>    This Inner Loop Header: Depth=3
	v_add_co_u32 v7, vcc_lo, s14, v3
	v_add_co_ci_u32_e64 v8, null, s15, v4, vcc_lo
	v_cmp_u_f16_e32 vcc_lo, v6, v6
	global_load_ushort v5, v[7:8], off
	v_cvt_f32_f16_e32 v7, v6
	s_waitcnt vmcnt(0)
	v_cvt_f32_f16_e32 v8, v5
	v_min_f32_e32 v9, v7, v8
	v_max_f32_e32 v10, v7, v8
	v_cndmask_b32_e32 v9, v9, v7, vcc_lo
	v_cndmask_b32_e32 v10, v10, v7, vcc_lo
	v_cmp_u_f16_e32 vcc_lo, v5, v5
	v_cndmask_b32_e32 v7, v9, v8, vcc_lo
	v_cndmask_b32_e32 v5, v10, v8, vcc_lo
	v_cmp_class_f32_e64 s26, v7, 0x1f8
	v_cmp_neq_f32_e32 vcc_lo, v7, v5
	s_or_b32 s27, vcc_lo, s26
	s_and_saveexec_b32 s26, s27
	s_cbranch_execz .LBB436_8
; %bb.10:                               ;   in Loop: Header=BB436_9 Depth=3
	v_sub_f32_e32 v6, v7, v5
	v_mul_f32_e32 v7, 0x3fb8aa3b, v6
	v_cmp_ngt_f32_e32 vcc_lo, 0xc2ce8ed0, v6
	v_fma_f32 v8, 0x3fb8aa3b, v6, -v7
	v_rndne_f32_e32 v9, v7
	v_fmac_f32_e32 v8, 0x32a5705f, v6
	v_sub_f32_e32 v7, v7, v9
	v_add_f32_e32 v7, v7, v8
	v_cvt_i32_f32_e32 v8, v9
	v_exp_f32_e32 v7, v7
	v_ldexp_f32 v7, v7, v8
	v_cndmask_b32_e32 v7, 0, v7, vcc_lo
	v_cmp_nlt_f32_e32 vcc_lo, 0x42b17218, v6
	v_cndmask_b32_e32 v8, 0x7f800000, v7, vcc_lo
	v_add_f32_e32 v9, 1.0, v8
	v_cvt_f64_f32_e32 v[6:7], v9
	v_frexp_exp_i32_f64_e32 v6, v[6:7]
	v_frexp_mant_f32_e32 v7, v9
	v_cmp_gt_f32_e32 vcc_lo, 0x3f2aaaab, v7
	v_add_f32_e32 v7, -1.0, v9
	v_sub_f32_e32 v11, v7, v9
	v_sub_f32_e32 v7, v8, v7
	v_add_f32_e32 v11, 1.0, v11
	v_add_f32_e32 v7, v7, v11
	v_subrev_co_ci_u32_e64 v6, null, 0, v6, vcc_lo
	v_cmp_neq_f32_e32 vcc_lo, 0x7f800000, v8
	v_sub_nc_u32_e32 v10, 0, v6
	v_cvt_f32_i32_e32 v6, v6
	v_ldexp_f32 v9, v9, v10
	v_ldexp_f32 v7, v7, v10
	v_add_f32_e32 v12, 1.0, v9
	v_add_f32_e32 v10, -1.0, v9
	v_add_f32_e32 v11, -1.0, v12
	v_add_f32_e32 v13, 1.0, v10
	v_sub_f32_e32 v11, v9, v11
	v_sub_f32_e32 v9, v9, v13
	v_add_f32_e32 v11, v7, v11
	v_add_f32_e32 v7, v7, v9
	;; [unrolled: 1-line block ×4, first 2 shown]
	v_rcp_f32_e32 v9, v13
	v_sub_f32_e32 v12, v12, v13
	v_sub_f32_e32 v10, v10, v14
	v_add_f32_e32 v11, v11, v12
	v_add_f32_e32 v7, v7, v10
	v_mul_f32_e32 v15, v14, v9
	v_mul_f32_e32 v16, v13, v15
	v_fma_f32 v12, v15, v13, -v16
	v_fmac_f32_e32 v12, v15, v11
	v_add_f32_e32 v17, v16, v12
	v_sub_f32_e32 v18, v14, v17
	v_sub_f32_e32 v10, v17, v16
	;; [unrolled: 1-line block ×5, first 2 shown]
	v_add_f32_e32 v7, v7, v14
	v_add_f32_e32 v7, v10, v7
	;; [unrolled: 1-line block ×3, first 2 shown]
	v_mul_f32_e32 v12, v9, v10
	v_sub_f32_e32 v17, v18, v10
	v_mul_f32_e32 v14, v13, v12
	v_add_f32_e32 v7, v7, v17
	v_fma_f32 v13, v12, v13, -v14
	v_fmac_f32_e32 v13, v12, v11
	v_add_f32_e32 v11, v14, v13
	v_sub_f32_e32 v16, v10, v11
	v_sub_f32_e32 v14, v11, v14
	;; [unrolled: 1-line block ×5, first 2 shown]
	v_add_f32_e32 v7, v7, v10
	v_add_f32_e32 v10, v15, v12
	v_add_f32_e32 v7, v11, v7
	v_sub_f32_e32 v11, v10, v15
	v_add_f32_e32 v7, v16, v7
	v_sub_f32_e32 v11, v12, v11
	v_mul_f32_e32 v7, v9, v7
	v_add_f32_e32 v7, v11, v7
	v_add_f32_e32 v9, v10, v7
	v_mul_f32_e32 v11, v9, v9
	v_fmaak_f32 v12, s19, v11, 0x3ecc95a3
	v_mul_f32_e32 v13, v9, v11
	v_fmaak_f32 v11, v11, v12, 0x3f2aaada
	v_ldexp_f32 v12, v9, 1
	v_sub_f32_e32 v9, v9, v10
	v_mul_f32_e32 v11, v13, v11
	v_mul_f32_e32 v13, 0x3f317218, v6
	v_sub_f32_e32 v7, v7, v9
	v_add_f32_e32 v10, v12, v11
	v_ldexp_f32 v7, v7, 1
	v_sub_f32_e32 v9, v10, v12
	v_fma_f32 v12, 0x3f317218, v6, -v13
	v_sub_f32_e32 v9, v11, v9
	v_fmac_f32_e32 v12, 0xb102e308, v6
	v_add_f32_e32 v6, v7, v9
	v_add_f32_e32 v7, v13, v12
	;; [unrolled: 1-line block ×3, first 2 shown]
	v_sub_f32_e32 v13, v7, v13
	v_add_f32_e32 v11, v7, v9
	v_sub_f32_e32 v10, v9, v10
	v_sub_f32_e32 v12, v12, v13
	;; [unrolled: 1-line block ×6, first 2 shown]
	v_add_f32_e32 v10, v12, v6
	v_sub_f32_e32 v7, v7, v15
	v_add_f32_e32 v7, v9, v7
	v_sub_f32_e32 v9, v10, v12
	;; [unrolled: 2-line block ×3, first 2 shown]
	v_sub_f32_e32 v6, v6, v9
	v_add_f32_e32 v13, v11, v7
	v_sub_f32_e32 v10, v12, v10
	v_sub_f32_e32 v9, v13, v11
	v_add_f32_e32 v6, v6, v10
	v_sub_f32_e32 v7, v7, v9
	v_add_f32_e32 v6, v6, v7
	v_add_f32_e32 v6, v13, v6
	v_cndmask_b32_e32 v6, 0x7f800000, v6, vcc_lo
	v_cmp_gt_f32_e64 vcc_lo, 0x33800000, |v8|
	v_cndmask_b32_e32 v6, v6, v8, vcc_lo
	v_add_f32_e32 v5, v5, v6
	v_cvt_f16_f32_e32 v6, v5
	s_branch .LBB436_8
.LBB436_11:
	s_endpgm
	.section	.rodata,"a",@progbits
	.p2align	6, 0x0
	.amdhsa_kernel _ZN2at6native28tensor_kernel_scan_outer_dimIN3c104HalfEmZZZNS0_31launch_logcumsumexp_cuda_kernelERKNS_10TensorBaseES6_lENKUlvE_clEvENKUlvE3_clEvEUlS3_S3_E_EEvPT_PKSA_jjjSA_T1_
		.amdhsa_group_segment_fixed_size 0
		.amdhsa_private_segment_fixed_size 0
		.amdhsa_kernarg_size 288
		.amdhsa_user_sgpr_count 6
		.amdhsa_user_sgpr_private_segment_buffer 1
		.amdhsa_user_sgpr_dispatch_ptr 0
		.amdhsa_user_sgpr_queue_ptr 0
		.amdhsa_user_sgpr_kernarg_segment_ptr 1
		.amdhsa_user_sgpr_dispatch_id 0
		.amdhsa_user_sgpr_flat_scratch_init 0
		.amdhsa_user_sgpr_private_segment_size 0
		.amdhsa_wavefront_size32 1
		.amdhsa_uses_dynamic_stack 0
		.amdhsa_system_sgpr_private_segment_wavefront_offset 0
		.amdhsa_system_sgpr_workgroup_id_x 1
		.amdhsa_system_sgpr_workgroup_id_y 1
		.amdhsa_system_sgpr_workgroup_id_z 0
		.amdhsa_system_sgpr_workgroup_info 0
		.amdhsa_system_vgpr_workitem_id 0
		.amdhsa_next_free_vgpr 19
		.amdhsa_next_free_sgpr 28
		.amdhsa_reserve_vcc 1
		.amdhsa_reserve_flat_scratch 0
		.amdhsa_float_round_mode_32 0
		.amdhsa_float_round_mode_16_64 0
		.amdhsa_float_denorm_mode_32 3
		.amdhsa_float_denorm_mode_16_64 3
		.amdhsa_dx10_clamp 1
		.amdhsa_ieee_mode 1
		.amdhsa_fp16_overflow 0
		.amdhsa_workgroup_processor_mode 1
		.amdhsa_memory_ordered 1
		.amdhsa_forward_progress 1
		.amdhsa_shared_vgpr_count 0
		.amdhsa_exception_fp_ieee_invalid_op 0
		.amdhsa_exception_fp_denorm_src 0
		.amdhsa_exception_fp_ieee_div_zero 0
		.amdhsa_exception_fp_ieee_overflow 0
		.amdhsa_exception_fp_ieee_underflow 0
		.amdhsa_exception_fp_ieee_inexact 0
		.amdhsa_exception_int_div_zero 0
	.end_amdhsa_kernel
	.section	.text._ZN2at6native28tensor_kernel_scan_outer_dimIN3c104HalfEmZZZNS0_31launch_logcumsumexp_cuda_kernelERKNS_10TensorBaseES6_lENKUlvE_clEvENKUlvE3_clEvEUlS3_S3_E_EEvPT_PKSA_jjjSA_T1_,"axG",@progbits,_ZN2at6native28tensor_kernel_scan_outer_dimIN3c104HalfEmZZZNS0_31launch_logcumsumexp_cuda_kernelERKNS_10TensorBaseES6_lENKUlvE_clEvENKUlvE3_clEvEUlS3_S3_E_EEvPT_PKSA_jjjSA_T1_,comdat
.Lfunc_end436:
	.size	_ZN2at6native28tensor_kernel_scan_outer_dimIN3c104HalfEmZZZNS0_31launch_logcumsumexp_cuda_kernelERKNS_10TensorBaseES6_lENKUlvE_clEvENKUlvE3_clEvEUlS3_S3_E_EEvPT_PKSA_jjjSA_T1_, .Lfunc_end436-_ZN2at6native28tensor_kernel_scan_outer_dimIN3c104HalfEmZZZNS0_31launch_logcumsumexp_cuda_kernelERKNS_10TensorBaseES6_lENKUlvE_clEvENKUlvE3_clEvEUlS3_S3_E_EEvPT_PKSA_jjjSA_T1_
                                        ; -- End function
	.set _ZN2at6native28tensor_kernel_scan_outer_dimIN3c104HalfEmZZZNS0_31launch_logcumsumexp_cuda_kernelERKNS_10TensorBaseES6_lENKUlvE_clEvENKUlvE3_clEvEUlS3_S3_E_EEvPT_PKSA_jjjSA_T1_.num_vgpr, 19
	.set _ZN2at6native28tensor_kernel_scan_outer_dimIN3c104HalfEmZZZNS0_31launch_logcumsumexp_cuda_kernelERKNS_10TensorBaseES6_lENKUlvE_clEvENKUlvE3_clEvEUlS3_S3_E_EEvPT_PKSA_jjjSA_T1_.num_agpr, 0
	.set _ZN2at6native28tensor_kernel_scan_outer_dimIN3c104HalfEmZZZNS0_31launch_logcumsumexp_cuda_kernelERKNS_10TensorBaseES6_lENKUlvE_clEvENKUlvE3_clEvEUlS3_S3_E_EEvPT_PKSA_jjjSA_T1_.numbered_sgpr, 28
	.set _ZN2at6native28tensor_kernel_scan_outer_dimIN3c104HalfEmZZZNS0_31launch_logcumsumexp_cuda_kernelERKNS_10TensorBaseES6_lENKUlvE_clEvENKUlvE3_clEvEUlS3_S3_E_EEvPT_PKSA_jjjSA_T1_.num_named_barrier, 0
	.set _ZN2at6native28tensor_kernel_scan_outer_dimIN3c104HalfEmZZZNS0_31launch_logcumsumexp_cuda_kernelERKNS_10TensorBaseES6_lENKUlvE_clEvENKUlvE3_clEvEUlS3_S3_E_EEvPT_PKSA_jjjSA_T1_.private_seg_size, 0
	.set _ZN2at6native28tensor_kernel_scan_outer_dimIN3c104HalfEmZZZNS0_31launch_logcumsumexp_cuda_kernelERKNS_10TensorBaseES6_lENKUlvE_clEvENKUlvE3_clEvEUlS3_S3_E_EEvPT_PKSA_jjjSA_T1_.uses_vcc, 1
	.set _ZN2at6native28tensor_kernel_scan_outer_dimIN3c104HalfEmZZZNS0_31launch_logcumsumexp_cuda_kernelERKNS_10TensorBaseES6_lENKUlvE_clEvENKUlvE3_clEvEUlS3_S3_E_EEvPT_PKSA_jjjSA_T1_.uses_flat_scratch, 0
	.set _ZN2at6native28tensor_kernel_scan_outer_dimIN3c104HalfEmZZZNS0_31launch_logcumsumexp_cuda_kernelERKNS_10TensorBaseES6_lENKUlvE_clEvENKUlvE3_clEvEUlS3_S3_E_EEvPT_PKSA_jjjSA_T1_.has_dyn_sized_stack, 0
	.set _ZN2at6native28tensor_kernel_scan_outer_dimIN3c104HalfEmZZZNS0_31launch_logcumsumexp_cuda_kernelERKNS_10TensorBaseES6_lENKUlvE_clEvENKUlvE3_clEvEUlS3_S3_E_EEvPT_PKSA_jjjSA_T1_.has_recursion, 0
	.set _ZN2at6native28tensor_kernel_scan_outer_dimIN3c104HalfEmZZZNS0_31launch_logcumsumexp_cuda_kernelERKNS_10TensorBaseES6_lENKUlvE_clEvENKUlvE3_clEvEUlS3_S3_E_EEvPT_PKSA_jjjSA_T1_.has_indirect_call, 0
	.section	.AMDGPU.csdata,"",@progbits
; Kernel info:
; codeLenInByte = 1024
; TotalNumSgprs: 30
; NumVgprs: 19
; ScratchSize: 0
; MemoryBound: 0
; FloatMode: 240
; IeeeMode: 1
; LDSByteSize: 0 bytes/workgroup (compile time only)
; SGPRBlocks: 0
; VGPRBlocks: 2
; NumSGPRsForWavesPerEU: 30
; NumVGPRsForWavesPerEU: 19
; Occupancy: 16
; WaveLimiterHint : 0
; COMPUTE_PGM_RSRC2:SCRATCH_EN: 0
; COMPUTE_PGM_RSRC2:USER_SGPR: 6
; COMPUTE_PGM_RSRC2:TRAP_HANDLER: 0
; COMPUTE_PGM_RSRC2:TGID_X_EN: 1
; COMPUTE_PGM_RSRC2:TGID_Y_EN: 1
; COMPUTE_PGM_RSRC2:TGID_Z_EN: 0
; COMPUTE_PGM_RSRC2:TIDIG_COMP_CNT: 0
	.section	.text._ZN7rocprim17ROCPRIM_400000_NS6detail31init_lookback_scan_state_kernelINS1_19lookback_scan_stateIN3c108BFloat16ELb0ELb1EEENS1_16block_id_wrapperIjLb0EEEEEvT_jT0_jPNS9_10value_typeE,"axG",@progbits,_ZN7rocprim17ROCPRIM_400000_NS6detail31init_lookback_scan_state_kernelINS1_19lookback_scan_stateIN3c108BFloat16ELb0ELb1EEENS1_16block_id_wrapperIjLb0EEEEEvT_jT0_jPNS9_10value_typeE,comdat
	.protected	_ZN7rocprim17ROCPRIM_400000_NS6detail31init_lookback_scan_state_kernelINS1_19lookback_scan_stateIN3c108BFloat16ELb0ELb1EEENS1_16block_id_wrapperIjLb0EEEEEvT_jT0_jPNS9_10value_typeE ; -- Begin function _ZN7rocprim17ROCPRIM_400000_NS6detail31init_lookback_scan_state_kernelINS1_19lookback_scan_stateIN3c108BFloat16ELb0ELb1EEENS1_16block_id_wrapperIjLb0EEEEEvT_jT0_jPNS9_10value_typeE
	.globl	_ZN7rocprim17ROCPRIM_400000_NS6detail31init_lookback_scan_state_kernelINS1_19lookback_scan_stateIN3c108BFloat16ELb0ELb1EEENS1_16block_id_wrapperIjLb0EEEEEvT_jT0_jPNS9_10value_typeE
	.p2align	8
	.type	_ZN7rocprim17ROCPRIM_400000_NS6detail31init_lookback_scan_state_kernelINS1_19lookback_scan_stateIN3c108BFloat16ELb0ELb1EEENS1_16block_id_wrapperIjLb0EEEEEvT_jT0_jPNS9_10value_typeE,@function
_ZN7rocprim17ROCPRIM_400000_NS6detail31init_lookback_scan_state_kernelINS1_19lookback_scan_stateIN3c108BFloat16ELb0ELb1EEENS1_16block_id_wrapperIjLb0EEEEEvT_jT0_jPNS9_10value_typeE: ; @_ZN7rocprim17ROCPRIM_400000_NS6detail31init_lookback_scan_state_kernelINS1_19lookback_scan_stateIN3c108BFloat16ELb0ELb1EEENS1_16block_id_wrapperIjLb0EEEEEvT_jT0_jPNS9_10value_typeE
; %bb.0:
	s_clause 0x3
	s_load_dword s8, s[4:5], 0x2c
	s_load_dwordx2 s[2:3], s[4:5], 0x18
	s_load_dwordx2 s[0:1], s[4:5], 0x0
	s_load_dword s7, s[4:5], 0x8
	s_waitcnt lgkmcnt(0)
	s_and_b32 s8, s8, 0xffff
	s_cmp_eq_u64 s[2:3], 0
	v_mad_u64_u32 v[0:1], null, s6, s8, v[0:1]
	s_cbranch_scc1 .LBB437_6
; %bb.1:
	s_load_dword s4, s[4:5], 0x10
	s_waitcnt lgkmcnt(0)
	s_cmp_lt_u32 s4, s7
	s_cselect_b32 s5, s4, 0
	v_cmp_eq_u32_e32 vcc_lo, s5, v0
	s_mov_b32 s5, 0
	s_and_saveexec_b32 s6, vcc_lo
	s_cbranch_execz .LBB437_5
; %bb.2:
	s_add_i32 s4, s4, 32
	v_mov_b32_e32 v2, 0
	s_lshl_b64 s[4:5], s[4:5], 2
	s_add_u32 s4, s0, s4
	s_addc_u32 s5, s1, s5
	global_load_dword v1, v2, s[4:5] glc dlc
	s_waitcnt vmcnt(0)
	v_and_b32_e32 v3, 0xff0000, v1
	v_cmp_ne_u32_e32 vcc_lo, 0, v3
	s_cbranch_vccnz .LBB437_4
.LBB437_3:                              ; =>This Inner Loop Header: Depth=1
	global_load_dword v1, v2, s[4:5] glc dlc
	s_waitcnt vmcnt(0)
	v_and_b32_e32 v3, 0xff0000, v1
	v_cmp_eq_u32_e32 vcc_lo, 0, v3
	s_cbranch_vccnz .LBB437_3
.LBB437_4:
	v_mov_b32_e32 v2, 0
	global_store_short v2, v1, s[2:3]
.LBB437_5:
	s_or_b32 exec_lo, exec_lo, s6
.LBB437_6:
	s_mov_b32 s2, exec_lo
	v_cmpx_gt_u32_e64 s7, v0
	s_cbranch_execz .LBB437_8
; %bb.7:
	v_add_nc_u32_e32 v1, 32, v0
	v_mov_b32_e32 v2, 0
	v_lshlrev_b64 v[3:4], 2, v[1:2]
	v_add_co_u32 v3, vcc_lo, s0, v3
	v_add_co_ci_u32_e64 v4, null, s1, v4, vcc_lo
	global_store_dword v[3:4], v2, off
.LBB437_8:
	s_or_b32 exec_lo, exec_lo, s2
	s_mov_b32 s2, exec_lo
	v_cmpx_gt_u32_e32 32, v0
	s_cbranch_execz .LBB437_10
; %bb.9:
	v_mov_b32_e32 v1, 0
	v_mov_b32_e32 v2, 0xff0000
	v_lshlrev_b64 v[0:1], 2, v[0:1]
	v_add_co_u32 v0, vcc_lo, s0, v0
	v_add_co_ci_u32_e64 v1, null, s1, v1, vcc_lo
	global_store_dword v[0:1], v2, off
.LBB437_10:
	s_endpgm
	.section	.rodata,"a",@progbits
	.p2align	6, 0x0
	.amdhsa_kernel _ZN7rocprim17ROCPRIM_400000_NS6detail31init_lookback_scan_state_kernelINS1_19lookback_scan_stateIN3c108BFloat16ELb0ELb1EEENS1_16block_id_wrapperIjLb0EEEEEvT_jT0_jPNS9_10value_typeE
		.amdhsa_group_segment_fixed_size 0
		.amdhsa_private_segment_fixed_size 0
		.amdhsa_kernarg_size 288
		.amdhsa_user_sgpr_count 6
		.amdhsa_user_sgpr_private_segment_buffer 1
		.amdhsa_user_sgpr_dispatch_ptr 0
		.amdhsa_user_sgpr_queue_ptr 0
		.amdhsa_user_sgpr_kernarg_segment_ptr 1
		.amdhsa_user_sgpr_dispatch_id 0
		.amdhsa_user_sgpr_flat_scratch_init 0
		.amdhsa_user_sgpr_private_segment_size 0
		.amdhsa_wavefront_size32 1
		.amdhsa_uses_dynamic_stack 0
		.amdhsa_system_sgpr_private_segment_wavefront_offset 0
		.amdhsa_system_sgpr_workgroup_id_x 1
		.amdhsa_system_sgpr_workgroup_id_y 0
		.amdhsa_system_sgpr_workgroup_id_z 0
		.amdhsa_system_sgpr_workgroup_info 0
		.amdhsa_system_vgpr_workitem_id 0
		.amdhsa_next_free_vgpr 5
		.amdhsa_next_free_sgpr 9
		.amdhsa_reserve_vcc 1
		.amdhsa_reserve_flat_scratch 0
		.amdhsa_float_round_mode_32 0
		.amdhsa_float_round_mode_16_64 0
		.amdhsa_float_denorm_mode_32 3
		.amdhsa_float_denorm_mode_16_64 3
		.amdhsa_dx10_clamp 1
		.amdhsa_ieee_mode 1
		.amdhsa_fp16_overflow 0
		.amdhsa_workgroup_processor_mode 1
		.amdhsa_memory_ordered 1
		.amdhsa_forward_progress 1
		.amdhsa_shared_vgpr_count 0
		.amdhsa_exception_fp_ieee_invalid_op 0
		.amdhsa_exception_fp_denorm_src 0
		.amdhsa_exception_fp_ieee_div_zero 0
		.amdhsa_exception_fp_ieee_overflow 0
		.amdhsa_exception_fp_ieee_underflow 0
		.amdhsa_exception_fp_ieee_inexact 0
		.amdhsa_exception_int_div_zero 0
	.end_amdhsa_kernel
	.section	.text._ZN7rocprim17ROCPRIM_400000_NS6detail31init_lookback_scan_state_kernelINS1_19lookback_scan_stateIN3c108BFloat16ELb0ELb1EEENS1_16block_id_wrapperIjLb0EEEEEvT_jT0_jPNS9_10value_typeE,"axG",@progbits,_ZN7rocprim17ROCPRIM_400000_NS6detail31init_lookback_scan_state_kernelINS1_19lookback_scan_stateIN3c108BFloat16ELb0ELb1EEENS1_16block_id_wrapperIjLb0EEEEEvT_jT0_jPNS9_10value_typeE,comdat
.Lfunc_end437:
	.size	_ZN7rocprim17ROCPRIM_400000_NS6detail31init_lookback_scan_state_kernelINS1_19lookback_scan_stateIN3c108BFloat16ELb0ELb1EEENS1_16block_id_wrapperIjLb0EEEEEvT_jT0_jPNS9_10value_typeE, .Lfunc_end437-_ZN7rocprim17ROCPRIM_400000_NS6detail31init_lookback_scan_state_kernelINS1_19lookback_scan_stateIN3c108BFloat16ELb0ELb1EEENS1_16block_id_wrapperIjLb0EEEEEvT_jT0_jPNS9_10value_typeE
                                        ; -- End function
	.set _ZN7rocprim17ROCPRIM_400000_NS6detail31init_lookback_scan_state_kernelINS1_19lookback_scan_stateIN3c108BFloat16ELb0ELb1EEENS1_16block_id_wrapperIjLb0EEEEEvT_jT0_jPNS9_10value_typeE.num_vgpr, 5
	.set _ZN7rocprim17ROCPRIM_400000_NS6detail31init_lookback_scan_state_kernelINS1_19lookback_scan_stateIN3c108BFloat16ELb0ELb1EEENS1_16block_id_wrapperIjLb0EEEEEvT_jT0_jPNS9_10value_typeE.num_agpr, 0
	.set _ZN7rocprim17ROCPRIM_400000_NS6detail31init_lookback_scan_state_kernelINS1_19lookback_scan_stateIN3c108BFloat16ELb0ELb1EEENS1_16block_id_wrapperIjLb0EEEEEvT_jT0_jPNS9_10value_typeE.numbered_sgpr, 9
	.set _ZN7rocprim17ROCPRIM_400000_NS6detail31init_lookback_scan_state_kernelINS1_19lookback_scan_stateIN3c108BFloat16ELb0ELb1EEENS1_16block_id_wrapperIjLb0EEEEEvT_jT0_jPNS9_10value_typeE.num_named_barrier, 0
	.set _ZN7rocprim17ROCPRIM_400000_NS6detail31init_lookback_scan_state_kernelINS1_19lookback_scan_stateIN3c108BFloat16ELb0ELb1EEENS1_16block_id_wrapperIjLb0EEEEEvT_jT0_jPNS9_10value_typeE.private_seg_size, 0
	.set _ZN7rocprim17ROCPRIM_400000_NS6detail31init_lookback_scan_state_kernelINS1_19lookback_scan_stateIN3c108BFloat16ELb0ELb1EEENS1_16block_id_wrapperIjLb0EEEEEvT_jT0_jPNS9_10value_typeE.uses_vcc, 1
	.set _ZN7rocprim17ROCPRIM_400000_NS6detail31init_lookback_scan_state_kernelINS1_19lookback_scan_stateIN3c108BFloat16ELb0ELb1EEENS1_16block_id_wrapperIjLb0EEEEEvT_jT0_jPNS9_10value_typeE.uses_flat_scratch, 0
	.set _ZN7rocprim17ROCPRIM_400000_NS6detail31init_lookback_scan_state_kernelINS1_19lookback_scan_stateIN3c108BFloat16ELb0ELb1EEENS1_16block_id_wrapperIjLb0EEEEEvT_jT0_jPNS9_10value_typeE.has_dyn_sized_stack, 0
	.set _ZN7rocprim17ROCPRIM_400000_NS6detail31init_lookback_scan_state_kernelINS1_19lookback_scan_stateIN3c108BFloat16ELb0ELb1EEENS1_16block_id_wrapperIjLb0EEEEEvT_jT0_jPNS9_10value_typeE.has_recursion, 0
	.set _ZN7rocprim17ROCPRIM_400000_NS6detail31init_lookback_scan_state_kernelINS1_19lookback_scan_stateIN3c108BFloat16ELb0ELb1EEENS1_16block_id_wrapperIjLb0EEEEEvT_jT0_jPNS9_10value_typeE.has_indirect_call, 0
	.section	.AMDGPU.csdata,"",@progbits
; Kernel info:
; codeLenInByte = 312
; TotalNumSgprs: 11
; NumVgprs: 5
; ScratchSize: 0
; MemoryBound: 0
; FloatMode: 240
; IeeeMode: 1
; LDSByteSize: 0 bytes/workgroup (compile time only)
; SGPRBlocks: 0
; VGPRBlocks: 0
; NumSGPRsForWavesPerEU: 11
; NumVGPRsForWavesPerEU: 5
; Occupancy: 16
; WaveLimiterHint : 0
; COMPUTE_PGM_RSRC2:SCRATCH_EN: 0
; COMPUTE_PGM_RSRC2:USER_SGPR: 6
; COMPUTE_PGM_RSRC2:TRAP_HANDLER: 0
; COMPUTE_PGM_RSRC2:TGID_X_EN: 1
; COMPUTE_PGM_RSRC2:TGID_Y_EN: 0
; COMPUTE_PGM_RSRC2:TGID_Z_EN: 0
; COMPUTE_PGM_RSRC2:TIDIG_COMP_CNT: 0
	.section	.text._ZN7rocprim17ROCPRIM_400000_NS6detail17trampoline_kernelINS0_14default_configENS1_20scan_config_selectorIN3c108BFloat16EEEZZNS1_9scan_implILNS1_25lookback_scan_determinismE0ELb0ELb0ES3_PKS6_PS6_S6_ZZZN2at6native31launch_logcumsumexp_cuda_kernelERKNSD_10TensorBaseESH_lENKUlvE_clEvENKUlvE4_clEvEUlS6_S6_E_S6_EEDaPvRmT3_T4_T5_mT6_P12ihipStream_tbENKUlT_T0_E_clISt17integral_constantIbLb0EESY_EEDaST_SU_EUlST_E_NS1_11comp_targetILNS1_3genE0ELNS1_11target_archE4294967295ELNS1_3gpuE0ELNS1_3repE0EEENS1_30default_config_static_selectorELNS0_4arch9wavefront6targetE0EEEvT1_,"axG",@progbits,_ZN7rocprim17ROCPRIM_400000_NS6detail17trampoline_kernelINS0_14default_configENS1_20scan_config_selectorIN3c108BFloat16EEEZZNS1_9scan_implILNS1_25lookback_scan_determinismE0ELb0ELb0ES3_PKS6_PS6_S6_ZZZN2at6native31launch_logcumsumexp_cuda_kernelERKNSD_10TensorBaseESH_lENKUlvE_clEvENKUlvE4_clEvEUlS6_S6_E_S6_EEDaPvRmT3_T4_T5_mT6_P12ihipStream_tbENKUlT_T0_E_clISt17integral_constantIbLb0EESY_EEDaST_SU_EUlST_E_NS1_11comp_targetILNS1_3genE0ELNS1_11target_archE4294967295ELNS1_3gpuE0ELNS1_3repE0EEENS1_30default_config_static_selectorELNS0_4arch9wavefront6targetE0EEEvT1_,comdat
	.globl	_ZN7rocprim17ROCPRIM_400000_NS6detail17trampoline_kernelINS0_14default_configENS1_20scan_config_selectorIN3c108BFloat16EEEZZNS1_9scan_implILNS1_25lookback_scan_determinismE0ELb0ELb0ES3_PKS6_PS6_S6_ZZZN2at6native31launch_logcumsumexp_cuda_kernelERKNSD_10TensorBaseESH_lENKUlvE_clEvENKUlvE4_clEvEUlS6_S6_E_S6_EEDaPvRmT3_T4_T5_mT6_P12ihipStream_tbENKUlT_T0_E_clISt17integral_constantIbLb0EESY_EEDaST_SU_EUlST_E_NS1_11comp_targetILNS1_3genE0ELNS1_11target_archE4294967295ELNS1_3gpuE0ELNS1_3repE0EEENS1_30default_config_static_selectorELNS0_4arch9wavefront6targetE0EEEvT1_ ; -- Begin function _ZN7rocprim17ROCPRIM_400000_NS6detail17trampoline_kernelINS0_14default_configENS1_20scan_config_selectorIN3c108BFloat16EEEZZNS1_9scan_implILNS1_25lookback_scan_determinismE0ELb0ELb0ES3_PKS6_PS6_S6_ZZZN2at6native31launch_logcumsumexp_cuda_kernelERKNSD_10TensorBaseESH_lENKUlvE_clEvENKUlvE4_clEvEUlS6_S6_E_S6_EEDaPvRmT3_T4_T5_mT6_P12ihipStream_tbENKUlT_T0_E_clISt17integral_constantIbLb0EESY_EEDaST_SU_EUlST_E_NS1_11comp_targetILNS1_3genE0ELNS1_11target_archE4294967295ELNS1_3gpuE0ELNS1_3repE0EEENS1_30default_config_static_selectorELNS0_4arch9wavefront6targetE0EEEvT1_
	.p2align	8
	.type	_ZN7rocprim17ROCPRIM_400000_NS6detail17trampoline_kernelINS0_14default_configENS1_20scan_config_selectorIN3c108BFloat16EEEZZNS1_9scan_implILNS1_25lookback_scan_determinismE0ELb0ELb0ES3_PKS6_PS6_S6_ZZZN2at6native31launch_logcumsumexp_cuda_kernelERKNSD_10TensorBaseESH_lENKUlvE_clEvENKUlvE4_clEvEUlS6_S6_E_S6_EEDaPvRmT3_T4_T5_mT6_P12ihipStream_tbENKUlT_T0_E_clISt17integral_constantIbLb0EESY_EEDaST_SU_EUlST_E_NS1_11comp_targetILNS1_3genE0ELNS1_11target_archE4294967295ELNS1_3gpuE0ELNS1_3repE0EEENS1_30default_config_static_selectorELNS0_4arch9wavefront6targetE0EEEvT1_,@function
_ZN7rocprim17ROCPRIM_400000_NS6detail17trampoline_kernelINS0_14default_configENS1_20scan_config_selectorIN3c108BFloat16EEEZZNS1_9scan_implILNS1_25lookback_scan_determinismE0ELb0ELb0ES3_PKS6_PS6_S6_ZZZN2at6native31launch_logcumsumexp_cuda_kernelERKNSD_10TensorBaseESH_lENKUlvE_clEvENKUlvE4_clEvEUlS6_S6_E_S6_EEDaPvRmT3_T4_T5_mT6_P12ihipStream_tbENKUlT_T0_E_clISt17integral_constantIbLb0EESY_EEDaST_SU_EUlST_E_NS1_11comp_targetILNS1_3genE0ELNS1_11target_archE4294967295ELNS1_3gpuE0ELNS1_3repE0EEENS1_30default_config_static_selectorELNS0_4arch9wavefront6targetE0EEEvT1_: ; @_ZN7rocprim17ROCPRIM_400000_NS6detail17trampoline_kernelINS0_14default_configENS1_20scan_config_selectorIN3c108BFloat16EEEZZNS1_9scan_implILNS1_25lookback_scan_determinismE0ELb0ELb0ES3_PKS6_PS6_S6_ZZZN2at6native31launch_logcumsumexp_cuda_kernelERKNSD_10TensorBaseESH_lENKUlvE_clEvENKUlvE4_clEvEUlS6_S6_E_S6_EEDaPvRmT3_T4_T5_mT6_P12ihipStream_tbENKUlT_T0_E_clISt17integral_constantIbLb0EESY_EEDaST_SU_EUlST_E_NS1_11comp_targetILNS1_3genE0ELNS1_11target_archE4294967295ELNS1_3gpuE0ELNS1_3repE0EEENS1_30default_config_static_selectorELNS0_4arch9wavefront6targetE0EEEvT1_
; %bb.0:
	.section	.rodata,"a",@progbits
	.p2align	6, 0x0
	.amdhsa_kernel _ZN7rocprim17ROCPRIM_400000_NS6detail17trampoline_kernelINS0_14default_configENS1_20scan_config_selectorIN3c108BFloat16EEEZZNS1_9scan_implILNS1_25lookback_scan_determinismE0ELb0ELb0ES3_PKS6_PS6_S6_ZZZN2at6native31launch_logcumsumexp_cuda_kernelERKNSD_10TensorBaseESH_lENKUlvE_clEvENKUlvE4_clEvEUlS6_S6_E_S6_EEDaPvRmT3_T4_T5_mT6_P12ihipStream_tbENKUlT_T0_E_clISt17integral_constantIbLb0EESY_EEDaST_SU_EUlST_E_NS1_11comp_targetILNS1_3genE0ELNS1_11target_archE4294967295ELNS1_3gpuE0ELNS1_3repE0EEENS1_30default_config_static_selectorELNS0_4arch9wavefront6targetE0EEEvT1_
		.amdhsa_group_segment_fixed_size 0
		.amdhsa_private_segment_fixed_size 0
		.amdhsa_kernarg_size 96
		.amdhsa_user_sgpr_count 6
		.amdhsa_user_sgpr_private_segment_buffer 1
		.amdhsa_user_sgpr_dispatch_ptr 0
		.amdhsa_user_sgpr_queue_ptr 0
		.amdhsa_user_sgpr_kernarg_segment_ptr 1
		.amdhsa_user_sgpr_dispatch_id 0
		.amdhsa_user_sgpr_flat_scratch_init 0
		.amdhsa_user_sgpr_private_segment_size 0
		.amdhsa_wavefront_size32 1
		.amdhsa_uses_dynamic_stack 0
		.amdhsa_system_sgpr_private_segment_wavefront_offset 0
		.amdhsa_system_sgpr_workgroup_id_x 1
		.amdhsa_system_sgpr_workgroup_id_y 0
		.amdhsa_system_sgpr_workgroup_id_z 0
		.amdhsa_system_sgpr_workgroup_info 0
		.amdhsa_system_vgpr_workitem_id 0
		.amdhsa_next_free_vgpr 1
		.amdhsa_next_free_sgpr 1
		.amdhsa_reserve_vcc 0
		.amdhsa_reserve_flat_scratch 0
		.amdhsa_float_round_mode_32 0
		.amdhsa_float_round_mode_16_64 0
		.amdhsa_float_denorm_mode_32 3
		.amdhsa_float_denorm_mode_16_64 3
		.amdhsa_dx10_clamp 1
		.amdhsa_ieee_mode 1
		.amdhsa_fp16_overflow 0
		.amdhsa_workgroup_processor_mode 1
		.amdhsa_memory_ordered 1
		.amdhsa_forward_progress 1
		.amdhsa_shared_vgpr_count 0
		.amdhsa_exception_fp_ieee_invalid_op 0
		.amdhsa_exception_fp_denorm_src 0
		.amdhsa_exception_fp_ieee_div_zero 0
		.amdhsa_exception_fp_ieee_overflow 0
		.amdhsa_exception_fp_ieee_underflow 0
		.amdhsa_exception_fp_ieee_inexact 0
		.amdhsa_exception_int_div_zero 0
	.end_amdhsa_kernel
	.section	.text._ZN7rocprim17ROCPRIM_400000_NS6detail17trampoline_kernelINS0_14default_configENS1_20scan_config_selectorIN3c108BFloat16EEEZZNS1_9scan_implILNS1_25lookback_scan_determinismE0ELb0ELb0ES3_PKS6_PS6_S6_ZZZN2at6native31launch_logcumsumexp_cuda_kernelERKNSD_10TensorBaseESH_lENKUlvE_clEvENKUlvE4_clEvEUlS6_S6_E_S6_EEDaPvRmT3_T4_T5_mT6_P12ihipStream_tbENKUlT_T0_E_clISt17integral_constantIbLb0EESY_EEDaST_SU_EUlST_E_NS1_11comp_targetILNS1_3genE0ELNS1_11target_archE4294967295ELNS1_3gpuE0ELNS1_3repE0EEENS1_30default_config_static_selectorELNS0_4arch9wavefront6targetE0EEEvT1_,"axG",@progbits,_ZN7rocprim17ROCPRIM_400000_NS6detail17trampoline_kernelINS0_14default_configENS1_20scan_config_selectorIN3c108BFloat16EEEZZNS1_9scan_implILNS1_25lookback_scan_determinismE0ELb0ELb0ES3_PKS6_PS6_S6_ZZZN2at6native31launch_logcumsumexp_cuda_kernelERKNSD_10TensorBaseESH_lENKUlvE_clEvENKUlvE4_clEvEUlS6_S6_E_S6_EEDaPvRmT3_T4_T5_mT6_P12ihipStream_tbENKUlT_T0_E_clISt17integral_constantIbLb0EESY_EEDaST_SU_EUlST_E_NS1_11comp_targetILNS1_3genE0ELNS1_11target_archE4294967295ELNS1_3gpuE0ELNS1_3repE0EEENS1_30default_config_static_selectorELNS0_4arch9wavefront6targetE0EEEvT1_,comdat
.Lfunc_end438:
	.size	_ZN7rocprim17ROCPRIM_400000_NS6detail17trampoline_kernelINS0_14default_configENS1_20scan_config_selectorIN3c108BFloat16EEEZZNS1_9scan_implILNS1_25lookback_scan_determinismE0ELb0ELb0ES3_PKS6_PS6_S6_ZZZN2at6native31launch_logcumsumexp_cuda_kernelERKNSD_10TensorBaseESH_lENKUlvE_clEvENKUlvE4_clEvEUlS6_S6_E_S6_EEDaPvRmT3_T4_T5_mT6_P12ihipStream_tbENKUlT_T0_E_clISt17integral_constantIbLb0EESY_EEDaST_SU_EUlST_E_NS1_11comp_targetILNS1_3genE0ELNS1_11target_archE4294967295ELNS1_3gpuE0ELNS1_3repE0EEENS1_30default_config_static_selectorELNS0_4arch9wavefront6targetE0EEEvT1_, .Lfunc_end438-_ZN7rocprim17ROCPRIM_400000_NS6detail17trampoline_kernelINS0_14default_configENS1_20scan_config_selectorIN3c108BFloat16EEEZZNS1_9scan_implILNS1_25lookback_scan_determinismE0ELb0ELb0ES3_PKS6_PS6_S6_ZZZN2at6native31launch_logcumsumexp_cuda_kernelERKNSD_10TensorBaseESH_lENKUlvE_clEvENKUlvE4_clEvEUlS6_S6_E_S6_EEDaPvRmT3_T4_T5_mT6_P12ihipStream_tbENKUlT_T0_E_clISt17integral_constantIbLb0EESY_EEDaST_SU_EUlST_E_NS1_11comp_targetILNS1_3genE0ELNS1_11target_archE4294967295ELNS1_3gpuE0ELNS1_3repE0EEENS1_30default_config_static_selectorELNS0_4arch9wavefront6targetE0EEEvT1_
                                        ; -- End function
	.set _ZN7rocprim17ROCPRIM_400000_NS6detail17trampoline_kernelINS0_14default_configENS1_20scan_config_selectorIN3c108BFloat16EEEZZNS1_9scan_implILNS1_25lookback_scan_determinismE0ELb0ELb0ES3_PKS6_PS6_S6_ZZZN2at6native31launch_logcumsumexp_cuda_kernelERKNSD_10TensorBaseESH_lENKUlvE_clEvENKUlvE4_clEvEUlS6_S6_E_S6_EEDaPvRmT3_T4_T5_mT6_P12ihipStream_tbENKUlT_T0_E_clISt17integral_constantIbLb0EESY_EEDaST_SU_EUlST_E_NS1_11comp_targetILNS1_3genE0ELNS1_11target_archE4294967295ELNS1_3gpuE0ELNS1_3repE0EEENS1_30default_config_static_selectorELNS0_4arch9wavefront6targetE0EEEvT1_.num_vgpr, 0
	.set _ZN7rocprim17ROCPRIM_400000_NS6detail17trampoline_kernelINS0_14default_configENS1_20scan_config_selectorIN3c108BFloat16EEEZZNS1_9scan_implILNS1_25lookback_scan_determinismE0ELb0ELb0ES3_PKS6_PS6_S6_ZZZN2at6native31launch_logcumsumexp_cuda_kernelERKNSD_10TensorBaseESH_lENKUlvE_clEvENKUlvE4_clEvEUlS6_S6_E_S6_EEDaPvRmT3_T4_T5_mT6_P12ihipStream_tbENKUlT_T0_E_clISt17integral_constantIbLb0EESY_EEDaST_SU_EUlST_E_NS1_11comp_targetILNS1_3genE0ELNS1_11target_archE4294967295ELNS1_3gpuE0ELNS1_3repE0EEENS1_30default_config_static_selectorELNS0_4arch9wavefront6targetE0EEEvT1_.num_agpr, 0
	.set _ZN7rocprim17ROCPRIM_400000_NS6detail17trampoline_kernelINS0_14default_configENS1_20scan_config_selectorIN3c108BFloat16EEEZZNS1_9scan_implILNS1_25lookback_scan_determinismE0ELb0ELb0ES3_PKS6_PS6_S6_ZZZN2at6native31launch_logcumsumexp_cuda_kernelERKNSD_10TensorBaseESH_lENKUlvE_clEvENKUlvE4_clEvEUlS6_S6_E_S6_EEDaPvRmT3_T4_T5_mT6_P12ihipStream_tbENKUlT_T0_E_clISt17integral_constantIbLb0EESY_EEDaST_SU_EUlST_E_NS1_11comp_targetILNS1_3genE0ELNS1_11target_archE4294967295ELNS1_3gpuE0ELNS1_3repE0EEENS1_30default_config_static_selectorELNS0_4arch9wavefront6targetE0EEEvT1_.numbered_sgpr, 0
	.set _ZN7rocprim17ROCPRIM_400000_NS6detail17trampoline_kernelINS0_14default_configENS1_20scan_config_selectorIN3c108BFloat16EEEZZNS1_9scan_implILNS1_25lookback_scan_determinismE0ELb0ELb0ES3_PKS6_PS6_S6_ZZZN2at6native31launch_logcumsumexp_cuda_kernelERKNSD_10TensorBaseESH_lENKUlvE_clEvENKUlvE4_clEvEUlS6_S6_E_S6_EEDaPvRmT3_T4_T5_mT6_P12ihipStream_tbENKUlT_T0_E_clISt17integral_constantIbLb0EESY_EEDaST_SU_EUlST_E_NS1_11comp_targetILNS1_3genE0ELNS1_11target_archE4294967295ELNS1_3gpuE0ELNS1_3repE0EEENS1_30default_config_static_selectorELNS0_4arch9wavefront6targetE0EEEvT1_.num_named_barrier, 0
	.set _ZN7rocprim17ROCPRIM_400000_NS6detail17trampoline_kernelINS0_14default_configENS1_20scan_config_selectorIN3c108BFloat16EEEZZNS1_9scan_implILNS1_25lookback_scan_determinismE0ELb0ELb0ES3_PKS6_PS6_S6_ZZZN2at6native31launch_logcumsumexp_cuda_kernelERKNSD_10TensorBaseESH_lENKUlvE_clEvENKUlvE4_clEvEUlS6_S6_E_S6_EEDaPvRmT3_T4_T5_mT6_P12ihipStream_tbENKUlT_T0_E_clISt17integral_constantIbLb0EESY_EEDaST_SU_EUlST_E_NS1_11comp_targetILNS1_3genE0ELNS1_11target_archE4294967295ELNS1_3gpuE0ELNS1_3repE0EEENS1_30default_config_static_selectorELNS0_4arch9wavefront6targetE0EEEvT1_.private_seg_size, 0
	.set _ZN7rocprim17ROCPRIM_400000_NS6detail17trampoline_kernelINS0_14default_configENS1_20scan_config_selectorIN3c108BFloat16EEEZZNS1_9scan_implILNS1_25lookback_scan_determinismE0ELb0ELb0ES3_PKS6_PS6_S6_ZZZN2at6native31launch_logcumsumexp_cuda_kernelERKNSD_10TensorBaseESH_lENKUlvE_clEvENKUlvE4_clEvEUlS6_S6_E_S6_EEDaPvRmT3_T4_T5_mT6_P12ihipStream_tbENKUlT_T0_E_clISt17integral_constantIbLb0EESY_EEDaST_SU_EUlST_E_NS1_11comp_targetILNS1_3genE0ELNS1_11target_archE4294967295ELNS1_3gpuE0ELNS1_3repE0EEENS1_30default_config_static_selectorELNS0_4arch9wavefront6targetE0EEEvT1_.uses_vcc, 0
	.set _ZN7rocprim17ROCPRIM_400000_NS6detail17trampoline_kernelINS0_14default_configENS1_20scan_config_selectorIN3c108BFloat16EEEZZNS1_9scan_implILNS1_25lookback_scan_determinismE0ELb0ELb0ES3_PKS6_PS6_S6_ZZZN2at6native31launch_logcumsumexp_cuda_kernelERKNSD_10TensorBaseESH_lENKUlvE_clEvENKUlvE4_clEvEUlS6_S6_E_S6_EEDaPvRmT3_T4_T5_mT6_P12ihipStream_tbENKUlT_T0_E_clISt17integral_constantIbLb0EESY_EEDaST_SU_EUlST_E_NS1_11comp_targetILNS1_3genE0ELNS1_11target_archE4294967295ELNS1_3gpuE0ELNS1_3repE0EEENS1_30default_config_static_selectorELNS0_4arch9wavefront6targetE0EEEvT1_.uses_flat_scratch, 0
	.set _ZN7rocprim17ROCPRIM_400000_NS6detail17trampoline_kernelINS0_14default_configENS1_20scan_config_selectorIN3c108BFloat16EEEZZNS1_9scan_implILNS1_25lookback_scan_determinismE0ELb0ELb0ES3_PKS6_PS6_S6_ZZZN2at6native31launch_logcumsumexp_cuda_kernelERKNSD_10TensorBaseESH_lENKUlvE_clEvENKUlvE4_clEvEUlS6_S6_E_S6_EEDaPvRmT3_T4_T5_mT6_P12ihipStream_tbENKUlT_T0_E_clISt17integral_constantIbLb0EESY_EEDaST_SU_EUlST_E_NS1_11comp_targetILNS1_3genE0ELNS1_11target_archE4294967295ELNS1_3gpuE0ELNS1_3repE0EEENS1_30default_config_static_selectorELNS0_4arch9wavefront6targetE0EEEvT1_.has_dyn_sized_stack, 0
	.set _ZN7rocprim17ROCPRIM_400000_NS6detail17trampoline_kernelINS0_14default_configENS1_20scan_config_selectorIN3c108BFloat16EEEZZNS1_9scan_implILNS1_25lookback_scan_determinismE0ELb0ELb0ES3_PKS6_PS6_S6_ZZZN2at6native31launch_logcumsumexp_cuda_kernelERKNSD_10TensorBaseESH_lENKUlvE_clEvENKUlvE4_clEvEUlS6_S6_E_S6_EEDaPvRmT3_T4_T5_mT6_P12ihipStream_tbENKUlT_T0_E_clISt17integral_constantIbLb0EESY_EEDaST_SU_EUlST_E_NS1_11comp_targetILNS1_3genE0ELNS1_11target_archE4294967295ELNS1_3gpuE0ELNS1_3repE0EEENS1_30default_config_static_selectorELNS0_4arch9wavefront6targetE0EEEvT1_.has_recursion, 0
	.set _ZN7rocprim17ROCPRIM_400000_NS6detail17trampoline_kernelINS0_14default_configENS1_20scan_config_selectorIN3c108BFloat16EEEZZNS1_9scan_implILNS1_25lookback_scan_determinismE0ELb0ELb0ES3_PKS6_PS6_S6_ZZZN2at6native31launch_logcumsumexp_cuda_kernelERKNSD_10TensorBaseESH_lENKUlvE_clEvENKUlvE4_clEvEUlS6_S6_E_S6_EEDaPvRmT3_T4_T5_mT6_P12ihipStream_tbENKUlT_T0_E_clISt17integral_constantIbLb0EESY_EEDaST_SU_EUlST_E_NS1_11comp_targetILNS1_3genE0ELNS1_11target_archE4294967295ELNS1_3gpuE0ELNS1_3repE0EEENS1_30default_config_static_selectorELNS0_4arch9wavefront6targetE0EEEvT1_.has_indirect_call, 0
	.section	.AMDGPU.csdata,"",@progbits
; Kernel info:
; codeLenInByte = 0
; TotalNumSgprs: 0
; NumVgprs: 0
; ScratchSize: 0
; MemoryBound: 0
; FloatMode: 240
; IeeeMode: 1
; LDSByteSize: 0 bytes/workgroup (compile time only)
; SGPRBlocks: 0
; VGPRBlocks: 0
; NumSGPRsForWavesPerEU: 1
; NumVGPRsForWavesPerEU: 1
; Occupancy: 16
; WaveLimiterHint : 0
; COMPUTE_PGM_RSRC2:SCRATCH_EN: 0
; COMPUTE_PGM_RSRC2:USER_SGPR: 6
; COMPUTE_PGM_RSRC2:TRAP_HANDLER: 0
; COMPUTE_PGM_RSRC2:TGID_X_EN: 1
; COMPUTE_PGM_RSRC2:TGID_Y_EN: 0
; COMPUTE_PGM_RSRC2:TGID_Z_EN: 0
; COMPUTE_PGM_RSRC2:TIDIG_COMP_CNT: 0
	.section	.text._ZN7rocprim17ROCPRIM_400000_NS6detail17trampoline_kernelINS0_14default_configENS1_20scan_config_selectorIN3c108BFloat16EEEZZNS1_9scan_implILNS1_25lookback_scan_determinismE0ELb0ELb0ES3_PKS6_PS6_S6_ZZZN2at6native31launch_logcumsumexp_cuda_kernelERKNSD_10TensorBaseESH_lENKUlvE_clEvENKUlvE4_clEvEUlS6_S6_E_S6_EEDaPvRmT3_T4_T5_mT6_P12ihipStream_tbENKUlT_T0_E_clISt17integral_constantIbLb0EESY_EEDaST_SU_EUlST_E_NS1_11comp_targetILNS1_3genE5ELNS1_11target_archE942ELNS1_3gpuE9ELNS1_3repE0EEENS1_30default_config_static_selectorELNS0_4arch9wavefront6targetE0EEEvT1_,"axG",@progbits,_ZN7rocprim17ROCPRIM_400000_NS6detail17trampoline_kernelINS0_14default_configENS1_20scan_config_selectorIN3c108BFloat16EEEZZNS1_9scan_implILNS1_25lookback_scan_determinismE0ELb0ELb0ES3_PKS6_PS6_S6_ZZZN2at6native31launch_logcumsumexp_cuda_kernelERKNSD_10TensorBaseESH_lENKUlvE_clEvENKUlvE4_clEvEUlS6_S6_E_S6_EEDaPvRmT3_T4_T5_mT6_P12ihipStream_tbENKUlT_T0_E_clISt17integral_constantIbLb0EESY_EEDaST_SU_EUlST_E_NS1_11comp_targetILNS1_3genE5ELNS1_11target_archE942ELNS1_3gpuE9ELNS1_3repE0EEENS1_30default_config_static_selectorELNS0_4arch9wavefront6targetE0EEEvT1_,comdat
	.globl	_ZN7rocprim17ROCPRIM_400000_NS6detail17trampoline_kernelINS0_14default_configENS1_20scan_config_selectorIN3c108BFloat16EEEZZNS1_9scan_implILNS1_25lookback_scan_determinismE0ELb0ELb0ES3_PKS6_PS6_S6_ZZZN2at6native31launch_logcumsumexp_cuda_kernelERKNSD_10TensorBaseESH_lENKUlvE_clEvENKUlvE4_clEvEUlS6_S6_E_S6_EEDaPvRmT3_T4_T5_mT6_P12ihipStream_tbENKUlT_T0_E_clISt17integral_constantIbLb0EESY_EEDaST_SU_EUlST_E_NS1_11comp_targetILNS1_3genE5ELNS1_11target_archE942ELNS1_3gpuE9ELNS1_3repE0EEENS1_30default_config_static_selectorELNS0_4arch9wavefront6targetE0EEEvT1_ ; -- Begin function _ZN7rocprim17ROCPRIM_400000_NS6detail17trampoline_kernelINS0_14default_configENS1_20scan_config_selectorIN3c108BFloat16EEEZZNS1_9scan_implILNS1_25lookback_scan_determinismE0ELb0ELb0ES3_PKS6_PS6_S6_ZZZN2at6native31launch_logcumsumexp_cuda_kernelERKNSD_10TensorBaseESH_lENKUlvE_clEvENKUlvE4_clEvEUlS6_S6_E_S6_EEDaPvRmT3_T4_T5_mT6_P12ihipStream_tbENKUlT_T0_E_clISt17integral_constantIbLb0EESY_EEDaST_SU_EUlST_E_NS1_11comp_targetILNS1_3genE5ELNS1_11target_archE942ELNS1_3gpuE9ELNS1_3repE0EEENS1_30default_config_static_selectorELNS0_4arch9wavefront6targetE0EEEvT1_
	.p2align	8
	.type	_ZN7rocprim17ROCPRIM_400000_NS6detail17trampoline_kernelINS0_14default_configENS1_20scan_config_selectorIN3c108BFloat16EEEZZNS1_9scan_implILNS1_25lookback_scan_determinismE0ELb0ELb0ES3_PKS6_PS6_S6_ZZZN2at6native31launch_logcumsumexp_cuda_kernelERKNSD_10TensorBaseESH_lENKUlvE_clEvENKUlvE4_clEvEUlS6_S6_E_S6_EEDaPvRmT3_T4_T5_mT6_P12ihipStream_tbENKUlT_T0_E_clISt17integral_constantIbLb0EESY_EEDaST_SU_EUlST_E_NS1_11comp_targetILNS1_3genE5ELNS1_11target_archE942ELNS1_3gpuE9ELNS1_3repE0EEENS1_30default_config_static_selectorELNS0_4arch9wavefront6targetE0EEEvT1_,@function
_ZN7rocprim17ROCPRIM_400000_NS6detail17trampoline_kernelINS0_14default_configENS1_20scan_config_selectorIN3c108BFloat16EEEZZNS1_9scan_implILNS1_25lookback_scan_determinismE0ELb0ELb0ES3_PKS6_PS6_S6_ZZZN2at6native31launch_logcumsumexp_cuda_kernelERKNSD_10TensorBaseESH_lENKUlvE_clEvENKUlvE4_clEvEUlS6_S6_E_S6_EEDaPvRmT3_T4_T5_mT6_P12ihipStream_tbENKUlT_T0_E_clISt17integral_constantIbLb0EESY_EEDaST_SU_EUlST_E_NS1_11comp_targetILNS1_3genE5ELNS1_11target_archE942ELNS1_3gpuE9ELNS1_3repE0EEENS1_30default_config_static_selectorELNS0_4arch9wavefront6targetE0EEEvT1_: ; @_ZN7rocprim17ROCPRIM_400000_NS6detail17trampoline_kernelINS0_14default_configENS1_20scan_config_selectorIN3c108BFloat16EEEZZNS1_9scan_implILNS1_25lookback_scan_determinismE0ELb0ELb0ES3_PKS6_PS6_S6_ZZZN2at6native31launch_logcumsumexp_cuda_kernelERKNSD_10TensorBaseESH_lENKUlvE_clEvENKUlvE4_clEvEUlS6_S6_E_S6_EEDaPvRmT3_T4_T5_mT6_P12ihipStream_tbENKUlT_T0_E_clISt17integral_constantIbLb0EESY_EEDaST_SU_EUlST_E_NS1_11comp_targetILNS1_3genE5ELNS1_11target_archE942ELNS1_3gpuE9ELNS1_3repE0EEENS1_30default_config_static_selectorELNS0_4arch9wavefront6targetE0EEEvT1_
; %bb.0:
	.section	.rodata,"a",@progbits
	.p2align	6, 0x0
	.amdhsa_kernel _ZN7rocprim17ROCPRIM_400000_NS6detail17trampoline_kernelINS0_14default_configENS1_20scan_config_selectorIN3c108BFloat16EEEZZNS1_9scan_implILNS1_25lookback_scan_determinismE0ELb0ELb0ES3_PKS6_PS6_S6_ZZZN2at6native31launch_logcumsumexp_cuda_kernelERKNSD_10TensorBaseESH_lENKUlvE_clEvENKUlvE4_clEvEUlS6_S6_E_S6_EEDaPvRmT3_T4_T5_mT6_P12ihipStream_tbENKUlT_T0_E_clISt17integral_constantIbLb0EESY_EEDaST_SU_EUlST_E_NS1_11comp_targetILNS1_3genE5ELNS1_11target_archE942ELNS1_3gpuE9ELNS1_3repE0EEENS1_30default_config_static_selectorELNS0_4arch9wavefront6targetE0EEEvT1_
		.amdhsa_group_segment_fixed_size 0
		.amdhsa_private_segment_fixed_size 0
		.amdhsa_kernarg_size 96
		.amdhsa_user_sgpr_count 6
		.amdhsa_user_sgpr_private_segment_buffer 1
		.amdhsa_user_sgpr_dispatch_ptr 0
		.amdhsa_user_sgpr_queue_ptr 0
		.amdhsa_user_sgpr_kernarg_segment_ptr 1
		.amdhsa_user_sgpr_dispatch_id 0
		.amdhsa_user_sgpr_flat_scratch_init 0
		.amdhsa_user_sgpr_private_segment_size 0
		.amdhsa_wavefront_size32 1
		.amdhsa_uses_dynamic_stack 0
		.amdhsa_system_sgpr_private_segment_wavefront_offset 0
		.amdhsa_system_sgpr_workgroup_id_x 1
		.amdhsa_system_sgpr_workgroup_id_y 0
		.amdhsa_system_sgpr_workgroup_id_z 0
		.amdhsa_system_sgpr_workgroup_info 0
		.amdhsa_system_vgpr_workitem_id 0
		.amdhsa_next_free_vgpr 1
		.amdhsa_next_free_sgpr 1
		.amdhsa_reserve_vcc 0
		.amdhsa_reserve_flat_scratch 0
		.amdhsa_float_round_mode_32 0
		.amdhsa_float_round_mode_16_64 0
		.amdhsa_float_denorm_mode_32 3
		.amdhsa_float_denorm_mode_16_64 3
		.amdhsa_dx10_clamp 1
		.amdhsa_ieee_mode 1
		.amdhsa_fp16_overflow 0
		.amdhsa_workgroup_processor_mode 1
		.amdhsa_memory_ordered 1
		.amdhsa_forward_progress 1
		.amdhsa_shared_vgpr_count 0
		.amdhsa_exception_fp_ieee_invalid_op 0
		.amdhsa_exception_fp_denorm_src 0
		.amdhsa_exception_fp_ieee_div_zero 0
		.amdhsa_exception_fp_ieee_overflow 0
		.amdhsa_exception_fp_ieee_underflow 0
		.amdhsa_exception_fp_ieee_inexact 0
		.amdhsa_exception_int_div_zero 0
	.end_amdhsa_kernel
	.section	.text._ZN7rocprim17ROCPRIM_400000_NS6detail17trampoline_kernelINS0_14default_configENS1_20scan_config_selectorIN3c108BFloat16EEEZZNS1_9scan_implILNS1_25lookback_scan_determinismE0ELb0ELb0ES3_PKS6_PS6_S6_ZZZN2at6native31launch_logcumsumexp_cuda_kernelERKNSD_10TensorBaseESH_lENKUlvE_clEvENKUlvE4_clEvEUlS6_S6_E_S6_EEDaPvRmT3_T4_T5_mT6_P12ihipStream_tbENKUlT_T0_E_clISt17integral_constantIbLb0EESY_EEDaST_SU_EUlST_E_NS1_11comp_targetILNS1_3genE5ELNS1_11target_archE942ELNS1_3gpuE9ELNS1_3repE0EEENS1_30default_config_static_selectorELNS0_4arch9wavefront6targetE0EEEvT1_,"axG",@progbits,_ZN7rocprim17ROCPRIM_400000_NS6detail17trampoline_kernelINS0_14default_configENS1_20scan_config_selectorIN3c108BFloat16EEEZZNS1_9scan_implILNS1_25lookback_scan_determinismE0ELb0ELb0ES3_PKS6_PS6_S6_ZZZN2at6native31launch_logcumsumexp_cuda_kernelERKNSD_10TensorBaseESH_lENKUlvE_clEvENKUlvE4_clEvEUlS6_S6_E_S6_EEDaPvRmT3_T4_T5_mT6_P12ihipStream_tbENKUlT_T0_E_clISt17integral_constantIbLb0EESY_EEDaST_SU_EUlST_E_NS1_11comp_targetILNS1_3genE5ELNS1_11target_archE942ELNS1_3gpuE9ELNS1_3repE0EEENS1_30default_config_static_selectorELNS0_4arch9wavefront6targetE0EEEvT1_,comdat
.Lfunc_end439:
	.size	_ZN7rocprim17ROCPRIM_400000_NS6detail17trampoline_kernelINS0_14default_configENS1_20scan_config_selectorIN3c108BFloat16EEEZZNS1_9scan_implILNS1_25lookback_scan_determinismE0ELb0ELb0ES3_PKS6_PS6_S6_ZZZN2at6native31launch_logcumsumexp_cuda_kernelERKNSD_10TensorBaseESH_lENKUlvE_clEvENKUlvE4_clEvEUlS6_S6_E_S6_EEDaPvRmT3_T4_T5_mT6_P12ihipStream_tbENKUlT_T0_E_clISt17integral_constantIbLb0EESY_EEDaST_SU_EUlST_E_NS1_11comp_targetILNS1_3genE5ELNS1_11target_archE942ELNS1_3gpuE9ELNS1_3repE0EEENS1_30default_config_static_selectorELNS0_4arch9wavefront6targetE0EEEvT1_, .Lfunc_end439-_ZN7rocprim17ROCPRIM_400000_NS6detail17trampoline_kernelINS0_14default_configENS1_20scan_config_selectorIN3c108BFloat16EEEZZNS1_9scan_implILNS1_25lookback_scan_determinismE0ELb0ELb0ES3_PKS6_PS6_S6_ZZZN2at6native31launch_logcumsumexp_cuda_kernelERKNSD_10TensorBaseESH_lENKUlvE_clEvENKUlvE4_clEvEUlS6_S6_E_S6_EEDaPvRmT3_T4_T5_mT6_P12ihipStream_tbENKUlT_T0_E_clISt17integral_constantIbLb0EESY_EEDaST_SU_EUlST_E_NS1_11comp_targetILNS1_3genE5ELNS1_11target_archE942ELNS1_3gpuE9ELNS1_3repE0EEENS1_30default_config_static_selectorELNS0_4arch9wavefront6targetE0EEEvT1_
                                        ; -- End function
	.set _ZN7rocprim17ROCPRIM_400000_NS6detail17trampoline_kernelINS0_14default_configENS1_20scan_config_selectorIN3c108BFloat16EEEZZNS1_9scan_implILNS1_25lookback_scan_determinismE0ELb0ELb0ES3_PKS6_PS6_S6_ZZZN2at6native31launch_logcumsumexp_cuda_kernelERKNSD_10TensorBaseESH_lENKUlvE_clEvENKUlvE4_clEvEUlS6_S6_E_S6_EEDaPvRmT3_T4_T5_mT6_P12ihipStream_tbENKUlT_T0_E_clISt17integral_constantIbLb0EESY_EEDaST_SU_EUlST_E_NS1_11comp_targetILNS1_3genE5ELNS1_11target_archE942ELNS1_3gpuE9ELNS1_3repE0EEENS1_30default_config_static_selectorELNS0_4arch9wavefront6targetE0EEEvT1_.num_vgpr, 0
	.set _ZN7rocprim17ROCPRIM_400000_NS6detail17trampoline_kernelINS0_14default_configENS1_20scan_config_selectorIN3c108BFloat16EEEZZNS1_9scan_implILNS1_25lookback_scan_determinismE0ELb0ELb0ES3_PKS6_PS6_S6_ZZZN2at6native31launch_logcumsumexp_cuda_kernelERKNSD_10TensorBaseESH_lENKUlvE_clEvENKUlvE4_clEvEUlS6_S6_E_S6_EEDaPvRmT3_T4_T5_mT6_P12ihipStream_tbENKUlT_T0_E_clISt17integral_constantIbLb0EESY_EEDaST_SU_EUlST_E_NS1_11comp_targetILNS1_3genE5ELNS1_11target_archE942ELNS1_3gpuE9ELNS1_3repE0EEENS1_30default_config_static_selectorELNS0_4arch9wavefront6targetE0EEEvT1_.num_agpr, 0
	.set _ZN7rocprim17ROCPRIM_400000_NS6detail17trampoline_kernelINS0_14default_configENS1_20scan_config_selectorIN3c108BFloat16EEEZZNS1_9scan_implILNS1_25lookback_scan_determinismE0ELb0ELb0ES3_PKS6_PS6_S6_ZZZN2at6native31launch_logcumsumexp_cuda_kernelERKNSD_10TensorBaseESH_lENKUlvE_clEvENKUlvE4_clEvEUlS6_S6_E_S6_EEDaPvRmT3_T4_T5_mT6_P12ihipStream_tbENKUlT_T0_E_clISt17integral_constantIbLb0EESY_EEDaST_SU_EUlST_E_NS1_11comp_targetILNS1_3genE5ELNS1_11target_archE942ELNS1_3gpuE9ELNS1_3repE0EEENS1_30default_config_static_selectorELNS0_4arch9wavefront6targetE0EEEvT1_.numbered_sgpr, 0
	.set _ZN7rocprim17ROCPRIM_400000_NS6detail17trampoline_kernelINS0_14default_configENS1_20scan_config_selectorIN3c108BFloat16EEEZZNS1_9scan_implILNS1_25lookback_scan_determinismE0ELb0ELb0ES3_PKS6_PS6_S6_ZZZN2at6native31launch_logcumsumexp_cuda_kernelERKNSD_10TensorBaseESH_lENKUlvE_clEvENKUlvE4_clEvEUlS6_S6_E_S6_EEDaPvRmT3_T4_T5_mT6_P12ihipStream_tbENKUlT_T0_E_clISt17integral_constantIbLb0EESY_EEDaST_SU_EUlST_E_NS1_11comp_targetILNS1_3genE5ELNS1_11target_archE942ELNS1_3gpuE9ELNS1_3repE0EEENS1_30default_config_static_selectorELNS0_4arch9wavefront6targetE0EEEvT1_.num_named_barrier, 0
	.set _ZN7rocprim17ROCPRIM_400000_NS6detail17trampoline_kernelINS0_14default_configENS1_20scan_config_selectorIN3c108BFloat16EEEZZNS1_9scan_implILNS1_25lookback_scan_determinismE0ELb0ELb0ES3_PKS6_PS6_S6_ZZZN2at6native31launch_logcumsumexp_cuda_kernelERKNSD_10TensorBaseESH_lENKUlvE_clEvENKUlvE4_clEvEUlS6_S6_E_S6_EEDaPvRmT3_T4_T5_mT6_P12ihipStream_tbENKUlT_T0_E_clISt17integral_constantIbLb0EESY_EEDaST_SU_EUlST_E_NS1_11comp_targetILNS1_3genE5ELNS1_11target_archE942ELNS1_3gpuE9ELNS1_3repE0EEENS1_30default_config_static_selectorELNS0_4arch9wavefront6targetE0EEEvT1_.private_seg_size, 0
	.set _ZN7rocprim17ROCPRIM_400000_NS6detail17trampoline_kernelINS0_14default_configENS1_20scan_config_selectorIN3c108BFloat16EEEZZNS1_9scan_implILNS1_25lookback_scan_determinismE0ELb0ELb0ES3_PKS6_PS6_S6_ZZZN2at6native31launch_logcumsumexp_cuda_kernelERKNSD_10TensorBaseESH_lENKUlvE_clEvENKUlvE4_clEvEUlS6_S6_E_S6_EEDaPvRmT3_T4_T5_mT6_P12ihipStream_tbENKUlT_T0_E_clISt17integral_constantIbLb0EESY_EEDaST_SU_EUlST_E_NS1_11comp_targetILNS1_3genE5ELNS1_11target_archE942ELNS1_3gpuE9ELNS1_3repE0EEENS1_30default_config_static_selectorELNS0_4arch9wavefront6targetE0EEEvT1_.uses_vcc, 0
	.set _ZN7rocprim17ROCPRIM_400000_NS6detail17trampoline_kernelINS0_14default_configENS1_20scan_config_selectorIN3c108BFloat16EEEZZNS1_9scan_implILNS1_25lookback_scan_determinismE0ELb0ELb0ES3_PKS6_PS6_S6_ZZZN2at6native31launch_logcumsumexp_cuda_kernelERKNSD_10TensorBaseESH_lENKUlvE_clEvENKUlvE4_clEvEUlS6_S6_E_S6_EEDaPvRmT3_T4_T5_mT6_P12ihipStream_tbENKUlT_T0_E_clISt17integral_constantIbLb0EESY_EEDaST_SU_EUlST_E_NS1_11comp_targetILNS1_3genE5ELNS1_11target_archE942ELNS1_3gpuE9ELNS1_3repE0EEENS1_30default_config_static_selectorELNS0_4arch9wavefront6targetE0EEEvT1_.uses_flat_scratch, 0
	.set _ZN7rocprim17ROCPRIM_400000_NS6detail17trampoline_kernelINS0_14default_configENS1_20scan_config_selectorIN3c108BFloat16EEEZZNS1_9scan_implILNS1_25lookback_scan_determinismE0ELb0ELb0ES3_PKS6_PS6_S6_ZZZN2at6native31launch_logcumsumexp_cuda_kernelERKNSD_10TensorBaseESH_lENKUlvE_clEvENKUlvE4_clEvEUlS6_S6_E_S6_EEDaPvRmT3_T4_T5_mT6_P12ihipStream_tbENKUlT_T0_E_clISt17integral_constantIbLb0EESY_EEDaST_SU_EUlST_E_NS1_11comp_targetILNS1_3genE5ELNS1_11target_archE942ELNS1_3gpuE9ELNS1_3repE0EEENS1_30default_config_static_selectorELNS0_4arch9wavefront6targetE0EEEvT1_.has_dyn_sized_stack, 0
	.set _ZN7rocprim17ROCPRIM_400000_NS6detail17trampoline_kernelINS0_14default_configENS1_20scan_config_selectorIN3c108BFloat16EEEZZNS1_9scan_implILNS1_25lookback_scan_determinismE0ELb0ELb0ES3_PKS6_PS6_S6_ZZZN2at6native31launch_logcumsumexp_cuda_kernelERKNSD_10TensorBaseESH_lENKUlvE_clEvENKUlvE4_clEvEUlS6_S6_E_S6_EEDaPvRmT3_T4_T5_mT6_P12ihipStream_tbENKUlT_T0_E_clISt17integral_constantIbLb0EESY_EEDaST_SU_EUlST_E_NS1_11comp_targetILNS1_3genE5ELNS1_11target_archE942ELNS1_3gpuE9ELNS1_3repE0EEENS1_30default_config_static_selectorELNS0_4arch9wavefront6targetE0EEEvT1_.has_recursion, 0
	.set _ZN7rocprim17ROCPRIM_400000_NS6detail17trampoline_kernelINS0_14default_configENS1_20scan_config_selectorIN3c108BFloat16EEEZZNS1_9scan_implILNS1_25lookback_scan_determinismE0ELb0ELb0ES3_PKS6_PS6_S6_ZZZN2at6native31launch_logcumsumexp_cuda_kernelERKNSD_10TensorBaseESH_lENKUlvE_clEvENKUlvE4_clEvEUlS6_S6_E_S6_EEDaPvRmT3_T4_T5_mT6_P12ihipStream_tbENKUlT_T0_E_clISt17integral_constantIbLb0EESY_EEDaST_SU_EUlST_E_NS1_11comp_targetILNS1_3genE5ELNS1_11target_archE942ELNS1_3gpuE9ELNS1_3repE0EEENS1_30default_config_static_selectorELNS0_4arch9wavefront6targetE0EEEvT1_.has_indirect_call, 0
	.section	.AMDGPU.csdata,"",@progbits
; Kernel info:
; codeLenInByte = 0
; TotalNumSgprs: 0
; NumVgprs: 0
; ScratchSize: 0
; MemoryBound: 0
; FloatMode: 240
; IeeeMode: 1
; LDSByteSize: 0 bytes/workgroup (compile time only)
; SGPRBlocks: 0
; VGPRBlocks: 0
; NumSGPRsForWavesPerEU: 1
; NumVGPRsForWavesPerEU: 1
; Occupancy: 16
; WaveLimiterHint : 0
; COMPUTE_PGM_RSRC2:SCRATCH_EN: 0
; COMPUTE_PGM_RSRC2:USER_SGPR: 6
; COMPUTE_PGM_RSRC2:TRAP_HANDLER: 0
; COMPUTE_PGM_RSRC2:TGID_X_EN: 1
; COMPUTE_PGM_RSRC2:TGID_Y_EN: 0
; COMPUTE_PGM_RSRC2:TGID_Z_EN: 0
; COMPUTE_PGM_RSRC2:TIDIG_COMP_CNT: 0
	.section	.text._ZN7rocprim17ROCPRIM_400000_NS6detail17trampoline_kernelINS0_14default_configENS1_20scan_config_selectorIN3c108BFloat16EEEZZNS1_9scan_implILNS1_25lookback_scan_determinismE0ELb0ELb0ES3_PKS6_PS6_S6_ZZZN2at6native31launch_logcumsumexp_cuda_kernelERKNSD_10TensorBaseESH_lENKUlvE_clEvENKUlvE4_clEvEUlS6_S6_E_S6_EEDaPvRmT3_T4_T5_mT6_P12ihipStream_tbENKUlT_T0_E_clISt17integral_constantIbLb0EESY_EEDaST_SU_EUlST_E_NS1_11comp_targetILNS1_3genE4ELNS1_11target_archE910ELNS1_3gpuE8ELNS1_3repE0EEENS1_30default_config_static_selectorELNS0_4arch9wavefront6targetE0EEEvT1_,"axG",@progbits,_ZN7rocprim17ROCPRIM_400000_NS6detail17trampoline_kernelINS0_14default_configENS1_20scan_config_selectorIN3c108BFloat16EEEZZNS1_9scan_implILNS1_25lookback_scan_determinismE0ELb0ELb0ES3_PKS6_PS6_S6_ZZZN2at6native31launch_logcumsumexp_cuda_kernelERKNSD_10TensorBaseESH_lENKUlvE_clEvENKUlvE4_clEvEUlS6_S6_E_S6_EEDaPvRmT3_T4_T5_mT6_P12ihipStream_tbENKUlT_T0_E_clISt17integral_constantIbLb0EESY_EEDaST_SU_EUlST_E_NS1_11comp_targetILNS1_3genE4ELNS1_11target_archE910ELNS1_3gpuE8ELNS1_3repE0EEENS1_30default_config_static_selectorELNS0_4arch9wavefront6targetE0EEEvT1_,comdat
	.globl	_ZN7rocprim17ROCPRIM_400000_NS6detail17trampoline_kernelINS0_14default_configENS1_20scan_config_selectorIN3c108BFloat16EEEZZNS1_9scan_implILNS1_25lookback_scan_determinismE0ELb0ELb0ES3_PKS6_PS6_S6_ZZZN2at6native31launch_logcumsumexp_cuda_kernelERKNSD_10TensorBaseESH_lENKUlvE_clEvENKUlvE4_clEvEUlS6_S6_E_S6_EEDaPvRmT3_T4_T5_mT6_P12ihipStream_tbENKUlT_T0_E_clISt17integral_constantIbLb0EESY_EEDaST_SU_EUlST_E_NS1_11comp_targetILNS1_3genE4ELNS1_11target_archE910ELNS1_3gpuE8ELNS1_3repE0EEENS1_30default_config_static_selectorELNS0_4arch9wavefront6targetE0EEEvT1_ ; -- Begin function _ZN7rocprim17ROCPRIM_400000_NS6detail17trampoline_kernelINS0_14default_configENS1_20scan_config_selectorIN3c108BFloat16EEEZZNS1_9scan_implILNS1_25lookback_scan_determinismE0ELb0ELb0ES3_PKS6_PS6_S6_ZZZN2at6native31launch_logcumsumexp_cuda_kernelERKNSD_10TensorBaseESH_lENKUlvE_clEvENKUlvE4_clEvEUlS6_S6_E_S6_EEDaPvRmT3_T4_T5_mT6_P12ihipStream_tbENKUlT_T0_E_clISt17integral_constantIbLb0EESY_EEDaST_SU_EUlST_E_NS1_11comp_targetILNS1_3genE4ELNS1_11target_archE910ELNS1_3gpuE8ELNS1_3repE0EEENS1_30default_config_static_selectorELNS0_4arch9wavefront6targetE0EEEvT1_
	.p2align	8
	.type	_ZN7rocprim17ROCPRIM_400000_NS6detail17trampoline_kernelINS0_14default_configENS1_20scan_config_selectorIN3c108BFloat16EEEZZNS1_9scan_implILNS1_25lookback_scan_determinismE0ELb0ELb0ES3_PKS6_PS6_S6_ZZZN2at6native31launch_logcumsumexp_cuda_kernelERKNSD_10TensorBaseESH_lENKUlvE_clEvENKUlvE4_clEvEUlS6_S6_E_S6_EEDaPvRmT3_T4_T5_mT6_P12ihipStream_tbENKUlT_T0_E_clISt17integral_constantIbLb0EESY_EEDaST_SU_EUlST_E_NS1_11comp_targetILNS1_3genE4ELNS1_11target_archE910ELNS1_3gpuE8ELNS1_3repE0EEENS1_30default_config_static_selectorELNS0_4arch9wavefront6targetE0EEEvT1_,@function
_ZN7rocprim17ROCPRIM_400000_NS6detail17trampoline_kernelINS0_14default_configENS1_20scan_config_selectorIN3c108BFloat16EEEZZNS1_9scan_implILNS1_25lookback_scan_determinismE0ELb0ELb0ES3_PKS6_PS6_S6_ZZZN2at6native31launch_logcumsumexp_cuda_kernelERKNSD_10TensorBaseESH_lENKUlvE_clEvENKUlvE4_clEvEUlS6_S6_E_S6_EEDaPvRmT3_T4_T5_mT6_P12ihipStream_tbENKUlT_T0_E_clISt17integral_constantIbLb0EESY_EEDaST_SU_EUlST_E_NS1_11comp_targetILNS1_3genE4ELNS1_11target_archE910ELNS1_3gpuE8ELNS1_3repE0EEENS1_30default_config_static_selectorELNS0_4arch9wavefront6targetE0EEEvT1_: ; @_ZN7rocprim17ROCPRIM_400000_NS6detail17trampoline_kernelINS0_14default_configENS1_20scan_config_selectorIN3c108BFloat16EEEZZNS1_9scan_implILNS1_25lookback_scan_determinismE0ELb0ELb0ES3_PKS6_PS6_S6_ZZZN2at6native31launch_logcumsumexp_cuda_kernelERKNSD_10TensorBaseESH_lENKUlvE_clEvENKUlvE4_clEvEUlS6_S6_E_S6_EEDaPvRmT3_T4_T5_mT6_P12ihipStream_tbENKUlT_T0_E_clISt17integral_constantIbLb0EESY_EEDaST_SU_EUlST_E_NS1_11comp_targetILNS1_3genE4ELNS1_11target_archE910ELNS1_3gpuE8ELNS1_3repE0EEENS1_30default_config_static_selectorELNS0_4arch9wavefront6targetE0EEEvT1_
; %bb.0:
	.section	.rodata,"a",@progbits
	.p2align	6, 0x0
	.amdhsa_kernel _ZN7rocprim17ROCPRIM_400000_NS6detail17trampoline_kernelINS0_14default_configENS1_20scan_config_selectorIN3c108BFloat16EEEZZNS1_9scan_implILNS1_25lookback_scan_determinismE0ELb0ELb0ES3_PKS6_PS6_S6_ZZZN2at6native31launch_logcumsumexp_cuda_kernelERKNSD_10TensorBaseESH_lENKUlvE_clEvENKUlvE4_clEvEUlS6_S6_E_S6_EEDaPvRmT3_T4_T5_mT6_P12ihipStream_tbENKUlT_T0_E_clISt17integral_constantIbLb0EESY_EEDaST_SU_EUlST_E_NS1_11comp_targetILNS1_3genE4ELNS1_11target_archE910ELNS1_3gpuE8ELNS1_3repE0EEENS1_30default_config_static_selectorELNS0_4arch9wavefront6targetE0EEEvT1_
		.amdhsa_group_segment_fixed_size 0
		.amdhsa_private_segment_fixed_size 0
		.amdhsa_kernarg_size 96
		.amdhsa_user_sgpr_count 6
		.amdhsa_user_sgpr_private_segment_buffer 1
		.amdhsa_user_sgpr_dispatch_ptr 0
		.amdhsa_user_sgpr_queue_ptr 0
		.amdhsa_user_sgpr_kernarg_segment_ptr 1
		.amdhsa_user_sgpr_dispatch_id 0
		.amdhsa_user_sgpr_flat_scratch_init 0
		.amdhsa_user_sgpr_private_segment_size 0
		.amdhsa_wavefront_size32 1
		.amdhsa_uses_dynamic_stack 0
		.amdhsa_system_sgpr_private_segment_wavefront_offset 0
		.amdhsa_system_sgpr_workgroup_id_x 1
		.amdhsa_system_sgpr_workgroup_id_y 0
		.amdhsa_system_sgpr_workgroup_id_z 0
		.amdhsa_system_sgpr_workgroup_info 0
		.amdhsa_system_vgpr_workitem_id 0
		.amdhsa_next_free_vgpr 1
		.amdhsa_next_free_sgpr 1
		.amdhsa_reserve_vcc 0
		.amdhsa_reserve_flat_scratch 0
		.amdhsa_float_round_mode_32 0
		.amdhsa_float_round_mode_16_64 0
		.amdhsa_float_denorm_mode_32 3
		.amdhsa_float_denorm_mode_16_64 3
		.amdhsa_dx10_clamp 1
		.amdhsa_ieee_mode 1
		.amdhsa_fp16_overflow 0
		.amdhsa_workgroup_processor_mode 1
		.amdhsa_memory_ordered 1
		.amdhsa_forward_progress 1
		.amdhsa_shared_vgpr_count 0
		.amdhsa_exception_fp_ieee_invalid_op 0
		.amdhsa_exception_fp_denorm_src 0
		.amdhsa_exception_fp_ieee_div_zero 0
		.amdhsa_exception_fp_ieee_overflow 0
		.amdhsa_exception_fp_ieee_underflow 0
		.amdhsa_exception_fp_ieee_inexact 0
		.amdhsa_exception_int_div_zero 0
	.end_amdhsa_kernel
	.section	.text._ZN7rocprim17ROCPRIM_400000_NS6detail17trampoline_kernelINS0_14default_configENS1_20scan_config_selectorIN3c108BFloat16EEEZZNS1_9scan_implILNS1_25lookback_scan_determinismE0ELb0ELb0ES3_PKS6_PS6_S6_ZZZN2at6native31launch_logcumsumexp_cuda_kernelERKNSD_10TensorBaseESH_lENKUlvE_clEvENKUlvE4_clEvEUlS6_S6_E_S6_EEDaPvRmT3_T4_T5_mT6_P12ihipStream_tbENKUlT_T0_E_clISt17integral_constantIbLb0EESY_EEDaST_SU_EUlST_E_NS1_11comp_targetILNS1_3genE4ELNS1_11target_archE910ELNS1_3gpuE8ELNS1_3repE0EEENS1_30default_config_static_selectorELNS0_4arch9wavefront6targetE0EEEvT1_,"axG",@progbits,_ZN7rocprim17ROCPRIM_400000_NS6detail17trampoline_kernelINS0_14default_configENS1_20scan_config_selectorIN3c108BFloat16EEEZZNS1_9scan_implILNS1_25lookback_scan_determinismE0ELb0ELb0ES3_PKS6_PS6_S6_ZZZN2at6native31launch_logcumsumexp_cuda_kernelERKNSD_10TensorBaseESH_lENKUlvE_clEvENKUlvE4_clEvEUlS6_S6_E_S6_EEDaPvRmT3_T4_T5_mT6_P12ihipStream_tbENKUlT_T0_E_clISt17integral_constantIbLb0EESY_EEDaST_SU_EUlST_E_NS1_11comp_targetILNS1_3genE4ELNS1_11target_archE910ELNS1_3gpuE8ELNS1_3repE0EEENS1_30default_config_static_selectorELNS0_4arch9wavefront6targetE0EEEvT1_,comdat
.Lfunc_end440:
	.size	_ZN7rocprim17ROCPRIM_400000_NS6detail17trampoline_kernelINS0_14default_configENS1_20scan_config_selectorIN3c108BFloat16EEEZZNS1_9scan_implILNS1_25lookback_scan_determinismE0ELb0ELb0ES3_PKS6_PS6_S6_ZZZN2at6native31launch_logcumsumexp_cuda_kernelERKNSD_10TensorBaseESH_lENKUlvE_clEvENKUlvE4_clEvEUlS6_S6_E_S6_EEDaPvRmT3_T4_T5_mT6_P12ihipStream_tbENKUlT_T0_E_clISt17integral_constantIbLb0EESY_EEDaST_SU_EUlST_E_NS1_11comp_targetILNS1_3genE4ELNS1_11target_archE910ELNS1_3gpuE8ELNS1_3repE0EEENS1_30default_config_static_selectorELNS0_4arch9wavefront6targetE0EEEvT1_, .Lfunc_end440-_ZN7rocprim17ROCPRIM_400000_NS6detail17trampoline_kernelINS0_14default_configENS1_20scan_config_selectorIN3c108BFloat16EEEZZNS1_9scan_implILNS1_25lookback_scan_determinismE0ELb0ELb0ES3_PKS6_PS6_S6_ZZZN2at6native31launch_logcumsumexp_cuda_kernelERKNSD_10TensorBaseESH_lENKUlvE_clEvENKUlvE4_clEvEUlS6_S6_E_S6_EEDaPvRmT3_T4_T5_mT6_P12ihipStream_tbENKUlT_T0_E_clISt17integral_constantIbLb0EESY_EEDaST_SU_EUlST_E_NS1_11comp_targetILNS1_3genE4ELNS1_11target_archE910ELNS1_3gpuE8ELNS1_3repE0EEENS1_30default_config_static_selectorELNS0_4arch9wavefront6targetE0EEEvT1_
                                        ; -- End function
	.set _ZN7rocprim17ROCPRIM_400000_NS6detail17trampoline_kernelINS0_14default_configENS1_20scan_config_selectorIN3c108BFloat16EEEZZNS1_9scan_implILNS1_25lookback_scan_determinismE0ELb0ELb0ES3_PKS6_PS6_S6_ZZZN2at6native31launch_logcumsumexp_cuda_kernelERKNSD_10TensorBaseESH_lENKUlvE_clEvENKUlvE4_clEvEUlS6_S6_E_S6_EEDaPvRmT3_T4_T5_mT6_P12ihipStream_tbENKUlT_T0_E_clISt17integral_constantIbLb0EESY_EEDaST_SU_EUlST_E_NS1_11comp_targetILNS1_3genE4ELNS1_11target_archE910ELNS1_3gpuE8ELNS1_3repE0EEENS1_30default_config_static_selectorELNS0_4arch9wavefront6targetE0EEEvT1_.num_vgpr, 0
	.set _ZN7rocprim17ROCPRIM_400000_NS6detail17trampoline_kernelINS0_14default_configENS1_20scan_config_selectorIN3c108BFloat16EEEZZNS1_9scan_implILNS1_25lookback_scan_determinismE0ELb0ELb0ES3_PKS6_PS6_S6_ZZZN2at6native31launch_logcumsumexp_cuda_kernelERKNSD_10TensorBaseESH_lENKUlvE_clEvENKUlvE4_clEvEUlS6_S6_E_S6_EEDaPvRmT3_T4_T5_mT6_P12ihipStream_tbENKUlT_T0_E_clISt17integral_constantIbLb0EESY_EEDaST_SU_EUlST_E_NS1_11comp_targetILNS1_3genE4ELNS1_11target_archE910ELNS1_3gpuE8ELNS1_3repE0EEENS1_30default_config_static_selectorELNS0_4arch9wavefront6targetE0EEEvT1_.num_agpr, 0
	.set _ZN7rocprim17ROCPRIM_400000_NS6detail17trampoline_kernelINS0_14default_configENS1_20scan_config_selectorIN3c108BFloat16EEEZZNS1_9scan_implILNS1_25lookback_scan_determinismE0ELb0ELb0ES3_PKS6_PS6_S6_ZZZN2at6native31launch_logcumsumexp_cuda_kernelERKNSD_10TensorBaseESH_lENKUlvE_clEvENKUlvE4_clEvEUlS6_S6_E_S6_EEDaPvRmT3_T4_T5_mT6_P12ihipStream_tbENKUlT_T0_E_clISt17integral_constantIbLb0EESY_EEDaST_SU_EUlST_E_NS1_11comp_targetILNS1_3genE4ELNS1_11target_archE910ELNS1_3gpuE8ELNS1_3repE0EEENS1_30default_config_static_selectorELNS0_4arch9wavefront6targetE0EEEvT1_.numbered_sgpr, 0
	.set _ZN7rocprim17ROCPRIM_400000_NS6detail17trampoline_kernelINS0_14default_configENS1_20scan_config_selectorIN3c108BFloat16EEEZZNS1_9scan_implILNS1_25lookback_scan_determinismE0ELb0ELb0ES3_PKS6_PS6_S6_ZZZN2at6native31launch_logcumsumexp_cuda_kernelERKNSD_10TensorBaseESH_lENKUlvE_clEvENKUlvE4_clEvEUlS6_S6_E_S6_EEDaPvRmT3_T4_T5_mT6_P12ihipStream_tbENKUlT_T0_E_clISt17integral_constantIbLb0EESY_EEDaST_SU_EUlST_E_NS1_11comp_targetILNS1_3genE4ELNS1_11target_archE910ELNS1_3gpuE8ELNS1_3repE0EEENS1_30default_config_static_selectorELNS0_4arch9wavefront6targetE0EEEvT1_.num_named_barrier, 0
	.set _ZN7rocprim17ROCPRIM_400000_NS6detail17trampoline_kernelINS0_14default_configENS1_20scan_config_selectorIN3c108BFloat16EEEZZNS1_9scan_implILNS1_25lookback_scan_determinismE0ELb0ELb0ES3_PKS6_PS6_S6_ZZZN2at6native31launch_logcumsumexp_cuda_kernelERKNSD_10TensorBaseESH_lENKUlvE_clEvENKUlvE4_clEvEUlS6_S6_E_S6_EEDaPvRmT3_T4_T5_mT6_P12ihipStream_tbENKUlT_T0_E_clISt17integral_constantIbLb0EESY_EEDaST_SU_EUlST_E_NS1_11comp_targetILNS1_3genE4ELNS1_11target_archE910ELNS1_3gpuE8ELNS1_3repE0EEENS1_30default_config_static_selectorELNS0_4arch9wavefront6targetE0EEEvT1_.private_seg_size, 0
	.set _ZN7rocprim17ROCPRIM_400000_NS6detail17trampoline_kernelINS0_14default_configENS1_20scan_config_selectorIN3c108BFloat16EEEZZNS1_9scan_implILNS1_25lookback_scan_determinismE0ELb0ELb0ES3_PKS6_PS6_S6_ZZZN2at6native31launch_logcumsumexp_cuda_kernelERKNSD_10TensorBaseESH_lENKUlvE_clEvENKUlvE4_clEvEUlS6_S6_E_S6_EEDaPvRmT3_T4_T5_mT6_P12ihipStream_tbENKUlT_T0_E_clISt17integral_constantIbLb0EESY_EEDaST_SU_EUlST_E_NS1_11comp_targetILNS1_3genE4ELNS1_11target_archE910ELNS1_3gpuE8ELNS1_3repE0EEENS1_30default_config_static_selectorELNS0_4arch9wavefront6targetE0EEEvT1_.uses_vcc, 0
	.set _ZN7rocprim17ROCPRIM_400000_NS6detail17trampoline_kernelINS0_14default_configENS1_20scan_config_selectorIN3c108BFloat16EEEZZNS1_9scan_implILNS1_25lookback_scan_determinismE0ELb0ELb0ES3_PKS6_PS6_S6_ZZZN2at6native31launch_logcumsumexp_cuda_kernelERKNSD_10TensorBaseESH_lENKUlvE_clEvENKUlvE4_clEvEUlS6_S6_E_S6_EEDaPvRmT3_T4_T5_mT6_P12ihipStream_tbENKUlT_T0_E_clISt17integral_constantIbLb0EESY_EEDaST_SU_EUlST_E_NS1_11comp_targetILNS1_3genE4ELNS1_11target_archE910ELNS1_3gpuE8ELNS1_3repE0EEENS1_30default_config_static_selectorELNS0_4arch9wavefront6targetE0EEEvT1_.uses_flat_scratch, 0
	.set _ZN7rocprim17ROCPRIM_400000_NS6detail17trampoline_kernelINS0_14default_configENS1_20scan_config_selectorIN3c108BFloat16EEEZZNS1_9scan_implILNS1_25lookback_scan_determinismE0ELb0ELb0ES3_PKS6_PS6_S6_ZZZN2at6native31launch_logcumsumexp_cuda_kernelERKNSD_10TensorBaseESH_lENKUlvE_clEvENKUlvE4_clEvEUlS6_S6_E_S6_EEDaPvRmT3_T4_T5_mT6_P12ihipStream_tbENKUlT_T0_E_clISt17integral_constantIbLb0EESY_EEDaST_SU_EUlST_E_NS1_11comp_targetILNS1_3genE4ELNS1_11target_archE910ELNS1_3gpuE8ELNS1_3repE0EEENS1_30default_config_static_selectorELNS0_4arch9wavefront6targetE0EEEvT1_.has_dyn_sized_stack, 0
	.set _ZN7rocprim17ROCPRIM_400000_NS6detail17trampoline_kernelINS0_14default_configENS1_20scan_config_selectorIN3c108BFloat16EEEZZNS1_9scan_implILNS1_25lookback_scan_determinismE0ELb0ELb0ES3_PKS6_PS6_S6_ZZZN2at6native31launch_logcumsumexp_cuda_kernelERKNSD_10TensorBaseESH_lENKUlvE_clEvENKUlvE4_clEvEUlS6_S6_E_S6_EEDaPvRmT3_T4_T5_mT6_P12ihipStream_tbENKUlT_T0_E_clISt17integral_constantIbLb0EESY_EEDaST_SU_EUlST_E_NS1_11comp_targetILNS1_3genE4ELNS1_11target_archE910ELNS1_3gpuE8ELNS1_3repE0EEENS1_30default_config_static_selectorELNS0_4arch9wavefront6targetE0EEEvT1_.has_recursion, 0
	.set _ZN7rocprim17ROCPRIM_400000_NS6detail17trampoline_kernelINS0_14default_configENS1_20scan_config_selectorIN3c108BFloat16EEEZZNS1_9scan_implILNS1_25lookback_scan_determinismE0ELb0ELb0ES3_PKS6_PS6_S6_ZZZN2at6native31launch_logcumsumexp_cuda_kernelERKNSD_10TensorBaseESH_lENKUlvE_clEvENKUlvE4_clEvEUlS6_S6_E_S6_EEDaPvRmT3_T4_T5_mT6_P12ihipStream_tbENKUlT_T0_E_clISt17integral_constantIbLb0EESY_EEDaST_SU_EUlST_E_NS1_11comp_targetILNS1_3genE4ELNS1_11target_archE910ELNS1_3gpuE8ELNS1_3repE0EEENS1_30default_config_static_selectorELNS0_4arch9wavefront6targetE0EEEvT1_.has_indirect_call, 0
	.section	.AMDGPU.csdata,"",@progbits
; Kernel info:
; codeLenInByte = 0
; TotalNumSgprs: 0
; NumVgprs: 0
; ScratchSize: 0
; MemoryBound: 0
; FloatMode: 240
; IeeeMode: 1
; LDSByteSize: 0 bytes/workgroup (compile time only)
; SGPRBlocks: 0
; VGPRBlocks: 0
; NumSGPRsForWavesPerEU: 1
; NumVGPRsForWavesPerEU: 1
; Occupancy: 16
; WaveLimiterHint : 0
; COMPUTE_PGM_RSRC2:SCRATCH_EN: 0
; COMPUTE_PGM_RSRC2:USER_SGPR: 6
; COMPUTE_PGM_RSRC2:TRAP_HANDLER: 0
; COMPUTE_PGM_RSRC2:TGID_X_EN: 1
; COMPUTE_PGM_RSRC2:TGID_Y_EN: 0
; COMPUTE_PGM_RSRC2:TGID_Z_EN: 0
; COMPUTE_PGM_RSRC2:TIDIG_COMP_CNT: 0
	.section	.text._ZN7rocprim17ROCPRIM_400000_NS6detail17trampoline_kernelINS0_14default_configENS1_20scan_config_selectorIN3c108BFloat16EEEZZNS1_9scan_implILNS1_25lookback_scan_determinismE0ELb0ELb0ES3_PKS6_PS6_S6_ZZZN2at6native31launch_logcumsumexp_cuda_kernelERKNSD_10TensorBaseESH_lENKUlvE_clEvENKUlvE4_clEvEUlS6_S6_E_S6_EEDaPvRmT3_T4_T5_mT6_P12ihipStream_tbENKUlT_T0_E_clISt17integral_constantIbLb0EESY_EEDaST_SU_EUlST_E_NS1_11comp_targetILNS1_3genE3ELNS1_11target_archE908ELNS1_3gpuE7ELNS1_3repE0EEENS1_30default_config_static_selectorELNS0_4arch9wavefront6targetE0EEEvT1_,"axG",@progbits,_ZN7rocprim17ROCPRIM_400000_NS6detail17trampoline_kernelINS0_14default_configENS1_20scan_config_selectorIN3c108BFloat16EEEZZNS1_9scan_implILNS1_25lookback_scan_determinismE0ELb0ELb0ES3_PKS6_PS6_S6_ZZZN2at6native31launch_logcumsumexp_cuda_kernelERKNSD_10TensorBaseESH_lENKUlvE_clEvENKUlvE4_clEvEUlS6_S6_E_S6_EEDaPvRmT3_T4_T5_mT6_P12ihipStream_tbENKUlT_T0_E_clISt17integral_constantIbLb0EESY_EEDaST_SU_EUlST_E_NS1_11comp_targetILNS1_3genE3ELNS1_11target_archE908ELNS1_3gpuE7ELNS1_3repE0EEENS1_30default_config_static_selectorELNS0_4arch9wavefront6targetE0EEEvT1_,comdat
	.globl	_ZN7rocprim17ROCPRIM_400000_NS6detail17trampoline_kernelINS0_14default_configENS1_20scan_config_selectorIN3c108BFloat16EEEZZNS1_9scan_implILNS1_25lookback_scan_determinismE0ELb0ELb0ES3_PKS6_PS6_S6_ZZZN2at6native31launch_logcumsumexp_cuda_kernelERKNSD_10TensorBaseESH_lENKUlvE_clEvENKUlvE4_clEvEUlS6_S6_E_S6_EEDaPvRmT3_T4_T5_mT6_P12ihipStream_tbENKUlT_T0_E_clISt17integral_constantIbLb0EESY_EEDaST_SU_EUlST_E_NS1_11comp_targetILNS1_3genE3ELNS1_11target_archE908ELNS1_3gpuE7ELNS1_3repE0EEENS1_30default_config_static_selectorELNS0_4arch9wavefront6targetE0EEEvT1_ ; -- Begin function _ZN7rocprim17ROCPRIM_400000_NS6detail17trampoline_kernelINS0_14default_configENS1_20scan_config_selectorIN3c108BFloat16EEEZZNS1_9scan_implILNS1_25lookback_scan_determinismE0ELb0ELb0ES3_PKS6_PS6_S6_ZZZN2at6native31launch_logcumsumexp_cuda_kernelERKNSD_10TensorBaseESH_lENKUlvE_clEvENKUlvE4_clEvEUlS6_S6_E_S6_EEDaPvRmT3_T4_T5_mT6_P12ihipStream_tbENKUlT_T0_E_clISt17integral_constantIbLb0EESY_EEDaST_SU_EUlST_E_NS1_11comp_targetILNS1_3genE3ELNS1_11target_archE908ELNS1_3gpuE7ELNS1_3repE0EEENS1_30default_config_static_selectorELNS0_4arch9wavefront6targetE0EEEvT1_
	.p2align	8
	.type	_ZN7rocprim17ROCPRIM_400000_NS6detail17trampoline_kernelINS0_14default_configENS1_20scan_config_selectorIN3c108BFloat16EEEZZNS1_9scan_implILNS1_25lookback_scan_determinismE0ELb0ELb0ES3_PKS6_PS6_S6_ZZZN2at6native31launch_logcumsumexp_cuda_kernelERKNSD_10TensorBaseESH_lENKUlvE_clEvENKUlvE4_clEvEUlS6_S6_E_S6_EEDaPvRmT3_T4_T5_mT6_P12ihipStream_tbENKUlT_T0_E_clISt17integral_constantIbLb0EESY_EEDaST_SU_EUlST_E_NS1_11comp_targetILNS1_3genE3ELNS1_11target_archE908ELNS1_3gpuE7ELNS1_3repE0EEENS1_30default_config_static_selectorELNS0_4arch9wavefront6targetE0EEEvT1_,@function
_ZN7rocprim17ROCPRIM_400000_NS6detail17trampoline_kernelINS0_14default_configENS1_20scan_config_selectorIN3c108BFloat16EEEZZNS1_9scan_implILNS1_25lookback_scan_determinismE0ELb0ELb0ES3_PKS6_PS6_S6_ZZZN2at6native31launch_logcumsumexp_cuda_kernelERKNSD_10TensorBaseESH_lENKUlvE_clEvENKUlvE4_clEvEUlS6_S6_E_S6_EEDaPvRmT3_T4_T5_mT6_P12ihipStream_tbENKUlT_T0_E_clISt17integral_constantIbLb0EESY_EEDaST_SU_EUlST_E_NS1_11comp_targetILNS1_3genE3ELNS1_11target_archE908ELNS1_3gpuE7ELNS1_3repE0EEENS1_30default_config_static_selectorELNS0_4arch9wavefront6targetE0EEEvT1_: ; @_ZN7rocprim17ROCPRIM_400000_NS6detail17trampoline_kernelINS0_14default_configENS1_20scan_config_selectorIN3c108BFloat16EEEZZNS1_9scan_implILNS1_25lookback_scan_determinismE0ELb0ELb0ES3_PKS6_PS6_S6_ZZZN2at6native31launch_logcumsumexp_cuda_kernelERKNSD_10TensorBaseESH_lENKUlvE_clEvENKUlvE4_clEvEUlS6_S6_E_S6_EEDaPvRmT3_T4_T5_mT6_P12ihipStream_tbENKUlT_T0_E_clISt17integral_constantIbLb0EESY_EEDaST_SU_EUlST_E_NS1_11comp_targetILNS1_3genE3ELNS1_11target_archE908ELNS1_3gpuE7ELNS1_3repE0EEENS1_30default_config_static_selectorELNS0_4arch9wavefront6targetE0EEEvT1_
; %bb.0:
	.section	.rodata,"a",@progbits
	.p2align	6, 0x0
	.amdhsa_kernel _ZN7rocprim17ROCPRIM_400000_NS6detail17trampoline_kernelINS0_14default_configENS1_20scan_config_selectorIN3c108BFloat16EEEZZNS1_9scan_implILNS1_25lookback_scan_determinismE0ELb0ELb0ES3_PKS6_PS6_S6_ZZZN2at6native31launch_logcumsumexp_cuda_kernelERKNSD_10TensorBaseESH_lENKUlvE_clEvENKUlvE4_clEvEUlS6_S6_E_S6_EEDaPvRmT3_T4_T5_mT6_P12ihipStream_tbENKUlT_T0_E_clISt17integral_constantIbLb0EESY_EEDaST_SU_EUlST_E_NS1_11comp_targetILNS1_3genE3ELNS1_11target_archE908ELNS1_3gpuE7ELNS1_3repE0EEENS1_30default_config_static_selectorELNS0_4arch9wavefront6targetE0EEEvT1_
		.amdhsa_group_segment_fixed_size 0
		.amdhsa_private_segment_fixed_size 0
		.amdhsa_kernarg_size 96
		.amdhsa_user_sgpr_count 6
		.amdhsa_user_sgpr_private_segment_buffer 1
		.amdhsa_user_sgpr_dispatch_ptr 0
		.amdhsa_user_sgpr_queue_ptr 0
		.amdhsa_user_sgpr_kernarg_segment_ptr 1
		.amdhsa_user_sgpr_dispatch_id 0
		.amdhsa_user_sgpr_flat_scratch_init 0
		.amdhsa_user_sgpr_private_segment_size 0
		.amdhsa_wavefront_size32 1
		.amdhsa_uses_dynamic_stack 0
		.amdhsa_system_sgpr_private_segment_wavefront_offset 0
		.amdhsa_system_sgpr_workgroup_id_x 1
		.amdhsa_system_sgpr_workgroup_id_y 0
		.amdhsa_system_sgpr_workgroup_id_z 0
		.amdhsa_system_sgpr_workgroup_info 0
		.amdhsa_system_vgpr_workitem_id 0
		.amdhsa_next_free_vgpr 1
		.amdhsa_next_free_sgpr 1
		.amdhsa_reserve_vcc 0
		.amdhsa_reserve_flat_scratch 0
		.amdhsa_float_round_mode_32 0
		.amdhsa_float_round_mode_16_64 0
		.amdhsa_float_denorm_mode_32 3
		.amdhsa_float_denorm_mode_16_64 3
		.amdhsa_dx10_clamp 1
		.amdhsa_ieee_mode 1
		.amdhsa_fp16_overflow 0
		.amdhsa_workgroup_processor_mode 1
		.amdhsa_memory_ordered 1
		.amdhsa_forward_progress 1
		.amdhsa_shared_vgpr_count 0
		.amdhsa_exception_fp_ieee_invalid_op 0
		.amdhsa_exception_fp_denorm_src 0
		.amdhsa_exception_fp_ieee_div_zero 0
		.amdhsa_exception_fp_ieee_overflow 0
		.amdhsa_exception_fp_ieee_underflow 0
		.amdhsa_exception_fp_ieee_inexact 0
		.amdhsa_exception_int_div_zero 0
	.end_amdhsa_kernel
	.section	.text._ZN7rocprim17ROCPRIM_400000_NS6detail17trampoline_kernelINS0_14default_configENS1_20scan_config_selectorIN3c108BFloat16EEEZZNS1_9scan_implILNS1_25lookback_scan_determinismE0ELb0ELb0ES3_PKS6_PS6_S6_ZZZN2at6native31launch_logcumsumexp_cuda_kernelERKNSD_10TensorBaseESH_lENKUlvE_clEvENKUlvE4_clEvEUlS6_S6_E_S6_EEDaPvRmT3_T4_T5_mT6_P12ihipStream_tbENKUlT_T0_E_clISt17integral_constantIbLb0EESY_EEDaST_SU_EUlST_E_NS1_11comp_targetILNS1_3genE3ELNS1_11target_archE908ELNS1_3gpuE7ELNS1_3repE0EEENS1_30default_config_static_selectorELNS0_4arch9wavefront6targetE0EEEvT1_,"axG",@progbits,_ZN7rocprim17ROCPRIM_400000_NS6detail17trampoline_kernelINS0_14default_configENS1_20scan_config_selectorIN3c108BFloat16EEEZZNS1_9scan_implILNS1_25lookback_scan_determinismE0ELb0ELb0ES3_PKS6_PS6_S6_ZZZN2at6native31launch_logcumsumexp_cuda_kernelERKNSD_10TensorBaseESH_lENKUlvE_clEvENKUlvE4_clEvEUlS6_S6_E_S6_EEDaPvRmT3_T4_T5_mT6_P12ihipStream_tbENKUlT_T0_E_clISt17integral_constantIbLb0EESY_EEDaST_SU_EUlST_E_NS1_11comp_targetILNS1_3genE3ELNS1_11target_archE908ELNS1_3gpuE7ELNS1_3repE0EEENS1_30default_config_static_selectorELNS0_4arch9wavefront6targetE0EEEvT1_,comdat
.Lfunc_end441:
	.size	_ZN7rocprim17ROCPRIM_400000_NS6detail17trampoline_kernelINS0_14default_configENS1_20scan_config_selectorIN3c108BFloat16EEEZZNS1_9scan_implILNS1_25lookback_scan_determinismE0ELb0ELb0ES3_PKS6_PS6_S6_ZZZN2at6native31launch_logcumsumexp_cuda_kernelERKNSD_10TensorBaseESH_lENKUlvE_clEvENKUlvE4_clEvEUlS6_S6_E_S6_EEDaPvRmT3_T4_T5_mT6_P12ihipStream_tbENKUlT_T0_E_clISt17integral_constantIbLb0EESY_EEDaST_SU_EUlST_E_NS1_11comp_targetILNS1_3genE3ELNS1_11target_archE908ELNS1_3gpuE7ELNS1_3repE0EEENS1_30default_config_static_selectorELNS0_4arch9wavefront6targetE0EEEvT1_, .Lfunc_end441-_ZN7rocprim17ROCPRIM_400000_NS6detail17trampoline_kernelINS0_14default_configENS1_20scan_config_selectorIN3c108BFloat16EEEZZNS1_9scan_implILNS1_25lookback_scan_determinismE0ELb0ELb0ES3_PKS6_PS6_S6_ZZZN2at6native31launch_logcumsumexp_cuda_kernelERKNSD_10TensorBaseESH_lENKUlvE_clEvENKUlvE4_clEvEUlS6_S6_E_S6_EEDaPvRmT3_T4_T5_mT6_P12ihipStream_tbENKUlT_T0_E_clISt17integral_constantIbLb0EESY_EEDaST_SU_EUlST_E_NS1_11comp_targetILNS1_3genE3ELNS1_11target_archE908ELNS1_3gpuE7ELNS1_3repE0EEENS1_30default_config_static_selectorELNS0_4arch9wavefront6targetE0EEEvT1_
                                        ; -- End function
	.set _ZN7rocprim17ROCPRIM_400000_NS6detail17trampoline_kernelINS0_14default_configENS1_20scan_config_selectorIN3c108BFloat16EEEZZNS1_9scan_implILNS1_25lookback_scan_determinismE0ELb0ELb0ES3_PKS6_PS6_S6_ZZZN2at6native31launch_logcumsumexp_cuda_kernelERKNSD_10TensorBaseESH_lENKUlvE_clEvENKUlvE4_clEvEUlS6_S6_E_S6_EEDaPvRmT3_T4_T5_mT6_P12ihipStream_tbENKUlT_T0_E_clISt17integral_constantIbLb0EESY_EEDaST_SU_EUlST_E_NS1_11comp_targetILNS1_3genE3ELNS1_11target_archE908ELNS1_3gpuE7ELNS1_3repE0EEENS1_30default_config_static_selectorELNS0_4arch9wavefront6targetE0EEEvT1_.num_vgpr, 0
	.set _ZN7rocprim17ROCPRIM_400000_NS6detail17trampoline_kernelINS0_14default_configENS1_20scan_config_selectorIN3c108BFloat16EEEZZNS1_9scan_implILNS1_25lookback_scan_determinismE0ELb0ELb0ES3_PKS6_PS6_S6_ZZZN2at6native31launch_logcumsumexp_cuda_kernelERKNSD_10TensorBaseESH_lENKUlvE_clEvENKUlvE4_clEvEUlS6_S6_E_S6_EEDaPvRmT3_T4_T5_mT6_P12ihipStream_tbENKUlT_T0_E_clISt17integral_constantIbLb0EESY_EEDaST_SU_EUlST_E_NS1_11comp_targetILNS1_3genE3ELNS1_11target_archE908ELNS1_3gpuE7ELNS1_3repE0EEENS1_30default_config_static_selectorELNS0_4arch9wavefront6targetE0EEEvT1_.num_agpr, 0
	.set _ZN7rocprim17ROCPRIM_400000_NS6detail17trampoline_kernelINS0_14default_configENS1_20scan_config_selectorIN3c108BFloat16EEEZZNS1_9scan_implILNS1_25lookback_scan_determinismE0ELb0ELb0ES3_PKS6_PS6_S6_ZZZN2at6native31launch_logcumsumexp_cuda_kernelERKNSD_10TensorBaseESH_lENKUlvE_clEvENKUlvE4_clEvEUlS6_S6_E_S6_EEDaPvRmT3_T4_T5_mT6_P12ihipStream_tbENKUlT_T0_E_clISt17integral_constantIbLb0EESY_EEDaST_SU_EUlST_E_NS1_11comp_targetILNS1_3genE3ELNS1_11target_archE908ELNS1_3gpuE7ELNS1_3repE0EEENS1_30default_config_static_selectorELNS0_4arch9wavefront6targetE0EEEvT1_.numbered_sgpr, 0
	.set _ZN7rocprim17ROCPRIM_400000_NS6detail17trampoline_kernelINS0_14default_configENS1_20scan_config_selectorIN3c108BFloat16EEEZZNS1_9scan_implILNS1_25lookback_scan_determinismE0ELb0ELb0ES3_PKS6_PS6_S6_ZZZN2at6native31launch_logcumsumexp_cuda_kernelERKNSD_10TensorBaseESH_lENKUlvE_clEvENKUlvE4_clEvEUlS6_S6_E_S6_EEDaPvRmT3_T4_T5_mT6_P12ihipStream_tbENKUlT_T0_E_clISt17integral_constantIbLb0EESY_EEDaST_SU_EUlST_E_NS1_11comp_targetILNS1_3genE3ELNS1_11target_archE908ELNS1_3gpuE7ELNS1_3repE0EEENS1_30default_config_static_selectorELNS0_4arch9wavefront6targetE0EEEvT1_.num_named_barrier, 0
	.set _ZN7rocprim17ROCPRIM_400000_NS6detail17trampoline_kernelINS0_14default_configENS1_20scan_config_selectorIN3c108BFloat16EEEZZNS1_9scan_implILNS1_25lookback_scan_determinismE0ELb0ELb0ES3_PKS6_PS6_S6_ZZZN2at6native31launch_logcumsumexp_cuda_kernelERKNSD_10TensorBaseESH_lENKUlvE_clEvENKUlvE4_clEvEUlS6_S6_E_S6_EEDaPvRmT3_T4_T5_mT6_P12ihipStream_tbENKUlT_T0_E_clISt17integral_constantIbLb0EESY_EEDaST_SU_EUlST_E_NS1_11comp_targetILNS1_3genE3ELNS1_11target_archE908ELNS1_3gpuE7ELNS1_3repE0EEENS1_30default_config_static_selectorELNS0_4arch9wavefront6targetE0EEEvT1_.private_seg_size, 0
	.set _ZN7rocprim17ROCPRIM_400000_NS6detail17trampoline_kernelINS0_14default_configENS1_20scan_config_selectorIN3c108BFloat16EEEZZNS1_9scan_implILNS1_25lookback_scan_determinismE0ELb0ELb0ES3_PKS6_PS6_S6_ZZZN2at6native31launch_logcumsumexp_cuda_kernelERKNSD_10TensorBaseESH_lENKUlvE_clEvENKUlvE4_clEvEUlS6_S6_E_S6_EEDaPvRmT3_T4_T5_mT6_P12ihipStream_tbENKUlT_T0_E_clISt17integral_constantIbLb0EESY_EEDaST_SU_EUlST_E_NS1_11comp_targetILNS1_3genE3ELNS1_11target_archE908ELNS1_3gpuE7ELNS1_3repE0EEENS1_30default_config_static_selectorELNS0_4arch9wavefront6targetE0EEEvT1_.uses_vcc, 0
	.set _ZN7rocprim17ROCPRIM_400000_NS6detail17trampoline_kernelINS0_14default_configENS1_20scan_config_selectorIN3c108BFloat16EEEZZNS1_9scan_implILNS1_25lookback_scan_determinismE0ELb0ELb0ES3_PKS6_PS6_S6_ZZZN2at6native31launch_logcumsumexp_cuda_kernelERKNSD_10TensorBaseESH_lENKUlvE_clEvENKUlvE4_clEvEUlS6_S6_E_S6_EEDaPvRmT3_T4_T5_mT6_P12ihipStream_tbENKUlT_T0_E_clISt17integral_constantIbLb0EESY_EEDaST_SU_EUlST_E_NS1_11comp_targetILNS1_3genE3ELNS1_11target_archE908ELNS1_3gpuE7ELNS1_3repE0EEENS1_30default_config_static_selectorELNS0_4arch9wavefront6targetE0EEEvT1_.uses_flat_scratch, 0
	.set _ZN7rocprim17ROCPRIM_400000_NS6detail17trampoline_kernelINS0_14default_configENS1_20scan_config_selectorIN3c108BFloat16EEEZZNS1_9scan_implILNS1_25lookback_scan_determinismE0ELb0ELb0ES3_PKS6_PS6_S6_ZZZN2at6native31launch_logcumsumexp_cuda_kernelERKNSD_10TensorBaseESH_lENKUlvE_clEvENKUlvE4_clEvEUlS6_S6_E_S6_EEDaPvRmT3_T4_T5_mT6_P12ihipStream_tbENKUlT_T0_E_clISt17integral_constantIbLb0EESY_EEDaST_SU_EUlST_E_NS1_11comp_targetILNS1_3genE3ELNS1_11target_archE908ELNS1_3gpuE7ELNS1_3repE0EEENS1_30default_config_static_selectorELNS0_4arch9wavefront6targetE0EEEvT1_.has_dyn_sized_stack, 0
	.set _ZN7rocprim17ROCPRIM_400000_NS6detail17trampoline_kernelINS0_14default_configENS1_20scan_config_selectorIN3c108BFloat16EEEZZNS1_9scan_implILNS1_25lookback_scan_determinismE0ELb0ELb0ES3_PKS6_PS6_S6_ZZZN2at6native31launch_logcumsumexp_cuda_kernelERKNSD_10TensorBaseESH_lENKUlvE_clEvENKUlvE4_clEvEUlS6_S6_E_S6_EEDaPvRmT3_T4_T5_mT6_P12ihipStream_tbENKUlT_T0_E_clISt17integral_constantIbLb0EESY_EEDaST_SU_EUlST_E_NS1_11comp_targetILNS1_3genE3ELNS1_11target_archE908ELNS1_3gpuE7ELNS1_3repE0EEENS1_30default_config_static_selectorELNS0_4arch9wavefront6targetE0EEEvT1_.has_recursion, 0
	.set _ZN7rocprim17ROCPRIM_400000_NS6detail17trampoline_kernelINS0_14default_configENS1_20scan_config_selectorIN3c108BFloat16EEEZZNS1_9scan_implILNS1_25lookback_scan_determinismE0ELb0ELb0ES3_PKS6_PS6_S6_ZZZN2at6native31launch_logcumsumexp_cuda_kernelERKNSD_10TensorBaseESH_lENKUlvE_clEvENKUlvE4_clEvEUlS6_S6_E_S6_EEDaPvRmT3_T4_T5_mT6_P12ihipStream_tbENKUlT_T0_E_clISt17integral_constantIbLb0EESY_EEDaST_SU_EUlST_E_NS1_11comp_targetILNS1_3genE3ELNS1_11target_archE908ELNS1_3gpuE7ELNS1_3repE0EEENS1_30default_config_static_selectorELNS0_4arch9wavefront6targetE0EEEvT1_.has_indirect_call, 0
	.section	.AMDGPU.csdata,"",@progbits
; Kernel info:
; codeLenInByte = 0
; TotalNumSgprs: 0
; NumVgprs: 0
; ScratchSize: 0
; MemoryBound: 0
; FloatMode: 240
; IeeeMode: 1
; LDSByteSize: 0 bytes/workgroup (compile time only)
; SGPRBlocks: 0
; VGPRBlocks: 0
; NumSGPRsForWavesPerEU: 1
; NumVGPRsForWavesPerEU: 1
; Occupancy: 16
; WaveLimiterHint : 0
; COMPUTE_PGM_RSRC2:SCRATCH_EN: 0
; COMPUTE_PGM_RSRC2:USER_SGPR: 6
; COMPUTE_PGM_RSRC2:TRAP_HANDLER: 0
; COMPUTE_PGM_RSRC2:TGID_X_EN: 1
; COMPUTE_PGM_RSRC2:TGID_Y_EN: 0
; COMPUTE_PGM_RSRC2:TGID_Z_EN: 0
; COMPUTE_PGM_RSRC2:TIDIG_COMP_CNT: 0
	.section	.text._ZN7rocprim17ROCPRIM_400000_NS6detail17trampoline_kernelINS0_14default_configENS1_20scan_config_selectorIN3c108BFloat16EEEZZNS1_9scan_implILNS1_25lookback_scan_determinismE0ELb0ELb0ES3_PKS6_PS6_S6_ZZZN2at6native31launch_logcumsumexp_cuda_kernelERKNSD_10TensorBaseESH_lENKUlvE_clEvENKUlvE4_clEvEUlS6_S6_E_S6_EEDaPvRmT3_T4_T5_mT6_P12ihipStream_tbENKUlT_T0_E_clISt17integral_constantIbLb0EESY_EEDaST_SU_EUlST_E_NS1_11comp_targetILNS1_3genE2ELNS1_11target_archE906ELNS1_3gpuE6ELNS1_3repE0EEENS1_30default_config_static_selectorELNS0_4arch9wavefront6targetE0EEEvT1_,"axG",@progbits,_ZN7rocprim17ROCPRIM_400000_NS6detail17trampoline_kernelINS0_14default_configENS1_20scan_config_selectorIN3c108BFloat16EEEZZNS1_9scan_implILNS1_25lookback_scan_determinismE0ELb0ELb0ES3_PKS6_PS6_S6_ZZZN2at6native31launch_logcumsumexp_cuda_kernelERKNSD_10TensorBaseESH_lENKUlvE_clEvENKUlvE4_clEvEUlS6_S6_E_S6_EEDaPvRmT3_T4_T5_mT6_P12ihipStream_tbENKUlT_T0_E_clISt17integral_constantIbLb0EESY_EEDaST_SU_EUlST_E_NS1_11comp_targetILNS1_3genE2ELNS1_11target_archE906ELNS1_3gpuE6ELNS1_3repE0EEENS1_30default_config_static_selectorELNS0_4arch9wavefront6targetE0EEEvT1_,comdat
	.globl	_ZN7rocprim17ROCPRIM_400000_NS6detail17trampoline_kernelINS0_14default_configENS1_20scan_config_selectorIN3c108BFloat16EEEZZNS1_9scan_implILNS1_25lookback_scan_determinismE0ELb0ELb0ES3_PKS6_PS6_S6_ZZZN2at6native31launch_logcumsumexp_cuda_kernelERKNSD_10TensorBaseESH_lENKUlvE_clEvENKUlvE4_clEvEUlS6_S6_E_S6_EEDaPvRmT3_T4_T5_mT6_P12ihipStream_tbENKUlT_T0_E_clISt17integral_constantIbLb0EESY_EEDaST_SU_EUlST_E_NS1_11comp_targetILNS1_3genE2ELNS1_11target_archE906ELNS1_3gpuE6ELNS1_3repE0EEENS1_30default_config_static_selectorELNS0_4arch9wavefront6targetE0EEEvT1_ ; -- Begin function _ZN7rocprim17ROCPRIM_400000_NS6detail17trampoline_kernelINS0_14default_configENS1_20scan_config_selectorIN3c108BFloat16EEEZZNS1_9scan_implILNS1_25lookback_scan_determinismE0ELb0ELb0ES3_PKS6_PS6_S6_ZZZN2at6native31launch_logcumsumexp_cuda_kernelERKNSD_10TensorBaseESH_lENKUlvE_clEvENKUlvE4_clEvEUlS6_S6_E_S6_EEDaPvRmT3_T4_T5_mT6_P12ihipStream_tbENKUlT_T0_E_clISt17integral_constantIbLb0EESY_EEDaST_SU_EUlST_E_NS1_11comp_targetILNS1_3genE2ELNS1_11target_archE906ELNS1_3gpuE6ELNS1_3repE0EEENS1_30default_config_static_selectorELNS0_4arch9wavefront6targetE0EEEvT1_
	.p2align	8
	.type	_ZN7rocprim17ROCPRIM_400000_NS6detail17trampoline_kernelINS0_14default_configENS1_20scan_config_selectorIN3c108BFloat16EEEZZNS1_9scan_implILNS1_25lookback_scan_determinismE0ELb0ELb0ES3_PKS6_PS6_S6_ZZZN2at6native31launch_logcumsumexp_cuda_kernelERKNSD_10TensorBaseESH_lENKUlvE_clEvENKUlvE4_clEvEUlS6_S6_E_S6_EEDaPvRmT3_T4_T5_mT6_P12ihipStream_tbENKUlT_T0_E_clISt17integral_constantIbLb0EESY_EEDaST_SU_EUlST_E_NS1_11comp_targetILNS1_3genE2ELNS1_11target_archE906ELNS1_3gpuE6ELNS1_3repE0EEENS1_30default_config_static_selectorELNS0_4arch9wavefront6targetE0EEEvT1_,@function
_ZN7rocprim17ROCPRIM_400000_NS6detail17trampoline_kernelINS0_14default_configENS1_20scan_config_selectorIN3c108BFloat16EEEZZNS1_9scan_implILNS1_25lookback_scan_determinismE0ELb0ELb0ES3_PKS6_PS6_S6_ZZZN2at6native31launch_logcumsumexp_cuda_kernelERKNSD_10TensorBaseESH_lENKUlvE_clEvENKUlvE4_clEvEUlS6_S6_E_S6_EEDaPvRmT3_T4_T5_mT6_P12ihipStream_tbENKUlT_T0_E_clISt17integral_constantIbLb0EESY_EEDaST_SU_EUlST_E_NS1_11comp_targetILNS1_3genE2ELNS1_11target_archE906ELNS1_3gpuE6ELNS1_3repE0EEENS1_30default_config_static_selectorELNS0_4arch9wavefront6targetE0EEEvT1_: ; @_ZN7rocprim17ROCPRIM_400000_NS6detail17trampoline_kernelINS0_14default_configENS1_20scan_config_selectorIN3c108BFloat16EEEZZNS1_9scan_implILNS1_25lookback_scan_determinismE0ELb0ELb0ES3_PKS6_PS6_S6_ZZZN2at6native31launch_logcumsumexp_cuda_kernelERKNSD_10TensorBaseESH_lENKUlvE_clEvENKUlvE4_clEvEUlS6_S6_E_S6_EEDaPvRmT3_T4_T5_mT6_P12ihipStream_tbENKUlT_T0_E_clISt17integral_constantIbLb0EESY_EEDaST_SU_EUlST_E_NS1_11comp_targetILNS1_3genE2ELNS1_11target_archE906ELNS1_3gpuE6ELNS1_3repE0EEENS1_30default_config_static_selectorELNS0_4arch9wavefront6targetE0EEEvT1_
; %bb.0:
	.section	.rodata,"a",@progbits
	.p2align	6, 0x0
	.amdhsa_kernel _ZN7rocprim17ROCPRIM_400000_NS6detail17trampoline_kernelINS0_14default_configENS1_20scan_config_selectorIN3c108BFloat16EEEZZNS1_9scan_implILNS1_25lookback_scan_determinismE0ELb0ELb0ES3_PKS6_PS6_S6_ZZZN2at6native31launch_logcumsumexp_cuda_kernelERKNSD_10TensorBaseESH_lENKUlvE_clEvENKUlvE4_clEvEUlS6_S6_E_S6_EEDaPvRmT3_T4_T5_mT6_P12ihipStream_tbENKUlT_T0_E_clISt17integral_constantIbLb0EESY_EEDaST_SU_EUlST_E_NS1_11comp_targetILNS1_3genE2ELNS1_11target_archE906ELNS1_3gpuE6ELNS1_3repE0EEENS1_30default_config_static_selectorELNS0_4arch9wavefront6targetE0EEEvT1_
		.amdhsa_group_segment_fixed_size 0
		.amdhsa_private_segment_fixed_size 0
		.amdhsa_kernarg_size 96
		.amdhsa_user_sgpr_count 6
		.amdhsa_user_sgpr_private_segment_buffer 1
		.amdhsa_user_sgpr_dispatch_ptr 0
		.amdhsa_user_sgpr_queue_ptr 0
		.amdhsa_user_sgpr_kernarg_segment_ptr 1
		.amdhsa_user_sgpr_dispatch_id 0
		.amdhsa_user_sgpr_flat_scratch_init 0
		.amdhsa_user_sgpr_private_segment_size 0
		.amdhsa_wavefront_size32 1
		.amdhsa_uses_dynamic_stack 0
		.amdhsa_system_sgpr_private_segment_wavefront_offset 0
		.amdhsa_system_sgpr_workgroup_id_x 1
		.amdhsa_system_sgpr_workgroup_id_y 0
		.amdhsa_system_sgpr_workgroup_id_z 0
		.amdhsa_system_sgpr_workgroup_info 0
		.amdhsa_system_vgpr_workitem_id 0
		.amdhsa_next_free_vgpr 1
		.amdhsa_next_free_sgpr 1
		.amdhsa_reserve_vcc 0
		.amdhsa_reserve_flat_scratch 0
		.amdhsa_float_round_mode_32 0
		.amdhsa_float_round_mode_16_64 0
		.amdhsa_float_denorm_mode_32 3
		.amdhsa_float_denorm_mode_16_64 3
		.amdhsa_dx10_clamp 1
		.amdhsa_ieee_mode 1
		.amdhsa_fp16_overflow 0
		.amdhsa_workgroup_processor_mode 1
		.amdhsa_memory_ordered 1
		.amdhsa_forward_progress 1
		.amdhsa_shared_vgpr_count 0
		.amdhsa_exception_fp_ieee_invalid_op 0
		.amdhsa_exception_fp_denorm_src 0
		.amdhsa_exception_fp_ieee_div_zero 0
		.amdhsa_exception_fp_ieee_overflow 0
		.amdhsa_exception_fp_ieee_underflow 0
		.amdhsa_exception_fp_ieee_inexact 0
		.amdhsa_exception_int_div_zero 0
	.end_amdhsa_kernel
	.section	.text._ZN7rocprim17ROCPRIM_400000_NS6detail17trampoline_kernelINS0_14default_configENS1_20scan_config_selectorIN3c108BFloat16EEEZZNS1_9scan_implILNS1_25lookback_scan_determinismE0ELb0ELb0ES3_PKS6_PS6_S6_ZZZN2at6native31launch_logcumsumexp_cuda_kernelERKNSD_10TensorBaseESH_lENKUlvE_clEvENKUlvE4_clEvEUlS6_S6_E_S6_EEDaPvRmT3_T4_T5_mT6_P12ihipStream_tbENKUlT_T0_E_clISt17integral_constantIbLb0EESY_EEDaST_SU_EUlST_E_NS1_11comp_targetILNS1_3genE2ELNS1_11target_archE906ELNS1_3gpuE6ELNS1_3repE0EEENS1_30default_config_static_selectorELNS0_4arch9wavefront6targetE0EEEvT1_,"axG",@progbits,_ZN7rocprim17ROCPRIM_400000_NS6detail17trampoline_kernelINS0_14default_configENS1_20scan_config_selectorIN3c108BFloat16EEEZZNS1_9scan_implILNS1_25lookback_scan_determinismE0ELb0ELb0ES3_PKS6_PS6_S6_ZZZN2at6native31launch_logcumsumexp_cuda_kernelERKNSD_10TensorBaseESH_lENKUlvE_clEvENKUlvE4_clEvEUlS6_S6_E_S6_EEDaPvRmT3_T4_T5_mT6_P12ihipStream_tbENKUlT_T0_E_clISt17integral_constantIbLb0EESY_EEDaST_SU_EUlST_E_NS1_11comp_targetILNS1_3genE2ELNS1_11target_archE906ELNS1_3gpuE6ELNS1_3repE0EEENS1_30default_config_static_selectorELNS0_4arch9wavefront6targetE0EEEvT1_,comdat
.Lfunc_end442:
	.size	_ZN7rocprim17ROCPRIM_400000_NS6detail17trampoline_kernelINS0_14default_configENS1_20scan_config_selectorIN3c108BFloat16EEEZZNS1_9scan_implILNS1_25lookback_scan_determinismE0ELb0ELb0ES3_PKS6_PS6_S6_ZZZN2at6native31launch_logcumsumexp_cuda_kernelERKNSD_10TensorBaseESH_lENKUlvE_clEvENKUlvE4_clEvEUlS6_S6_E_S6_EEDaPvRmT3_T4_T5_mT6_P12ihipStream_tbENKUlT_T0_E_clISt17integral_constantIbLb0EESY_EEDaST_SU_EUlST_E_NS1_11comp_targetILNS1_3genE2ELNS1_11target_archE906ELNS1_3gpuE6ELNS1_3repE0EEENS1_30default_config_static_selectorELNS0_4arch9wavefront6targetE0EEEvT1_, .Lfunc_end442-_ZN7rocprim17ROCPRIM_400000_NS6detail17trampoline_kernelINS0_14default_configENS1_20scan_config_selectorIN3c108BFloat16EEEZZNS1_9scan_implILNS1_25lookback_scan_determinismE0ELb0ELb0ES3_PKS6_PS6_S6_ZZZN2at6native31launch_logcumsumexp_cuda_kernelERKNSD_10TensorBaseESH_lENKUlvE_clEvENKUlvE4_clEvEUlS6_S6_E_S6_EEDaPvRmT3_T4_T5_mT6_P12ihipStream_tbENKUlT_T0_E_clISt17integral_constantIbLb0EESY_EEDaST_SU_EUlST_E_NS1_11comp_targetILNS1_3genE2ELNS1_11target_archE906ELNS1_3gpuE6ELNS1_3repE0EEENS1_30default_config_static_selectorELNS0_4arch9wavefront6targetE0EEEvT1_
                                        ; -- End function
	.set _ZN7rocprim17ROCPRIM_400000_NS6detail17trampoline_kernelINS0_14default_configENS1_20scan_config_selectorIN3c108BFloat16EEEZZNS1_9scan_implILNS1_25lookback_scan_determinismE0ELb0ELb0ES3_PKS6_PS6_S6_ZZZN2at6native31launch_logcumsumexp_cuda_kernelERKNSD_10TensorBaseESH_lENKUlvE_clEvENKUlvE4_clEvEUlS6_S6_E_S6_EEDaPvRmT3_T4_T5_mT6_P12ihipStream_tbENKUlT_T0_E_clISt17integral_constantIbLb0EESY_EEDaST_SU_EUlST_E_NS1_11comp_targetILNS1_3genE2ELNS1_11target_archE906ELNS1_3gpuE6ELNS1_3repE0EEENS1_30default_config_static_selectorELNS0_4arch9wavefront6targetE0EEEvT1_.num_vgpr, 0
	.set _ZN7rocprim17ROCPRIM_400000_NS6detail17trampoline_kernelINS0_14default_configENS1_20scan_config_selectorIN3c108BFloat16EEEZZNS1_9scan_implILNS1_25lookback_scan_determinismE0ELb0ELb0ES3_PKS6_PS6_S6_ZZZN2at6native31launch_logcumsumexp_cuda_kernelERKNSD_10TensorBaseESH_lENKUlvE_clEvENKUlvE4_clEvEUlS6_S6_E_S6_EEDaPvRmT3_T4_T5_mT6_P12ihipStream_tbENKUlT_T0_E_clISt17integral_constantIbLb0EESY_EEDaST_SU_EUlST_E_NS1_11comp_targetILNS1_3genE2ELNS1_11target_archE906ELNS1_3gpuE6ELNS1_3repE0EEENS1_30default_config_static_selectorELNS0_4arch9wavefront6targetE0EEEvT1_.num_agpr, 0
	.set _ZN7rocprim17ROCPRIM_400000_NS6detail17trampoline_kernelINS0_14default_configENS1_20scan_config_selectorIN3c108BFloat16EEEZZNS1_9scan_implILNS1_25lookback_scan_determinismE0ELb0ELb0ES3_PKS6_PS6_S6_ZZZN2at6native31launch_logcumsumexp_cuda_kernelERKNSD_10TensorBaseESH_lENKUlvE_clEvENKUlvE4_clEvEUlS6_S6_E_S6_EEDaPvRmT3_T4_T5_mT6_P12ihipStream_tbENKUlT_T0_E_clISt17integral_constantIbLb0EESY_EEDaST_SU_EUlST_E_NS1_11comp_targetILNS1_3genE2ELNS1_11target_archE906ELNS1_3gpuE6ELNS1_3repE0EEENS1_30default_config_static_selectorELNS0_4arch9wavefront6targetE0EEEvT1_.numbered_sgpr, 0
	.set _ZN7rocprim17ROCPRIM_400000_NS6detail17trampoline_kernelINS0_14default_configENS1_20scan_config_selectorIN3c108BFloat16EEEZZNS1_9scan_implILNS1_25lookback_scan_determinismE0ELb0ELb0ES3_PKS6_PS6_S6_ZZZN2at6native31launch_logcumsumexp_cuda_kernelERKNSD_10TensorBaseESH_lENKUlvE_clEvENKUlvE4_clEvEUlS6_S6_E_S6_EEDaPvRmT3_T4_T5_mT6_P12ihipStream_tbENKUlT_T0_E_clISt17integral_constantIbLb0EESY_EEDaST_SU_EUlST_E_NS1_11comp_targetILNS1_3genE2ELNS1_11target_archE906ELNS1_3gpuE6ELNS1_3repE0EEENS1_30default_config_static_selectorELNS0_4arch9wavefront6targetE0EEEvT1_.num_named_barrier, 0
	.set _ZN7rocprim17ROCPRIM_400000_NS6detail17trampoline_kernelINS0_14default_configENS1_20scan_config_selectorIN3c108BFloat16EEEZZNS1_9scan_implILNS1_25lookback_scan_determinismE0ELb0ELb0ES3_PKS6_PS6_S6_ZZZN2at6native31launch_logcumsumexp_cuda_kernelERKNSD_10TensorBaseESH_lENKUlvE_clEvENKUlvE4_clEvEUlS6_S6_E_S6_EEDaPvRmT3_T4_T5_mT6_P12ihipStream_tbENKUlT_T0_E_clISt17integral_constantIbLb0EESY_EEDaST_SU_EUlST_E_NS1_11comp_targetILNS1_3genE2ELNS1_11target_archE906ELNS1_3gpuE6ELNS1_3repE0EEENS1_30default_config_static_selectorELNS0_4arch9wavefront6targetE0EEEvT1_.private_seg_size, 0
	.set _ZN7rocprim17ROCPRIM_400000_NS6detail17trampoline_kernelINS0_14default_configENS1_20scan_config_selectorIN3c108BFloat16EEEZZNS1_9scan_implILNS1_25lookback_scan_determinismE0ELb0ELb0ES3_PKS6_PS6_S6_ZZZN2at6native31launch_logcumsumexp_cuda_kernelERKNSD_10TensorBaseESH_lENKUlvE_clEvENKUlvE4_clEvEUlS6_S6_E_S6_EEDaPvRmT3_T4_T5_mT6_P12ihipStream_tbENKUlT_T0_E_clISt17integral_constantIbLb0EESY_EEDaST_SU_EUlST_E_NS1_11comp_targetILNS1_3genE2ELNS1_11target_archE906ELNS1_3gpuE6ELNS1_3repE0EEENS1_30default_config_static_selectorELNS0_4arch9wavefront6targetE0EEEvT1_.uses_vcc, 0
	.set _ZN7rocprim17ROCPRIM_400000_NS6detail17trampoline_kernelINS0_14default_configENS1_20scan_config_selectorIN3c108BFloat16EEEZZNS1_9scan_implILNS1_25lookback_scan_determinismE0ELb0ELb0ES3_PKS6_PS6_S6_ZZZN2at6native31launch_logcumsumexp_cuda_kernelERKNSD_10TensorBaseESH_lENKUlvE_clEvENKUlvE4_clEvEUlS6_S6_E_S6_EEDaPvRmT3_T4_T5_mT6_P12ihipStream_tbENKUlT_T0_E_clISt17integral_constantIbLb0EESY_EEDaST_SU_EUlST_E_NS1_11comp_targetILNS1_3genE2ELNS1_11target_archE906ELNS1_3gpuE6ELNS1_3repE0EEENS1_30default_config_static_selectorELNS0_4arch9wavefront6targetE0EEEvT1_.uses_flat_scratch, 0
	.set _ZN7rocprim17ROCPRIM_400000_NS6detail17trampoline_kernelINS0_14default_configENS1_20scan_config_selectorIN3c108BFloat16EEEZZNS1_9scan_implILNS1_25lookback_scan_determinismE0ELb0ELb0ES3_PKS6_PS6_S6_ZZZN2at6native31launch_logcumsumexp_cuda_kernelERKNSD_10TensorBaseESH_lENKUlvE_clEvENKUlvE4_clEvEUlS6_S6_E_S6_EEDaPvRmT3_T4_T5_mT6_P12ihipStream_tbENKUlT_T0_E_clISt17integral_constantIbLb0EESY_EEDaST_SU_EUlST_E_NS1_11comp_targetILNS1_3genE2ELNS1_11target_archE906ELNS1_3gpuE6ELNS1_3repE0EEENS1_30default_config_static_selectorELNS0_4arch9wavefront6targetE0EEEvT1_.has_dyn_sized_stack, 0
	.set _ZN7rocprim17ROCPRIM_400000_NS6detail17trampoline_kernelINS0_14default_configENS1_20scan_config_selectorIN3c108BFloat16EEEZZNS1_9scan_implILNS1_25lookback_scan_determinismE0ELb0ELb0ES3_PKS6_PS6_S6_ZZZN2at6native31launch_logcumsumexp_cuda_kernelERKNSD_10TensorBaseESH_lENKUlvE_clEvENKUlvE4_clEvEUlS6_S6_E_S6_EEDaPvRmT3_T4_T5_mT6_P12ihipStream_tbENKUlT_T0_E_clISt17integral_constantIbLb0EESY_EEDaST_SU_EUlST_E_NS1_11comp_targetILNS1_3genE2ELNS1_11target_archE906ELNS1_3gpuE6ELNS1_3repE0EEENS1_30default_config_static_selectorELNS0_4arch9wavefront6targetE0EEEvT1_.has_recursion, 0
	.set _ZN7rocprim17ROCPRIM_400000_NS6detail17trampoline_kernelINS0_14default_configENS1_20scan_config_selectorIN3c108BFloat16EEEZZNS1_9scan_implILNS1_25lookback_scan_determinismE0ELb0ELb0ES3_PKS6_PS6_S6_ZZZN2at6native31launch_logcumsumexp_cuda_kernelERKNSD_10TensorBaseESH_lENKUlvE_clEvENKUlvE4_clEvEUlS6_S6_E_S6_EEDaPvRmT3_T4_T5_mT6_P12ihipStream_tbENKUlT_T0_E_clISt17integral_constantIbLb0EESY_EEDaST_SU_EUlST_E_NS1_11comp_targetILNS1_3genE2ELNS1_11target_archE906ELNS1_3gpuE6ELNS1_3repE0EEENS1_30default_config_static_selectorELNS0_4arch9wavefront6targetE0EEEvT1_.has_indirect_call, 0
	.section	.AMDGPU.csdata,"",@progbits
; Kernel info:
; codeLenInByte = 0
; TotalNumSgprs: 0
; NumVgprs: 0
; ScratchSize: 0
; MemoryBound: 0
; FloatMode: 240
; IeeeMode: 1
; LDSByteSize: 0 bytes/workgroup (compile time only)
; SGPRBlocks: 0
; VGPRBlocks: 0
; NumSGPRsForWavesPerEU: 1
; NumVGPRsForWavesPerEU: 1
; Occupancy: 16
; WaveLimiterHint : 0
; COMPUTE_PGM_RSRC2:SCRATCH_EN: 0
; COMPUTE_PGM_RSRC2:USER_SGPR: 6
; COMPUTE_PGM_RSRC2:TRAP_HANDLER: 0
; COMPUTE_PGM_RSRC2:TGID_X_EN: 1
; COMPUTE_PGM_RSRC2:TGID_Y_EN: 0
; COMPUTE_PGM_RSRC2:TGID_Z_EN: 0
; COMPUTE_PGM_RSRC2:TIDIG_COMP_CNT: 0
	.section	.text._ZN7rocprim17ROCPRIM_400000_NS6detail17trampoline_kernelINS0_14default_configENS1_20scan_config_selectorIN3c108BFloat16EEEZZNS1_9scan_implILNS1_25lookback_scan_determinismE0ELb0ELb0ES3_PKS6_PS6_S6_ZZZN2at6native31launch_logcumsumexp_cuda_kernelERKNSD_10TensorBaseESH_lENKUlvE_clEvENKUlvE4_clEvEUlS6_S6_E_S6_EEDaPvRmT3_T4_T5_mT6_P12ihipStream_tbENKUlT_T0_E_clISt17integral_constantIbLb0EESY_EEDaST_SU_EUlST_E_NS1_11comp_targetILNS1_3genE10ELNS1_11target_archE1201ELNS1_3gpuE5ELNS1_3repE0EEENS1_30default_config_static_selectorELNS0_4arch9wavefront6targetE0EEEvT1_,"axG",@progbits,_ZN7rocprim17ROCPRIM_400000_NS6detail17trampoline_kernelINS0_14default_configENS1_20scan_config_selectorIN3c108BFloat16EEEZZNS1_9scan_implILNS1_25lookback_scan_determinismE0ELb0ELb0ES3_PKS6_PS6_S6_ZZZN2at6native31launch_logcumsumexp_cuda_kernelERKNSD_10TensorBaseESH_lENKUlvE_clEvENKUlvE4_clEvEUlS6_S6_E_S6_EEDaPvRmT3_T4_T5_mT6_P12ihipStream_tbENKUlT_T0_E_clISt17integral_constantIbLb0EESY_EEDaST_SU_EUlST_E_NS1_11comp_targetILNS1_3genE10ELNS1_11target_archE1201ELNS1_3gpuE5ELNS1_3repE0EEENS1_30default_config_static_selectorELNS0_4arch9wavefront6targetE0EEEvT1_,comdat
	.globl	_ZN7rocprim17ROCPRIM_400000_NS6detail17trampoline_kernelINS0_14default_configENS1_20scan_config_selectorIN3c108BFloat16EEEZZNS1_9scan_implILNS1_25lookback_scan_determinismE0ELb0ELb0ES3_PKS6_PS6_S6_ZZZN2at6native31launch_logcumsumexp_cuda_kernelERKNSD_10TensorBaseESH_lENKUlvE_clEvENKUlvE4_clEvEUlS6_S6_E_S6_EEDaPvRmT3_T4_T5_mT6_P12ihipStream_tbENKUlT_T0_E_clISt17integral_constantIbLb0EESY_EEDaST_SU_EUlST_E_NS1_11comp_targetILNS1_3genE10ELNS1_11target_archE1201ELNS1_3gpuE5ELNS1_3repE0EEENS1_30default_config_static_selectorELNS0_4arch9wavefront6targetE0EEEvT1_ ; -- Begin function _ZN7rocprim17ROCPRIM_400000_NS6detail17trampoline_kernelINS0_14default_configENS1_20scan_config_selectorIN3c108BFloat16EEEZZNS1_9scan_implILNS1_25lookback_scan_determinismE0ELb0ELb0ES3_PKS6_PS6_S6_ZZZN2at6native31launch_logcumsumexp_cuda_kernelERKNSD_10TensorBaseESH_lENKUlvE_clEvENKUlvE4_clEvEUlS6_S6_E_S6_EEDaPvRmT3_T4_T5_mT6_P12ihipStream_tbENKUlT_T0_E_clISt17integral_constantIbLb0EESY_EEDaST_SU_EUlST_E_NS1_11comp_targetILNS1_3genE10ELNS1_11target_archE1201ELNS1_3gpuE5ELNS1_3repE0EEENS1_30default_config_static_selectorELNS0_4arch9wavefront6targetE0EEEvT1_
	.p2align	8
	.type	_ZN7rocprim17ROCPRIM_400000_NS6detail17trampoline_kernelINS0_14default_configENS1_20scan_config_selectorIN3c108BFloat16EEEZZNS1_9scan_implILNS1_25lookback_scan_determinismE0ELb0ELb0ES3_PKS6_PS6_S6_ZZZN2at6native31launch_logcumsumexp_cuda_kernelERKNSD_10TensorBaseESH_lENKUlvE_clEvENKUlvE4_clEvEUlS6_S6_E_S6_EEDaPvRmT3_T4_T5_mT6_P12ihipStream_tbENKUlT_T0_E_clISt17integral_constantIbLb0EESY_EEDaST_SU_EUlST_E_NS1_11comp_targetILNS1_3genE10ELNS1_11target_archE1201ELNS1_3gpuE5ELNS1_3repE0EEENS1_30default_config_static_selectorELNS0_4arch9wavefront6targetE0EEEvT1_,@function
_ZN7rocprim17ROCPRIM_400000_NS6detail17trampoline_kernelINS0_14default_configENS1_20scan_config_selectorIN3c108BFloat16EEEZZNS1_9scan_implILNS1_25lookback_scan_determinismE0ELb0ELb0ES3_PKS6_PS6_S6_ZZZN2at6native31launch_logcumsumexp_cuda_kernelERKNSD_10TensorBaseESH_lENKUlvE_clEvENKUlvE4_clEvEUlS6_S6_E_S6_EEDaPvRmT3_T4_T5_mT6_P12ihipStream_tbENKUlT_T0_E_clISt17integral_constantIbLb0EESY_EEDaST_SU_EUlST_E_NS1_11comp_targetILNS1_3genE10ELNS1_11target_archE1201ELNS1_3gpuE5ELNS1_3repE0EEENS1_30default_config_static_selectorELNS0_4arch9wavefront6targetE0EEEvT1_: ; @_ZN7rocprim17ROCPRIM_400000_NS6detail17trampoline_kernelINS0_14default_configENS1_20scan_config_selectorIN3c108BFloat16EEEZZNS1_9scan_implILNS1_25lookback_scan_determinismE0ELb0ELb0ES3_PKS6_PS6_S6_ZZZN2at6native31launch_logcumsumexp_cuda_kernelERKNSD_10TensorBaseESH_lENKUlvE_clEvENKUlvE4_clEvEUlS6_S6_E_S6_EEDaPvRmT3_T4_T5_mT6_P12ihipStream_tbENKUlT_T0_E_clISt17integral_constantIbLb0EESY_EEDaST_SU_EUlST_E_NS1_11comp_targetILNS1_3genE10ELNS1_11target_archE1201ELNS1_3gpuE5ELNS1_3repE0EEENS1_30default_config_static_selectorELNS0_4arch9wavefront6targetE0EEEvT1_
; %bb.0:
	.section	.rodata,"a",@progbits
	.p2align	6, 0x0
	.amdhsa_kernel _ZN7rocprim17ROCPRIM_400000_NS6detail17trampoline_kernelINS0_14default_configENS1_20scan_config_selectorIN3c108BFloat16EEEZZNS1_9scan_implILNS1_25lookback_scan_determinismE0ELb0ELb0ES3_PKS6_PS6_S6_ZZZN2at6native31launch_logcumsumexp_cuda_kernelERKNSD_10TensorBaseESH_lENKUlvE_clEvENKUlvE4_clEvEUlS6_S6_E_S6_EEDaPvRmT3_T4_T5_mT6_P12ihipStream_tbENKUlT_T0_E_clISt17integral_constantIbLb0EESY_EEDaST_SU_EUlST_E_NS1_11comp_targetILNS1_3genE10ELNS1_11target_archE1201ELNS1_3gpuE5ELNS1_3repE0EEENS1_30default_config_static_selectorELNS0_4arch9wavefront6targetE0EEEvT1_
		.amdhsa_group_segment_fixed_size 0
		.amdhsa_private_segment_fixed_size 0
		.amdhsa_kernarg_size 96
		.amdhsa_user_sgpr_count 6
		.amdhsa_user_sgpr_private_segment_buffer 1
		.amdhsa_user_sgpr_dispatch_ptr 0
		.amdhsa_user_sgpr_queue_ptr 0
		.amdhsa_user_sgpr_kernarg_segment_ptr 1
		.amdhsa_user_sgpr_dispatch_id 0
		.amdhsa_user_sgpr_flat_scratch_init 0
		.amdhsa_user_sgpr_private_segment_size 0
		.amdhsa_wavefront_size32 1
		.amdhsa_uses_dynamic_stack 0
		.amdhsa_system_sgpr_private_segment_wavefront_offset 0
		.amdhsa_system_sgpr_workgroup_id_x 1
		.amdhsa_system_sgpr_workgroup_id_y 0
		.amdhsa_system_sgpr_workgroup_id_z 0
		.amdhsa_system_sgpr_workgroup_info 0
		.amdhsa_system_vgpr_workitem_id 0
		.amdhsa_next_free_vgpr 1
		.amdhsa_next_free_sgpr 1
		.amdhsa_reserve_vcc 0
		.amdhsa_reserve_flat_scratch 0
		.amdhsa_float_round_mode_32 0
		.amdhsa_float_round_mode_16_64 0
		.amdhsa_float_denorm_mode_32 3
		.amdhsa_float_denorm_mode_16_64 3
		.amdhsa_dx10_clamp 1
		.amdhsa_ieee_mode 1
		.amdhsa_fp16_overflow 0
		.amdhsa_workgroup_processor_mode 1
		.amdhsa_memory_ordered 1
		.amdhsa_forward_progress 1
		.amdhsa_shared_vgpr_count 0
		.amdhsa_exception_fp_ieee_invalid_op 0
		.amdhsa_exception_fp_denorm_src 0
		.amdhsa_exception_fp_ieee_div_zero 0
		.amdhsa_exception_fp_ieee_overflow 0
		.amdhsa_exception_fp_ieee_underflow 0
		.amdhsa_exception_fp_ieee_inexact 0
		.amdhsa_exception_int_div_zero 0
	.end_amdhsa_kernel
	.section	.text._ZN7rocprim17ROCPRIM_400000_NS6detail17trampoline_kernelINS0_14default_configENS1_20scan_config_selectorIN3c108BFloat16EEEZZNS1_9scan_implILNS1_25lookback_scan_determinismE0ELb0ELb0ES3_PKS6_PS6_S6_ZZZN2at6native31launch_logcumsumexp_cuda_kernelERKNSD_10TensorBaseESH_lENKUlvE_clEvENKUlvE4_clEvEUlS6_S6_E_S6_EEDaPvRmT3_T4_T5_mT6_P12ihipStream_tbENKUlT_T0_E_clISt17integral_constantIbLb0EESY_EEDaST_SU_EUlST_E_NS1_11comp_targetILNS1_3genE10ELNS1_11target_archE1201ELNS1_3gpuE5ELNS1_3repE0EEENS1_30default_config_static_selectorELNS0_4arch9wavefront6targetE0EEEvT1_,"axG",@progbits,_ZN7rocprim17ROCPRIM_400000_NS6detail17trampoline_kernelINS0_14default_configENS1_20scan_config_selectorIN3c108BFloat16EEEZZNS1_9scan_implILNS1_25lookback_scan_determinismE0ELb0ELb0ES3_PKS6_PS6_S6_ZZZN2at6native31launch_logcumsumexp_cuda_kernelERKNSD_10TensorBaseESH_lENKUlvE_clEvENKUlvE4_clEvEUlS6_S6_E_S6_EEDaPvRmT3_T4_T5_mT6_P12ihipStream_tbENKUlT_T0_E_clISt17integral_constantIbLb0EESY_EEDaST_SU_EUlST_E_NS1_11comp_targetILNS1_3genE10ELNS1_11target_archE1201ELNS1_3gpuE5ELNS1_3repE0EEENS1_30default_config_static_selectorELNS0_4arch9wavefront6targetE0EEEvT1_,comdat
.Lfunc_end443:
	.size	_ZN7rocprim17ROCPRIM_400000_NS6detail17trampoline_kernelINS0_14default_configENS1_20scan_config_selectorIN3c108BFloat16EEEZZNS1_9scan_implILNS1_25lookback_scan_determinismE0ELb0ELb0ES3_PKS6_PS6_S6_ZZZN2at6native31launch_logcumsumexp_cuda_kernelERKNSD_10TensorBaseESH_lENKUlvE_clEvENKUlvE4_clEvEUlS6_S6_E_S6_EEDaPvRmT3_T4_T5_mT6_P12ihipStream_tbENKUlT_T0_E_clISt17integral_constantIbLb0EESY_EEDaST_SU_EUlST_E_NS1_11comp_targetILNS1_3genE10ELNS1_11target_archE1201ELNS1_3gpuE5ELNS1_3repE0EEENS1_30default_config_static_selectorELNS0_4arch9wavefront6targetE0EEEvT1_, .Lfunc_end443-_ZN7rocprim17ROCPRIM_400000_NS6detail17trampoline_kernelINS0_14default_configENS1_20scan_config_selectorIN3c108BFloat16EEEZZNS1_9scan_implILNS1_25lookback_scan_determinismE0ELb0ELb0ES3_PKS6_PS6_S6_ZZZN2at6native31launch_logcumsumexp_cuda_kernelERKNSD_10TensorBaseESH_lENKUlvE_clEvENKUlvE4_clEvEUlS6_S6_E_S6_EEDaPvRmT3_T4_T5_mT6_P12ihipStream_tbENKUlT_T0_E_clISt17integral_constantIbLb0EESY_EEDaST_SU_EUlST_E_NS1_11comp_targetILNS1_3genE10ELNS1_11target_archE1201ELNS1_3gpuE5ELNS1_3repE0EEENS1_30default_config_static_selectorELNS0_4arch9wavefront6targetE0EEEvT1_
                                        ; -- End function
	.set _ZN7rocprim17ROCPRIM_400000_NS6detail17trampoline_kernelINS0_14default_configENS1_20scan_config_selectorIN3c108BFloat16EEEZZNS1_9scan_implILNS1_25lookback_scan_determinismE0ELb0ELb0ES3_PKS6_PS6_S6_ZZZN2at6native31launch_logcumsumexp_cuda_kernelERKNSD_10TensorBaseESH_lENKUlvE_clEvENKUlvE4_clEvEUlS6_S6_E_S6_EEDaPvRmT3_T4_T5_mT6_P12ihipStream_tbENKUlT_T0_E_clISt17integral_constantIbLb0EESY_EEDaST_SU_EUlST_E_NS1_11comp_targetILNS1_3genE10ELNS1_11target_archE1201ELNS1_3gpuE5ELNS1_3repE0EEENS1_30default_config_static_selectorELNS0_4arch9wavefront6targetE0EEEvT1_.num_vgpr, 0
	.set _ZN7rocprim17ROCPRIM_400000_NS6detail17trampoline_kernelINS0_14default_configENS1_20scan_config_selectorIN3c108BFloat16EEEZZNS1_9scan_implILNS1_25lookback_scan_determinismE0ELb0ELb0ES3_PKS6_PS6_S6_ZZZN2at6native31launch_logcumsumexp_cuda_kernelERKNSD_10TensorBaseESH_lENKUlvE_clEvENKUlvE4_clEvEUlS6_S6_E_S6_EEDaPvRmT3_T4_T5_mT6_P12ihipStream_tbENKUlT_T0_E_clISt17integral_constantIbLb0EESY_EEDaST_SU_EUlST_E_NS1_11comp_targetILNS1_3genE10ELNS1_11target_archE1201ELNS1_3gpuE5ELNS1_3repE0EEENS1_30default_config_static_selectorELNS0_4arch9wavefront6targetE0EEEvT1_.num_agpr, 0
	.set _ZN7rocprim17ROCPRIM_400000_NS6detail17trampoline_kernelINS0_14default_configENS1_20scan_config_selectorIN3c108BFloat16EEEZZNS1_9scan_implILNS1_25lookback_scan_determinismE0ELb0ELb0ES3_PKS6_PS6_S6_ZZZN2at6native31launch_logcumsumexp_cuda_kernelERKNSD_10TensorBaseESH_lENKUlvE_clEvENKUlvE4_clEvEUlS6_S6_E_S6_EEDaPvRmT3_T4_T5_mT6_P12ihipStream_tbENKUlT_T0_E_clISt17integral_constantIbLb0EESY_EEDaST_SU_EUlST_E_NS1_11comp_targetILNS1_3genE10ELNS1_11target_archE1201ELNS1_3gpuE5ELNS1_3repE0EEENS1_30default_config_static_selectorELNS0_4arch9wavefront6targetE0EEEvT1_.numbered_sgpr, 0
	.set _ZN7rocprim17ROCPRIM_400000_NS6detail17trampoline_kernelINS0_14default_configENS1_20scan_config_selectorIN3c108BFloat16EEEZZNS1_9scan_implILNS1_25lookback_scan_determinismE0ELb0ELb0ES3_PKS6_PS6_S6_ZZZN2at6native31launch_logcumsumexp_cuda_kernelERKNSD_10TensorBaseESH_lENKUlvE_clEvENKUlvE4_clEvEUlS6_S6_E_S6_EEDaPvRmT3_T4_T5_mT6_P12ihipStream_tbENKUlT_T0_E_clISt17integral_constantIbLb0EESY_EEDaST_SU_EUlST_E_NS1_11comp_targetILNS1_3genE10ELNS1_11target_archE1201ELNS1_3gpuE5ELNS1_3repE0EEENS1_30default_config_static_selectorELNS0_4arch9wavefront6targetE0EEEvT1_.num_named_barrier, 0
	.set _ZN7rocprim17ROCPRIM_400000_NS6detail17trampoline_kernelINS0_14default_configENS1_20scan_config_selectorIN3c108BFloat16EEEZZNS1_9scan_implILNS1_25lookback_scan_determinismE0ELb0ELb0ES3_PKS6_PS6_S6_ZZZN2at6native31launch_logcumsumexp_cuda_kernelERKNSD_10TensorBaseESH_lENKUlvE_clEvENKUlvE4_clEvEUlS6_S6_E_S6_EEDaPvRmT3_T4_T5_mT6_P12ihipStream_tbENKUlT_T0_E_clISt17integral_constantIbLb0EESY_EEDaST_SU_EUlST_E_NS1_11comp_targetILNS1_3genE10ELNS1_11target_archE1201ELNS1_3gpuE5ELNS1_3repE0EEENS1_30default_config_static_selectorELNS0_4arch9wavefront6targetE0EEEvT1_.private_seg_size, 0
	.set _ZN7rocprim17ROCPRIM_400000_NS6detail17trampoline_kernelINS0_14default_configENS1_20scan_config_selectorIN3c108BFloat16EEEZZNS1_9scan_implILNS1_25lookback_scan_determinismE0ELb0ELb0ES3_PKS6_PS6_S6_ZZZN2at6native31launch_logcumsumexp_cuda_kernelERKNSD_10TensorBaseESH_lENKUlvE_clEvENKUlvE4_clEvEUlS6_S6_E_S6_EEDaPvRmT3_T4_T5_mT6_P12ihipStream_tbENKUlT_T0_E_clISt17integral_constantIbLb0EESY_EEDaST_SU_EUlST_E_NS1_11comp_targetILNS1_3genE10ELNS1_11target_archE1201ELNS1_3gpuE5ELNS1_3repE0EEENS1_30default_config_static_selectorELNS0_4arch9wavefront6targetE0EEEvT1_.uses_vcc, 0
	.set _ZN7rocprim17ROCPRIM_400000_NS6detail17trampoline_kernelINS0_14default_configENS1_20scan_config_selectorIN3c108BFloat16EEEZZNS1_9scan_implILNS1_25lookback_scan_determinismE0ELb0ELb0ES3_PKS6_PS6_S6_ZZZN2at6native31launch_logcumsumexp_cuda_kernelERKNSD_10TensorBaseESH_lENKUlvE_clEvENKUlvE4_clEvEUlS6_S6_E_S6_EEDaPvRmT3_T4_T5_mT6_P12ihipStream_tbENKUlT_T0_E_clISt17integral_constantIbLb0EESY_EEDaST_SU_EUlST_E_NS1_11comp_targetILNS1_3genE10ELNS1_11target_archE1201ELNS1_3gpuE5ELNS1_3repE0EEENS1_30default_config_static_selectorELNS0_4arch9wavefront6targetE0EEEvT1_.uses_flat_scratch, 0
	.set _ZN7rocprim17ROCPRIM_400000_NS6detail17trampoline_kernelINS0_14default_configENS1_20scan_config_selectorIN3c108BFloat16EEEZZNS1_9scan_implILNS1_25lookback_scan_determinismE0ELb0ELb0ES3_PKS6_PS6_S6_ZZZN2at6native31launch_logcumsumexp_cuda_kernelERKNSD_10TensorBaseESH_lENKUlvE_clEvENKUlvE4_clEvEUlS6_S6_E_S6_EEDaPvRmT3_T4_T5_mT6_P12ihipStream_tbENKUlT_T0_E_clISt17integral_constantIbLb0EESY_EEDaST_SU_EUlST_E_NS1_11comp_targetILNS1_3genE10ELNS1_11target_archE1201ELNS1_3gpuE5ELNS1_3repE0EEENS1_30default_config_static_selectorELNS0_4arch9wavefront6targetE0EEEvT1_.has_dyn_sized_stack, 0
	.set _ZN7rocprim17ROCPRIM_400000_NS6detail17trampoline_kernelINS0_14default_configENS1_20scan_config_selectorIN3c108BFloat16EEEZZNS1_9scan_implILNS1_25lookback_scan_determinismE0ELb0ELb0ES3_PKS6_PS6_S6_ZZZN2at6native31launch_logcumsumexp_cuda_kernelERKNSD_10TensorBaseESH_lENKUlvE_clEvENKUlvE4_clEvEUlS6_S6_E_S6_EEDaPvRmT3_T4_T5_mT6_P12ihipStream_tbENKUlT_T0_E_clISt17integral_constantIbLb0EESY_EEDaST_SU_EUlST_E_NS1_11comp_targetILNS1_3genE10ELNS1_11target_archE1201ELNS1_3gpuE5ELNS1_3repE0EEENS1_30default_config_static_selectorELNS0_4arch9wavefront6targetE0EEEvT1_.has_recursion, 0
	.set _ZN7rocprim17ROCPRIM_400000_NS6detail17trampoline_kernelINS0_14default_configENS1_20scan_config_selectorIN3c108BFloat16EEEZZNS1_9scan_implILNS1_25lookback_scan_determinismE0ELb0ELb0ES3_PKS6_PS6_S6_ZZZN2at6native31launch_logcumsumexp_cuda_kernelERKNSD_10TensorBaseESH_lENKUlvE_clEvENKUlvE4_clEvEUlS6_S6_E_S6_EEDaPvRmT3_T4_T5_mT6_P12ihipStream_tbENKUlT_T0_E_clISt17integral_constantIbLb0EESY_EEDaST_SU_EUlST_E_NS1_11comp_targetILNS1_3genE10ELNS1_11target_archE1201ELNS1_3gpuE5ELNS1_3repE0EEENS1_30default_config_static_selectorELNS0_4arch9wavefront6targetE0EEEvT1_.has_indirect_call, 0
	.section	.AMDGPU.csdata,"",@progbits
; Kernel info:
; codeLenInByte = 0
; TotalNumSgprs: 0
; NumVgprs: 0
; ScratchSize: 0
; MemoryBound: 0
; FloatMode: 240
; IeeeMode: 1
; LDSByteSize: 0 bytes/workgroup (compile time only)
; SGPRBlocks: 0
; VGPRBlocks: 0
; NumSGPRsForWavesPerEU: 1
; NumVGPRsForWavesPerEU: 1
; Occupancy: 16
; WaveLimiterHint : 0
; COMPUTE_PGM_RSRC2:SCRATCH_EN: 0
; COMPUTE_PGM_RSRC2:USER_SGPR: 6
; COMPUTE_PGM_RSRC2:TRAP_HANDLER: 0
; COMPUTE_PGM_RSRC2:TGID_X_EN: 1
; COMPUTE_PGM_RSRC2:TGID_Y_EN: 0
; COMPUTE_PGM_RSRC2:TGID_Z_EN: 0
; COMPUTE_PGM_RSRC2:TIDIG_COMP_CNT: 0
	.section	.text._ZN7rocprim17ROCPRIM_400000_NS6detail17trampoline_kernelINS0_14default_configENS1_20scan_config_selectorIN3c108BFloat16EEEZZNS1_9scan_implILNS1_25lookback_scan_determinismE0ELb0ELb0ES3_PKS6_PS6_S6_ZZZN2at6native31launch_logcumsumexp_cuda_kernelERKNSD_10TensorBaseESH_lENKUlvE_clEvENKUlvE4_clEvEUlS6_S6_E_S6_EEDaPvRmT3_T4_T5_mT6_P12ihipStream_tbENKUlT_T0_E_clISt17integral_constantIbLb0EESY_EEDaST_SU_EUlST_E_NS1_11comp_targetILNS1_3genE10ELNS1_11target_archE1200ELNS1_3gpuE4ELNS1_3repE0EEENS1_30default_config_static_selectorELNS0_4arch9wavefront6targetE0EEEvT1_,"axG",@progbits,_ZN7rocprim17ROCPRIM_400000_NS6detail17trampoline_kernelINS0_14default_configENS1_20scan_config_selectorIN3c108BFloat16EEEZZNS1_9scan_implILNS1_25lookback_scan_determinismE0ELb0ELb0ES3_PKS6_PS6_S6_ZZZN2at6native31launch_logcumsumexp_cuda_kernelERKNSD_10TensorBaseESH_lENKUlvE_clEvENKUlvE4_clEvEUlS6_S6_E_S6_EEDaPvRmT3_T4_T5_mT6_P12ihipStream_tbENKUlT_T0_E_clISt17integral_constantIbLb0EESY_EEDaST_SU_EUlST_E_NS1_11comp_targetILNS1_3genE10ELNS1_11target_archE1200ELNS1_3gpuE4ELNS1_3repE0EEENS1_30default_config_static_selectorELNS0_4arch9wavefront6targetE0EEEvT1_,comdat
	.globl	_ZN7rocprim17ROCPRIM_400000_NS6detail17trampoline_kernelINS0_14default_configENS1_20scan_config_selectorIN3c108BFloat16EEEZZNS1_9scan_implILNS1_25lookback_scan_determinismE0ELb0ELb0ES3_PKS6_PS6_S6_ZZZN2at6native31launch_logcumsumexp_cuda_kernelERKNSD_10TensorBaseESH_lENKUlvE_clEvENKUlvE4_clEvEUlS6_S6_E_S6_EEDaPvRmT3_T4_T5_mT6_P12ihipStream_tbENKUlT_T0_E_clISt17integral_constantIbLb0EESY_EEDaST_SU_EUlST_E_NS1_11comp_targetILNS1_3genE10ELNS1_11target_archE1200ELNS1_3gpuE4ELNS1_3repE0EEENS1_30default_config_static_selectorELNS0_4arch9wavefront6targetE0EEEvT1_ ; -- Begin function _ZN7rocprim17ROCPRIM_400000_NS6detail17trampoline_kernelINS0_14default_configENS1_20scan_config_selectorIN3c108BFloat16EEEZZNS1_9scan_implILNS1_25lookback_scan_determinismE0ELb0ELb0ES3_PKS6_PS6_S6_ZZZN2at6native31launch_logcumsumexp_cuda_kernelERKNSD_10TensorBaseESH_lENKUlvE_clEvENKUlvE4_clEvEUlS6_S6_E_S6_EEDaPvRmT3_T4_T5_mT6_P12ihipStream_tbENKUlT_T0_E_clISt17integral_constantIbLb0EESY_EEDaST_SU_EUlST_E_NS1_11comp_targetILNS1_3genE10ELNS1_11target_archE1200ELNS1_3gpuE4ELNS1_3repE0EEENS1_30default_config_static_selectorELNS0_4arch9wavefront6targetE0EEEvT1_
	.p2align	8
	.type	_ZN7rocprim17ROCPRIM_400000_NS6detail17trampoline_kernelINS0_14default_configENS1_20scan_config_selectorIN3c108BFloat16EEEZZNS1_9scan_implILNS1_25lookback_scan_determinismE0ELb0ELb0ES3_PKS6_PS6_S6_ZZZN2at6native31launch_logcumsumexp_cuda_kernelERKNSD_10TensorBaseESH_lENKUlvE_clEvENKUlvE4_clEvEUlS6_S6_E_S6_EEDaPvRmT3_T4_T5_mT6_P12ihipStream_tbENKUlT_T0_E_clISt17integral_constantIbLb0EESY_EEDaST_SU_EUlST_E_NS1_11comp_targetILNS1_3genE10ELNS1_11target_archE1200ELNS1_3gpuE4ELNS1_3repE0EEENS1_30default_config_static_selectorELNS0_4arch9wavefront6targetE0EEEvT1_,@function
_ZN7rocprim17ROCPRIM_400000_NS6detail17trampoline_kernelINS0_14default_configENS1_20scan_config_selectorIN3c108BFloat16EEEZZNS1_9scan_implILNS1_25lookback_scan_determinismE0ELb0ELb0ES3_PKS6_PS6_S6_ZZZN2at6native31launch_logcumsumexp_cuda_kernelERKNSD_10TensorBaseESH_lENKUlvE_clEvENKUlvE4_clEvEUlS6_S6_E_S6_EEDaPvRmT3_T4_T5_mT6_P12ihipStream_tbENKUlT_T0_E_clISt17integral_constantIbLb0EESY_EEDaST_SU_EUlST_E_NS1_11comp_targetILNS1_3genE10ELNS1_11target_archE1200ELNS1_3gpuE4ELNS1_3repE0EEENS1_30default_config_static_selectorELNS0_4arch9wavefront6targetE0EEEvT1_: ; @_ZN7rocprim17ROCPRIM_400000_NS6detail17trampoline_kernelINS0_14default_configENS1_20scan_config_selectorIN3c108BFloat16EEEZZNS1_9scan_implILNS1_25lookback_scan_determinismE0ELb0ELb0ES3_PKS6_PS6_S6_ZZZN2at6native31launch_logcumsumexp_cuda_kernelERKNSD_10TensorBaseESH_lENKUlvE_clEvENKUlvE4_clEvEUlS6_S6_E_S6_EEDaPvRmT3_T4_T5_mT6_P12ihipStream_tbENKUlT_T0_E_clISt17integral_constantIbLb0EESY_EEDaST_SU_EUlST_E_NS1_11comp_targetILNS1_3genE10ELNS1_11target_archE1200ELNS1_3gpuE4ELNS1_3repE0EEENS1_30default_config_static_selectorELNS0_4arch9wavefront6targetE0EEEvT1_
; %bb.0:
	.section	.rodata,"a",@progbits
	.p2align	6, 0x0
	.amdhsa_kernel _ZN7rocprim17ROCPRIM_400000_NS6detail17trampoline_kernelINS0_14default_configENS1_20scan_config_selectorIN3c108BFloat16EEEZZNS1_9scan_implILNS1_25lookback_scan_determinismE0ELb0ELb0ES3_PKS6_PS6_S6_ZZZN2at6native31launch_logcumsumexp_cuda_kernelERKNSD_10TensorBaseESH_lENKUlvE_clEvENKUlvE4_clEvEUlS6_S6_E_S6_EEDaPvRmT3_T4_T5_mT6_P12ihipStream_tbENKUlT_T0_E_clISt17integral_constantIbLb0EESY_EEDaST_SU_EUlST_E_NS1_11comp_targetILNS1_3genE10ELNS1_11target_archE1200ELNS1_3gpuE4ELNS1_3repE0EEENS1_30default_config_static_selectorELNS0_4arch9wavefront6targetE0EEEvT1_
		.amdhsa_group_segment_fixed_size 0
		.amdhsa_private_segment_fixed_size 0
		.amdhsa_kernarg_size 96
		.amdhsa_user_sgpr_count 6
		.amdhsa_user_sgpr_private_segment_buffer 1
		.amdhsa_user_sgpr_dispatch_ptr 0
		.amdhsa_user_sgpr_queue_ptr 0
		.amdhsa_user_sgpr_kernarg_segment_ptr 1
		.amdhsa_user_sgpr_dispatch_id 0
		.amdhsa_user_sgpr_flat_scratch_init 0
		.amdhsa_user_sgpr_private_segment_size 0
		.amdhsa_wavefront_size32 1
		.amdhsa_uses_dynamic_stack 0
		.amdhsa_system_sgpr_private_segment_wavefront_offset 0
		.amdhsa_system_sgpr_workgroup_id_x 1
		.amdhsa_system_sgpr_workgroup_id_y 0
		.amdhsa_system_sgpr_workgroup_id_z 0
		.amdhsa_system_sgpr_workgroup_info 0
		.amdhsa_system_vgpr_workitem_id 0
		.amdhsa_next_free_vgpr 1
		.amdhsa_next_free_sgpr 1
		.amdhsa_reserve_vcc 0
		.amdhsa_reserve_flat_scratch 0
		.amdhsa_float_round_mode_32 0
		.amdhsa_float_round_mode_16_64 0
		.amdhsa_float_denorm_mode_32 3
		.amdhsa_float_denorm_mode_16_64 3
		.amdhsa_dx10_clamp 1
		.amdhsa_ieee_mode 1
		.amdhsa_fp16_overflow 0
		.amdhsa_workgroup_processor_mode 1
		.amdhsa_memory_ordered 1
		.amdhsa_forward_progress 1
		.amdhsa_shared_vgpr_count 0
		.amdhsa_exception_fp_ieee_invalid_op 0
		.amdhsa_exception_fp_denorm_src 0
		.amdhsa_exception_fp_ieee_div_zero 0
		.amdhsa_exception_fp_ieee_overflow 0
		.amdhsa_exception_fp_ieee_underflow 0
		.amdhsa_exception_fp_ieee_inexact 0
		.amdhsa_exception_int_div_zero 0
	.end_amdhsa_kernel
	.section	.text._ZN7rocprim17ROCPRIM_400000_NS6detail17trampoline_kernelINS0_14default_configENS1_20scan_config_selectorIN3c108BFloat16EEEZZNS1_9scan_implILNS1_25lookback_scan_determinismE0ELb0ELb0ES3_PKS6_PS6_S6_ZZZN2at6native31launch_logcumsumexp_cuda_kernelERKNSD_10TensorBaseESH_lENKUlvE_clEvENKUlvE4_clEvEUlS6_S6_E_S6_EEDaPvRmT3_T4_T5_mT6_P12ihipStream_tbENKUlT_T0_E_clISt17integral_constantIbLb0EESY_EEDaST_SU_EUlST_E_NS1_11comp_targetILNS1_3genE10ELNS1_11target_archE1200ELNS1_3gpuE4ELNS1_3repE0EEENS1_30default_config_static_selectorELNS0_4arch9wavefront6targetE0EEEvT1_,"axG",@progbits,_ZN7rocprim17ROCPRIM_400000_NS6detail17trampoline_kernelINS0_14default_configENS1_20scan_config_selectorIN3c108BFloat16EEEZZNS1_9scan_implILNS1_25lookback_scan_determinismE0ELb0ELb0ES3_PKS6_PS6_S6_ZZZN2at6native31launch_logcumsumexp_cuda_kernelERKNSD_10TensorBaseESH_lENKUlvE_clEvENKUlvE4_clEvEUlS6_S6_E_S6_EEDaPvRmT3_T4_T5_mT6_P12ihipStream_tbENKUlT_T0_E_clISt17integral_constantIbLb0EESY_EEDaST_SU_EUlST_E_NS1_11comp_targetILNS1_3genE10ELNS1_11target_archE1200ELNS1_3gpuE4ELNS1_3repE0EEENS1_30default_config_static_selectorELNS0_4arch9wavefront6targetE0EEEvT1_,comdat
.Lfunc_end444:
	.size	_ZN7rocprim17ROCPRIM_400000_NS6detail17trampoline_kernelINS0_14default_configENS1_20scan_config_selectorIN3c108BFloat16EEEZZNS1_9scan_implILNS1_25lookback_scan_determinismE0ELb0ELb0ES3_PKS6_PS6_S6_ZZZN2at6native31launch_logcumsumexp_cuda_kernelERKNSD_10TensorBaseESH_lENKUlvE_clEvENKUlvE4_clEvEUlS6_S6_E_S6_EEDaPvRmT3_T4_T5_mT6_P12ihipStream_tbENKUlT_T0_E_clISt17integral_constantIbLb0EESY_EEDaST_SU_EUlST_E_NS1_11comp_targetILNS1_3genE10ELNS1_11target_archE1200ELNS1_3gpuE4ELNS1_3repE0EEENS1_30default_config_static_selectorELNS0_4arch9wavefront6targetE0EEEvT1_, .Lfunc_end444-_ZN7rocprim17ROCPRIM_400000_NS6detail17trampoline_kernelINS0_14default_configENS1_20scan_config_selectorIN3c108BFloat16EEEZZNS1_9scan_implILNS1_25lookback_scan_determinismE0ELb0ELb0ES3_PKS6_PS6_S6_ZZZN2at6native31launch_logcumsumexp_cuda_kernelERKNSD_10TensorBaseESH_lENKUlvE_clEvENKUlvE4_clEvEUlS6_S6_E_S6_EEDaPvRmT3_T4_T5_mT6_P12ihipStream_tbENKUlT_T0_E_clISt17integral_constantIbLb0EESY_EEDaST_SU_EUlST_E_NS1_11comp_targetILNS1_3genE10ELNS1_11target_archE1200ELNS1_3gpuE4ELNS1_3repE0EEENS1_30default_config_static_selectorELNS0_4arch9wavefront6targetE0EEEvT1_
                                        ; -- End function
	.set _ZN7rocprim17ROCPRIM_400000_NS6detail17trampoline_kernelINS0_14default_configENS1_20scan_config_selectorIN3c108BFloat16EEEZZNS1_9scan_implILNS1_25lookback_scan_determinismE0ELb0ELb0ES3_PKS6_PS6_S6_ZZZN2at6native31launch_logcumsumexp_cuda_kernelERKNSD_10TensorBaseESH_lENKUlvE_clEvENKUlvE4_clEvEUlS6_S6_E_S6_EEDaPvRmT3_T4_T5_mT6_P12ihipStream_tbENKUlT_T0_E_clISt17integral_constantIbLb0EESY_EEDaST_SU_EUlST_E_NS1_11comp_targetILNS1_3genE10ELNS1_11target_archE1200ELNS1_3gpuE4ELNS1_3repE0EEENS1_30default_config_static_selectorELNS0_4arch9wavefront6targetE0EEEvT1_.num_vgpr, 0
	.set _ZN7rocprim17ROCPRIM_400000_NS6detail17trampoline_kernelINS0_14default_configENS1_20scan_config_selectorIN3c108BFloat16EEEZZNS1_9scan_implILNS1_25lookback_scan_determinismE0ELb0ELb0ES3_PKS6_PS6_S6_ZZZN2at6native31launch_logcumsumexp_cuda_kernelERKNSD_10TensorBaseESH_lENKUlvE_clEvENKUlvE4_clEvEUlS6_S6_E_S6_EEDaPvRmT3_T4_T5_mT6_P12ihipStream_tbENKUlT_T0_E_clISt17integral_constantIbLb0EESY_EEDaST_SU_EUlST_E_NS1_11comp_targetILNS1_3genE10ELNS1_11target_archE1200ELNS1_3gpuE4ELNS1_3repE0EEENS1_30default_config_static_selectorELNS0_4arch9wavefront6targetE0EEEvT1_.num_agpr, 0
	.set _ZN7rocprim17ROCPRIM_400000_NS6detail17trampoline_kernelINS0_14default_configENS1_20scan_config_selectorIN3c108BFloat16EEEZZNS1_9scan_implILNS1_25lookback_scan_determinismE0ELb0ELb0ES3_PKS6_PS6_S6_ZZZN2at6native31launch_logcumsumexp_cuda_kernelERKNSD_10TensorBaseESH_lENKUlvE_clEvENKUlvE4_clEvEUlS6_S6_E_S6_EEDaPvRmT3_T4_T5_mT6_P12ihipStream_tbENKUlT_T0_E_clISt17integral_constantIbLb0EESY_EEDaST_SU_EUlST_E_NS1_11comp_targetILNS1_3genE10ELNS1_11target_archE1200ELNS1_3gpuE4ELNS1_3repE0EEENS1_30default_config_static_selectorELNS0_4arch9wavefront6targetE0EEEvT1_.numbered_sgpr, 0
	.set _ZN7rocprim17ROCPRIM_400000_NS6detail17trampoline_kernelINS0_14default_configENS1_20scan_config_selectorIN3c108BFloat16EEEZZNS1_9scan_implILNS1_25lookback_scan_determinismE0ELb0ELb0ES3_PKS6_PS6_S6_ZZZN2at6native31launch_logcumsumexp_cuda_kernelERKNSD_10TensorBaseESH_lENKUlvE_clEvENKUlvE4_clEvEUlS6_S6_E_S6_EEDaPvRmT3_T4_T5_mT6_P12ihipStream_tbENKUlT_T0_E_clISt17integral_constantIbLb0EESY_EEDaST_SU_EUlST_E_NS1_11comp_targetILNS1_3genE10ELNS1_11target_archE1200ELNS1_3gpuE4ELNS1_3repE0EEENS1_30default_config_static_selectorELNS0_4arch9wavefront6targetE0EEEvT1_.num_named_barrier, 0
	.set _ZN7rocprim17ROCPRIM_400000_NS6detail17trampoline_kernelINS0_14default_configENS1_20scan_config_selectorIN3c108BFloat16EEEZZNS1_9scan_implILNS1_25lookback_scan_determinismE0ELb0ELb0ES3_PKS6_PS6_S6_ZZZN2at6native31launch_logcumsumexp_cuda_kernelERKNSD_10TensorBaseESH_lENKUlvE_clEvENKUlvE4_clEvEUlS6_S6_E_S6_EEDaPvRmT3_T4_T5_mT6_P12ihipStream_tbENKUlT_T0_E_clISt17integral_constantIbLb0EESY_EEDaST_SU_EUlST_E_NS1_11comp_targetILNS1_3genE10ELNS1_11target_archE1200ELNS1_3gpuE4ELNS1_3repE0EEENS1_30default_config_static_selectorELNS0_4arch9wavefront6targetE0EEEvT1_.private_seg_size, 0
	.set _ZN7rocprim17ROCPRIM_400000_NS6detail17trampoline_kernelINS0_14default_configENS1_20scan_config_selectorIN3c108BFloat16EEEZZNS1_9scan_implILNS1_25lookback_scan_determinismE0ELb0ELb0ES3_PKS6_PS6_S6_ZZZN2at6native31launch_logcumsumexp_cuda_kernelERKNSD_10TensorBaseESH_lENKUlvE_clEvENKUlvE4_clEvEUlS6_S6_E_S6_EEDaPvRmT3_T4_T5_mT6_P12ihipStream_tbENKUlT_T0_E_clISt17integral_constantIbLb0EESY_EEDaST_SU_EUlST_E_NS1_11comp_targetILNS1_3genE10ELNS1_11target_archE1200ELNS1_3gpuE4ELNS1_3repE0EEENS1_30default_config_static_selectorELNS0_4arch9wavefront6targetE0EEEvT1_.uses_vcc, 0
	.set _ZN7rocprim17ROCPRIM_400000_NS6detail17trampoline_kernelINS0_14default_configENS1_20scan_config_selectorIN3c108BFloat16EEEZZNS1_9scan_implILNS1_25lookback_scan_determinismE0ELb0ELb0ES3_PKS6_PS6_S6_ZZZN2at6native31launch_logcumsumexp_cuda_kernelERKNSD_10TensorBaseESH_lENKUlvE_clEvENKUlvE4_clEvEUlS6_S6_E_S6_EEDaPvRmT3_T4_T5_mT6_P12ihipStream_tbENKUlT_T0_E_clISt17integral_constantIbLb0EESY_EEDaST_SU_EUlST_E_NS1_11comp_targetILNS1_3genE10ELNS1_11target_archE1200ELNS1_3gpuE4ELNS1_3repE0EEENS1_30default_config_static_selectorELNS0_4arch9wavefront6targetE0EEEvT1_.uses_flat_scratch, 0
	.set _ZN7rocprim17ROCPRIM_400000_NS6detail17trampoline_kernelINS0_14default_configENS1_20scan_config_selectorIN3c108BFloat16EEEZZNS1_9scan_implILNS1_25lookback_scan_determinismE0ELb0ELb0ES3_PKS6_PS6_S6_ZZZN2at6native31launch_logcumsumexp_cuda_kernelERKNSD_10TensorBaseESH_lENKUlvE_clEvENKUlvE4_clEvEUlS6_S6_E_S6_EEDaPvRmT3_T4_T5_mT6_P12ihipStream_tbENKUlT_T0_E_clISt17integral_constantIbLb0EESY_EEDaST_SU_EUlST_E_NS1_11comp_targetILNS1_3genE10ELNS1_11target_archE1200ELNS1_3gpuE4ELNS1_3repE0EEENS1_30default_config_static_selectorELNS0_4arch9wavefront6targetE0EEEvT1_.has_dyn_sized_stack, 0
	.set _ZN7rocprim17ROCPRIM_400000_NS6detail17trampoline_kernelINS0_14default_configENS1_20scan_config_selectorIN3c108BFloat16EEEZZNS1_9scan_implILNS1_25lookback_scan_determinismE0ELb0ELb0ES3_PKS6_PS6_S6_ZZZN2at6native31launch_logcumsumexp_cuda_kernelERKNSD_10TensorBaseESH_lENKUlvE_clEvENKUlvE4_clEvEUlS6_S6_E_S6_EEDaPvRmT3_T4_T5_mT6_P12ihipStream_tbENKUlT_T0_E_clISt17integral_constantIbLb0EESY_EEDaST_SU_EUlST_E_NS1_11comp_targetILNS1_3genE10ELNS1_11target_archE1200ELNS1_3gpuE4ELNS1_3repE0EEENS1_30default_config_static_selectorELNS0_4arch9wavefront6targetE0EEEvT1_.has_recursion, 0
	.set _ZN7rocprim17ROCPRIM_400000_NS6detail17trampoline_kernelINS0_14default_configENS1_20scan_config_selectorIN3c108BFloat16EEEZZNS1_9scan_implILNS1_25lookback_scan_determinismE0ELb0ELb0ES3_PKS6_PS6_S6_ZZZN2at6native31launch_logcumsumexp_cuda_kernelERKNSD_10TensorBaseESH_lENKUlvE_clEvENKUlvE4_clEvEUlS6_S6_E_S6_EEDaPvRmT3_T4_T5_mT6_P12ihipStream_tbENKUlT_T0_E_clISt17integral_constantIbLb0EESY_EEDaST_SU_EUlST_E_NS1_11comp_targetILNS1_3genE10ELNS1_11target_archE1200ELNS1_3gpuE4ELNS1_3repE0EEENS1_30default_config_static_selectorELNS0_4arch9wavefront6targetE0EEEvT1_.has_indirect_call, 0
	.section	.AMDGPU.csdata,"",@progbits
; Kernel info:
; codeLenInByte = 0
; TotalNumSgprs: 0
; NumVgprs: 0
; ScratchSize: 0
; MemoryBound: 0
; FloatMode: 240
; IeeeMode: 1
; LDSByteSize: 0 bytes/workgroup (compile time only)
; SGPRBlocks: 0
; VGPRBlocks: 0
; NumSGPRsForWavesPerEU: 1
; NumVGPRsForWavesPerEU: 1
; Occupancy: 16
; WaveLimiterHint : 0
; COMPUTE_PGM_RSRC2:SCRATCH_EN: 0
; COMPUTE_PGM_RSRC2:USER_SGPR: 6
; COMPUTE_PGM_RSRC2:TRAP_HANDLER: 0
; COMPUTE_PGM_RSRC2:TGID_X_EN: 1
; COMPUTE_PGM_RSRC2:TGID_Y_EN: 0
; COMPUTE_PGM_RSRC2:TGID_Z_EN: 0
; COMPUTE_PGM_RSRC2:TIDIG_COMP_CNT: 0
	.section	.text._ZN7rocprim17ROCPRIM_400000_NS6detail17trampoline_kernelINS0_14default_configENS1_20scan_config_selectorIN3c108BFloat16EEEZZNS1_9scan_implILNS1_25lookback_scan_determinismE0ELb0ELb0ES3_PKS6_PS6_S6_ZZZN2at6native31launch_logcumsumexp_cuda_kernelERKNSD_10TensorBaseESH_lENKUlvE_clEvENKUlvE4_clEvEUlS6_S6_E_S6_EEDaPvRmT3_T4_T5_mT6_P12ihipStream_tbENKUlT_T0_E_clISt17integral_constantIbLb0EESY_EEDaST_SU_EUlST_E_NS1_11comp_targetILNS1_3genE9ELNS1_11target_archE1100ELNS1_3gpuE3ELNS1_3repE0EEENS1_30default_config_static_selectorELNS0_4arch9wavefront6targetE0EEEvT1_,"axG",@progbits,_ZN7rocprim17ROCPRIM_400000_NS6detail17trampoline_kernelINS0_14default_configENS1_20scan_config_selectorIN3c108BFloat16EEEZZNS1_9scan_implILNS1_25lookback_scan_determinismE0ELb0ELb0ES3_PKS6_PS6_S6_ZZZN2at6native31launch_logcumsumexp_cuda_kernelERKNSD_10TensorBaseESH_lENKUlvE_clEvENKUlvE4_clEvEUlS6_S6_E_S6_EEDaPvRmT3_T4_T5_mT6_P12ihipStream_tbENKUlT_T0_E_clISt17integral_constantIbLb0EESY_EEDaST_SU_EUlST_E_NS1_11comp_targetILNS1_3genE9ELNS1_11target_archE1100ELNS1_3gpuE3ELNS1_3repE0EEENS1_30default_config_static_selectorELNS0_4arch9wavefront6targetE0EEEvT1_,comdat
	.globl	_ZN7rocprim17ROCPRIM_400000_NS6detail17trampoline_kernelINS0_14default_configENS1_20scan_config_selectorIN3c108BFloat16EEEZZNS1_9scan_implILNS1_25lookback_scan_determinismE0ELb0ELb0ES3_PKS6_PS6_S6_ZZZN2at6native31launch_logcumsumexp_cuda_kernelERKNSD_10TensorBaseESH_lENKUlvE_clEvENKUlvE4_clEvEUlS6_S6_E_S6_EEDaPvRmT3_T4_T5_mT6_P12ihipStream_tbENKUlT_T0_E_clISt17integral_constantIbLb0EESY_EEDaST_SU_EUlST_E_NS1_11comp_targetILNS1_3genE9ELNS1_11target_archE1100ELNS1_3gpuE3ELNS1_3repE0EEENS1_30default_config_static_selectorELNS0_4arch9wavefront6targetE0EEEvT1_ ; -- Begin function _ZN7rocprim17ROCPRIM_400000_NS6detail17trampoline_kernelINS0_14default_configENS1_20scan_config_selectorIN3c108BFloat16EEEZZNS1_9scan_implILNS1_25lookback_scan_determinismE0ELb0ELb0ES3_PKS6_PS6_S6_ZZZN2at6native31launch_logcumsumexp_cuda_kernelERKNSD_10TensorBaseESH_lENKUlvE_clEvENKUlvE4_clEvEUlS6_S6_E_S6_EEDaPvRmT3_T4_T5_mT6_P12ihipStream_tbENKUlT_T0_E_clISt17integral_constantIbLb0EESY_EEDaST_SU_EUlST_E_NS1_11comp_targetILNS1_3genE9ELNS1_11target_archE1100ELNS1_3gpuE3ELNS1_3repE0EEENS1_30default_config_static_selectorELNS0_4arch9wavefront6targetE0EEEvT1_
	.p2align	8
	.type	_ZN7rocprim17ROCPRIM_400000_NS6detail17trampoline_kernelINS0_14default_configENS1_20scan_config_selectorIN3c108BFloat16EEEZZNS1_9scan_implILNS1_25lookback_scan_determinismE0ELb0ELb0ES3_PKS6_PS6_S6_ZZZN2at6native31launch_logcumsumexp_cuda_kernelERKNSD_10TensorBaseESH_lENKUlvE_clEvENKUlvE4_clEvEUlS6_S6_E_S6_EEDaPvRmT3_T4_T5_mT6_P12ihipStream_tbENKUlT_T0_E_clISt17integral_constantIbLb0EESY_EEDaST_SU_EUlST_E_NS1_11comp_targetILNS1_3genE9ELNS1_11target_archE1100ELNS1_3gpuE3ELNS1_3repE0EEENS1_30default_config_static_selectorELNS0_4arch9wavefront6targetE0EEEvT1_,@function
_ZN7rocprim17ROCPRIM_400000_NS6detail17trampoline_kernelINS0_14default_configENS1_20scan_config_selectorIN3c108BFloat16EEEZZNS1_9scan_implILNS1_25lookback_scan_determinismE0ELb0ELb0ES3_PKS6_PS6_S6_ZZZN2at6native31launch_logcumsumexp_cuda_kernelERKNSD_10TensorBaseESH_lENKUlvE_clEvENKUlvE4_clEvEUlS6_S6_E_S6_EEDaPvRmT3_T4_T5_mT6_P12ihipStream_tbENKUlT_T0_E_clISt17integral_constantIbLb0EESY_EEDaST_SU_EUlST_E_NS1_11comp_targetILNS1_3genE9ELNS1_11target_archE1100ELNS1_3gpuE3ELNS1_3repE0EEENS1_30default_config_static_selectorELNS0_4arch9wavefront6targetE0EEEvT1_: ; @_ZN7rocprim17ROCPRIM_400000_NS6detail17trampoline_kernelINS0_14default_configENS1_20scan_config_selectorIN3c108BFloat16EEEZZNS1_9scan_implILNS1_25lookback_scan_determinismE0ELb0ELb0ES3_PKS6_PS6_S6_ZZZN2at6native31launch_logcumsumexp_cuda_kernelERKNSD_10TensorBaseESH_lENKUlvE_clEvENKUlvE4_clEvEUlS6_S6_E_S6_EEDaPvRmT3_T4_T5_mT6_P12ihipStream_tbENKUlT_T0_E_clISt17integral_constantIbLb0EESY_EEDaST_SU_EUlST_E_NS1_11comp_targetILNS1_3genE9ELNS1_11target_archE1100ELNS1_3gpuE3ELNS1_3repE0EEENS1_30default_config_static_selectorELNS0_4arch9wavefront6targetE0EEEvT1_
; %bb.0:
	.section	.rodata,"a",@progbits
	.p2align	6, 0x0
	.amdhsa_kernel _ZN7rocprim17ROCPRIM_400000_NS6detail17trampoline_kernelINS0_14default_configENS1_20scan_config_selectorIN3c108BFloat16EEEZZNS1_9scan_implILNS1_25lookback_scan_determinismE0ELb0ELb0ES3_PKS6_PS6_S6_ZZZN2at6native31launch_logcumsumexp_cuda_kernelERKNSD_10TensorBaseESH_lENKUlvE_clEvENKUlvE4_clEvEUlS6_S6_E_S6_EEDaPvRmT3_T4_T5_mT6_P12ihipStream_tbENKUlT_T0_E_clISt17integral_constantIbLb0EESY_EEDaST_SU_EUlST_E_NS1_11comp_targetILNS1_3genE9ELNS1_11target_archE1100ELNS1_3gpuE3ELNS1_3repE0EEENS1_30default_config_static_selectorELNS0_4arch9wavefront6targetE0EEEvT1_
		.amdhsa_group_segment_fixed_size 0
		.amdhsa_private_segment_fixed_size 0
		.amdhsa_kernarg_size 96
		.amdhsa_user_sgpr_count 6
		.amdhsa_user_sgpr_private_segment_buffer 1
		.amdhsa_user_sgpr_dispatch_ptr 0
		.amdhsa_user_sgpr_queue_ptr 0
		.amdhsa_user_sgpr_kernarg_segment_ptr 1
		.amdhsa_user_sgpr_dispatch_id 0
		.amdhsa_user_sgpr_flat_scratch_init 0
		.amdhsa_user_sgpr_private_segment_size 0
		.amdhsa_wavefront_size32 1
		.amdhsa_uses_dynamic_stack 0
		.amdhsa_system_sgpr_private_segment_wavefront_offset 0
		.amdhsa_system_sgpr_workgroup_id_x 1
		.amdhsa_system_sgpr_workgroup_id_y 0
		.amdhsa_system_sgpr_workgroup_id_z 0
		.amdhsa_system_sgpr_workgroup_info 0
		.amdhsa_system_vgpr_workitem_id 0
		.amdhsa_next_free_vgpr 1
		.amdhsa_next_free_sgpr 1
		.amdhsa_reserve_vcc 0
		.amdhsa_reserve_flat_scratch 0
		.amdhsa_float_round_mode_32 0
		.amdhsa_float_round_mode_16_64 0
		.amdhsa_float_denorm_mode_32 3
		.amdhsa_float_denorm_mode_16_64 3
		.amdhsa_dx10_clamp 1
		.amdhsa_ieee_mode 1
		.amdhsa_fp16_overflow 0
		.amdhsa_workgroup_processor_mode 1
		.amdhsa_memory_ordered 1
		.amdhsa_forward_progress 1
		.amdhsa_shared_vgpr_count 0
		.amdhsa_exception_fp_ieee_invalid_op 0
		.amdhsa_exception_fp_denorm_src 0
		.amdhsa_exception_fp_ieee_div_zero 0
		.amdhsa_exception_fp_ieee_overflow 0
		.amdhsa_exception_fp_ieee_underflow 0
		.amdhsa_exception_fp_ieee_inexact 0
		.amdhsa_exception_int_div_zero 0
	.end_amdhsa_kernel
	.section	.text._ZN7rocprim17ROCPRIM_400000_NS6detail17trampoline_kernelINS0_14default_configENS1_20scan_config_selectorIN3c108BFloat16EEEZZNS1_9scan_implILNS1_25lookback_scan_determinismE0ELb0ELb0ES3_PKS6_PS6_S6_ZZZN2at6native31launch_logcumsumexp_cuda_kernelERKNSD_10TensorBaseESH_lENKUlvE_clEvENKUlvE4_clEvEUlS6_S6_E_S6_EEDaPvRmT3_T4_T5_mT6_P12ihipStream_tbENKUlT_T0_E_clISt17integral_constantIbLb0EESY_EEDaST_SU_EUlST_E_NS1_11comp_targetILNS1_3genE9ELNS1_11target_archE1100ELNS1_3gpuE3ELNS1_3repE0EEENS1_30default_config_static_selectorELNS0_4arch9wavefront6targetE0EEEvT1_,"axG",@progbits,_ZN7rocprim17ROCPRIM_400000_NS6detail17trampoline_kernelINS0_14default_configENS1_20scan_config_selectorIN3c108BFloat16EEEZZNS1_9scan_implILNS1_25lookback_scan_determinismE0ELb0ELb0ES3_PKS6_PS6_S6_ZZZN2at6native31launch_logcumsumexp_cuda_kernelERKNSD_10TensorBaseESH_lENKUlvE_clEvENKUlvE4_clEvEUlS6_S6_E_S6_EEDaPvRmT3_T4_T5_mT6_P12ihipStream_tbENKUlT_T0_E_clISt17integral_constantIbLb0EESY_EEDaST_SU_EUlST_E_NS1_11comp_targetILNS1_3genE9ELNS1_11target_archE1100ELNS1_3gpuE3ELNS1_3repE0EEENS1_30default_config_static_selectorELNS0_4arch9wavefront6targetE0EEEvT1_,comdat
.Lfunc_end445:
	.size	_ZN7rocprim17ROCPRIM_400000_NS6detail17trampoline_kernelINS0_14default_configENS1_20scan_config_selectorIN3c108BFloat16EEEZZNS1_9scan_implILNS1_25lookback_scan_determinismE0ELb0ELb0ES3_PKS6_PS6_S6_ZZZN2at6native31launch_logcumsumexp_cuda_kernelERKNSD_10TensorBaseESH_lENKUlvE_clEvENKUlvE4_clEvEUlS6_S6_E_S6_EEDaPvRmT3_T4_T5_mT6_P12ihipStream_tbENKUlT_T0_E_clISt17integral_constantIbLb0EESY_EEDaST_SU_EUlST_E_NS1_11comp_targetILNS1_3genE9ELNS1_11target_archE1100ELNS1_3gpuE3ELNS1_3repE0EEENS1_30default_config_static_selectorELNS0_4arch9wavefront6targetE0EEEvT1_, .Lfunc_end445-_ZN7rocprim17ROCPRIM_400000_NS6detail17trampoline_kernelINS0_14default_configENS1_20scan_config_selectorIN3c108BFloat16EEEZZNS1_9scan_implILNS1_25lookback_scan_determinismE0ELb0ELb0ES3_PKS6_PS6_S6_ZZZN2at6native31launch_logcumsumexp_cuda_kernelERKNSD_10TensorBaseESH_lENKUlvE_clEvENKUlvE4_clEvEUlS6_S6_E_S6_EEDaPvRmT3_T4_T5_mT6_P12ihipStream_tbENKUlT_T0_E_clISt17integral_constantIbLb0EESY_EEDaST_SU_EUlST_E_NS1_11comp_targetILNS1_3genE9ELNS1_11target_archE1100ELNS1_3gpuE3ELNS1_3repE0EEENS1_30default_config_static_selectorELNS0_4arch9wavefront6targetE0EEEvT1_
                                        ; -- End function
	.set _ZN7rocprim17ROCPRIM_400000_NS6detail17trampoline_kernelINS0_14default_configENS1_20scan_config_selectorIN3c108BFloat16EEEZZNS1_9scan_implILNS1_25lookback_scan_determinismE0ELb0ELb0ES3_PKS6_PS6_S6_ZZZN2at6native31launch_logcumsumexp_cuda_kernelERKNSD_10TensorBaseESH_lENKUlvE_clEvENKUlvE4_clEvEUlS6_S6_E_S6_EEDaPvRmT3_T4_T5_mT6_P12ihipStream_tbENKUlT_T0_E_clISt17integral_constantIbLb0EESY_EEDaST_SU_EUlST_E_NS1_11comp_targetILNS1_3genE9ELNS1_11target_archE1100ELNS1_3gpuE3ELNS1_3repE0EEENS1_30default_config_static_selectorELNS0_4arch9wavefront6targetE0EEEvT1_.num_vgpr, 0
	.set _ZN7rocprim17ROCPRIM_400000_NS6detail17trampoline_kernelINS0_14default_configENS1_20scan_config_selectorIN3c108BFloat16EEEZZNS1_9scan_implILNS1_25lookback_scan_determinismE0ELb0ELb0ES3_PKS6_PS6_S6_ZZZN2at6native31launch_logcumsumexp_cuda_kernelERKNSD_10TensorBaseESH_lENKUlvE_clEvENKUlvE4_clEvEUlS6_S6_E_S6_EEDaPvRmT3_T4_T5_mT6_P12ihipStream_tbENKUlT_T0_E_clISt17integral_constantIbLb0EESY_EEDaST_SU_EUlST_E_NS1_11comp_targetILNS1_3genE9ELNS1_11target_archE1100ELNS1_3gpuE3ELNS1_3repE0EEENS1_30default_config_static_selectorELNS0_4arch9wavefront6targetE0EEEvT1_.num_agpr, 0
	.set _ZN7rocprim17ROCPRIM_400000_NS6detail17trampoline_kernelINS0_14default_configENS1_20scan_config_selectorIN3c108BFloat16EEEZZNS1_9scan_implILNS1_25lookback_scan_determinismE0ELb0ELb0ES3_PKS6_PS6_S6_ZZZN2at6native31launch_logcumsumexp_cuda_kernelERKNSD_10TensorBaseESH_lENKUlvE_clEvENKUlvE4_clEvEUlS6_S6_E_S6_EEDaPvRmT3_T4_T5_mT6_P12ihipStream_tbENKUlT_T0_E_clISt17integral_constantIbLb0EESY_EEDaST_SU_EUlST_E_NS1_11comp_targetILNS1_3genE9ELNS1_11target_archE1100ELNS1_3gpuE3ELNS1_3repE0EEENS1_30default_config_static_selectorELNS0_4arch9wavefront6targetE0EEEvT1_.numbered_sgpr, 0
	.set _ZN7rocprim17ROCPRIM_400000_NS6detail17trampoline_kernelINS0_14default_configENS1_20scan_config_selectorIN3c108BFloat16EEEZZNS1_9scan_implILNS1_25lookback_scan_determinismE0ELb0ELb0ES3_PKS6_PS6_S6_ZZZN2at6native31launch_logcumsumexp_cuda_kernelERKNSD_10TensorBaseESH_lENKUlvE_clEvENKUlvE4_clEvEUlS6_S6_E_S6_EEDaPvRmT3_T4_T5_mT6_P12ihipStream_tbENKUlT_T0_E_clISt17integral_constantIbLb0EESY_EEDaST_SU_EUlST_E_NS1_11comp_targetILNS1_3genE9ELNS1_11target_archE1100ELNS1_3gpuE3ELNS1_3repE0EEENS1_30default_config_static_selectorELNS0_4arch9wavefront6targetE0EEEvT1_.num_named_barrier, 0
	.set _ZN7rocprim17ROCPRIM_400000_NS6detail17trampoline_kernelINS0_14default_configENS1_20scan_config_selectorIN3c108BFloat16EEEZZNS1_9scan_implILNS1_25lookback_scan_determinismE0ELb0ELb0ES3_PKS6_PS6_S6_ZZZN2at6native31launch_logcumsumexp_cuda_kernelERKNSD_10TensorBaseESH_lENKUlvE_clEvENKUlvE4_clEvEUlS6_S6_E_S6_EEDaPvRmT3_T4_T5_mT6_P12ihipStream_tbENKUlT_T0_E_clISt17integral_constantIbLb0EESY_EEDaST_SU_EUlST_E_NS1_11comp_targetILNS1_3genE9ELNS1_11target_archE1100ELNS1_3gpuE3ELNS1_3repE0EEENS1_30default_config_static_selectorELNS0_4arch9wavefront6targetE0EEEvT1_.private_seg_size, 0
	.set _ZN7rocprim17ROCPRIM_400000_NS6detail17trampoline_kernelINS0_14default_configENS1_20scan_config_selectorIN3c108BFloat16EEEZZNS1_9scan_implILNS1_25lookback_scan_determinismE0ELb0ELb0ES3_PKS6_PS6_S6_ZZZN2at6native31launch_logcumsumexp_cuda_kernelERKNSD_10TensorBaseESH_lENKUlvE_clEvENKUlvE4_clEvEUlS6_S6_E_S6_EEDaPvRmT3_T4_T5_mT6_P12ihipStream_tbENKUlT_T0_E_clISt17integral_constantIbLb0EESY_EEDaST_SU_EUlST_E_NS1_11comp_targetILNS1_3genE9ELNS1_11target_archE1100ELNS1_3gpuE3ELNS1_3repE0EEENS1_30default_config_static_selectorELNS0_4arch9wavefront6targetE0EEEvT1_.uses_vcc, 0
	.set _ZN7rocprim17ROCPRIM_400000_NS6detail17trampoline_kernelINS0_14default_configENS1_20scan_config_selectorIN3c108BFloat16EEEZZNS1_9scan_implILNS1_25lookback_scan_determinismE0ELb0ELb0ES3_PKS6_PS6_S6_ZZZN2at6native31launch_logcumsumexp_cuda_kernelERKNSD_10TensorBaseESH_lENKUlvE_clEvENKUlvE4_clEvEUlS6_S6_E_S6_EEDaPvRmT3_T4_T5_mT6_P12ihipStream_tbENKUlT_T0_E_clISt17integral_constantIbLb0EESY_EEDaST_SU_EUlST_E_NS1_11comp_targetILNS1_3genE9ELNS1_11target_archE1100ELNS1_3gpuE3ELNS1_3repE0EEENS1_30default_config_static_selectorELNS0_4arch9wavefront6targetE0EEEvT1_.uses_flat_scratch, 0
	.set _ZN7rocprim17ROCPRIM_400000_NS6detail17trampoline_kernelINS0_14default_configENS1_20scan_config_selectorIN3c108BFloat16EEEZZNS1_9scan_implILNS1_25lookback_scan_determinismE0ELb0ELb0ES3_PKS6_PS6_S6_ZZZN2at6native31launch_logcumsumexp_cuda_kernelERKNSD_10TensorBaseESH_lENKUlvE_clEvENKUlvE4_clEvEUlS6_S6_E_S6_EEDaPvRmT3_T4_T5_mT6_P12ihipStream_tbENKUlT_T0_E_clISt17integral_constantIbLb0EESY_EEDaST_SU_EUlST_E_NS1_11comp_targetILNS1_3genE9ELNS1_11target_archE1100ELNS1_3gpuE3ELNS1_3repE0EEENS1_30default_config_static_selectorELNS0_4arch9wavefront6targetE0EEEvT1_.has_dyn_sized_stack, 0
	.set _ZN7rocprim17ROCPRIM_400000_NS6detail17trampoline_kernelINS0_14default_configENS1_20scan_config_selectorIN3c108BFloat16EEEZZNS1_9scan_implILNS1_25lookback_scan_determinismE0ELb0ELb0ES3_PKS6_PS6_S6_ZZZN2at6native31launch_logcumsumexp_cuda_kernelERKNSD_10TensorBaseESH_lENKUlvE_clEvENKUlvE4_clEvEUlS6_S6_E_S6_EEDaPvRmT3_T4_T5_mT6_P12ihipStream_tbENKUlT_T0_E_clISt17integral_constantIbLb0EESY_EEDaST_SU_EUlST_E_NS1_11comp_targetILNS1_3genE9ELNS1_11target_archE1100ELNS1_3gpuE3ELNS1_3repE0EEENS1_30default_config_static_selectorELNS0_4arch9wavefront6targetE0EEEvT1_.has_recursion, 0
	.set _ZN7rocprim17ROCPRIM_400000_NS6detail17trampoline_kernelINS0_14default_configENS1_20scan_config_selectorIN3c108BFloat16EEEZZNS1_9scan_implILNS1_25lookback_scan_determinismE0ELb0ELb0ES3_PKS6_PS6_S6_ZZZN2at6native31launch_logcumsumexp_cuda_kernelERKNSD_10TensorBaseESH_lENKUlvE_clEvENKUlvE4_clEvEUlS6_S6_E_S6_EEDaPvRmT3_T4_T5_mT6_P12ihipStream_tbENKUlT_T0_E_clISt17integral_constantIbLb0EESY_EEDaST_SU_EUlST_E_NS1_11comp_targetILNS1_3genE9ELNS1_11target_archE1100ELNS1_3gpuE3ELNS1_3repE0EEENS1_30default_config_static_selectorELNS0_4arch9wavefront6targetE0EEEvT1_.has_indirect_call, 0
	.section	.AMDGPU.csdata,"",@progbits
; Kernel info:
; codeLenInByte = 0
; TotalNumSgprs: 0
; NumVgprs: 0
; ScratchSize: 0
; MemoryBound: 0
; FloatMode: 240
; IeeeMode: 1
; LDSByteSize: 0 bytes/workgroup (compile time only)
; SGPRBlocks: 0
; VGPRBlocks: 0
; NumSGPRsForWavesPerEU: 1
; NumVGPRsForWavesPerEU: 1
; Occupancy: 16
; WaveLimiterHint : 0
; COMPUTE_PGM_RSRC2:SCRATCH_EN: 0
; COMPUTE_PGM_RSRC2:USER_SGPR: 6
; COMPUTE_PGM_RSRC2:TRAP_HANDLER: 0
; COMPUTE_PGM_RSRC2:TGID_X_EN: 1
; COMPUTE_PGM_RSRC2:TGID_Y_EN: 0
; COMPUTE_PGM_RSRC2:TGID_Z_EN: 0
; COMPUTE_PGM_RSRC2:TIDIG_COMP_CNT: 0
	.section	.text._ZN7rocprim17ROCPRIM_400000_NS6detail17trampoline_kernelINS0_14default_configENS1_20scan_config_selectorIN3c108BFloat16EEEZZNS1_9scan_implILNS1_25lookback_scan_determinismE0ELb0ELb0ES3_PKS6_PS6_S6_ZZZN2at6native31launch_logcumsumexp_cuda_kernelERKNSD_10TensorBaseESH_lENKUlvE_clEvENKUlvE4_clEvEUlS6_S6_E_S6_EEDaPvRmT3_T4_T5_mT6_P12ihipStream_tbENKUlT_T0_E_clISt17integral_constantIbLb0EESY_EEDaST_SU_EUlST_E_NS1_11comp_targetILNS1_3genE8ELNS1_11target_archE1030ELNS1_3gpuE2ELNS1_3repE0EEENS1_30default_config_static_selectorELNS0_4arch9wavefront6targetE0EEEvT1_,"axG",@progbits,_ZN7rocprim17ROCPRIM_400000_NS6detail17trampoline_kernelINS0_14default_configENS1_20scan_config_selectorIN3c108BFloat16EEEZZNS1_9scan_implILNS1_25lookback_scan_determinismE0ELb0ELb0ES3_PKS6_PS6_S6_ZZZN2at6native31launch_logcumsumexp_cuda_kernelERKNSD_10TensorBaseESH_lENKUlvE_clEvENKUlvE4_clEvEUlS6_S6_E_S6_EEDaPvRmT3_T4_T5_mT6_P12ihipStream_tbENKUlT_T0_E_clISt17integral_constantIbLb0EESY_EEDaST_SU_EUlST_E_NS1_11comp_targetILNS1_3genE8ELNS1_11target_archE1030ELNS1_3gpuE2ELNS1_3repE0EEENS1_30default_config_static_selectorELNS0_4arch9wavefront6targetE0EEEvT1_,comdat
	.globl	_ZN7rocprim17ROCPRIM_400000_NS6detail17trampoline_kernelINS0_14default_configENS1_20scan_config_selectorIN3c108BFloat16EEEZZNS1_9scan_implILNS1_25lookback_scan_determinismE0ELb0ELb0ES3_PKS6_PS6_S6_ZZZN2at6native31launch_logcumsumexp_cuda_kernelERKNSD_10TensorBaseESH_lENKUlvE_clEvENKUlvE4_clEvEUlS6_S6_E_S6_EEDaPvRmT3_T4_T5_mT6_P12ihipStream_tbENKUlT_T0_E_clISt17integral_constantIbLb0EESY_EEDaST_SU_EUlST_E_NS1_11comp_targetILNS1_3genE8ELNS1_11target_archE1030ELNS1_3gpuE2ELNS1_3repE0EEENS1_30default_config_static_selectorELNS0_4arch9wavefront6targetE0EEEvT1_ ; -- Begin function _ZN7rocprim17ROCPRIM_400000_NS6detail17trampoline_kernelINS0_14default_configENS1_20scan_config_selectorIN3c108BFloat16EEEZZNS1_9scan_implILNS1_25lookback_scan_determinismE0ELb0ELb0ES3_PKS6_PS6_S6_ZZZN2at6native31launch_logcumsumexp_cuda_kernelERKNSD_10TensorBaseESH_lENKUlvE_clEvENKUlvE4_clEvEUlS6_S6_E_S6_EEDaPvRmT3_T4_T5_mT6_P12ihipStream_tbENKUlT_T0_E_clISt17integral_constantIbLb0EESY_EEDaST_SU_EUlST_E_NS1_11comp_targetILNS1_3genE8ELNS1_11target_archE1030ELNS1_3gpuE2ELNS1_3repE0EEENS1_30default_config_static_selectorELNS0_4arch9wavefront6targetE0EEEvT1_
	.p2align	8
	.type	_ZN7rocprim17ROCPRIM_400000_NS6detail17trampoline_kernelINS0_14default_configENS1_20scan_config_selectorIN3c108BFloat16EEEZZNS1_9scan_implILNS1_25lookback_scan_determinismE0ELb0ELb0ES3_PKS6_PS6_S6_ZZZN2at6native31launch_logcumsumexp_cuda_kernelERKNSD_10TensorBaseESH_lENKUlvE_clEvENKUlvE4_clEvEUlS6_S6_E_S6_EEDaPvRmT3_T4_T5_mT6_P12ihipStream_tbENKUlT_T0_E_clISt17integral_constantIbLb0EESY_EEDaST_SU_EUlST_E_NS1_11comp_targetILNS1_3genE8ELNS1_11target_archE1030ELNS1_3gpuE2ELNS1_3repE0EEENS1_30default_config_static_selectorELNS0_4arch9wavefront6targetE0EEEvT1_,@function
_ZN7rocprim17ROCPRIM_400000_NS6detail17trampoline_kernelINS0_14default_configENS1_20scan_config_selectorIN3c108BFloat16EEEZZNS1_9scan_implILNS1_25lookback_scan_determinismE0ELb0ELb0ES3_PKS6_PS6_S6_ZZZN2at6native31launch_logcumsumexp_cuda_kernelERKNSD_10TensorBaseESH_lENKUlvE_clEvENKUlvE4_clEvEUlS6_S6_E_S6_EEDaPvRmT3_T4_T5_mT6_P12ihipStream_tbENKUlT_T0_E_clISt17integral_constantIbLb0EESY_EEDaST_SU_EUlST_E_NS1_11comp_targetILNS1_3genE8ELNS1_11target_archE1030ELNS1_3gpuE2ELNS1_3repE0EEENS1_30default_config_static_selectorELNS0_4arch9wavefront6targetE0EEEvT1_: ; @_ZN7rocprim17ROCPRIM_400000_NS6detail17trampoline_kernelINS0_14default_configENS1_20scan_config_selectorIN3c108BFloat16EEEZZNS1_9scan_implILNS1_25lookback_scan_determinismE0ELb0ELb0ES3_PKS6_PS6_S6_ZZZN2at6native31launch_logcumsumexp_cuda_kernelERKNSD_10TensorBaseESH_lENKUlvE_clEvENKUlvE4_clEvEUlS6_S6_E_S6_EEDaPvRmT3_T4_T5_mT6_P12ihipStream_tbENKUlT_T0_E_clISt17integral_constantIbLb0EESY_EEDaST_SU_EUlST_E_NS1_11comp_targetILNS1_3genE8ELNS1_11target_archE1030ELNS1_3gpuE2ELNS1_3repE0EEENS1_30default_config_static_selectorELNS0_4arch9wavefront6targetE0EEEvT1_
; %bb.0:
	s_clause 0x1
	s_load_dwordx8 s[16:23], s[4:5], 0x0
	s_load_dword s0, s[4:5], 0x30
	s_mov_b32 s1, 0
	v_lshlrev_b32_e32 v12, 1, v0
	s_waitcnt lgkmcnt(0)
	s_lshl_b64 s[18:19], s[18:19], 1
	s_add_u32 s2, s16, s18
	s_addc_u32 s3, s17, s19
	s_add_i32 s0, s0, -1
	s_mul_i32 s7, s0, 0x300
	s_sub_u32 s33, s22, s7
	s_subb_u32 s36, s23, 0
	s_cmp_lg_u32 s6, s0
	s_mul_i32 s0, s6, 0x300
	s_cselect_b32 s37, -1, 0
	s_lshl_b64 s[22:23], s[0:1], 1
	s_mov_b32 s1, -1
	s_add_u32 s2, s2, s22
	s_addc_u32 s3, s3, s23
	s_and_b32 vcc_lo, exec_lo, s37
	s_cbranch_vccz .LBB446_2
; %bb.1:
	s_clause 0xb
	global_load_ushort v1, v12, s[2:3]
	global_load_ushort v2, v12, s[2:3] offset:128
	global_load_ushort v3, v12, s[2:3] offset:256
	;; [unrolled: 1-line block ×11, first 2 shown]
	s_mov_b32 s1, 0
	s_waitcnt vmcnt(11)
	ds_write_b16 v12, v1
	s_waitcnt vmcnt(10)
	ds_write_b16 v12, v2 offset:128
	s_waitcnt vmcnt(9)
	ds_write_b16 v12, v3 offset:256
	;; [unrolled: 2-line block ×11, first 2 shown]
	s_waitcnt lgkmcnt(0)
	s_barrier
.LBB446_2:
	s_load_dwordx2 s[34:35], s[4:5], 0x28
	v_cmp_gt_u32_e64 s0, s33, v0
	s_andn2_b32 vcc_lo, exec_lo, s1
	s_cbranch_vccnz .LBB446_28
; %bb.3:
	v_mov_b32_e32 v1, 0
	global_load_ushort v1, v1, s[2:3]
	s_waitcnt vmcnt(0)
	v_mov_b32_e32 v2, v1
	s_and_saveexec_b32 s1, s0
	s_cbranch_execz .LBB446_5
; %bb.4:
	global_load_ushort v2, v12, s[2:3]
.LBB446_5:
	s_or_b32 exec_lo, exec_lo, s1
	v_or_b32_e32 v3, 64, v0
	v_cmp_gt_u32_e32 vcc_lo, s33, v3
	v_mov_b32_e32 v3, v1
	s_and_saveexec_b32 s0, vcc_lo
	s_cbranch_execz .LBB446_7
; %bb.6:
	global_load_ushort v3, v12, s[2:3] offset:128
.LBB446_7:
	s_or_b32 exec_lo, exec_lo, s0
	v_or_b32_e32 v4, 0x80, v0
	v_cmp_gt_u32_e32 vcc_lo, s33, v4
	v_mov_b32_e32 v4, v1
	s_and_saveexec_b32 s0, vcc_lo
	s_cbranch_execz .LBB446_9
; %bb.8:
	global_load_ushort v4, v12, s[2:3] offset:256
.LBB446_9:
	;; [unrolled: 9-line block ×10, first 2 shown]
	s_or_b32 exec_lo, exec_lo, s0
	v_or_b32_e32 v14, 0x2c0, v0
	s_mov_b32 s0, exec_lo
	v_cmpx_gt_u32_e64 s33, v14
	s_cbranch_execz .LBB446_27
; %bb.26:
	global_load_ushort v1, v12, s[2:3] offset:1408
.LBB446_27:
	s_or_b32 exec_lo, exec_lo, s0
	s_waitcnt vmcnt(0)
	ds_write_b16 v12, v2
	ds_write_b16 v12, v3 offset:128
	ds_write_b16 v12, v4 offset:256
	;; [unrolled: 1-line block ×11, first 2 shown]
	s_waitcnt lgkmcnt(0)
	s_barrier
.LBB446_28:
	v_mul_u32_u24_e32 v13, 24, v0
	s_waitcnt lgkmcnt(0)
	buffer_gl0_inv
	s_cmp_lg_u32 s6, 0
	ds_read2_b64 v[1:4], v13 offset1:1
	ds_read_b64 v[5:6], v13 offset:16
	s_waitcnt lgkmcnt(0)
	s_barrier
	buffer_gl0_inv
	s_cbranch_scc0 .LBB446_138
; %bb.29:
	v_mov_b32_e32 v7, 16
	v_lshlrev_b32_e32 v36, 16, v1
	v_lshlrev_b32_sdwa v14, v7, v1 dst_sel:DWORD dst_unused:UNUSED_PAD src0_sel:DWORD src1_sel:WORD_1
	v_max_f32_e32 v37, v36, v36
	v_cmp_u_f32_e64 s14, v36, v36
	v_max_f32_e32 v17, v14, v14
	v_cmp_u_f32_e64 s0, v14, v14
	v_min_f32_e32 v8, v37, v17
	v_max_f32_e32 v9, v37, v17
	v_cndmask_b32_e64 v8, v8, v36, s14
	v_cndmask_b32_e64 v9, v9, v36, s14
	;; [unrolled: 1-line block ×4, first 2 shown]
	v_mov_b32_e32 v9, v36
	v_cmp_class_f32_e64 s1, v10, 0x1f8
	v_cmp_neq_f32_e32 vcc_lo, v10, v8
	s_or_b32 s2, vcc_lo, s1
	s_and_saveexec_b32 s1, s2
	s_cbranch_execz .LBB446_31
; %bb.30:
	v_sub_f32_e32 v9, v10, v8
	s_mov_b32 s2, 0x3e9b6dac
	v_mul_f32_e32 v10, 0x3fb8aa3b, v9
	v_cmp_ngt_f32_e32 vcc_lo, 0xc2ce8ed0, v9
	v_fma_f32 v11, 0x3fb8aa3b, v9, -v10
	v_rndne_f32_e32 v15, v10
	v_fmamk_f32 v11, v9, 0x32a5705f, v11
	v_sub_f32_e32 v10, v10, v15
	v_add_f32_e32 v10, v10, v11
	v_cvt_i32_f32_e32 v11, v15
	v_exp_f32_e32 v10, v10
	v_ldexp_f32 v10, v10, v11
	v_cndmask_b32_e32 v10, 0, v10, vcc_lo
	v_cmp_nlt_f32_e32 vcc_lo, 0x42b17218, v9
	v_cndmask_b32_e32 v11, 0x7f800000, v10, vcc_lo
	v_add_f32_e32 v15, 1.0, v11
	v_cvt_f64_f32_e32 v[9:10], v15
	v_frexp_exp_i32_f64_e32 v9, v[9:10]
	v_frexp_mant_f32_e32 v10, v15
	v_cmp_gt_f32_e32 vcc_lo, 0x3f2aaaab, v10
	v_add_f32_e32 v10, -1.0, v15
	v_sub_f32_e32 v18, v10, v15
	v_sub_f32_e32 v10, v11, v10
	v_add_f32_e32 v18, 1.0, v18
	v_add_f32_e32 v10, v10, v18
	v_subrev_co_ci_u32_e64 v9, null, 0, v9, vcc_lo
	v_cmp_neq_f32_e32 vcc_lo, 0x7f800000, v11
	v_sub_nc_u32_e32 v16, 0, v9
	v_cvt_f32_i32_e32 v9, v9
	v_ldexp_f32 v15, v15, v16
	v_ldexp_f32 v10, v10, v16
	v_add_f32_e32 v19, 1.0, v15
	v_add_f32_e32 v16, -1.0, v15
	v_add_f32_e32 v18, -1.0, v19
	v_add_f32_e32 v20, 1.0, v16
	v_sub_f32_e32 v18, v15, v18
	v_sub_f32_e32 v15, v15, v20
	v_add_f32_e32 v18, v10, v18
	v_add_f32_e32 v10, v10, v15
	;; [unrolled: 1-line block ×4, first 2 shown]
	v_rcp_f32_e32 v15, v20
	v_sub_f32_e32 v19, v19, v20
	v_sub_f32_e32 v16, v16, v21
	v_add_f32_e32 v18, v18, v19
	v_add_f32_e32 v10, v10, v16
	v_mul_f32_e32 v22, v21, v15
	v_mul_f32_e32 v23, v20, v22
	v_fma_f32 v19, v22, v20, -v23
	v_fmac_f32_e32 v19, v22, v18
	v_add_f32_e32 v24, v23, v19
	v_sub_f32_e32 v25, v21, v24
	v_sub_f32_e32 v16, v24, v23
	;; [unrolled: 1-line block ×5, first 2 shown]
	v_add_f32_e32 v10, v10, v21
	v_add_f32_e32 v10, v16, v10
	;; [unrolled: 1-line block ×3, first 2 shown]
	v_mul_f32_e32 v19, v15, v16
	v_sub_f32_e32 v24, v25, v16
	v_mul_f32_e32 v21, v20, v19
	v_add_f32_e32 v10, v10, v24
	v_fma_f32 v20, v19, v20, -v21
	v_fmac_f32_e32 v20, v19, v18
	v_add_f32_e32 v18, v21, v20
	v_sub_f32_e32 v23, v16, v18
	v_sub_f32_e32 v21, v18, v21
	;; [unrolled: 1-line block ×5, first 2 shown]
	v_add_f32_e32 v10, v10, v16
	v_add_f32_e32 v16, v22, v19
	;; [unrolled: 1-line block ×3, first 2 shown]
	v_sub_f32_e32 v18, v16, v22
	v_add_f32_e32 v10, v23, v10
	v_sub_f32_e32 v18, v19, v18
	v_mul_f32_e32 v10, v15, v10
	v_add_f32_e32 v10, v18, v10
	v_add_f32_e32 v15, v16, v10
	v_mul_f32_e32 v18, v15, v15
	v_fmaak_f32 v19, s2, v18, 0x3ecc95a3
	v_mul_f32_e32 v20, v15, v18
	v_fmaak_f32 v18, v18, v19, 0x3f2aaada
	v_ldexp_f32 v19, v15, 1
	v_sub_f32_e32 v15, v15, v16
	v_mul_f32_e32 v18, v20, v18
	v_mul_f32_e32 v20, 0x3f317218, v9
	v_sub_f32_e32 v10, v10, v15
	v_add_f32_e32 v16, v19, v18
	v_ldexp_f32 v10, v10, 1
	v_sub_f32_e32 v15, v16, v19
	v_fma_f32 v19, 0x3f317218, v9, -v20
	v_sub_f32_e32 v15, v18, v15
	v_fmamk_f32 v9, v9, 0xb102e308, v19
	v_add_f32_e32 v10, v10, v15
	v_add_f32_e32 v15, v20, v9
	;; [unrolled: 1-line block ×3, first 2 shown]
	v_sub_f32_e32 v20, v15, v20
	v_add_f32_e32 v19, v15, v18
	v_sub_f32_e32 v16, v18, v16
	v_sub_f32_e32 v9, v9, v20
	;; [unrolled: 1-line block ×6, first 2 shown]
	v_add_f32_e32 v18, v9, v10
	v_sub_f32_e32 v15, v15, v22
	v_add_f32_e32 v15, v16, v15
	v_sub_f32_e32 v16, v18, v9
	;; [unrolled: 2-line block ×3, first 2 shown]
	v_sub_f32_e32 v10, v10, v16
	v_add_f32_e32 v20, v19, v15
	v_sub_f32_e32 v9, v9, v18
	v_sub_f32_e32 v16, v20, v19
	v_add_f32_e32 v9, v10, v9
	v_sub_f32_e32 v10, v15, v16
	v_add_f32_e32 v9, v9, v10
	v_add_f32_e32 v9, v20, v9
	v_cndmask_b32_e32 v9, 0x7f800000, v9, vcc_lo
	v_cmp_gt_f32_e64 vcc_lo, 0x33800000, |v11|
	v_cndmask_b32_e32 v9, v9, v11, vcc_lo
	v_add_f32_e32 v9, v8, v9
.LBB446_31:
	s_or_b32 exec_lo, exec_lo, s1
	v_bfe_u32 v8, v9, 16, 1
	v_cmp_o_f32_e32 vcc_lo, v9, v9
	v_lshlrev_b32_sdwa v15, v7, v2 dst_sel:DWORD dst_unused:UNUSED_PAD src0_sel:DWORD src1_sel:WORD_0
	v_add3_u32 v8, v9, v8, 0x7fff
	v_max_f32_e32 v19, v15, v15
	v_cmp_u_f32_e64 s1, v15, v15
	v_and_b32_e32 v8, 0xffff0000, v8
	v_cndmask_b32_e32 v8, 0x7fc00000, v8, vcc_lo
	v_max_f32_e32 v7, v8, v8
	v_cmp_u_f32_e32 vcc_lo, v8, v8
	v_min_f32_e32 v9, v7, v19
	v_max_f32_e32 v7, v7, v19
	v_cndmask_b32_e32 v9, v9, v8, vcc_lo
	v_cndmask_b32_e32 v7, v7, v8, vcc_lo
	v_cndmask_b32_e64 v9, v9, v15, s1
	v_cndmask_b32_e64 v7, v7, v15, s1
	v_cmp_class_f32_e64 s2, v9, 0x1f8
	v_cmp_neq_f32_e32 vcc_lo, v9, v7
	s_or_b32 s3, vcc_lo, s2
	s_and_saveexec_b32 s2, s3
	s_cbranch_execz .LBB446_33
; %bb.32:
	v_sub_f32_e32 v8, v9, v7
	s_mov_b32 s3, 0x3e9b6dac
	v_mul_f32_e32 v9, 0x3fb8aa3b, v8
	v_cmp_ngt_f32_e32 vcc_lo, 0xc2ce8ed0, v8
	v_fma_f32 v10, 0x3fb8aa3b, v8, -v9
	v_rndne_f32_e32 v11, v9
	v_fmamk_f32 v10, v8, 0x32a5705f, v10
	v_sub_f32_e32 v9, v9, v11
	v_add_f32_e32 v9, v9, v10
	v_cvt_i32_f32_e32 v10, v11
	v_exp_f32_e32 v9, v9
	v_ldexp_f32 v9, v9, v10
	v_cndmask_b32_e32 v9, 0, v9, vcc_lo
	v_cmp_nlt_f32_e32 vcc_lo, 0x42b17218, v8
	v_cndmask_b32_e32 v10, 0x7f800000, v9, vcc_lo
	v_add_f32_e32 v11, 1.0, v10
	v_cvt_f64_f32_e32 v[8:9], v11
	v_frexp_exp_i32_f64_e32 v8, v[8:9]
	v_frexp_mant_f32_e32 v9, v11
	v_cmp_gt_f32_e32 vcc_lo, 0x3f2aaaab, v9
	v_add_f32_e32 v9, -1.0, v11
	v_sub_f32_e32 v18, v9, v11
	v_sub_f32_e32 v9, v10, v9
	v_add_f32_e32 v18, 1.0, v18
	v_add_f32_e32 v9, v9, v18
	v_subrev_co_ci_u32_e64 v8, null, 0, v8, vcc_lo
	v_cmp_neq_f32_e32 vcc_lo, 0x7f800000, v10
	v_sub_nc_u32_e32 v16, 0, v8
	v_cvt_f32_i32_e32 v8, v8
	v_ldexp_f32 v11, v11, v16
	v_ldexp_f32 v9, v9, v16
	v_add_f32_e32 v20, 1.0, v11
	v_add_f32_e32 v16, -1.0, v11
	v_add_f32_e32 v18, -1.0, v20
	v_add_f32_e32 v21, 1.0, v16
	v_sub_f32_e32 v18, v11, v18
	v_sub_f32_e32 v11, v11, v21
	v_add_f32_e32 v18, v9, v18
	v_add_f32_e32 v9, v9, v11
	;; [unrolled: 1-line block ×4, first 2 shown]
	v_rcp_f32_e32 v11, v21
	v_sub_f32_e32 v20, v20, v21
	v_sub_f32_e32 v16, v16, v22
	v_add_f32_e32 v18, v18, v20
	v_add_f32_e32 v9, v9, v16
	v_mul_f32_e32 v23, v22, v11
	v_mul_f32_e32 v24, v21, v23
	v_fma_f32 v20, v23, v21, -v24
	v_fmac_f32_e32 v20, v23, v18
	v_add_f32_e32 v25, v24, v20
	v_sub_f32_e32 v26, v22, v25
	v_sub_f32_e32 v16, v25, v24
	;; [unrolled: 1-line block ×5, first 2 shown]
	v_add_f32_e32 v9, v9, v22
	v_add_f32_e32 v9, v16, v9
	v_add_f32_e32 v16, v26, v9
	v_mul_f32_e32 v20, v11, v16
	v_sub_f32_e32 v25, v26, v16
	v_mul_f32_e32 v22, v21, v20
	v_add_f32_e32 v9, v9, v25
	v_fma_f32 v21, v20, v21, -v22
	v_fmac_f32_e32 v21, v20, v18
	v_add_f32_e32 v18, v22, v21
	v_sub_f32_e32 v24, v16, v18
	v_sub_f32_e32 v22, v18, v22
	;; [unrolled: 1-line block ×5, first 2 shown]
	v_add_f32_e32 v9, v9, v16
	v_add_f32_e32 v16, v23, v20
	;; [unrolled: 1-line block ×3, first 2 shown]
	v_sub_f32_e32 v18, v16, v23
	v_add_f32_e32 v9, v24, v9
	v_sub_f32_e32 v18, v20, v18
	v_mul_f32_e32 v9, v11, v9
	v_add_f32_e32 v9, v18, v9
	v_add_f32_e32 v11, v16, v9
	v_mul_f32_e32 v18, v11, v11
	v_fmaak_f32 v20, s3, v18, 0x3ecc95a3
	v_mul_f32_e32 v21, v11, v18
	v_fmaak_f32 v18, v18, v20, 0x3f2aaada
	v_ldexp_f32 v20, v11, 1
	v_sub_f32_e32 v11, v11, v16
	v_mul_f32_e32 v18, v21, v18
	v_mul_f32_e32 v21, 0x3f317218, v8
	v_sub_f32_e32 v9, v9, v11
	v_add_f32_e32 v16, v20, v18
	v_ldexp_f32 v9, v9, 1
	v_sub_f32_e32 v11, v16, v20
	v_fma_f32 v20, 0x3f317218, v8, -v21
	v_sub_f32_e32 v11, v18, v11
	v_fmamk_f32 v8, v8, 0xb102e308, v20
	v_add_f32_e32 v9, v9, v11
	v_add_f32_e32 v11, v21, v8
	;; [unrolled: 1-line block ×3, first 2 shown]
	v_sub_f32_e32 v21, v11, v21
	v_add_f32_e32 v20, v11, v18
	v_sub_f32_e32 v16, v18, v16
	v_sub_f32_e32 v8, v8, v21
	;; [unrolled: 1-line block ×6, first 2 shown]
	v_add_f32_e32 v18, v8, v9
	v_sub_f32_e32 v11, v11, v23
	v_add_f32_e32 v11, v16, v11
	v_sub_f32_e32 v16, v18, v8
	;; [unrolled: 2-line block ×3, first 2 shown]
	v_sub_f32_e32 v9, v9, v16
	v_add_f32_e32 v21, v20, v11
	v_sub_f32_e32 v8, v8, v18
	v_sub_f32_e32 v16, v21, v20
	v_add_f32_e32 v8, v9, v8
	v_sub_f32_e32 v9, v11, v16
	v_add_f32_e32 v8, v8, v9
	v_add_f32_e32 v8, v21, v8
	v_cndmask_b32_e32 v8, 0x7f800000, v8, vcc_lo
	v_cmp_gt_f32_e64 vcc_lo, 0x33800000, |v10|
	v_cndmask_b32_e32 v8, v8, v10, vcc_lo
	v_add_f32_e32 v8, v7, v8
.LBB446_33:
	s_or_b32 exec_lo, exec_lo, s2
	v_bfe_u32 v7, v8, 16, 1
	v_cmp_o_f32_e32 vcc_lo, v8, v8
	v_add3_u32 v9, v8, v7, 0x7fff
	v_mov_b32_e32 v7, 16
	v_and_b32_e32 v9, 0xffff0000, v9
	v_lshlrev_b32_sdwa v16, v7, v2 dst_sel:DWORD dst_unused:UNUSED_PAD src0_sel:DWORD src1_sel:WORD_1
	v_cndmask_b32_e32 v9, 0x7fc00000, v9, vcc_lo
	v_max_f32_e32 v21, v16, v16
	v_cmp_u_f32_e64 s2, v16, v16
	v_max_f32_e32 v8, v9, v9
	v_cmp_u_f32_e32 vcc_lo, v9, v9
	v_min_f32_e32 v10, v8, v21
	v_max_f32_e32 v8, v8, v21
	v_cndmask_b32_e32 v10, v10, v9, vcc_lo
	v_cndmask_b32_e32 v8, v8, v9, vcc_lo
	v_cndmask_b32_e64 v10, v10, v16, s2
	v_cndmask_b32_e64 v8, v8, v16, s2
	v_cmp_class_f32_e64 s3, v10, 0x1f8
	v_cmp_neq_f32_e32 vcc_lo, v10, v8
	s_or_b32 s7, vcc_lo, s3
	s_and_saveexec_b32 s3, s7
	s_cbranch_execz .LBB446_35
; %bb.34:
	v_sub_f32_e32 v9, v10, v8
	s_mov_b32 s7, 0x3e9b6dac
	v_mul_f32_e32 v10, 0x3fb8aa3b, v9
	v_cmp_ngt_f32_e32 vcc_lo, 0xc2ce8ed0, v9
	v_fma_f32 v11, 0x3fb8aa3b, v9, -v10
	v_rndne_f32_e32 v18, v10
	v_fmamk_f32 v11, v9, 0x32a5705f, v11
	v_sub_f32_e32 v10, v10, v18
	v_add_f32_e32 v10, v10, v11
	v_cvt_i32_f32_e32 v11, v18
	v_exp_f32_e32 v10, v10
	v_ldexp_f32 v10, v10, v11
	v_cndmask_b32_e32 v10, 0, v10, vcc_lo
	v_cmp_nlt_f32_e32 vcc_lo, 0x42b17218, v9
	v_cndmask_b32_e32 v11, 0x7f800000, v10, vcc_lo
	v_add_f32_e32 v18, 1.0, v11
	v_cvt_f64_f32_e32 v[9:10], v18
	v_frexp_exp_i32_f64_e32 v9, v[9:10]
	v_frexp_mant_f32_e32 v10, v18
	v_cmp_gt_f32_e32 vcc_lo, 0x3f2aaaab, v10
	v_add_f32_e32 v10, -1.0, v18
	v_sub_f32_e32 v22, v10, v18
	v_sub_f32_e32 v10, v11, v10
	v_add_f32_e32 v22, 1.0, v22
	v_add_f32_e32 v10, v10, v22
	v_subrev_co_ci_u32_e64 v9, null, 0, v9, vcc_lo
	v_cmp_neq_f32_e32 vcc_lo, 0x7f800000, v11
	v_sub_nc_u32_e32 v20, 0, v9
	v_cvt_f32_i32_e32 v9, v9
	v_ldexp_f32 v18, v18, v20
	v_ldexp_f32 v10, v10, v20
	v_add_f32_e32 v23, 1.0, v18
	v_add_f32_e32 v20, -1.0, v18
	v_add_f32_e32 v22, -1.0, v23
	v_add_f32_e32 v24, 1.0, v20
	v_sub_f32_e32 v22, v18, v22
	v_sub_f32_e32 v18, v18, v24
	v_add_f32_e32 v22, v10, v22
	v_add_f32_e32 v10, v10, v18
	v_add_f32_e32 v24, v23, v22
	v_add_f32_e32 v25, v20, v10
	v_rcp_f32_e32 v18, v24
	v_sub_f32_e32 v23, v23, v24
	v_sub_f32_e32 v20, v20, v25
	v_add_f32_e32 v22, v22, v23
	v_add_f32_e32 v10, v10, v20
	v_mul_f32_e32 v26, v25, v18
	v_mul_f32_e32 v27, v24, v26
	v_fma_f32 v23, v26, v24, -v27
	v_fmac_f32_e32 v23, v26, v22
	v_add_f32_e32 v28, v27, v23
	v_sub_f32_e32 v29, v25, v28
	v_sub_f32_e32 v20, v28, v27
	;; [unrolled: 1-line block ×5, first 2 shown]
	v_add_f32_e32 v10, v10, v25
	v_add_f32_e32 v10, v20, v10
	v_add_f32_e32 v20, v29, v10
	v_mul_f32_e32 v23, v18, v20
	v_sub_f32_e32 v28, v29, v20
	v_mul_f32_e32 v25, v24, v23
	v_add_f32_e32 v10, v10, v28
	v_fma_f32 v24, v23, v24, -v25
	v_fmac_f32_e32 v24, v23, v22
	v_add_f32_e32 v22, v25, v24
	v_sub_f32_e32 v27, v20, v22
	v_sub_f32_e32 v25, v22, v25
	;; [unrolled: 1-line block ×5, first 2 shown]
	v_add_f32_e32 v10, v10, v20
	v_add_f32_e32 v20, v26, v23
	;; [unrolled: 1-line block ×3, first 2 shown]
	v_sub_f32_e32 v22, v20, v26
	v_add_f32_e32 v10, v27, v10
	v_sub_f32_e32 v22, v23, v22
	v_mul_f32_e32 v10, v18, v10
	v_add_f32_e32 v10, v22, v10
	v_add_f32_e32 v18, v20, v10
	v_mul_f32_e32 v22, v18, v18
	v_fmaak_f32 v23, s7, v22, 0x3ecc95a3
	v_mul_f32_e32 v24, v18, v22
	v_fmaak_f32 v22, v22, v23, 0x3f2aaada
	v_ldexp_f32 v23, v18, 1
	v_sub_f32_e32 v18, v18, v20
	v_mul_f32_e32 v22, v24, v22
	v_mul_f32_e32 v24, 0x3f317218, v9
	v_sub_f32_e32 v10, v10, v18
	v_add_f32_e32 v20, v23, v22
	v_ldexp_f32 v10, v10, 1
	v_sub_f32_e32 v18, v20, v23
	v_fma_f32 v23, 0x3f317218, v9, -v24
	v_sub_f32_e32 v18, v22, v18
	v_fmamk_f32 v9, v9, 0xb102e308, v23
	v_add_f32_e32 v10, v10, v18
	v_add_f32_e32 v18, v24, v9
	;; [unrolled: 1-line block ×3, first 2 shown]
	v_sub_f32_e32 v24, v18, v24
	v_add_f32_e32 v23, v18, v22
	v_sub_f32_e32 v20, v22, v20
	v_sub_f32_e32 v9, v9, v24
	;; [unrolled: 1-line block ×6, first 2 shown]
	v_add_f32_e32 v22, v9, v10
	v_sub_f32_e32 v18, v18, v26
	v_add_f32_e32 v18, v20, v18
	v_sub_f32_e32 v20, v22, v9
	;; [unrolled: 2-line block ×3, first 2 shown]
	v_sub_f32_e32 v10, v10, v20
	v_add_f32_e32 v24, v23, v18
	v_sub_f32_e32 v9, v9, v22
	v_sub_f32_e32 v20, v24, v23
	v_add_f32_e32 v9, v10, v9
	v_sub_f32_e32 v10, v18, v20
	v_add_f32_e32 v9, v9, v10
	v_add_f32_e32 v9, v24, v9
	v_cndmask_b32_e32 v9, 0x7f800000, v9, vcc_lo
	v_cmp_gt_f32_e64 vcc_lo, 0x33800000, |v11|
	v_cndmask_b32_e32 v9, v9, v11, vcc_lo
	v_add_f32_e32 v9, v8, v9
.LBB446_35:
	s_or_b32 exec_lo, exec_lo, s3
	v_bfe_u32 v8, v9, 16, 1
	v_cmp_o_f32_e32 vcc_lo, v9, v9
	v_lshlrev_b32_sdwa v18, v7, v3 dst_sel:DWORD dst_unused:UNUSED_PAD src0_sel:DWORD src1_sel:WORD_0
	v_add3_u32 v8, v9, v8, 0x7fff
	v_max_f32_e32 v23, v18, v18
	v_cmp_u_f32_e64 s3, v18, v18
	v_and_b32_e32 v8, 0xffff0000, v8
	v_cndmask_b32_e32 v8, 0x7fc00000, v8, vcc_lo
	v_max_f32_e32 v7, v8, v8
	v_cmp_u_f32_e32 vcc_lo, v8, v8
	v_min_f32_e32 v9, v7, v23
	v_max_f32_e32 v7, v7, v23
	v_cndmask_b32_e32 v9, v9, v8, vcc_lo
	v_cndmask_b32_e32 v7, v7, v8, vcc_lo
	v_cndmask_b32_e64 v9, v9, v18, s3
	v_cndmask_b32_e64 v7, v7, v18, s3
	v_cmp_class_f32_e64 s7, v9, 0x1f8
	v_cmp_neq_f32_e32 vcc_lo, v9, v7
	s_or_b32 s8, vcc_lo, s7
	s_and_saveexec_b32 s7, s8
	s_cbranch_execz .LBB446_37
; %bb.36:
	v_sub_f32_e32 v8, v9, v7
	s_mov_b32 s8, 0x3e9b6dac
	v_mul_f32_e32 v9, 0x3fb8aa3b, v8
	v_cmp_ngt_f32_e32 vcc_lo, 0xc2ce8ed0, v8
	v_fma_f32 v10, 0x3fb8aa3b, v8, -v9
	v_rndne_f32_e32 v11, v9
	v_fmamk_f32 v10, v8, 0x32a5705f, v10
	v_sub_f32_e32 v9, v9, v11
	v_add_f32_e32 v9, v9, v10
	v_cvt_i32_f32_e32 v10, v11
	v_exp_f32_e32 v9, v9
	v_ldexp_f32 v9, v9, v10
	v_cndmask_b32_e32 v9, 0, v9, vcc_lo
	v_cmp_nlt_f32_e32 vcc_lo, 0x42b17218, v8
	v_cndmask_b32_e32 v10, 0x7f800000, v9, vcc_lo
	v_add_f32_e32 v11, 1.0, v10
	v_cvt_f64_f32_e32 v[8:9], v11
	v_frexp_exp_i32_f64_e32 v8, v[8:9]
	v_frexp_mant_f32_e32 v9, v11
	v_cmp_gt_f32_e32 vcc_lo, 0x3f2aaaab, v9
	v_add_f32_e32 v9, -1.0, v11
	v_sub_f32_e32 v22, v9, v11
	v_sub_f32_e32 v9, v10, v9
	v_add_f32_e32 v22, 1.0, v22
	v_add_f32_e32 v9, v9, v22
	v_subrev_co_ci_u32_e64 v8, null, 0, v8, vcc_lo
	v_cmp_neq_f32_e32 vcc_lo, 0x7f800000, v10
	v_sub_nc_u32_e32 v20, 0, v8
	v_cvt_f32_i32_e32 v8, v8
	v_ldexp_f32 v11, v11, v20
	v_ldexp_f32 v9, v9, v20
	v_add_f32_e32 v24, 1.0, v11
	v_add_f32_e32 v20, -1.0, v11
	v_add_f32_e32 v22, -1.0, v24
	v_add_f32_e32 v25, 1.0, v20
	v_sub_f32_e32 v22, v11, v22
	v_sub_f32_e32 v11, v11, v25
	v_add_f32_e32 v22, v9, v22
	v_add_f32_e32 v9, v9, v11
	;; [unrolled: 1-line block ×4, first 2 shown]
	v_rcp_f32_e32 v11, v25
	v_sub_f32_e32 v24, v24, v25
	v_sub_f32_e32 v20, v20, v26
	v_add_f32_e32 v22, v22, v24
	v_add_f32_e32 v9, v9, v20
	v_mul_f32_e32 v27, v26, v11
	v_mul_f32_e32 v28, v25, v27
	v_fma_f32 v24, v27, v25, -v28
	v_fmac_f32_e32 v24, v27, v22
	v_add_f32_e32 v29, v28, v24
	v_sub_f32_e32 v30, v26, v29
	v_sub_f32_e32 v20, v29, v28
	;; [unrolled: 1-line block ×5, first 2 shown]
	v_add_f32_e32 v9, v9, v26
	v_add_f32_e32 v9, v20, v9
	;; [unrolled: 1-line block ×3, first 2 shown]
	v_mul_f32_e32 v24, v11, v20
	v_sub_f32_e32 v29, v30, v20
	v_mul_f32_e32 v26, v25, v24
	v_add_f32_e32 v9, v9, v29
	v_fma_f32 v25, v24, v25, -v26
	v_fmac_f32_e32 v25, v24, v22
	v_add_f32_e32 v22, v26, v25
	v_sub_f32_e32 v28, v20, v22
	v_sub_f32_e32 v26, v22, v26
	;; [unrolled: 1-line block ×5, first 2 shown]
	v_add_f32_e32 v9, v9, v20
	v_add_f32_e32 v20, v27, v24
	v_add_f32_e32 v9, v22, v9
	v_sub_f32_e32 v22, v20, v27
	v_add_f32_e32 v9, v28, v9
	v_sub_f32_e32 v22, v24, v22
	v_mul_f32_e32 v9, v11, v9
	v_add_f32_e32 v9, v22, v9
	v_add_f32_e32 v11, v20, v9
	v_mul_f32_e32 v22, v11, v11
	v_fmaak_f32 v24, s8, v22, 0x3ecc95a3
	v_mul_f32_e32 v25, v11, v22
	v_fmaak_f32 v22, v22, v24, 0x3f2aaada
	v_ldexp_f32 v24, v11, 1
	v_sub_f32_e32 v11, v11, v20
	v_mul_f32_e32 v22, v25, v22
	v_mul_f32_e32 v25, 0x3f317218, v8
	v_sub_f32_e32 v9, v9, v11
	v_add_f32_e32 v20, v24, v22
	v_ldexp_f32 v9, v9, 1
	v_sub_f32_e32 v11, v20, v24
	v_fma_f32 v24, 0x3f317218, v8, -v25
	v_sub_f32_e32 v11, v22, v11
	v_fmamk_f32 v8, v8, 0xb102e308, v24
	v_add_f32_e32 v9, v9, v11
	v_add_f32_e32 v11, v25, v8
	;; [unrolled: 1-line block ×3, first 2 shown]
	v_sub_f32_e32 v25, v11, v25
	v_add_f32_e32 v24, v11, v22
	v_sub_f32_e32 v20, v22, v20
	v_sub_f32_e32 v8, v8, v25
	;; [unrolled: 1-line block ×6, first 2 shown]
	v_add_f32_e32 v22, v8, v9
	v_sub_f32_e32 v11, v11, v27
	v_add_f32_e32 v11, v20, v11
	v_sub_f32_e32 v20, v22, v8
	;; [unrolled: 2-line block ×3, first 2 shown]
	v_sub_f32_e32 v9, v9, v20
	v_add_f32_e32 v25, v24, v11
	v_sub_f32_e32 v8, v8, v22
	v_sub_f32_e32 v20, v25, v24
	v_add_f32_e32 v8, v9, v8
	v_sub_f32_e32 v9, v11, v20
	v_add_f32_e32 v8, v8, v9
	v_add_f32_e32 v8, v25, v8
	v_cndmask_b32_e32 v8, 0x7f800000, v8, vcc_lo
	v_cmp_gt_f32_e64 vcc_lo, 0x33800000, |v10|
	v_cndmask_b32_e32 v8, v8, v10, vcc_lo
	v_add_f32_e32 v8, v7, v8
.LBB446_37:
	s_or_b32 exec_lo, exec_lo, s7
	v_bfe_u32 v7, v8, 16, 1
	v_cmp_o_f32_e32 vcc_lo, v8, v8
	v_add3_u32 v9, v8, v7, 0x7fff
	v_mov_b32_e32 v7, 16
	v_and_b32_e32 v9, 0xffff0000, v9
	v_lshlrev_b32_sdwa v20, v7, v3 dst_sel:DWORD dst_unused:UNUSED_PAD src0_sel:DWORD src1_sel:WORD_1
	v_cndmask_b32_e32 v9, 0x7fc00000, v9, vcc_lo
	v_max_f32_e32 v25, v20, v20
	v_cmp_u_f32_e64 s13, v20, v20
	v_max_f32_e32 v8, v9, v9
	v_cmp_u_f32_e32 vcc_lo, v9, v9
	v_min_f32_e32 v10, v8, v25
	v_max_f32_e32 v8, v8, v25
	v_cndmask_b32_e32 v10, v10, v9, vcc_lo
	v_cndmask_b32_e32 v8, v8, v9, vcc_lo
	v_cndmask_b32_e64 v10, v10, v20, s13
	v_cndmask_b32_e64 v8, v8, v20, s13
	v_cmp_class_f32_e64 s7, v10, 0x1f8
	v_cmp_neq_f32_e32 vcc_lo, v10, v8
	s_or_b32 s8, vcc_lo, s7
	s_and_saveexec_b32 s7, s8
	s_cbranch_execz .LBB446_39
; %bb.38:
	v_sub_f32_e32 v9, v10, v8
	s_mov_b32 s8, 0x3e9b6dac
	v_mul_f32_e32 v10, 0x3fb8aa3b, v9
	v_cmp_ngt_f32_e32 vcc_lo, 0xc2ce8ed0, v9
	v_fma_f32 v11, 0x3fb8aa3b, v9, -v10
	v_rndne_f32_e32 v22, v10
	v_fmamk_f32 v11, v9, 0x32a5705f, v11
	v_sub_f32_e32 v10, v10, v22
	v_add_f32_e32 v10, v10, v11
	v_cvt_i32_f32_e32 v11, v22
	v_exp_f32_e32 v10, v10
	v_ldexp_f32 v10, v10, v11
	v_cndmask_b32_e32 v10, 0, v10, vcc_lo
	v_cmp_nlt_f32_e32 vcc_lo, 0x42b17218, v9
	v_cndmask_b32_e32 v11, 0x7f800000, v10, vcc_lo
	v_add_f32_e32 v22, 1.0, v11
	v_cvt_f64_f32_e32 v[9:10], v22
	v_frexp_exp_i32_f64_e32 v9, v[9:10]
	v_frexp_mant_f32_e32 v10, v22
	v_cmp_gt_f32_e32 vcc_lo, 0x3f2aaaab, v10
	v_add_f32_e32 v10, -1.0, v22
	v_sub_f32_e32 v26, v10, v22
	v_sub_f32_e32 v10, v11, v10
	v_add_f32_e32 v26, 1.0, v26
	v_add_f32_e32 v10, v10, v26
	v_subrev_co_ci_u32_e64 v9, null, 0, v9, vcc_lo
	v_cmp_neq_f32_e32 vcc_lo, 0x7f800000, v11
	v_sub_nc_u32_e32 v24, 0, v9
	v_cvt_f32_i32_e32 v9, v9
	v_ldexp_f32 v22, v22, v24
	v_ldexp_f32 v10, v10, v24
	v_add_f32_e32 v27, 1.0, v22
	v_add_f32_e32 v24, -1.0, v22
	v_add_f32_e32 v26, -1.0, v27
	v_add_f32_e32 v28, 1.0, v24
	v_sub_f32_e32 v26, v22, v26
	v_sub_f32_e32 v22, v22, v28
	v_add_f32_e32 v26, v10, v26
	v_add_f32_e32 v10, v10, v22
	;; [unrolled: 1-line block ×4, first 2 shown]
	v_rcp_f32_e32 v22, v28
	v_sub_f32_e32 v27, v27, v28
	v_sub_f32_e32 v24, v24, v29
	v_add_f32_e32 v26, v26, v27
	v_add_f32_e32 v10, v10, v24
	v_mul_f32_e32 v30, v29, v22
	v_mul_f32_e32 v31, v28, v30
	v_fma_f32 v27, v30, v28, -v31
	v_fmac_f32_e32 v27, v30, v26
	v_add_f32_e32 v32, v31, v27
	v_sub_f32_e32 v33, v29, v32
	v_sub_f32_e32 v24, v32, v31
	;; [unrolled: 1-line block ×5, first 2 shown]
	v_add_f32_e32 v10, v10, v29
	v_add_f32_e32 v10, v24, v10
	;; [unrolled: 1-line block ×3, first 2 shown]
	v_mul_f32_e32 v27, v22, v24
	v_sub_f32_e32 v32, v33, v24
	v_mul_f32_e32 v29, v28, v27
	v_add_f32_e32 v10, v10, v32
	v_fma_f32 v28, v27, v28, -v29
	v_fmac_f32_e32 v28, v27, v26
	v_add_f32_e32 v26, v29, v28
	v_sub_f32_e32 v31, v24, v26
	v_sub_f32_e32 v29, v26, v29
	;; [unrolled: 1-line block ×5, first 2 shown]
	v_add_f32_e32 v10, v10, v24
	v_add_f32_e32 v24, v30, v27
	v_add_f32_e32 v10, v26, v10
	v_sub_f32_e32 v26, v24, v30
	v_add_f32_e32 v10, v31, v10
	v_sub_f32_e32 v26, v27, v26
	v_mul_f32_e32 v10, v22, v10
	v_add_f32_e32 v10, v26, v10
	v_add_f32_e32 v22, v24, v10
	v_mul_f32_e32 v26, v22, v22
	v_fmaak_f32 v27, s8, v26, 0x3ecc95a3
	v_mul_f32_e32 v28, v22, v26
	v_fmaak_f32 v26, v26, v27, 0x3f2aaada
	v_ldexp_f32 v27, v22, 1
	v_sub_f32_e32 v22, v22, v24
	v_mul_f32_e32 v26, v28, v26
	v_mul_f32_e32 v28, 0x3f317218, v9
	v_sub_f32_e32 v10, v10, v22
	v_add_f32_e32 v24, v27, v26
	v_ldexp_f32 v10, v10, 1
	v_sub_f32_e32 v22, v24, v27
	v_fma_f32 v27, 0x3f317218, v9, -v28
	v_sub_f32_e32 v22, v26, v22
	v_fmamk_f32 v9, v9, 0xb102e308, v27
	v_add_f32_e32 v10, v10, v22
	v_add_f32_e32 v22, v28, v9
	;; [unrolled: 1-line block ×3, first 2 shown]
	v_sub_f32_e32 v28, v22, v28
	v_add_f32_e32 v27, v22, v26
	v_sub_f32_e32 v24, v26, v24
	v_sub_f32_e32 v9, v9, v28
	;; [unrolled: 1-line block ×6, first 2 shown]
	v_add_f32_e32 v26, v9, v10
	v_sub_f32_e32 v22, v22, v30
	v_add_f32_e32 v22, v24, v22
	v_sub_f32_e32 v24, v26, v9
	;; [unrolled: 2-line block ×3, first 2 shown]
	v_sub_f32_e32 v10, v10, v24
	v_add_f32_e32 v28, v27, v22
	v_sub_f32_e32 v9, v9, v26
	v_sub_f32_e32 v24, v28, v27
	v_add_f32_e32 v9, v10, v9
	v_sub_f32_e32 v10, v22, v24
	v_add_f32_e32 v9, v9, v10
	v_add_f32_e32 v9, v28, v9
	v_cndmask_b32_e32 v9, 0x7f800000, v9, vcc_lo
	v_cmp_gt_f32_e64 vcc_lo, 0x33800000, |v11|
	v_cndmask_b32_e32 v9, v9, v11, vcc_lo
	v_add_f32_e32 v9, v8, v9
.LBB446_39:
	s_or_b32 exec_lo, exec_lo, s7
	v_bfe_u32 v8, v9, 16, 1
	v_cmp_o_f32_e32 vcc_lo, v9, v9
	v_lshlrev_b32_sdwa v22, v7, v4 dst_sel:DWORD dst_unused:UNUSED_PAD src0_sel:DWORD src1_sel:WORD_0
	v_add3_u32 v8, v9, v8, 0x7fff
	v_max_f32_e32 v27, v22, v22
	v_cmp_u_f32_e64 s7, v22, v22
	v_and_b32_e32 v8, 0xffff0000, v8
	v_cndmask_b32_e32 v8, 0x7fc00000, v8, vcc_lo
	v_max_f32_e32 v7, v8, v8
	v_cmp_u_f32_e32 vcc_lo, v8, v8
	v_min_f32_e32 v9, v7, v27
	v_max_f32_e32 v7, v7, v27
	v_cndmask_b32_e32 v9, v9, v8, vcc_lo
	v_cndmask_b32_e32 v7, v7, v8, vcc_lo
	v_cndmask_b32_e64 v9, v9, v22, s7
	v_cndmask_b32_e64 v7, v7, v22, s7
	v_cmp_class_f32_e64 s8, v9, 0x1f8
	v_cmp_neq_f32_e32 vcc_lo, v9, v7
	s_or_b32 s9, vcc_lo, s8
	s_and_saveexec_b32 s8, s9
	s_cbranch_execz .LBB446_41
; %bb.40:
	v_sub_f32_e32 v8, v9, v7
	s_mov_b32 s9, 0x3e9b6dac
	v_mul_f32_e32 v9, 0x3fb8aa3b, v8
	v_cmp_ngt_f32_e32 vcc_lo, 0xc2ce8ed0, v8
	v_fma_f32 v10, 0x3fb8aa3b, v8, -v9
	v_rndne_f32_e32 v11, v9
	v_fmamk_f32 v10, v8, 0x32a5705f, v10
	v_sub_f32_e32 v9, v9, v11
	v_add_f32_e32 v9, v9, v10
	v_cvt_i32_f32_e32 v10, v11
	v_exp_f32_e32 v9, v9
	v_ldexp_f32 v9, v9, v10
	v_cndmask_b32_e32 v9, 0, v9, vcc_lo
	v_cmp_nlt_f32_e32 vcc_lo, 0x42b17218, v8
	v_cndmask_b32_e32 v10, 0x7f800000, v9, vcc_lo
	v_add_f32_e32 v11, 1.0, v10
	v_cvt_f64_f32_e32 v[8:9], v11
	v_frexp_exp_i32_f64_e32 v8, v[8:9]
	v_frexp_mant_f32_e32 v9, v11
	v_cmp_gt_f32_e32 vcc_lo, 0x3f2aaaab, v9
	v_add_f32_e32 v9, -1.0, v11
	v_sub_f32_e32 v26, v9, v11
	v_sub_f32_e32 v9, v10, v9
	v_add_f32_e32 v26, 1.0, v26
	v_add_f32_e32 v9, v9, v26
	v_subrev_co_ci_u32_e64 v8, null, 0, v8, vcc_lo
	v_cmp_neq_f32_e32 vcc_lo, 0x7f800000, v10
	v_sub_nc_u32_e32 v24, 0, v8
	v_cvt_f32_i32_e32 v8, v8
	v_ldexp_f32 v11, v11, v24
	v_ldexp_f32 v9, v9, v24
	v_add_f32_e32 v28, 1.0, v11
	v_add_f32_e32 v24, -1.0, v11
	v_add_f32_e32 v26, -1.0, v28
	v_add_f32_e32 v29, 1.0, v24
	v_sub_f32_e32 v26, v11, v26
	v_sub_f32_e32 v11, v11, v29
	v_add_f32_e32 v26, v9, v26
	v_add_f32_e32 v9, v9, v11
	;; [unrolled: 1-line block ×4, first 2 shown]
	v_rcp_f32_e32 v11, v29
	v_sub_f32_e32 v28, v28, v29
	v_sub_f32_e32 v24, v24, v30
	v_add_f32_e32 v26, v26, v28
	v_add_f32_e32 v9, v9, v24
	v_mul_f32_e32 v31, v30, v11
	v_mul_f32_e32 v32, v29, v31
	v_fma_f32 v28, v31, v29, -v32
	v_fmac_f32_e32 v28, v31, v26
	v_add_f32_e32 v33, v32, v28
	v_sub_f32_e32 v34, v30, v33
	v_sub_f32_e32 v24, v33, v32
	;; [unrolled: 1-line block ×5, first 2 shown]
	v_add_f32_e32 v9, v9, v30
	v_add_f32_e32 v9, v24, v9
	;; [unrolled: 1-line block ×3, first 2 shown]
	v_mul_f32_e32 v28, v11, v24
	v_sub_f32_e32 v33, v34, v24
	v_mul_f32_e32 v30, v29, v28
	v_add_f32_e32 v9, v9, v33
	v_fma_f32 v29, v28, v29, -v30
	v_fmac_f32_e32 v29, v28, v26
	v_add_f32_e32 v26, v30, v29
	v_sub_f32_e32 v32, v24, v26
	v_sub_f32_e32 v30, v26, v30
	v_sub_f32_e32 v24, v24, v32
	v_sub_f32_e32 v24, v24, v26
	v_sub_f32_e32 v26, v30, v29
	v_add_f32_e32 v9, v9, v24
	v_add_f32_e32 v24, v31, v28
	;; [unrolled: 1-line block ×3, first 2 shown]
	v_sub_f32_e32 v26, v24, v31
	v_add_f32_e32 v9, v32, v9
	v_sub_f32_e32 v26, v28, v26
	v_mul_f32_e32 v9, v11, v9
	v_add_f32_e32 v9, v26, v9
	v_add_f32_e32 v11, v24, v9
	v_mul_f32_e32 v26, v11, v11
	v_fmaak_f32 v28, s9, v26, 0x3ecc95a3
	v_mul_f32_e32 v29, v11, v26
	v_fmaak_f32 v26, v26, v28, 0x3f2aaada
	v_ldexp_f32 v28, v11, 1
	v_sub_f32_e32 v11, v11, v24
	v_mul_f32_e32 v26, v29, v26
	v_mul_f32_e32 v29, 0x3f317218, v8
	v_sub_f32_e32 v9, v9, v11
	v_add_f32_e32 v24, v28, v26
	v_ldexp_f32 v9, v9, 1
	v_sub_f32_e32 v11, v24, v28
	v_fma_f32 v28, 0x3f317218, v8, -v29
	v_sub_f32_e32 v11, v26, v11
	v_fmamk_f32 v8, v8, 0xb102e308, v28
	v_add_f32_e32 v9, v9, v11
	v_add_f32_e32 v11, v29, v8
	;; [unrolled: 1-line block ×3, first 2 shown]
	v_sub_f32_e32 v29, v11, v29
	v_add_f32_e32 v28, v11, v26
	v_sub_f32_e32 v24, v26, v24
	v_sub_f32_e32 v8, v8, v29
	;; [unrolled: 1-line block ×6, first 2 shown]
	v_add_f32_e32 v26, v8, v9
	v_sub_f32_e32 v11, v11, v31
	v_add_f32_e32 v11, v24, v11
	v_sub_f32_e32 v24, v26, v8
	;; [unrolled: 2-line block ×3, first 2 shown]
	v_sub_f32_e32 v9, v9, v24
	v_add_f32_e32 v29, v28, v11
	v_sub_f32_e32 v8, v8, v26
	v_sub_f32_e32 v24, v29, v28
	v_add_f32_e32 v8, v9, v8
	v_sub_f32_e32 v9, v11, v24
	v_add_f32_e32 v8, v8, v9
	v_add_f32_e32 v8, v29, v8
	v_cndmask_b32_e32 v8, 0x7f800000, v8, vcc_lo
	v_cmp_gt_f32_e64 vcc_lo, 0x33800000, |v10|
	v_cndmask_b32_e32 v8, v8, v10, vcc_lo
	v_add_f32_e32 v8, v7, v8
.LBB446_41:
	s_or_b32 exec_lo, exec_lo, s8
	v_bfe_u32 v7, v8, 16, 1
	v_cmp_o_f32_e32 vcc_lo, v8, v8
	v_add3_u32 v9, v8, v7, 0x7fff
	v_mov_b32_e32 v7, 16
	v_and_b32_e32 v9, 0xffff0000, v9
	v_lshlrev_b32_sdwa v24, v7, v4 dst_sel:DWORD dst_unused:UNUSED_PAD src0_sel:DWORD src1_sel:WORD_1
	v_cndmask_b32_e32 v9, 0x7fc00000, v9, vcc_lo
	v_max_f32_e32 v29, v24, v24
	v_cmp_u_f32_e64 s8, v24, v24
	v_max_f32_e32 v8, v9, v9
	v_cmp_u_f32_e32 vcc_lo, v9, v9
	v_min_f32_e32 v10, v8, v29
	v_max_f32_e32 v8, v8, v29
	v_cndmask_b32_e32 v10, v10, v9, vcc_lo
	v_cndmask_b32_e32 v8, v8, v9, vcc_lo
	v_cndmask_b32_e64 v10, v10, v24, s8
	v_cndmask_b32_e64 v8, v8, v24, s8
	v_cmp_class_f32_e64 s9, v10, 0x1f8
	v_cmp_neq_f32_e32 vcc_lo, v10, v8
	s_or_b32 s10, vcc_lo, s9
	s_and_saveexec_b32 s9, s10
	s_cbranch_execz .LBB446_43
; %bb.42:
	v_sub_f32_e32 v9, v10, v8
	s_mov_b32 s10, 0x3e9b6dac
	v_mul_f32_e32 v10, 0x3fb8aa3b, v9
	v_cmp_ngt_f32_e32 vcc_lo, 0xc2ce8ed0, v9
	v_fma_f32 v11, 0x3fb8aa3b, v9, -v10
	v_rndne_f32_e32 v26, v10
	v_fmamk_f32 v11, v9, 0x32a5705f, v11
	v_sub_f32_e32 v10, v10, v26
	v_add_f32_e32 v10, v10, v11
	v_cvt_i32_f32_e32 v11, v26
	v_exp_f32_e32 v10, v10
	v_ldexp_f32 v10, v10, v11
	v_cndmask_b32_e32 v10, 0, v10, vcc_lo
	v_cmp_nlt_f32_e32 vcc_lo, 0x42b17218, v9
	v_cndmask_b32_e32 v11, 0x7f800000, v10, vcc_lo
	v_add_f32_e32 v26, 1.0, v11
	v_cvt_f64_f32_e32 v[9:10], v26
	v_frexp_exp_i32_f64_e32 v9, v[9:10]
	v_frexp_mant_f32_e32 v10, v26
	v_cmp_gt_f32_e32 vcc_lo, 0x3f2aaaab, v10
	v_add_f32_e32 v10, -1.0, v26
	v_sub_f32_e32 v30, v10, v26
	v_sub_f32_e32 v10, v11, v10
	v_add_f32_e32 v30, 1.0, v30
	v_add_f32_e32 v10, v10, v30
	v_subrev_co_ci_u32_e64 v9, null, 0, v9, vcc_lo
	v_cmp_neq_f32_e32 vcc_lo, 0x7f800000, v11
	v_sub_nc_u32_e32 v28, 0, v9
	v_cvt_f32_i32_e32 v9, v9
	v_ldexp_f32 v26, v26, v28
	v_ldexp_f32 v10, v10, v28
	v_add_f32_e32 v31, 1.0, v26
	v_add_f32_e32 v28, -1.0, v26
	v_add_f32_e32 v30, -1.0, v31
	v_add_f32_e32 v32, 1.0, v28
	v_sub_f32_e32 v30, v26, v30
	v_sub_f32_e32 v26, v26, v32
	v_add_f32_e32 v30, v10, v30
	v_add_f32_e32 v10, v10, v26
	;; [unrolled: 1-line block ×4, first 2 shown]
	v_rcp_f32_e32 v26, v32
	v_sub_f32_e32 v31, v31, v32
	v_sub_f32_e32 v28, v28, v33
	v_add_f32_e32 v30, v30, v31
	v_add_f32_e32 v10, v10, v28
	v_mul_f32_e32 v34, v33, v26
	v_mul_f32_e32 v35, v32, v34
	v_fma_f32 v31, v34, v32, -v35
	v_fmac_f32_e32 v31, v34, v30
	v_add_f32_e32 v38, v35, v31
	v_sub_f32_e32 v39, v33, v38
	v_sub_f32_e32 v28, v38, v35
	;; [unrolled: 1-line block ×5, first 2 shown]
	v_add_f32_e32 v10, v10, v33
	v_add_f32_e32 v10, v28, v10
	;; [unrolled: 1-line block ×3, first 2 shown]
	v_mul_f32_e32 v31, v26, v28
	v_sub_f32_e32 v38, v39, v28
	v_mul_f32_e32 v33, v32, v31
	v_add_f32_e32 v10, v10, v38
	v_fma_f32 v32, v31, v32, -v33
	v_fmac_f32_e32 v32, v31, v30
	v_add_f32_e32 v30, v33, v32
	v_sub_f32_e32 v35, v28, v30
	v_sub_f32_e32 v33, v30, v33
	;; [unrolled: 1-line block ×5, first 2 shown]
	v_add_f32_e32 v10, v10, v28
	v_add_f32_e32 v28, v34, v31
	;; [unrolled: 1-line block ×3, first 2 shown]
	v_sub_f32_e32 v30, v28, v34
	v_add_f32_e32 v10, v35, v10
	v_sub_f32_e32 v30, v31, v30
	v_mul_f32_e32 v10, v26, v10
	v_add_f32_e32 v10, v30, v10
	v_add_f32_e32 v26, v28, v10
	v_mul_f32_e32 v30, v26, v26
	v_fmaak_f32 v31, s10, v30, 0x3ecc95a3
	v_mul_f32_e32 v32, v26, v30
	v_fmaak_f32 v30, v30, v31, 0x3f2aaada
	v_ldexp_f32 v31, v26, 1
	v_sub_f32_e32 v26, v26, v28
	v_mul_f32_e32 v30, v32, v30
	v_mul_f32_e32 v32, 0x3f317218, v9
	v_sub_f32_e32 v10, v10, v26
	v_add_f32_e32 v28, v31, v30
	v_ldexp_f32 v10, v10, 1
	v_sub_f32_e32 v26, v28, v31
	v_fma_f32 v31, 0x3f317218, v9, -v32
	v_sub_f32_e32 v26, v30, v26
	v_fmamk_f32 v9, v9, 0xb102e308, v31
	v_add_f32_e32 v10, v10, v26
	v_add_f32_e32 v26, v32, v9
	;; [unrolled: 1-line block ×3, first 2 shown]
	v_sub_f32_e32 v32, v26, v32
	v_add_f32_e32 v31, v26, v30
	v_sub_f32_e32 v28, v30, v28
	v_sub_f32_e32 v9, v9, v32
	;; [unrolled: 1-line block ×6, first 2 shown]
	v_add_f32_e32 v30, v9, v10
	v_sub_f32_e32 v26, v26, v34
	v_add_f32_e32 v26, v28, v26
	v_sub_f32_e32 v28, v30, v9
	v_add_f32_e32 v26, v30, v26
	v_sub_f32_e32 v30, v30, v28
	v_sub_f32_e32 v10, v10, v28
	v_add_f32_e32 v32, v31, v26
	v_sub_f32_e32 v9, v9, v30
	v_sub_f32_e32 v28, v32, v31
	v_add_f32_e32 v9, v10, v9
	v_sub_f32_e32 v10, v26, v28
	v_add_f32_e32 v9, v9, v10
	v_add_f32_e32 v9, v32, v9
	v_cndmask_b32_e32 v9, 0x7f800000, v9, vcc_lo
	v_cmp_gt_f32_e64 vcc_lo, 0x33800000, |v11|
	v_cndmask_b32_e32 v9, v9, v11, vcc_lo
	v_add_f32_e32 v9, v8, v9
.LBB446_43:
	s_or_b32 exec_lo, exec_lo, s9
	v_bfe_u32 v8, v9, 16, 1
	v_cmp_o_f32_e32 vcc_lo, v9, v9
	v_lshlrev_b32_sdwa v26, v7, v5 dst_sel:DWORD dst_unused:UNUSED_PAD src0_sel:DWORD src1_sel:WORD_0
	v_add3_u32 v8, v9, v8, 0x7fff
	v_max_f32_e32 v31, v26, v26
	v_cmp_u_f32_e64 s9, v26, v26
	v_and_b32_e32 v8, 0xffff0000, v8
	v_cndmask_b32_e32 v8, 0x7fc00000, v8, vcc_lo
	v_max_f32_e32 v7, v8, v8
	v_cmp_u_f32_e32 vcc_lo, v8, v8
	v_min_f32_e32 v9, v7, v31
	v_max_f32_e32 v7, v7, v31
	v_cndmask_b32_e32 v9, v9, v8, vcc_lo
	v_cndmask_b32_e32 v7, v7, v8, vcc_lo
	v_cndmask_b32_e64 v9, v9, v26, s9
	v_cndmask_b32_e64 v7, v7, v26, s9
	v_cmp_class_f32_e64 s10, v9, 0x1f8
	v_cmp_neq_f32_e32 vcc_lo, v9, v7
	s_or_b32 s11, vcc_lo, s10
	s_and_saveexec_b32 s10, s11
	s_cbranch_execz .LBB446_45
; %bb.44:
	v_sub_f32_e32 v8, v9, v7
	s_mov_b32 s11, 0x3e9b6dac
	v_mul_f32_e32 v9, 0x3fb8aa3b, v8
	v_cmp_ngt_f32_e32 vcc_lo, 0xc2ce8ed0, v8
	v_fma_f32 v10, 0x3fb8aa3b, v8, -v9
	v_rndne_f32_e32 v11, v9
	v_fmamk_f32 v10, v8, 0x32a5705f, v10
	v_sub_f32_e32 v9, v9, v11
	v_add_f32_e32 v9, v9, v10
	v_cvt_i32_f32_e32 v10, v11
	v_exp_f32_e32 v9, v9
	v_ldexp_f32 v9, v9, v10
	v_cndmask_b32_e32 v9, 0, v9, vcc_lo
	v_cmp_nlt_f32_e32 vcc_lo, 0x42b17218, v8
	v_cndmask_b32_e32 v10, 0x7f800000, v9, vcc_lo
	v_add_f32_e32 v11, 1.0, v10
	v_cvt_f64_f32_e32 v[8:9], v11
	v_frexp_exp_i32_f64_e32 v8, v[8:9]
	v_frexp_mant_f32_e32 v9, v11
	v_cmp_gt_f32_e32 vcc_lo, 0x3f2aaaab, v9
	v_add_f32_e32 v9, -1.0, v11
	v_sub_f32_e32 v30, v9, v11
	v_sub_f32_e32 v9, v10, v9
	v_add_f32_e32 v30, 1.0, v30
	v_add_f32_e32 v9, v9, v30
	v_subrev_co_ci_u32_e64 v8, null, 0, v8, vcc_lo
	v_cmp_neq_f32_e32 vcc_lo, 0x7f800000, v10
	v_sub_nc_u32_e32 v28, 0, v8
	v_cvt_f32_i32_e32 v8, v8
	v_ldexp_f32 v11, v11, v28
	v_ldexp_f32 v9, v9, v28
	v_add_f32_e32 v32, 1.0, v11
	v_add_f32_e32 v28, -1.0, v11
	v_add_f32_e32 v30, -1.0, v32
	v_add_f32_e32 v33, 1.0, v28
	v_sub_f32_e32 v30, v11, v30
	v_sub_f32_e32 v11, v11, v33
	v_add_f32_e32 v30, v9, v30
	v_add_f32_e32 v9, v9, v11
	;; [unrolled: 1-line block ×4, first 2 shown]
	v_rcp_f32_e32 v11, v33
	v_sub_f32_e32 v32, v32, v33
	v_sub_f32_e32 v28, v28, v34
	v_add_f32_e32 v30, v30, v32
	v_add_f32_e32 v9, v9, v28
	v_mul_f32_e32 v35, v34, v11
	v_mul_f32_e32 v38, v33, v35
	v_fma_f32 v32, v35, v33, -v38
	v_fmac_f32_e32 v32, v35, v30
	v_add_f32_e32 v39, v38, v32
	v_sub_f32_e32 v40, v34, v39
	v_sub_f32_e32 v28, v39, v38
	;; [unrolled: 1-line block ×5, first 2 shown]
	v_add_f32_e32 v9, v9, v34
	v_add_f32_e32 v9, v28, v9
	;; [unrolled: 1-line block ×3, first 2 shown]
	v_mul_f32_e32 v32, v11, v28
	v_sub_f32_e32 v39, v40, v28
	v_mul_f32_e32 v34, v33, v32
	v_add_f32_e32 v9, v9, v39
	v_fma_f32 v33, v32, v33, -v34
	v_fmac_f32_e32 v33, v32, v30
	v_add_f32_e32 v30, v34, v33
	v_sub_f32_e32 v38, v28, v30
	v_sub_f32_e32 v34, v30, v34
	;; [unrolled: 1-line block ×5, first 2 shown]
	v_add_f32_e32 v9, v9, v28
	v_add_f32_e32 v28, v35, v32
	;; [unrolled: 1-line block ×3, first 2 shown]
	v_sub_f32_e32 v30, v28, v35
	v_add_f32_e32 v9, v38, v9
	v_sub_f32_e32 v30, v32, v30
	v_mul_f32_e32 v9, v11, v9
	v_add_f32_e32 v9, v30, v9
	v_add_f32_e32 v11, v28, v9
	v_mul_f32_e32 v30, v11, v11
	v_fmaak_f32 v32, s11, v30, 0x3ecc95a3
	v_mul_f32_e32 v33, v11, v30
	v_fmaak_f32 v30, v30, v32, 0x3f2aaada
	v_ldexp_f32 v32, v11, 1
	v_sub_f32_e32 v11, v11, v28
	v_mul_f32_e32 v30, v33, v30
	v_mul_f32_e32 v33, 0x3f317218, v8
	v_sub_f32_e32 v9, v9, v11
	v_add_f32_e32 v28, v32, v30
	v_ldexp_f32 v9, v9, 1
	v_sub_f32_e32 v11, v28, v32
	v_fma_f32 v32, 0x3f317218, v8, -v33
	v_sub_f32_e32 v11, v30, v11
	v_fmamk_f32 v8, v8, 0xb102e308, v32
	v_add_f32_e32 v9, v9, v11
	v_add_f32_e32 v11, v33, v8
	v_add_f32_e32 v30, v28, v9
	v_sub_f32_e32 v33, v11, v33
	v_add_f32_e32 v32, v11, v30
	v_sub_f32_e32 v28, v30, v28
	v_sub_f32_e32 v8, v8, v33
	;; [unrolled: 1-line block ×6, first 2 shown]
	v_add_f32_e32 v30, v8, v9
	v_sub_f32_e32 v11, v11, v35
	v_add_f32_e32 v11, v28, v11
	v_sub_f32_e32 v28, v30, v8
	;; [unrolled: 2-line block ×3, first 2 shown]
	v_sub_f32_e32 v9, v9, v28
	v_add_f32_e32 v33, v32, v11
	v_sub_f32_e32 v8, v8, v30
	v_sub_f32_e32 v28, v33, v32
	v_add_f32_e32 v8, v9, v8
	v_sub_f32_e32 v9, v11, v28
	v_add_f32_e32 v8, v8, v9
	v_add_f32_e32 v8, v33, v8
	v_cndmask_b32_e32 v8, 0x7f800000, v8, vcc_lo
	v_cmp_gt_f32_e64 vcc_lo, 0x33800000, |v10|
	v_cndmask_b32_e32 v8, v8, v10, vcc_lo
	v_add_f32_e32 v8, v7, v8
.LBB446_45:
	s_or_b32 exec_lo, exec_lo, s10
	v_bfe_u32 v7, v8, 16, 1
	v_cmp_o_f32_e32 vcc_lo, v8, v8
	v_add3_u32 v9, v8, v7, 0x7fff
	v_mov_b32_e32 v7, 16
	v_and_b32_e32 v9, 0xffff0000, v9
	v_lshlrev_b32_sdwa v28, v7, v5 dst_sel:DWORD dst_unused:UNUSED_PAD src0_sel:DWORD src1_sel:WORD_1
	v_cndmask_b32_e32 v9, 0x7fc00000, v9, vcc_lo
	v_max_f32_e32 v33, v28, v28
	v_cmp_u_f32_e64 s10, v28, v28
	v_max_f32_e32 v8, v9, v9
	v_cmp_u_f32_e32 vcc_lo, v9, v9
	v_min_f32_e32 v10, v8, v33
	v_max_f32_e32 v8, v8, v33
	v_cndmask_b32_e32 v10, v10, v9, vcc_lo
	v_cndmask_b32_e32 v8, v8, v9, vcc_lo
	v_cndmask_b32_e64 v10, v10, v28, s10
	v_cndmask_b32_e64 v8, v8, v28, s10
	v_cmp_class_f32_e64 s11, v10, 0x1f8
	v_cmp_neq_f32_e32 vcc_lo, v10, v8
	s_or_b32 s12, vcc_lo, s11
	s_and_saveexec_b32 s11, s12
	s_cbranch_execz .LBB446_47
; %bb.46:
	v_sub_f32_e32 v9, v10, v8
	s_mov_b32 s12, 0x3e9b6dac
	v_mul_f32_e32 v10, 0x3fb8aa3b, v9
	v_cmp_ngt_f32_e32 vcc_lo, 0xc2ce8ed0, v9
	v_fma_f32 v11, 0x3fb8aa3b, v9, -v10
	v_rndne_f32_e32 v30, v10
	v_fmamk_f32 v11, v9, 0x32a5705f, v11
	v_sub_f32_e32 v10, v10, v30
	v_add_f32_e32 v10, v10, v11
	v_cvt_i32_f32_e32 v11, v30
	v_exp_f32_e32 v10, v10
	v_ldexp_f32 v10, v10, v11
	v_cndmask_b32_e32 v10, 0, v10, vcc_lo
	v_cmp_nlt_f32_e32 vcc_lo, 0x42b17218, v9
	v_cndmask_b32_e32 v11, 0x7f800000, v10, vcc_lo
	v_add_f32_e32 v30, 1.0, v11
	v_cvt_f64_f32_e32 v[9:10], v30
	v_frexp_exp_i32_f64_e32 v9, v[9:10]
	v_frexp_mant_f32_e32 v10, v30
	v_cmp_gt_f32_e32 vcc_lo, 0x3f2aaaab, v10
	v_add_f32_e32 v10, -1.0, v30
	v_sub_f32_e32 v34, v10, v30
	v_sub_f32_e32 v10, v11, v10
	v_add_f32_e32 v34, 1.0, v34
	v_add_f32_e32 v10, v10, v34
	v_subrev_co_ci_u32_e64 v9, null, 0, v9, vcc_lo
	v_cmp_neq_f32_e32 vcc_lo, 0x7f800000, v11
	v_sub_nc_u32_e32 v32, 0, v9
	v_cvt_f32_i32_e32 v9, v9
	v_ldexp_f32 v30, v30, v32
	v_ldexp_f32 v10, v10, v32
	v_add_f32_e32 v35, 1.0, v30
	v_add_f32_e32 v32, -1.0, v30
	v_add_f32_e32 v34, -1.0, v35
	v_add_f32_e32 v38, 1.0, v32
	v_sub_f32_e32 v34, v30, v34
	v_sub_f32_e32 v30, v30, v38
	v_add_f32_e32 v34, v10, v34
	v_add_f32_e32 v10, v10, v30
	;; [unrolled: 1-line block ×4, first 2 shown]
	v_rcp_f32_e32 v30, v38
	v_sub_f32_e32 v35, v35, v38
	v_sub_f32_e32 v32, v32, v39
	v_add_f32_e32 v34, v34, v35
	v_add_f32_e32 v10, v10, v32
	v_mul_f32_e32 v40, v39, v30
	v_mul_f32_e32 v41, v38, v40
	v_fma_f32 v35, v40, v38, -v41
	v_fmac_f32_e32 v35, v40, v34
	v_add_f32_e32 v42, v41, v35
	v_sub_f32_e32 v43, v39, v42
	v_sub_f32_e32 v32, v42, v41
	;; [unrolled: 1-line block ×5, first 2 shown]
	v_add_f32_e32 v10, v10, v39
	v_add_f32_e32 v10, v32, v10
	;; [unrolled: 1-line block ×3, first 2 shown]
	v_mul_f32_e32 v35, v30, v32
	v_sub_f32_e32 v42, v43, v32
	v_mul_f32_e32 v39, v38, v35
	v_add_f32_e32 v10, v10, v42
	v_fma_f32 v38, v35, v38, -v39
	v_fmac_f32_e32 v38, v35, v34
	v_add_f32_e32 v34, v39, v38
	v_sub_f32_e32 v41, v32, v34
	v_sub_f32_e32 v39, v34, v39
	;; [unrolled: 1-line block ×5, first 2 shown]
	v_add_f32_e32 v10, v10, v32
	v_add_f32_e32 v32, v40, v35
	;; [unrolled: 1-line block ×3, first 2 shown]
	v_sub_f32_e32 v34, v32, v40
	v_add_f32_e32 v10, v41, v10
	v_sub_f32_e32 v34, v35, v34
	v_mul_f32_e32 v10, v30, v10
	v_add_f32_e32 v10, v34, v10
	v_add_f32_e32 v30, v32, v10
	v_mul_f32_e32 v34, v30, v30
	v_fmaak_f32 v35, s12, v34, 0x3ecc95a3
	v_mul_f32_e32 v38, v30, v34
	v_fmaak_f32 v34, v34, v35, 0x3f2aaada
	v_ldexp_f32 v35, v30, 1
	v_sub_f32_e32 v30, v30, v32
	v_mul_f32_e32 v34, v38, v34
	v_mul_f32_e32 v38, 0x3f317218, v9
	v_sub_f32_e32 v10, v10, v30
	v_add_f32_e32 v32, v35, v34
	v_ldexp_f32 v10, v10, 1
	v_sub_f32_e32 v30, v32, v35
	v_fma_f32 v35, 0x3f317218, v9, -v38
	v_sub_f32_e32 v30, v34, v30
	v_fmamk_f32 v9, v9, 0xb102e308, v35
	v_add_f32_e32 v10, v10, v30
	v_add_f32_e32 v30, v38, v9
	;; [unrolled: 1-line block ×3, first 2 shown]
	v_sub_f32_e32 v38, v30, v38
	v_add_f32_e32 v35, v30, v34
	v_sub_f32_e32 v32, v34, v32
	v_sub_f32_e32 v9, v9, v38
	;; [unrolled: 1-line block ×6, first 2 shown]
	v_add_f32_e32 v34, v9, v10
	v_sub_f32_e32 v30, v30, v40
	v_add_f32_e32 v30, v32, v30
	v_sub_f32_e32 v32, v34, v9
	;; [unrolled: 2-line block ×3, first 2 shown]
	v_sub_f32_e32 v10, v10, v32
	v_add_f32_e32 v38, v35, v30
	v_sub_f32_e32 v9, v9, v34
	v_sub_f32_e32 v32, v38, v35
	v_add_f32_e32 v9, v10, v9
	v_sub_f32_e32 v10, v30, v32
	v_add_f32_e32 v9, v9, v10
	v_add_f32_e32 v9, v38, v9
	v_cndmask_b32_e32 v9, 0x7f800000, v9, vcc_lo
	v_cmp_gt_f32_e64 vcc_lo, 0x33800000, |v11|
	v_cndmask_b32_e32 v9, v9, v11, vcc_lo
	v_add_f32_e32 v9, v8, v9
.LBB446_47:
	s_or_b32 exec_lo, exec_lo, s11
	v_bfe_u32 v8, v9, 16, 1
	v_cmp_o_f32_e32 vcc_lo, v9, v9
	v_lshlrev_b32_sdwa v30, v7, v6 dst_sel:DWORD dst_unused:UNUSED_PAD src0_sel:DWORD src1_sel:WORD_0
	v_add3_u32 v8, v9, v8, 0x7fff
	v_max_f32_e32 v34, v30, v30
	v_cmp_u_f32_e64 s11, v30, v30
	v_and_b32_e32 v8, 0xffff0000, v8
	v_cndmask_b32_e32 v8, 0x7fc00000, v8, vcc_lo
	v_max_f32_e32 v7, v8, v8
	v_cmp_u_f32_e32 vcc_lo, v8, v8
	v_min_f32_e32 v9, v7, v34
	v_max_f32_e32 v7, v7, v34
	v_cndmask_b32_e32 v9, v9, v8, vcc_lo
	v_cndmask_b32_e32 v7, v7, v8, vcc_lo
	v_cndmask_b32_e64 v9, v9, v30, s11
	v_cndmask_b32_e64 v7, v7, v30, s11
	v_cmp_class_f32_e64 s12, v9, 0x1f8
	v_cmp_neq_f32_e32 vcc_lo, v9, v7
	s_or_b32 s15, vcc_lo, s12
	s_and_saveexec_b32 s12, s15
	s_cbranch_execz .LBB446_49
; %bb.48:
	v_sub_f32_e32 v8, v9, v7
	s_mov_b32 s15, 0x3e9b6dac
	v_mul_f32_e32 v9, 0x3fb8aa3b, v8
	v_cmp_ngt_f32_e32 vcc_lo, 0xc2ce8ed0, v8
	v_fma_f32 v10, 0x3fb8aa3b, v8, -v9
	v_rndne_f32_e32 v11, v9
	v_fmamk_f32 v10, v8, 0x32a5705f, v10
	v_sub_f32_e32 v9, v9, v11
	v_add_f32_e32 v9, v9, v10
	v_cvt_i32_f32_e32 v10, v11
	v_exp_f32_e32 v9, v9
	v_ldexp_f32 v9, v9, v10
	v_cndmask_b32_e32 v9, 0, v9, vcc_lo
	v_cmp_nlt_f32_e32 vcc_lo, 0x42b17218, v8
	v_cndmask_b32_e32 v10, 0x7f800000, v9, vcc_lo
	v_add_f32_e32 v11, 1.0, v10
	v_cvt_f64_f32_e32 v[8:9], v11
	v_frexp_exp_i32_f64_e32 v8, v[8:9]
	v_frexp_mant_f32_e32 v9, v11
	v_cmp_gt_f32_e32 vcc_lo, 0x3f2aaaab, v9
	v_add_f32_e32 v9, -1.0, v11
	v_sub_f32_e32 v35, v9, v11
	v_sub_f32_e32 v9, v10, v9
	v_add_f32_e32 v35, 1.0, v35
	v_add_f32_e32 v9, v9, v35
	v_subrev_co_ci_u32_e64 v8, null, 0, v8, vcc_lo
	v_cmp_neq_f32_e32 vcc_lo, 0x7f800000, v10
	v_sub_nc_u32_e32 v32, 0, v8
	v_cvt_f32_i32_e32 v8, v8
	v_ldexp_f32 v11, v11, v32
	v_ldexp_f32 v9, v9, v32
	v_add_f32_e32 v38, 1.0, v11
	v_add_f32_e32 v32, -1.0, v11
	v_add_f32_e32 v35, -1.0, v38
	v_add_f32_e32 v39, 1.0, v32
	v_sub_f32_e32 v35, v11, v35
	v_sub_f32_e32 v11, v11, v39
	v_add_f32_e32 v35, v9, v35
	v_add_f32_e32 v9, v9, v11
	;; [unrolled: 1-line block ×4, first 2 shown]
	v_rcp_f32_e32 v11, v39
	v_sub_f32_e32 v38, v38, v39
	v_sub_f32_e32 v32, v32, v40
	v_add_f32_e32 v35, v35, v38
	v_add_f32_e32 v9, v9, v32
	v_mul_f32_e32 v41, v40, v11
	v_mul_f32_e32 v42, v39, v41
	v_fma_f32 v38, v41, v39, -v42
	v_fmac_f32_e32 v38, v41, v35
	v_add_f32_e32 v43, v42, v38
	v_sub_f32_e32 v44, v40, v43
	v_sub_f32_e32 v32, v43, v42
	;; [unrolled: 1-line block ×5, first 2 shown]
	v_add_f32_e32 v9, v9, v40
	v_add_f32_e32 v9, v32, v9
	;; [unrolled: 1-line block ×3, first 2 shown]
	v_mul_f32_e32 v38, v11, v32
	v_sub_f32_e32 v43, v44, v32
	v_mul_f32_e32 v40, v39, v38
	v_add_f32_e32 v9, v9, v43
	v_fma_f32 v39, v38, v39, -v40
	v_fmac_f32_e32 v39, v38, v35
	v_add_f32_e32 v35, v40, v39
	v_sub_f32_e32 v42, v32, v35
	v_sub_f32_e32 v40, v35, v40
	;; [unrolled: 1-line block ×5, first 2 shown]
	v_add_f32_e32 v9, v9, v32
	v_add_f32_e32 v32, v41, v38
	;; [unrolled: 1-line block ×3, first 2 shown]
	v_sub_f32_e32 v35, v32, v41
	v_add_f32_e32 v9, v42, v9
	v_sub_f32_e32 v35, v38, v35
	v_mul_f32_e32 v9, v11, v9
	v_add_f32_e32 v9, v35, v9
	v_add_f32_e32 v11, v32, v9
	v_mul_f32_e32 v35, v11, v11
	v_fmaak_f32 v38, s15, v35, 0x3ecc95a3
	v_mul_f32_e32 v39, v11, v35
	v_fmaak_f32 v35, v35, v38, 0x3f2aaada
	v_ldexp_f32 v38, v11, 1
	v_sub_f32_e32 v11, v11, v32
	v_mul_f32_e32 v35, v39, v35
	v_mul_f32_e32 v39, 0x3f317218, v8
	v_sub_f32_e32 v9, v9, v11
	v_add_f32_e32 v32, v38, v35
	v_ldexp_f32 v9, v9, 1
	v_sub_f32_e32 v11, v32, v38
	v_fma_f32 v38, 0x3f317218, v8, -v39
	v_sub_f32_e32 v11, v35, v11
	v_fmamk_f32 v8, v8, 0xb102e308, v38
	v_add_f32_e32 v9, v9, v11
	v_add_f32_e32 v11, v39, v8
	;; [unrolled: 1-line block ×3, first 2 shown]
	v_sub_f32_e32 v39, v11, v39
	v_add_f32_e32 v38, v11, v35
	v_sub_f32_e32 v32, v35, v32
	v_sub_f32_e32 v8, v8, v39
	v_sub_f32_e32 v40, v38, v11
	v_sub_f32_e32 v9, v9, v32
	v_sub_f32_e32 v41, v38, v40
	v_sub_f32_e32 v32, v35, v40
	v_add_f32_e32 v35, v8, v9
	v_sub_f32_e32 v11, v11, v41
	v_add_f32_e32 v11, v32, v11
	v_sub_f32_e32 v32, v35, v8
	;; [unrolled: 2-line block ×3, first 2 shown]
	v_sub_f32_e32 v9, v9, v32
	v_add_f32_e32 v39, v38, v11
	v_sub_f32_e32 v8, v8, v35
	v_sub_f32_e32 v32, v39, v38
	v_add_f32_e32 v8, v9, v8
	v_sub_f32_e32 v9, v11, v32
	v_add_f32_e32 v8, v8, v9
	v_add_f32_e32 v8, v39, v8
	v_cndmask_b32_e32 v8, 0x7f800000, v8, vcc_lo
	v_cmp_gt_f32_e64 vcc_lo, 0x33800000, |v10|
	v_cndmask_b32_e32 v8, v8, v10, vcc_lo
	v_add_f32_e32 v8, v7, v8
.LBB446_49:
	s_or_b32 exec_lo, exec_lo, s12
	v_bfe_u32 v7, v8, 16, 1
	v_mov_b32_e32 v9, 16
	v_cmp_o_f32_e32 vcc_lo, v8, v8
	v_add3_u32 v7, v8, v7, 0x7fff
	v_lshlrev_b32_sdwa v32, v9, v6 dst_sel:DWORD dst_unused:UNUSED_PAD src0_sel:DWORD src1_sel:WORD_1
	v_and_b32_e32 v7, 0xffff0000, v7
	v_max_f32_e32 v35, v32, v32
	v_cmp_u_f32_e64 s12, v32, v32
	v_cndmask_b32_e32 v8, 0x7fc00000, v7, vcc_lo
	v_max_f32_e32 v7, v8, v8
	v_cmp_u_f32_e32 vcc_lo, v8, v8
	v_min_f32_e32 v9, v7, v35
	v_max_f32_e32 v7, v7, v35
	v_cndmask_b32_e32 v9, v9, v8, vcc_lo
	v_cndmask_b32_e32 v7, v7, v8, vcc_lo
	v_cndmask_b32_e64 v9, v9, v32, s12
	v_cndmask_b32_e64 v7, v7, v32, s12
	v_cmp_class_f32_e64 s15, v9, 0x1f8
	v_cmp_neq_f32_e32 vcc_lo, v9, v7
	s_or_b32 s16, vcc_lo, s15
	s_and_saveexec_b32 s15, s16
	s_cbranch_execz .LBB446_51
; %bb.50:
	v_sub_f32_e32 v8, v9, v7
	s_mov_b32 s16, 0x3e9b6dac
	v_mul_f32_e32 v9, 0x3fb8aa3b, v8
	v_cmp_ngt_f32_e32 vcc_lo, 0xc2ce8ed0, v8
	v_fma_f32 v10, 0x3fb8aa3b, v8, -v9
	v_rndne_f32_e32 v11, v9
	v_fmamk_f32 v10, v8, 0x32a5705f, v10
	v_sub_f32_e32 v9, v9, v11
	v_add_f32_e32 v9, v9, v10
	v_cvt_i32_f32_e32 v10, v11
	v_exp_f32_e32 v9, v9
	v_ldexp_f32 v9, v9, v10
	v_cndmask_b32_e32 v9, 0, v9, vcc_lo
	v_cmp_nlt_f32_e32 vcc_lo, 0x42b17218, v8
	v_cndmask_b32_e32 v10, 0x7f800000, v9, vcc_lo
	v_add_f32_e32 v11, 1.0, v10
	v_cvt_f64_f32_e32 v[8:9], v11
	v_frexp_exp_i32_f64_e32 v8, v[8:9]
	v_frexp_mant_f32_e32 v9, v11
	v_cmp_gt_f32_e32 vcc_lo, 0x3f2aaaab, v9
	v_add_f32_e32 v9, -1.0, v11
	v_sub_f32_e32 v39, v9, v11
	v_sub_f32_e32 v9, v10, v9
	v_add_f32_e32 v39, 1.0, v39
	v_add_f32_e32 v9, v9, v39
	v_subrev_co_ci_u32_e64 v8, null, 0, v8, vcc_lo
	v_cmp_neq_f32_e32 vcc_lo, 0x7f800000, v10
	v_sub_nc_u32_e32 v38, 0, v8
	v_cvt_f32_i32_e32 v8, v8
	v_ldexp_f32 v11, v11, v38
	v_ldexp_f32 v9, v9, v38
	v_add_f32_e32 v40, 1.0, v11
	v_add_f32_e32 v38, -1.0, v11
	v_add_f32_e32 v39, -1.0, v40
	v_add_f32_e32 v41, 1.0, v38
	v_sub_f32_e32 v39, v11, v39
	v_sub_f32_e32 v11, v11, v41
	v_add_f32_e32 v39, v9, v39
	v_add_f32_e32 v9, v9, v11
	v_add_f32_e32 v41, v40, v39
	v_add_f32_e32 v42, v38, v9
	v_rcp_f32_e32 v11, v41
	v_sub_f32_e32 v40, v40, v41
	v_sub_f32_e32 v38, v38, v42
	v_add_f32_e32 v39, v39, v40
	v_add_f32_e32 v9, v9, v38
	v_mul_f32_e32 v43, v42, v11
	v_mul_f32_e32 v44, v41, v43
	v_fma_f32 v40, v43, v41, -v44
	v_fmac_f32_e32 v40, v43, v39
	v_add_f32_e32 v45, v44, v40
	v_sub_f32_e32 v46, v42, v45
	v_sub_f32_e32 v38, v45, v44
	;; [unrolled: 1-line block ×5, first 2 shown]
	v_add_f32_e32 v9, v9, v42
	v_add_f32_e32 v9, v38, v9
	v_add_f32_e32 v38, v46, v9
	v_mul_f32_e32 v40, v11, v38
	v_sub_f32_e32 v45, v46, v38
	v_mul_f32_e32 v42, v41, v40
	v_add_f32_e32 v9, v9, v45
	v_fma_f32 v41, v40, v41, -v42
	v_fmac_f32_e32 v41, v40, v39
	v_add_f32_e32 v39, v42, v41
	v_sub_f32_e32 v44, v38, v39
	v_sub_f32_e32 v42, v39, v42
	;; [unrolled: 1-line block ×5, first 2 shown]
	v_add_f32_e32 v9, v9, v38
	v_add_f32_e32 v38, v43, v40
	v_add_f32_e32 v9, v39, v9
	v_sub_f32_e32 v39, v38, v43
	v_add_f32_e32 v9, v44, v9
	v_sub_f32_e32 v39, v40, v39
	v_mul_f32_e32 v9, v11, v9
	v_add_f32_e32 v9, v39, v9
	v_add_f32_e32 v11, v38, v9
	v_mul_f32_e32 v39, v11, v11
	v_fmaak_f32 v40, s16, v39, 0x3ecc95a3
	v_mul_f32_e32 v41, v11, v39
	v_fmaak_f32 v39, v39, v40, 0x3f2aaada
	v_ldexp_f32 v40, v11, 1
	v_sub_f32_e32 v11, v11, v38
	v_mul_f32_e32 v39, v41, v39
	v_mul_f32_e32 v41, 0x3f317218, v8
	v_sub_f32_e32 v9, v9, v11
	v_add_f32_e32 v38, v40, v39
	v_ldexp_f32 v9, v9, 1
	v_sub_f32_e32 v11, v38, v40
	v_fma_f32 v40, 0x3f317218, v8, -v41
	v_sub_f32_e32 v11, v39, v11
	v_fmamk_f32 v8, v8, 0xb102e308, v40
	v_add_f32_e32 v9, v9, v11
	v_add_f32_e32 v11, v41, v8
	;; [unrolled: 1-line block ×3, first 2 shown]
	v_sub_f32_e32 v41, v11, v41
	v_add_f32_e32 v40, v11, v39
	v_sub_f32_e32 v38, v39, v38
	v_sub_f32_e32 v8, v8, v41
	;; [unrolled: 1-line block ×6, first 2 shown]
	v_add_f32_e32 v39, v8, v9
	v_sub_f32_e32 v11, v11, v43
	v_add_f32_e32 v11, v38, v11
	v_sub_f32_e32 v38, v39, v8
	;; [unrolled: 2-line block ×3, first 2 shown]
	v_sub_f32_e32 v9, v9, v38
	v_add_f32_e32 v41, v40, v11
	v_sub_f32_e32 v8, v8, v39
	v_sub_f32_e32 v38, v41, v40
	v_add_f32_e32 v8, v9, v8
	v_sub_f32_e32 v9, v11, v38
	v_add_f32_e32 v8, v8, v9
	v_add_f32_e32 v8, v41, v8
	v_cndmask_b32_e32 v8, 0x7f800000, v8, vcc_lo
	v_cmp_gt_f32_e64 vcc_lo, 0x33800000, |v10|
	v_cndmask_b32_e32 v8, v8, v10, vcc_lo
	v_add_f32_e32 v8, v7, v8
.LBB446_51:
	s_or_b32 exec_lo, exec_lo, s15
	v_bfe_u32 v7, v8, 16, 1
	v_lshrrev_b32_e32 v9, 4, v0
	v_cmp_o_f32_e32 vcc_lo, v8, v8
	v_mov_b32_e32 v10, 0x7fc0
	v_cmp_gt_u32_e64 s17, 32, v0
	v_add3_u32 v7, v8, v7, 0x7fff
	v_and_b32_e32 v8, 2, v9
	v_cndmask_b32_sdwa v38, v10, v7, vcc_lo dst_sel:DWORD dst_unused:UNUSED_PAD src0_sel:DWORD src1_sel:WORD_1
	v_lshl_add_u32 v7, v0, 1, v8
	ds_write_b16 v7, v38
	s_waitcnt lgkmcnt(0)
	s_barrier
	buffer_gl0_inv
	s_and_saveexec_b32 s16, s17
	s_cbranch_execz .LBB446_79
; %bb.52:
	v_lshrrev_b32_e32 v7, 3, v0
	v_lshlrev_b32_e32 v8, 2, v0
	v_and_b32_e32 v7, 6, v7
	v_add_nc_u32_e32 v7, v7, v8
	ds_read_u16 v8, v7 offset:2
	ds_read_u16 v9, v7
	s_waitcnt lgkmcnt(1)
	v_lshlrev_b32_e32 v10, 16, v8
	s_waitcnt lgkmcnt(0)
	v_lshlrev_b32_e32 v8, 16, v9
	v_max_f32_e32 v11, v10, v10
	v_max_f32_e32 v9, v8, v8
	v_cmp_u_f32_e64 s15, v8, v8
	v_cmp_u_f32_e32 vcc_lo, v10, v10
	v_min_f32_e32 v39, v9, v11
	v_max_f32_e32 v11, v9, v11
	v_cndmask_b32_e64 v39, v39, v8, s15
	v_cndmask_b32_e64 v11, v11, v8, s15
	v_cndmask_b32_e32 v39, v39, v10, vcc_lo
	v_cndmask_b32_e32 v10, v11, v10, vcc_lo
	v_mov_b32_e32 v11, v8
	v_cmp_class_f32_e64 s24, v39, 0x1f8
	v_cmp_neq_f32_e32 vcc_lo, v39, v10
	s_or_b32 s25, vcc_lo, s24
	s_and_saveexec_b32 s24, s25
	s_cbranch_execz .LBB446_54
; %bb.53:
	v_sub_f32_e32 v11, v39, v10
	s_mov_b32 s25, 0x3e9b6dac
	v_mul_f32_e32 v39, 0x3fb8aa3b, v11
	v_cmp_ngt_f32_e32 vcc_lo, 0xc2ce8ed0, v11
	v_fma_f32 v40, 0x3fb8aa3b, v11, -v39
	v_rndne_f32_e32 v41, v39
	v_fmamk_f32 v40, v11, 0x32a5705f, v40
	v_sub_f32_e32 v39, v39, v41
	v_add_f32_e32 v39, v39, v40
	v_cvt_i32_f32_e32 v40, v41
	v_exp_f32_e32 v39, v39
	v_ldexp_f32 v39, v39, v40
	v_cndmask_b32_e32 v39, 0, v39, vcc_lo
	v_cmp_nlt_f32_e32 vcc_lo, 0x42b17218, v11
	v_cndmask_b32_e32 v11, 0x7f800000, v39, vcc_lo
	v_add_f32_e32 v41, 1.0, v11
	v_cvt_f64_f32_e32 v[39:40], v41
	v_frexp_exp_i32_f64_e32 v39, v[39:40]
	v_frexp_mant_f32_e32 v40, v41
	v_cmp_gt_f32_e32 vcc_lo, 0x3f2aaaab, v40
	v_add_f32_e32 v40, -1.0, v41
	v_sub_f32_e32 v43, v40, v41
	v_sub_f32_e32 v40, v11, v40
	v_add_f32_e32 v43, 1.0, v43
	v_add_f32_e32 v40, v40, v43
	v_subrev_co_ci_u32_e64 v39, null, 0, v39, vcc_lo
	v_cmp_neq_f32_e32 vcc_lo, 0x7f800000, v11
	v_sub_nc_u32_e32 v42, 0, v39
	v_cvt_f32_i32_e32 v39, v39
	v_ldexp_f32 v41, v41, v42
	v_ldexp_f32 v40, v40, v42
	v_add_f32_e32 v44, 1.0, v41
	v_add_f32_e32 v42, -1.0, v41
	v_add_f32_e32 v43, -1.0, v44
	v_add_f32_e32 v45, 1.0, v42
	v_sub_f32_e32 v43, v41, v43
	v_sub_f32_e32 v41, v41, v45
	v_add_f32_e32 v43, v40, v43
	v_add_f32_e32 v40, v40, v41
	;; [unrolled: 1-line block ×4, first 2 shown]
	v_rcp_f32_e32 v41, v45
	v_sub_f32_e32 v44, v44, v45
	v_sub_f32_e32 v42, v42, v46
	v_add_f32_e32 v43, v43, v44
	v_add_f32_e32 v40, v40, v42
	v_mul_f32_e32 v47, v46, v41
	v_mul_f32_e32 v48, v45, v47
	v_fma_f32 v44, v47, v45, -v48
	v_fmac_f32_e32 v44, v47, v43
	v_add_f32_e32 v49, v48, v44
	v_sub_f32_e32 v50, v46, v49
	v_sub_f32_e32 v42, v49, v48
	;; [unrolled: 1-line block ×5, first 2 shown]
	v_add_f32_e32 v40, v40, v46
	v_add_f32_e32 v40, v42, v40
	;; [unrolled: 1-line block ×3, first 2 shown]
	v_mul_f32_e32 v44, v41, v42
	v_sub_f32_e32 v49, v50, v42
	v_mul_f32_e32 v46, v45, v44
	v_add_f32_e32 v40, v40, v49
	v_fma_f32 v45, v44, v45, -v46
	v_fmac_f32_e32 v45, v44, v43
	v_add_f32_e32 v43, v46, v45
	v_sub_f32_e32 v48, v42, v43
	v_sub_f32_e32 v46, v43, v46
	;; [unrolled: 1-line block ×5, first 2 shown]
	v_add_f32_e32 v40, v40, v42
	v_add_f32_e32 v42, v47, v44
	;; [unrolled: 1-line block ×3, first 2 shown]
	v_sub_f32_e32 v43, v42, v47
	v_add_f32_e32 v40, v48, v40
	v_sub_f32_e32 v43, v44, v43
	v_mul_f32_e32 v40, v41, v40
	v_add_f32_e32 v40, v43, v40
	v_add_f32_e32 v41, v42, v40
	v_mul_f32_e32 v43, v41, v41
	v_fmaak_f32 v44, s25, v43, 0x3ecc95a3
	v_mul_f32_e32 v45, v41, v43
	v_fmaak_f32 v43, v43, v44, 0x3f2aaada
	v_ldexp_f32 v44, v41, 1
	v_sub_f32_e32 v41, v41, v42
	v_mul_f32_e32 v43, v45, v43
	v_mul_f32_e32 v45, 0x3f317218, v39
	v_sub_f32_e32 v40, v40, v41
	v_add_f32_e32 v42, v44, v43
	v_ldexp_f32 v40, v40, 1
	v_sub_f32_e32 v41, v42, v44
	v_fma_f32 v44, 0x3f317218, v39, -v45
	v_sub_f32_e32 v41, v43, v41
	v_fmamk_f32 v39, v39, 0xb102e308, v44
	v_add_f32_e32 v40, v40, v41
	v_add_f32_e32 v41, v45, v39
	;; [unrolled: 1-line block ×3, first 2 shown]
	v_sub_f32_e32 v45, v41, v45
	v_add_f32_e32 v44, v41, v43
	v_sub_f32_e32 v42, v43, v42
	v_sub_f32_e32 v39, v39, v45
	;; [unrolled: 1-line block ×6, first 2 shown]
	v_add_f32_e32 v43, v39, v40
	v_sub_f32_e32 v41, v41, v47
	v_add_f32_e32 v41, v42, v41
	v_sub_f32_e32 v42, v43, v39
	v_add_f32_e32 v41, v43, v41
	v_sub_f32_e32 v43, v43, v42
	v_sub_f32_e32 v40, v40, v42
	v_add_f32_e32 v45, v44, v41
	v_sub_f32_e32 v39, v39, v43
	v_sub_f32_e32 v42, v45, v44
	v_add_f32_e32 v39, v40, v39
	v_sub_f32_e32 v40, v41, v42
	v_add_f32_e32 v39, v39, v40
	v_add_f32_e32 v39, v45, v39
	v_cndmask_b32_e32 v39, 0x7f800000, v39, vcc_lo
	v_cmp_gt_f32_e64 vcc_lo, 0x33800000, |v11|
	v_cndmask_b32_e32 v11, v39, v11, vcc_lo
	v_add_f32_e32 v11, v10, v11
.LBB446_54:
	s_or_b32 exec_lo, exec_lo, s24
	v_bfe_u32 v10, v11, 16, 1
	v_cmp_o_f32_e32 vcc_lo, v11, v11
	v_mov_b32_e32 v39, 0x7fc0
	s_mov_b32 s24, exec_lo
	v_add3_u32 v10, v11, v10, 0x7fff
	v_cndmask_b32_sdwa v39, v39, v10, vcc_lo dst_sel:DWORD dst_unused:UNUSED_PAD src0_sel:DWORD src1_sel:WORD_1
	v_mbcnt_lo_u32_b32 v10, -1, 0
	v_and_b32_e32 v40, 0xffff, v39
	v_and_b32_e32 v11, 15, v10
	v_mov_b32_dpp v41, v40 row_shr:1 row_mask:0xf bank_mask:0xf
	v_cmpx_ne_u32_e32 0, v11
	s_xor_b32 s24, exec_lo, s24
	s_cbranch_execz .LBB446_58
; %bb.55:
	v_lshlrev_b32_e32 v39, 16, v40
	v_lshlrev_b32_e32 v40, 16, v41
	v_max_f32_e32 v41, v39, v39
	v_max_f32_e32 v42, v40, v40
	v_cmp_u_f32_e32 vcc_lo, v40, v40
	v_min_f32_e32 v43, v42, v41
	v_max_f32_e32 v41, v42, v41
	v_cndmask_b32_e32 v42, v43, v40, vcc_lo
	v_cndmask_b32_e32 v43, v41, v40, vcc_lo
	v_cmp_u_f32_e32 vcc_lo, v39, v39
	v_cndmask_b32_e32 v41, v42, v39, vcc_lo
	v_cndmask_b32_e32 v39, v43, v39, vcc_lo
	v_cmp_class_f32_e64 s25, v41, 0x1f8
	v_cmp_neq_f32_e32 vcc_lo, v41, v39
	s_or_b32 s26, vcc_lo, s25
	s_and_saveexec_b32 s25, s26
	s_cbranch_execz .LBB446_57
; %bb.56:
	v_sub_f32_e32 v40, v41, v39
	s_mov_b32 s26, 0x3e9b6dac
	v_mul_f32_e32 v41, 0x3fb8aa3b, v40
	v_cmp_ngt_f32_e32 vcc_lo, 0xc2ce8ed0, v40
	v_fma_f32 v42, 0x3fb8aa3b, v40, -v41
	v_rndne_f32_e32 v43, v41
	v_fmamk_f32 v42, v40, 0x32a5705f, v42
	v_sub_f32_e32 v41, v41, v43
	v_add_f32_e32 v41, v41, v42
	v_cvt_i32_f32_e32 v42, v43
	v_exp_f32_e32 v41, v41
	v_ldexp_f32 v41, v41, v42
	v_cndmask_b32_e32 v41, 0, v41, vcc_lo
	v_cmp_nlt_f32_e32 vcc_lo, 0x42b17218, v40
	v_cndmask_b32_e32 v42, 0x7f800000, v41, vcc_lo
	v_add_f32_e32 v43, 1.0, v42
	v_cvt_f64_f32_e32 v[40:41], v43
	v_frexp_exp_i32_f64_e32 v40, v[40:41]
	v_frexp_mant_f32_e32 v41, v43
	v_cmp_gt_f32_e32 vcc_lo, 0x3f2aaaab, v41
	v_add_f32_e32 v41, -1.0, v43
	v_sub_f32_e32 v45, v41, v43
	v_sub_f32_e32 v41, v42, v41
	v_add_f32_e32 v45, 1.0, v45
	v_add_f32_e32 v41, v41, v45
	v_subrev_co_ci_u32_e64 v40, null, 0, v40, vcc_lo
	v_cmp_neq_f32_e32 vcc_lo, 0x7f800000, v42
	v_sub_nc_u32_e32 v44, 0, v40
	v_cvt_f32_i32_e32 v40, v40
	v_ldexp_f32 v43, v43, v44
	v_ldexp_f32 v41, v41, v44
	v_add_f32_e32 v46, 1.0, v43
	v_add_f32_e32 v44, -1.0, v43
	v_add_f32_e32 v45, -1.0, v46
	v_add_f32_e32 v47, 1.0, v44
	v_sub_f32_e32 v45, v43, v45
	v_sub_f32_e32 v43, v43, v47
	v_add_f32_e32 v45, v41, v45
	v_add_f32_e32 v41, v41, v43
	;; [unrolled: 1-line block ×4, first 2 shown]
	v_rcp_f32_e32 v43, v47
	v_sub_f32_e32 v46, v46, v47
	v_sub_f32_e32 v44, v44, v48
	v_add_f32_e32 v45, v45, v46
	v_add_f32_e32 v41, v41, v44
	v_mul_f32_e32 v49, v48, v43
	v_mul_f32_e32 v50, v47, v49
	v_fma_f32 v46, v49, v47, -v50
	v_fmac_f32_e32 v46, v49, v45
	v_add_f32_e32 v51, v50, v46
	v_sub_f32_e32 v52, v48, v51
	v_sub_f32_e32 v44, v51, v50
	;; [unrolled: 1-line block ×5, first 2 shown]
	v_add_f32_e32 v41, v41, v48
	v_add_f32_e32 v41, v44, v41
	;; [unrolled: 1-line block ×3, first 2 shown]
	v_mul_f32_e32 v46, v43, v44
	v_sub_f32_e32 v51, v52, v44
	v_mul_f32_e32 v48, v47, v46
	v_add_f32_e32 v41, v41, v51
	v_fma_f32 v47, v46, v47, -v48
	v_fmac_f32_e32 v47, v46, v45
	v_add_f32_e32 v45, v48, v47
	v_sub_f32_e32 v50, v44, v45
	v_sub_f32_e32 v48, v45, v48
	;; [unrolled: 1-line block ×5, first 2 shown]
	v_add_f32_e32 v41, v41, v44
	v_add_f32_e32 v44, v49, v46
	;; [unrolled: 1-line block ×3, first 2 shown]
	v_sub_f32_e32 v45, v44, v49
	v_add_f32_e32 v41, v50, v41
	v_sub_f32_e32 v45, v46, v45
	v_mul_f32_e32 v41, v43, v41
	v_add_f32_e32 v41, v45, v41
	v_add_f32_e32 v43, v44, v41
	v_mul_f32_e32 v45, v43, v43
	v_fmaak_f32 v46, s26, v45, 0x3ecc95a3
	v_mul_f32_e32 v47, v43, v45
	v_fmaak_f32 v45, v45, v46, 0x3f2aaada
	v_ldexp_f32 v46, v43, 1
	v_sub_f32_e32 v43, v43, v44
	v_mul_f32_e32 v45, v47, v45
	v_mul_f32_e32 v47, 0x3f317218, v40
	v_sub_f32_e32 v41, v41, v43
	v_add_f32_e32 v44, v46, v45
	v_ldexp_f32 v41, v41, 1
	v_sub_f32_e32 v43, v44, v46
	v_fma_f32 v46, 0x3f317218, v40, -v47
	v_sub_f32_e32 v43, v45, v43
	v_fmamk_f32 v40, v40, 0xb102e308, v46
	v_add_f32_e32 v41, v41, v43
	v_add_f32_e32 v43, v47, v40
	;; [unrolled: 1-line block ×3, first 2 shown]
	v_sub_f32_e32 v47, v43, v47
	v_add_f32_e32 v46, v43, v45
	v_sub_f32_e32 v44, v45, v44
	v_sub_f32_e32 v40, v40, v47
	;; [unrolled: 1-line block ×6, first 2 shown]
	v_add_f32_e32 v45, v40, v41
	v_sub_f32_e32 v43, v43, v49
	v_add_f32_e32 v43, v44, v43
	v_sub_f32_e32 v44, v45, v40
	;; [unrolled: 2-line block ×3, first 2 shown]
	v_sub_f32_e32 v41, v41, v44
	v_add_f32_e32 v47, v46, v43
	v_sub_f32_e32 v40, v40, v45
	v_sub_f32_e32 v44, v47, v46
	v_add_f32_e32 v40, v41, v40
	v_sub_f32_e32 v41, v43, v44
	v_add_f32_e32 v40, v40, v41
	v_add_f32_e32 v40, v47, v40
	v_cndmask_b32_e32 v40, 0x7f800000, v40, vcc_lo
	v_cmp_gt_f32_e64 vcc_lo, 0x33800000, |v42|
	v_cndmask_b32_e32 v40, v40, v42, vcc_lo
	v_add_f32_e32 v40, v39, v40
.LBB446_57:
	s_or_b32 exec_lo, exec_lo, s25
	v_bfe_u32 v39, v40, 16, 1
	v_cmp_o_f32_e32 vcc_lo, v40, v40
	v_add3_u32 v39, v40, v39, 0x7fff
	v_mov_b32_e32 v40, 0x7fc0
	v_cndmask_b32_sdwa v39, v40, v39, vcc_lo dst_sel:DWORD dst_unused:UNUSED_PAD src0_sel:DWORD src1_sel:WORD_1
	v_and_b32_e32 v40, 0xffff, v39
.LBB446_58:
	s_or_b32 exec_lo, exec_lo, s24
	v_mov_b32_dpp v41, v40 row_shr:2 row_mask:0xf bank_mask:0xf
	s_mov_b32 s24, exec_lo
	v_cmpx_lt_u32_e32 1, v11
	s_cbranch_execz .LBB446_62
; %bb.59:
	v_lshlrev_b32_e32 v39, 16, v40
	v_lshlrev_b32_e32 v40, 16, v41
	v_max_f32_e32 v41, v39, v39
	v_max_f32_e32 v42, v40, v40
	v_cmp_u_f32_e32 vcc_lo, v40, v40
	v_min_f32_e32 v43, v42, v41
	v_max_f32_e32 v41, v42, v41
	v_cndmask_b32_e32 v42, v43, v40, vcc_lo
	v_cndmask_b32_e32 v43, v41, v40, vcc_lo
	v_cmp_u_f32_e32 vcc_lo, v39, v39
	v_cndmask_b32_e32 v41, v42, v39, vcc_lo
	v_cndmask_b32_e32 v39, v43, v39, vcc_lo
	v_cmp_class_f32_e64 s25, v41, 0x1f8
	v_cmp_neq_f32_e32 vcc_lo, v41, v39
	s_or_b32 s26, vcc_lo, s25
	s_and_saveexec_b32 s25, s26
	s_cbranch_execz .LBB446_61
; %bb.60:
	v_sub_f32_e32 v40, v41, v39
	s_mov_b32 s26, 0x3e9b6dac
	v_mul_f32_e32 v41, 0x3fb8aa3b, v40
	v_cmp_ngt_f32_e32 vcc_lo, 0xc2ce8ed0, v40
	v_fma_f32 v42, 0x3fb8aa3b, v40, -v41
	v_rndne_f32_e32 v43, v41
	v_fmamk_f32 v42, v40, 0x32a5705f, v42
	v_sub_f32_e32 v41, v41, v43
	v_add_f32_e32 v41, v41, v42
	v_cvt_i32_f32_e32 v42, v43
	v_exp_f32_e32 v41, v41
	v_ldexp_f32 v41, v41, v42
	v_cndmask_b32_e32 v41, 0, v41, vcc_lo
	v_cmp_nlt_f32_e32 vcc_lo, 0x42b17218, v40
	v_cndmask_b32_e32 v42, 0x7f800000, v41, vcc_lo
	v_add_f32_e32 v43, 1.0, v42
	v_cvt_f64_f32_e32 v[40:41], v43
	v_frexp_exp_i32_f64_e32 v40, v[40:41]
	v_frexp_mant_f32_e32 v41, v43
	v_cmp_gt_f32_e32 vcc_lo, 0x3f2aaaab, v41
	v_add_f32_e32 v41, -1.0, v43
	v_sub_f32_e32 v45, v41, v43
	v_sub_f32_e32 v41, v42, v41
	v_add_f32_e32 v45, 1.0, v45
	v_add_f32_e32 v41, v41, v45
	v_subrev_co_ci_u32_e64 v40, null, 0, v40, vcc_lo
	v_cmp_neq_f32_e32 vcc_lo, 0x7f800000, v42
	v_sub_nc_u32_e32 v44, 0, v40
	v_cvt_f32_i32_e32 v40, v40
	v_ldexp_f32 v43, v43, v44
	v_ldexp_f32 v41, v41, v44
	v_add_f32_e32 v46, 1.0, v43
	v_add_f32_e32 v44, -1.0, v43
	v_add_f32_e32 v45, -1.0, v46
	v_add_f32_e32 v47, 1.0, v44
	v_sub_f32_e32 v45, v43, v45
	v_sub_f32_e32 v43, v43, v47
	v_add_f32_e32 v45, v41, v45
	v_add_f32_e32 v41, v41, v43
	v_add_f32_e32 v47, v46, v45
	v_add_f32_e32 v48, v44, v41
	v_rcp_f32_e32 v43, v47
	v_sub_f32_e32 v46, v46, v47
	v_sub_f32_e32 v44, v44, v48
	v_add_f32_e32 v45, v45, v46
	v_add_f32_e32 v41, v41, v44
	v_mul_f32_e32 v49, v48, v43
	v_mul_f32_e32 v50, v47, v49
	v_fma_f32 v46, v49, v47, -v50
	v_fmac_f32_e32 v46, v49, v45
	v_add_f32_e32 v51, v50, v46
	v_sub_f32_e32 v52, v48, v51
	v_sub_f32_e32 v44, v51, v50
	;; [unrolled: 1-line block ×5, first 2 shown]
	v_add_f32_e32 v41, v41, v48
	v_add_f32_e32 v41, v44, v41
	;; [unrolled: 1-line block ×3, first 2 shown]
	v_mul_f32_e32 v46, v43, v44
	v_sub_f32_e32 v51, v52, v44
	v_mul_f32_e32 v48, v47, v46
	v_add_f32_e32 v41, v41, v51
	v_fma_f32 v47, v46, v47, -v48
	v_fmac_f32_e32 v47, v46, v45
	v_add_f32_e32 v45, v48, v47
	v_sub_f32_e32 v50, v44, v45
	v_sub_f32_e32 v48, v45, v48
	;; [unrolled: 1-line block ×5, first 2 shown]
	v_add_f32_e32 v41, v41, v44
	v_add_f32_e32 v44, v49, v46
	;; [unrolled: 1-line block ×3, first 2 shown]
	v_sub_f32_e32 v45, v44, v49
	v_add_f32_e32 v41, v50, v41
	v_sub_f32_e32 v45, v46, v45
	v_mul_f32_e32 v41, v43, v41
	v_add_f32_e32 v41, v45, v41
	v_add_f32_e32 v43, v44, v41
	v_mul_f32_e32 v45, v43, v43
	v_fmaak_f32 v46, s26, v45, 0x3ecc95a3
	v_mul_f32_e32 v47, v43, v45
	v_fmaak_f32 v45, v45, v46, 0x3f2aaada
	v_ldexp_f32 v46, v43, 1
	v_sub_f32_e32 v43, v43, v44
	v_mul_f32_e32 v45, v47, v45
	v_mul_f32_e32 v47, 0x3f317218, v40
	v_sub_f32_e32 v41, v41, v43
	v_add_f32_e32 v44, v46, v45
	v_ldexp_f32 v41, v41, 1
	v_sub_f32_e32 v43, v44, v46
	v_fma_f32 v46, 0x3f317218, v40, -v47
	v_sub_f32_e32 v43, v45, v43
	v_fmamk_f32 v40, v40, 0xb102e308, v46
	v_add_f32_e32 v41, v41, v43
	v_add_f32_e32 v43, v47, v40
	;; [unrolled: 1-line block ×3, first 2 shown]
	v_sub_f32_e32 v47, v43, v47
	v_add_f32_e32 v46, v43, v45
	v_sub_f32_e32 v44, v45, v44
	v_sub_f32_e32 v40, v40, v47
	;; [unrolled: 1-line block ×6, first 2 shown]
	v_add_f32_e32 v45, v40, v41
	v_sub_f32_e32 v43, v43, v49
	v_add_f32_e32 v43, v44, v43
	v_sub_f32_e32 v44, v45, v40
	;; [unrolled: 2-line block ×3, first 2 shown]
	v_sub_f32_e32 v41, v41, v44
	v_add_f32_e32 v47, v46, v43
	v_sub_f32_e32 v40, v40, v45
	v_sub_f32_e32 v44, v47, v46
	v_add_f32_e32 v40, v41, v40
	v_sub_f32_e32 v41, v43, v44
	v_add_f32_e32 v40, v40, v41
	v_add_f32_e32 v40, v47, v40
	v_cndmask_b32_e32 v40, 0x7f800000, v40, vcc_lo
	v_cmp_gt_f32_e64 vcc_lo, 0x33800000, |v42|
	v_cndmask_b32_e32 v40, v40, v42, vcc_lo
	v_add_f32_e32 v40, v39, v40
.LBB446_61:
	s_or_b32 exec_lo, exec_lo, s25
	v_bfe_u32 v39, v40, 16, 1
	v_cmp_o_f32_e32 vcc_lo, v40, v40
	v_add3_u32 v39, v40, v39, 0x7fff
	v_mov_b32_e32 v40, 0x7fc0
	v_cndmask_b32_sdwa v39, v40, v39, vcc_lo dst_sel:DWORD dst_unused:UNUSED_PAD src0_sel:DWORD src1_sel:WORD_1
	v_and_b32_e32 v40, 0xffff, v39
.LBB446_62:
	s_or_b32 exec_lo, exec_lo, s24
	v_mov_b32_dpp v41, v40 row_shr:4 row_mask:0xf bank_mask:0xf
	s_mov_b32 s24, exec_lo
	v_cmpx_lt_u32_e32 3, v11
	s_cbranch_execz .LBB446_66
; %bb.63:
	v_lshlrev_b32_e32 v39, 16, v40
	v_lshlrev_b32_e32 v40, 16, v41
	v_max_f32_e32 v41, v39, v39
	v_max_f32_e32 v42, v40, v40
	v_cmp_u_f32_e32 vcc_lo, v40, v40
	v_min_f32_e32 v43, v42, v41
	v_max_f32_e32 v41, v42, v41
	v_cndmask_b32_e32 v42, v43, v40, vcc_lo
	v_cndmask_b32_e32 v43, v41, v40, vcc_lo
	v_cmp_u_f32_e32 vcc_lo, v39, v39
	v_cndmask_b32_e32 v41, v42, v39, vcc_lo
	v_cndmask_b32_e32 v39, v43, v39, vcc_lo
	v_cmp_class_f32_e64 s25, v41, 0x1f8
	v_cmp_neq_f32_e32 vcc_lo, v41, v39
	s_or_b32 s26, vcc_lo, s25
	s_and_saveexec_b32 s25, s26
	s_cbranch_execz .LBB446_65
; %bb.64:
	v_sub_f32_e32 v40, v41, v39
	s_mov_b32 s26, 0x3e9b6dac
	v_mul_f32_e32 v41, 0x3fb8aa3b, v40
	v_cmp_ngt_f32_e32 vcc_lo, 0xc2ce8ed0, v40
	v_fma_f32 v42, 0x3fb8aa3b, v40, -v41
	v_rndne_f32_e32 v43, v41
	v_fmamk_f32 v42, v40, 0x32a5705f, v42
	v_sub_f32_e32 v41, v41, v43
	v_add_f32_e32 v41, v41, v42
	v_cvt_i32_f32_e32 v42, v43
	v_exp_f32_e32 v41, v41
	v_ldexp_f32 v41, v41, v42
	v_cndmask_b32_e32 v41, 0, v41, vcc_lo
	v_cmp_nlt_f32_e32 vcc_lo, 0x42b17218, v40
	v_cndmask_b32_e32 v42, 0x7f800000, v41, vcc_lo
	v_add_f32_e32 v43, 1.0, v42
	v_cvt_f64_f32_e32 v[40:41], v43
	v_frexp_exp_i32_f64_e32 v40, v[40:41]
	v_frexp_mant_f32_e32 v41, v43
	v_cmp_gt_f32_e32 vcc_lo, 0x3f2aaaab, v41
	v_add_f32_e32 v41, -1.0, v43
	v_sub_f32_e32 v45, v41, v43
	v_sub_f32_e32 v41, v42, v41
	v_add_f32_e32 v45, 1.0, v45
	v_add_f32_e32 v41, v41, v45
	v_subrev_co_ci_u32_e64 v40, null, 0, v40, vcc_lo
	v_cmp_neq_f32_e32 vcc_lo, 0x7f800000, v42
	v_sub_nc_u32_e32 v44, 0, v40
	v_cvt_f32_i32_e32 v40, v40
	v_ldexp_f32 v43, v43, v44
	v_ldexp_f32 v41, v41, v44
	v_add_f32_e32 v46, 1.0, v43
	v_add_f32_e32 v44, -1.0, v43
	v_add_f32_e32 v45, -1.0, v46
	v_add_f32_e32 v47, 1.0, v44
	v_sub_f32_e32 v45, v43, v45
	v_sub_f32_e32 v43, v43, v47
	v_add_f32_e32 v45, v41, v45
	v_add_f32_e32 v41, v41, v43
	;; [unrolled: 1-line block ×4, first 2 shown]
	v_rcp_f32_e32 v43, v47
	v_sub_f32_e32 v46, v46, v47
	v_sub_f32_e32 v44, v44, v48
	v_add_f32_e32 v45, v45, v46
	v_add_f32_e32 v41, v41, v44
	v_mul_f32_e32 v49, v48, v43
	v_mul_f32_e32 v50, v47, v49
	v_fma_f32 v46, v49, v47, -v50
	v_fmac_f32_e32 v46, v49, v45
	v_add_f32_e32 v51, v50, v46
	v_sub_f32_e32 v52, v48, v51
	v_sub_f32_e32 v44, v51, v50
	;; [unrolled: 1-line block ×5, first 2 shown]
	v_add_f32_e32 v41, v41, v48
	v_add_f32_e32 v41, v44, v41
	;; [unrolled: 1-line block ×3, first 2 shown]
	v_mul_f32_e32 v46, v43, v44
	v_sub_f32_e32 v51, v52, v44
	v_mul_f32_e32 v48, v47, v46
	v_add_f32_e32 v41, v41, v51
	v_fma_f32 v47, v46, v47, -v48
	v_fmac_f32_e32 v47, v46, v45
	v_add_f32_e32 v45, v48, v47
	v_sub_f32_e32 v50, v44, v45
	v_sub_f32_e32 v48, v45, v48
	;; [unrolled: 1-line block ×5, first 2 shown]
	v_add_f32_e32 v41, v41, v44
	v_add_f32_e32 v44, v49, v46
	;; [unrolled: 1-line block ×3, first 2 shown]
	v_sub_f32_e32 v45, v44, v49
	v_add_f32_e32 v41, v50, v41
	v_sub_f32_e32 v45, v46, v45
	v_mul_f32_e32 v41, v43, v41
	v_add_f32_e32 v41, v45, v41
	v_add_f32_e32 v43, v44, v41
	v_mul_f32_e32 v45, v43, v43
	v_fmaak_f32 v46, s26, v45, 0x3ecc95a3
	v_mul_f32_e32 v47, v43, v45
	v_fmaak_f32 v45, v45, v46, 0x3f2aaada
	v_ldexp_f32 v46, v43, 1
	v_sub_f32_e32 v43, v43, v44
	v_mul_f32_e32 v45, v47, v45
	v_mul_f32_e32 v47, 0x3f317218, v40
	v_sub_f32_e32 v41, v41, v43
	v_add_f32_e32 v44, v46, v45
	v_ldexp_f32 v41, v41, 1
	v_sub_f32_e32 v43, v44, v46
	v_fma_f32 v46, 0x3f317218, v40, -v47
	v_sub_f32_e32 v43, v45, v43
	v_fmamk_f32 v40, v40, 0xb102e308, v46
	v_add_f32_e32 v41, v41, v43
	v_add_f32_e32 v43, v47, v40
	;; [unrolled: 1-line block ×3, first 2 shown]
	v_sub_f32_e32 v47, v43, v47
	v_add_f32_e32 v46, v43, v45
	v_sub_f32_e32 v44, v45, v44
	v_sub_f32_e32 v40, v40, v47
	;; [unrolled: 1-line block ×6, first 2 shown]
	v_add_f32_e32 v45, v40, v41
	v_sub_f32_e32 v43, v43, v49
	v_add_f32_e32 v43, v44, v43
	v_sub_f32_e32 v44, v45, v40
	;; [unrolled: 2-line block ×3, first 2 shown]
	v_sub_f32_e32 v41, v41, v44
	v_add_f32_e32 v47, v46, v43
	v_sub_f32_e32 v40, v40, v45
	v_sub_f32_e32 v44, v47, v46
	v_add_f32_e32 v40, v41, v40
	v_sub_f32_e32 v41, v43, v44
	v_add_f32_e32 v40, v40, v41
	v_add_f32_e32 v40, v47, v40
	v_cndmask_b32_e32 v40, 0x7f800000, v40, vcc_lo
	v_cmp_gt_f32_e64 vcc_lo, 0x33800000, |v42|
	v_cndmask_b32_e32 v40, v40, v42, vcc_lo
	v_add_f32_e32 v40, v39, v40
.LBB446_65:
	s_or_b32 exec_lo, exec_lo, s25
	v_bfe_u32 v39, v40, 16, 1
	v_cmp_o_f32_e32 vcc_lo, v40, v40
	v_add3_u32 v39, v40, v39, 0x7fff
	v_mov_b32_e32 v40, 0x7fc0
	v_cndmask_b32_sdwa v39, v40, v39, vcc_lo dst_sel:DWORD dst_unused:UNUSED_PAD src0_sel:DWORD src1_sel:WORD_1
	v_and_b32_e32 v40, 0xffff, v39
.LBB446_66:
	s_or_b32 exec_lo, exec_lo, s24
	v_mov_b32_dpp v41, v40 row_shr:8 row_mask:0xf bank_mask:0xf
	s_mov_b32 s24, exec_lo
	v_cmpx_lt_u32_e32 7, v11
	s_cbranch_execz .LBB446_70
; %bb.67:
	v_lshlrev_b32_e32 v11, 16, v40
	v_lshlrev_b32_e32 v39, 16, v41
	v_max_f32_e32 v40, v11, v11
	v_max_f32_e32 v41, v39, v39
	v_cmp_u_f32_e32 vcc_lo, v39, v39
	v_min_f32_e32 v42, v41, v40
	v_max_f32_e32 v40, v41, v40
	v_cndmask_b32_e32 v41, v42, v39, vcc_lo
	v_cndmask_b32_e32 v42, v40, v39, vcc_lo
	v_cmp_u_f32_e32 vcc_lo, v11, v11
	v_cndmask_b32_e32 v40, v41, v11, vcc_lo
	v_cndmask_b32_e32 v11, v42, v11, vcc_lo
	v_cmp_class_f32_e64 s25, v40, 0x1f8
	v_cmp_neq_f32_e32 vcc_lo, v40, v11
	s_or_b32 s26, vcc_lo, s25
	s_and_saveexec_b32 s25, s26
	s_cbranch_execz .LBB446_69
; %bb.68:
	v_sub_f32_e32 v39, v40, v11
	s_mov_b32 s26, 0x3e9b6dac
	v_mul_f32_e32 v40, 0x3fb8aa3b, v39
	v_cmp_ngt_f32_e32 vcc_lo, 0xc2ce8ed0, v39
	v_fma_f32 v41, 0x3fb8aa3b, v39, -v40
	v_rndne_f32_e32 v42, v40
	v_fmamk_f32 v41, v39, 0x32a5705f, v41
	v_sub_f32_e32 v40, v40, v42
	v_add_f32_e32 v40, v40, v41
	v_cvt_i32_f32_e32 v41, v42
	v_exp_f32_e32 v40, v40
	v_ldexp_f32 v40, v40, v41
	v_cndmask_b32_e32 v40, 0, v40, vcc_lo
	v_cmp_nlt_f32_e32 vcc_lo, 0x42b17218, v39
	v_cndmask_b32_e32 v41, 0x7f800000, v40, vcc_lo
	v_add_f32_e32 v42, 1.0, v41
	v_cvt_f64_f32_e32 v[39:40], v42
	v_frexp_exp_i32_f64_e32 v39, v[39:40]
	v_frexp_mant_f32_e32 v40, v42
	v_cmp_gt_f32_e32 vcc_lo, 0x3f2aaaab, v40
	v_add_f32_e32 v40, -1.0, v42
	v_sub_f32_e32 v44, v40, v42
	v_sub_f32_e32 v40, v41, v40
	v_add_f32_e32 v44, 1.0, v44
	v_add_f32_e32 v40, v40, v44
	v_subrev_co_ci_u32_e64 v39, null, 0, v39, vcc_lo
	v_cmp_neq_f32_e32 vcc_lo, 0x7f800000, v41
	v_sub_nc_u32_e32 v43, 0, v39
	v_cvt_f32_i32_e32 v39, v39
	v_ldexp_f32 v42, v42, v43
	v_ldexp_f32 v40, v40, v43
	v_add_f32_e32 v45, 1.0, v42
	v_add_f32_e32 v43, -1.0, v42
	v_add_f32_e32 v44, -1.0, v45
	v_add_f32_e32 v46, 1.0, v43
	v_sub_f32_e32 v44, v42, v44
	v_sub_f32_e32 v42, v42, v46
	v_add_f32_e32 v44, v40, v44
	v_add_f32_e32 v40, v40, v42
	;; [unrolled: 1-line block ×4, first 2 shown]
	v_rcp_f32_e32 v42, v46
	v_sub_f32_e32 v45, v45, v46
	v_sub_f32_e32 v43, v43, v47
	v_add_f32_e32 v44, v44, v45
	v_add_f32_e32 v40, v40, v43
	v_mul_f32_e32 v48, v47, v42
	v_mul_f32_e32 v49, v46, v48
	v_fma_f32 v45, v48, v46, -v49
	v_fmac_f32_e32 v45, v48, v44
	v_add_f32_e32 v50, v49, v45
	v_sub_f32_e32 v51, v47, v50
	v_sub_f32_e32 v43, v50, v49
	v_sub_f32_e32 v47, v47, v51
	v_sub_f32_e32 v43, v43, v45
	v_sub_f32_e32 v47, v47, v50
	v_add_f32_e32 v40, v40, v47
	v_add_f32_e32 v40, v43, v40
	;; [unrolled: 1-line block ×3, first 2 shown]
	v_mul_f32_e32 v45, v42, v43
	v_sub_f32_e32 v50, v51, v43
	v_mul_f32_e32 v47, v46, v45
	v_add_f32_e32 v40, v40, v50
	v_fma_f32 v46, v45, v46, -v47
	v_fmac_f32_e32 v46, v45, v44
	v_add_f32_e32 v44, v47, v46
	v_sub_f32_e32 v49, v43, v44
	v_sub_f32_e32 v47, v44, v47
	;; [unrolled: 1-line block ×5, first 2 shown]
	v_add_f32_e32 v40, v40, v43
	v_add_f32_e32 v43, v48, v45
	;; [unrolled: 1-line block ×3, first 2 shown]
	v_sub_f32_e32 v44, v43, v48
	v_add_f32_e32 v40, v49, v40
	v_sub_f32_e32 v44, v45, v44
	v_mul_f32_e32 v40, v42, v40
	v_add_f32_e32 v40, v44, v40
	v_add_f32_e32 v42, v43, v40
	v_mul_f32_e32 v44, v42, v42
	v_fmaak_f32 v45, s26, v44, 0x3ecc95a3
	v_mul_f32_e32 v46, v42, v44
	v_fmaak_f32 v44, v44, v45, 0x3f2aaada
	v_ldexp_f32 v45, v42, 1
	v_sub_f32_e32 v42, v42, v43
	v_mul_f32_e32 v44, v46, v44
	v_mul_f32_e32 v46, 0x3f317218, v39
	v_sub_f32_e32 v40, v40, v42
	v_add_f32_e32 v43, v45, v44
	v_ldexp_f32 v40, v40, 1
	v_sub_f32_e32 v42, v43, v45
	v_fma_f32 v45, 0x3f317218, v39, -v46
	v_sub_f32_e32 v42, v44, v42
	v_fmamk_f32 v39, v39, 0xb102e308, v45
	v_add_f32_e32 v40, v40, v42
	v_add_f32_e32 v42, v46, v39
	;; [unrolled: 1-line block ×3, first 2 shown]
	v_sub_f32_e32 v46, v42, v46
	v_add_f32_e32 v45, v42, v44
	v_sub_f32_e32 v43, v44, v43
	v_sub_f32_e32 v39, v39, v46
	;; [unrolled: 1-line block ×6, first 2 shown]
	v_add_f32_e32 v44, v39, v40
	v_sub_f32_e32 v42, v42, v48
	v_add_f32_e32 v42, v43, v42
	v_sub_f32_e32 v43, v44, v39
	;; [unrolled: 2-line block ×3, first 2 shown]
	v_sub_f32_e32 v40, v40, v43
	v_add_f32_e32 v46, v45, v42
	v_sub_f32_e32 v39, v39, v44
	v_sub_f32_e32 v43, v46, v45
	v_add_f32_e32 v39, v40, v39
	v_sub_f32_e32 v40, v42, v43
	v_add_f32_e32 v39, v39, v40
	v_add_f32_e32 v39, v46, v39
	v_cndmask_b32_e32 v39, 0x7f800000, v39, vcc_lo
	v_cmp_gt_f32_e64 vcc_lo, 0x33800000, |v41|
	v_cndmask_b32_e32 v39, v39, v41, vcc_lo
	v_add_f32_e32 v39, v11, v39
.LBB446_69:
	s_or_b32 exec_lo, exec_lo, s25
	v_bfe_u32 v11, v39, 16, 1
	v_cmp_o_f32_e32 vcc_lo, v39, v39
	v_add3_u32 v11, v39, v11, 0x7fff
	v_mov_b32_e32 v39, 0x7fc0
	v_cndmask_b32_sdwa v39, v39, v11, vcc_lo dst_sel:DWORD dst_unused:UNUSED_PAD src0_sel:DWORD src1_sel:WORD_1
	v_and_b32_e32 v40, 0xffff, v39
.LBB446_70:
	s_or_b32 exec_lo, exec_lo, s24
	ds_swizzle_b32 v11, v40 offset:swizzle(BROADCAST,32,15)
	v_and_b32_e32 v41, 16, v10
	s_mov_b32 s24, exec_lo
	v_cmpx_ne_u32_e32 0, v41
	s_cbranch_execz .LBB446_74
; %bb.71:
	v_lshlrev_b32_e32 v41, 16, v40
	s_waitcnt lgkmcnt(0)
	v_lshlrev_b32_e32 v39, 16, v11
	v_max_f32_e32 v11, v41, v41
	v_max_f32_e32 v40, v39, v39
	v_cmp_u_f32_e32 vcc_lo, v39, v39
	v_min_f32_e32 v42, v40, v11
	v_max_f32_e32 v11, v40, v11
	v_cndmask_b32_e32 v40, v42, v39, vcc_lo
	v_cndmask_b32_e32 v11, v11, v39, vcc_lo
	v_cmp_u_f32_e32 vcc_lo, v41, v41
	v_cndmask_b32_e32 v40, v40, v41, vcc_lo
	v_cndmask_b32_e32 v11, v11, v41, vcc_lo
	v_cmp_class_f32_e64 s25, v40, 0x1f8
	v_cmp_neq_f32_e32 vcc_lo, v40, v11
	s_or_b32 s26, vcc_lo, s25
	s_and_saveexec_b32 s25, s26
	s_cbranch_execz .LBB446_73
; %bb.72:
	v_sub_f32_e32 v39, v40, v11
	s_mov_b32 s26, 0x3e9b6dac
	v_mul_f32_e32 v40, 0x3fb8aa3b, v39
	v_cmp_ngt_f32_e32 vcc_lo, 0xc2ce8ed0, v39
	v_fma_f32 v41, 0x3fb8aa3b, v39, -v40
	v_rndne_f32_e32 v42, v40
	v_fmamk_f32 v41, v39, 0x32a5705f, v41
	v_sub_f32_e32 v40, v40, v42
	v_add_f32_e32 v40, v40, v41
	v_cvt_i32_f32_e32 v41, v42
	v_exp_f32_e32 v40, v40
	v_ldexp_f32 v40, v40, v41
	v_cndmask_b32_e32 v40, 0, v40, vcc_lo
	v_cmp_nlt_f32_e32 vcc_lo, 0x42b17218, v39
	v_cndmask_b32_e32 v41, 0x7f800000, v40, vcc_lo
	v_add_f32_e32 v42, 1.0, v41
	v_cvt_f64_f32_e32 v[39:40], v42
	v_frexp_exp_i32_f64_e32 v39, v[39:40]
	v_frexp_mant_f32_e32 v40, v42
	v_cmp_gt_f32_e32 vcc_lo, 0x3f2aaaab, v40
	v_add_f32_e32 v40, -1.0, v42
	v_sub_f32_e32 v44, v40, v42
	v_sub_f32_e32 v40, v41, v40
	v_add_f32_e32 v44, 1.0, v44
	v_add_f32_e32 v40, v40, v44
	v_subrev_co_ci_u32_e64 v39, null, 0, v39, vcc_lo
	v_cmp_neq_f32_e32 vcc_lo, 0x7f800000, v41
	v_sub_nc_u32_e32 v43, 0, v39
	v_cvt_f32_i32_e32 v39, v39
	v_ldexp_f32 v42, v42, v43
	v_ldexp_f32 v40, v40, v43
	v_add_f32_e32 v45, 1.0, v42
	v_add_f32_e32 v43, -1.0, v42
	v_add_f32_e32 v44, -1.0, v45
	v_add_f32_e32 v46, 1.0, v43
	v_sub_f32_e32 v44, v42, v44
	v_sub_f32_e32 v42, v42, v46
	v_add_f32_e32 v44, v40, v44
	v_add_f32_e32 v40, v40, v42
	;; [unrolled: 1-line block ×4, first 2 shown]
	v_rcp_f32_e32 v42, v46
	v_sub_f32_e32 v45, v45, v46
	v_sub_f32_e32 v43, v43, v47
	v_add_f32_e32 v44, v44, v45
	v_add_f32_e32 v40, v40, v43
	v_mul_f32_e32 v48, v47, v42
	v_mul_f32_e32 v49, v46, v48
	v_fma_f32 v45, v48, v46, -v49
	v_fmac_f32_e32 v45, v48, v44
	v_add_f32_e32 v50, v49, v45
	v_sub_f32_e32 v51, v47, v50
	v_sub_f32_e32 v43, v50, v49
	;; [unrolled: 1-line block ×5, first 2 shown]
	v_add_f32_e32 v40, v40, v47
	v_add_f32_e32 v40, v43, v40
	;; [unrolled: 1-line block ×3, first 2 shown]
	v_mul_f32_e32 v45, v42, v43
	v_sub_f32_e32 v50, v51, v43
	v_mul_f32_e32 v47, v46, v45
	v_add_f32_e32 v40, v40, v50
	v_fma_f32 v46, v45, v46, -v47
	v_fmac_f32_e32 v46, v45, v44
	v_add_f32_e32 v44, v47, v46
	v_sub_f32_e32 v49, v43, v44
	v_sub_f32_e32 v47, v44, v47
	;; [unrolled: 1-line block ×5, first 2 shown]
	v_add_f32_e32 v40, v40, v43
	v_add_f32_e32 v43, v48, v45
	;; [unrolled: 1-line block ×3, first 2 shown]
	v_sub_f32_e32 v44, v43, v48
	v_add_f32_e32 v40, v49, v40
	v_sub_f32_e32 v44, v45, v44
	v_mul_f32_e32 v40, v42, v40
	v_add_f32_e32 v40, v44, v40
	v_add_f32_e32 v42, v43, v40
	v_mul_f32_e32 v44, v42, v42
	v_fmaak_f32 v45, s26, v44, 0x3ecc95a3
	v_mul_f32_e32 v46, v42, v44
	v_fmaak_f32 v44, v44, v45, 0x3f2aaada
	v_ldexp_f32 v45, v42, 1
	v_sub_f32_e32 v42, v42, v43
	v_mul_f32_e32 v44, v46, v44
	v_mul_f32_e32 v46, 0x3f317218, v39
	v_sub_f32_e32 v40, v40, v42
	v_add_f32_e32 v43, v45, v44
	v_ldexp_f32 v40, v40, 1
	v_sub_f32_e32 v42, v43, v45
	v_fma_f32 v45, 0x3f317218, v39, -v46
	v_sub_f32_e32 v42, v44, v42
	v_fmamk_f32 v39, v39, 0xb102e308, v45
	v_add_f32_e32 v40, v40, v42
	v_add_f32_e32 v42, v46, v39
	;; [unrolled: 1-line block ×3, first 2 shown]
	v_sub_f32_e32 v46, v42, v46
	v_add_f32_e32 v45, v42, v44
	v_sub_f32_e32 v43, v44, v43
	v_sub_f32_e32 v39, v39, v46
	;; [unrolled: 1-line block ×6, first 2 shown]
	v_add_f32_e32 v44, v39, v40
	v_sub_f32_e32 v42, v42, v48
	v_add_f32_e32 v42, v43, v42
	v_sub_f32_e32 v43, v44, v39
	;; [unrolled: 2-line block ×3, first 2 shown]
	v_sub_f32_e32 v40, v40, v43
	v_add_f32_e32 v46, v45, v42
	v_sub_f32_e32 v39, v39, v44
	v_sub_f32_e32 v43, v46, v45
	v_add_f32_e32 v39, v40, v39
	v_sub_f32_e32 v40, v42, v43
	v_add_f32_e32 v39, v39, v40
	v_add_f32_e32 v39, v46, v39
	v_cndmask_b32_e32 v39, 0x7f800000, v39, vcc_lo
	v_cmp_gt_f32_e64 vcc_lo, 0x33800000, |v41|
	v_cndmask_b32_e32 v39, v39, v41, vcc_lo
	v_add_f32_e32 v39, v11, v39
.LBB446_73:
	s_or_b32 exec_lo, exec_lo, s25
	v_bfe_u32 v11, v39, 16, 1
	v_cmp_o_f32_e32 vcc_lo, v39, v39
	v_add3_u32 v11, v39, v11, 0x7fff
	v_mov_b32_e32 v39, 0x7fc0
	v_cndmask_b32_sdwa v39, v39, v11, vcc_lo dst_sel:DWORD dst_unused:UNUSED_PAD src0_sel:DWORD src1_sel:WORD_1
.LBB446_74:
	s_or_b32 exec_lo, exec_lo, s24
	s_waitcnt lgkmcnt(0)
	v_add_nc_u32_e32 v11, -1, v10
	v_cmp_gt_i32_e32 vcc_lo, 0, v11
	v_cndmask_b32_e32 v10, v11, v10, vcc_lo
	v_and_b32_e32 v11, 0xffff, v39
	v_lshlrev_b32_e32 v10, 2, v10
	ds_bpermute_b32 v10, v10, v11
	s_waitcnt lgkmcnt(0)
	v_lshlrev_b32_e32 v10, 16, v10
	v_max_f32_e32 v11, v10, v10
	v_cmp_u_f32_e32 vcc_lo, v10, v10
	v_min_f32_e32 v39, v11, v9
	v_max_f32_e32 v9, v11, v9
	v_cndmask_b32_e32 v11, v39, v10, vcc_lo
	v_cndmask_b32_e32 v39, v9, v10, vcc_lo
	v_cndmask_b32_e64 v9, v11, v8, s15
	v_cndmask_b32_e64 v8, v39, v8, s15
	v_cmp_class_f32_e64 s15, v9, 0x1f8
	v_cmp_neq_f32_e32 vcc_lo, v9, v8
	s_or_b32 s24, vcc_lo, s15
	s_and_saveexec_b32 s15, s24
	s_cbranch_execz .LBB446_76
; %bb.75:
	v_sub_f32_e32 v9, v9, v8
	s_mov_b32 s24, 0x3e9b6dac
	v_mul_f32_e32 v10, 0x3fb8aa3b, v9
	v_cmp_ngt_f32_e32 vcc_lo, 0xc2ce8ed0, v9
	v_fma_f32 v11, 0x3fb8aa3b, v9, -v10
	v_rndne_f32_e32 v39, v10
	v_fmamk_f32 v11, v9, 0x32a5705f, v11
	v_sub_f32_e32 v10, v10, v39
	v_add_f32_e32 v10, v10, v11
	v_cvt_i32_f32_e32 v11, v39
	v_exp_f32_e32 v10, v10
	v_ldexp_f32 v10, v10, v11
	v_cndmask_b32_e32 v10, 0, v10, vcc_lo
	v_cmp_nlt_f32_e32 vcc_lo, 0x42b17218, v9
	v_cndmask_b32_e32 v11, 0x7f800000, v10, vcc_lo
	v_add_f32_e32 v39, 1.0, v11
	v_cvt_f64_f32_e32 v[9:10], v39
	v_frexp_exp_i32_f64_e32 v9, v[9:10]
	v_frexp_mant_f32_e32 v10, v39
	v_cmp_gt_f32_e32 vcc_lo, 0x3f2aaaab, v10
	v_add_f32_e32 v10, -1.0, v39
	v_sub_f32_e32 v41, v10, v39
	v_sub_f32_e32 v10, v11, v10
	v_add_f32_e32 v41, 1.0, v41
	v_add_f32_e32 v10, v10, v41
	v_subrev_co_ci_u32_e64 v9, null, 0, v9, vcc_lo
	v_cmp_neq_f32_e32 vcc_lo, 0x7f800000, v11
	v_sub_nc_u32_e32 v40, 0, v9
	v_cvt_f32_i32_e32 v9, v9
	v_ldexp_f32 v39, v39, v40
	v_ldexp_f32 v10, v10, v40
	v_add_f32_e32 v42, 1.0, v39
	v_add_f32_e32 v40, -1.0, v39
	v_add_f32_e32 v41, -1.0, v42
	v_add_f32_e32 v43, 1.0, v40
	v_sub_f32_e32 v41, v39, v41
	v_sub_f32_e32 v39, v39, v43
	v_add_f32_e32 v41, v10, v41
	v_add_f32_e32 v10, v10, v39
	;; [unrolled: 1-line block ×4, first 2 shown]
	v_rcp_f32_e32 v39, v43
	v_sub_f32_e32 v42, v42, v43
	v_sub_f32_e32 v40, v40, v44
	v_add_f32_e32 v41, v41, v42
	v_add_f32_e32 v10, v10, v40
	v_mul_f32_e32 v45, v44, v39
	v_mul_f32_e32 v46, v43, v45
	v_fma_f32 v42, v45, v43, -v46
	v_fmac_f32_e32 v42, v45, v41
	v_add_f32_e32 v47, v46, v42
	v_sub_f32_e32 v48, v44, v47
	v_sub_f32_e32 v40, v47, v46
	;; [unrolled: 1-line block ×5, first 2 shown]
	v_add_f32_e32 v10, v10, v44
	v_add_f32_e32 v10, v40, v10
	;; [unrolled: 1-line block ×3, first 2 shown]
	v_mul_f32_e32 v42, v39, v40
	v_sub_f32_e32 v47, v48, v40
	v_mul_f32_e32 v44, v43, v42
	v_add_f32_e32 v10, v10, v47
	v_fma_f32 v43, v42, v43, -v44
	v_fmac_f32_e32 v43, v42, v41
	v_add_f32_e32 v41, v44, v43
	v_sub_f32_e32 v46, v40, v41
	v_sub_f32_e32 v44, v41, v44
	;; [unrolled: 1-line block ×5, first 2 shown]
	v_add_f32_e32 v10, v10, v40
	v_add_f32_e32 v40, v45, v42
	;; [unrolled: 1-line block ×3, first 2 shown]
	v_sub_f32_e32 v41, v40, v45
	v_add_f32_e32 v10, v46, v10
	v_sub_f32_e32 v41, v42, v41
	v_mul_f32_e32 v10, v39, v10
	v_add_f32_e32 v10, v41, v10
	v_add_f32_e32 v39, v40, v10
	v_mul_f32_e32 v41, v39, v39
	v_fmaak_f32 v42, s24, v41, 0x3ecc95a3
	v_mul_f32_e32 v43, v39, v41
	v_fmaak_f32 v41, v41, v42, 0x3f2aaada
	v_ldexp_f32 v42, v39, 1
	v_sub_f32_e32 v39, v39, v40
	v_mul_f32_e32 v41, v43, v41
	v_mul_f32_e32 v43, 0x3f317218, v9
	v_sub_f32_e32 v10, v10, v39
	v_add_f32_e32 v40, v42, v41
	v_ldexp_f32 v10, v10, 1
	v_sub_f32_e32 v39, v40, v42
	v_fma_f32 v42, 0x3f317218, v9, -v43
	v_sub_f32_e32 v39, v41, v39
	v_fmamk_f32 v9, v9, 0xb102e308, v42
	v_add_f32_e32 v10, v10, v39
	v_add_f32_e32 v39, v43, v9
	v_add_f32_e32 v41, v40, v10
	v_sub_f32_e32 v43, v39, v43
	v_add_f32_e32 v42, v39, v41
	v_sub_f32_e32 v40, v41, v40
	v_sub_f32_e32 v9, v9, v43
	;; [unrolled: 1-line block ×6, first 2 shown]
	v_add_f32_e32 v41, v9, v10
	v_sub_f32_e32 v39, v39, v45
	v_add_f32_e32 v39, v40, v39
	v_sub_f32_e32 v40, v41, v9
	;; [unrolled: 2-line block ×3, first 2 shown]
	v_sub_f32_e32 v10, v10, v40
	v_add_f32_e32 v43, v42, v39
	v_sub_f32_e32 v9, v9, v41
	v_sub_f32_e32 v40, v43, v42
	v_add_f32_e32 v9, v10, v9
	v_sub_f32_e32 v10, v39, v40
	v_add_f32_e32 v9, v9, v10
	v_add_f32_e32 v9, v43, v9
	v_cndmask_b32_e32 v9, 0x7f800000, v9, vcc_lo
	v_cmp_gt_f32_e64 vcc_lo, 0x33800000, |v11|
	v_cndmask_b32_e32 v9, v9, v11, vcc_lo
	v_add_f32_e32 v10, v8, v9
.LBB446_76:
	s_or_b32 exec_lo, exec_lo, s15
	v_bfe_u32 v9, v10, 16, 1
	v_cmp_o_f32_e32 vcc_lo, v10, v10
	v_mov_b32_e32 v8, 0x7fc0
	; wave barrier
	v_add3_u32 v9, v10, v9, 0x7fff
	v_cndmask_b32_sdwa v9, v8, v9, vcc_lo dst_sel:DWORD dst_unused:UNUSED_PAD src0_sel:DWORD src1_sel:WORD_1
	v_cmp_eq_u32_e32 vcc_lo, 0, v0
	v_cndmask_b32_e32 v9, v9, v38, vcc_lo
	ds_write_b16 v7, v9
	; wave barrier
	ds_read_u16 v11, v7 offset:2
	v_lshlrev_b32_e32 v10, 16, v9
	v_cmp_u_f32_e32 vcc_lo, v10, v10
	s_waitcnt lgkmcnt(0)
	v_lshlrev_b32_e32 v9, 16, v11
	v_max_f32_e32 v11, v10, v10
	v_max_f32_e32 v39, v9, v9
	v_min_f32_e32 v40, v11, v39
	v_max_f32_e32 v11, v11, v39
	v_cndmask_b32_e32 v39, v40, v10, vcc_lo
	v_cndmask_b32_e32 v40, v11, v10, vcc_lo
	v_cmp_u_f32_e32 vcc_lo, v9, v9
	v_cndmask_b32_e32 v11, v39, v9, vcc_lo
	v_cndmask_b32_e32 v9, v40, v9, vcc_lo
	v_cmp_class_f32_e64 s15, v11, 0x1f8
	v_cmp_neq_f32_e32 vcc_lo, v11, v9
	s_or_b32 s24, vcc_lo, s15
	s_and_saveexec_b32 s15, s24
	s_cbranch_execz .LBB446_78
; %bb.77:
	v_sub_f32_e32 v10, v11, v9
	s_mov_b32 s24, 0x3e9b6dac
	v_mul_f32_e32 v11, 0x3fb8aa3b, v10
	v_cmp_ngt_f32_e32 vcc_lo, 0xc2ce8ed0, v10
	v_fma_f32 v39, 0x3fb8aa3b, v10, -v11
	v_rndne_f32_e32 v40, v11
	v_fmamk_f32 v39, v10, 0x32a5705f, v39
	v_sub_f32_e32 v11, v11, v40
	v_add_f32_e32 v11, v11, v39
	v_cvt_i32_f32_e32 v39, v40
	v_exp_f32_e32 v11, v11
	v_ldexp_f32 v11, v11, v39
	v_cndmask_b32_e32 v11, 0, v11, vcc_lo
	v_cmp_nlt_f32_e32 vcc_lo, 0x42b17218, v10
	v_cndmask_b32_e32 v39, 0x7f800000, v11, vcc_lo
	v_add_f32_e32 v40, 1.0, v39
	v_cvt_f64_f32_e32 v[10:11], v40
	v_frexp_exp_i32_f64_e32 v10, v[10:11]
	v_frexp_mant_f32_e32 v11, v40
	v_cmp_gt_f32_e32 vcc_lo, 0x3f2aaaab, v11
	v_add_f32_e32 v11, -1.0, v40
	v_sub_f32_e32 v42, v11, v40
	v_sub_f32_e32 v11, v39, v11
	v_add_f32_e32 v42, 1.0, v42
	v_add_f32_e32 v11, v11, v42
	v_subrev_co_ci_u32_e64 v10, null, 0, v10, vcc_lo
	v_cmp_neq_f32_e32 vcc_lo, 0x7f800000, v39
	v_sub_nc_u32_e32 v41, 0, v10
	v_cvt_f32_i32_e32 v10, v10
	v_ldexp_f32 v40, v40, v41
	v_ldexp_f32 v11, v11, v41
	v_add_f32_e32 v43, 1.0, v40
	v_add_f32_e32 v41, -1.0, v40
	v_add_f32_e32 v42, -1.0, v43
	v_add_f32_e32 v44, 1.0, v41
	v_sub_f32_e32 v42, v40, v42
	v_sub_f32_e32 v40, v40, v44
	v_add_f32_e32 v42, v11, v42
	v_add_f32_e32 v11, v11, v40
	;; [unrolled: 1-line block ×4, first 2 shown]
	v_rcp_f32_e32 v40, v44
	v_sub_f32_e32 v43, v43, v44
	v_sub_f32_e32 v41, v41, v45
	v_add_f32_e32 v42, v42, v43
	v_add_f32_e32 v11, v11, v41
	v_mul_f32_e32 v46, v45, v40
	v_mul_f32_e32 v47, v44, v46
	v_fma_f32 v43, v46, v44, -v47
	v_fmac_f32_e32 v43, v46, v42
	v_add_f32_e32 v48, v47, v43
	v_sub_f32_e32 v49, v45, v48
	v_sub_f32_e32 v41, v48, v47
	;; [unrolled: 1-line block ×5, first 2 shown]
	v_add_f32_e32 v11, v11, v45
	v_add_f32_e32 v11, v41, v11
	;; [unrolled: 1-line block ×3, first 2 shown]
	v_mul_f32_e32 v43, v40, v41
	v_sub_f32_e32 v48, v49, v41
	v_mul_f32_e32 v45, v44, v43
	v_add_f32_e32 v11, v11, v48
	v_fma_f32 v44, v43, v44, -v45
	v_fmac_f32_e32 v44, v43, v42
	v_add_f32_e32 v42, v45, v44
	v_sub_f32_e32 v47, v41, v42
	v_sub_f32_e32 v45, v42, v45
	;; [unrolled: 1-line block ×5, first 2 shown]
	v_add_f32_e32 v11, v11, v41
	v_add_f32_e32 v41, v46, v43
	;; [unrolled: 1-line block ×3, first 2 shown]
	v_sub_f32_e32 v42, v41, v46
	v_add_f32_e32 v11, v47, v11
	v_sub_f32_e32 v42, v43, v42
	v_mul_f32_e32 v11, v40, v11
	v_add_f32_e32 v11, v42, v11
	v_add_f32_e32 v40, v41, v11
	v_mul_f32_e32 v42, v40, v40
	v_fmaak_f32 v43, s24, v42, 0x3ecc95a3
	v_mul_f32_e32 v44, v40, v42
	v_fmaak_f32 v42, v42, v43, 0x3f2aaada
	v_ldexp_f32 v43, v40, 1
	v_sub_f32_e32 v40, v40, v41
	v_mul_f32_e32 v42, v44, v42
	v_mul_f32_e32 v44, 0x3f317218, v10
	v_sub_f32_e32 v11, v11, v40
	v_add_f32_e32 v41, v43, v42
	v_ldexp_f32 v11, v11, 1
	v_sub_f32_e32 v40, v41, v43
	v_fma_f32 v43, 0x3f317218, v10, -v44
	v_sub_f32_e32 v40, v42, v40
	v_fmamk_f32 v10, v10, 0xb102e308, v43
	v_add_f32_e32 v11, v11, v40
	v_add_f32_e32 v40, v44, v10
	;; [unrolled: 1-line block ×3, first 2 shown]
	v_sub_f32_e32 v44, v40, v44
	v_add_f32_e32 v43, v40, v42
	v_sub_f32_e32 v41, v42, v41
	v_sub_f32_e32 v10, v10, v44
	v_sub_f32_e32 v45, v43, v40
	v_sub_f32_e32 v11, v11, v41
	v_sub_f32_e32 v46, v43, v45
	v_sub_f32_e32 v41, v42, v45
	v_add_f32_e32 v42, v10, v11
	v_sub_f32_e32 v40, v40, v46
	v_add_f32_e32 v40, v41, v40
	v_sub_f32_e32 v41, v42, v10
	;; [unrolled: 2-line block ×3, first 2 shown]
	v_sub_f32_e32 v11, v11, v41
	v_add_f32_e32 v44, v43, v40
	v_sub_f32_e32 v10, v10, v42
	v_sub_f32_e32 v41, v44, v43
	v_add_f32_e32 v10, v11, v10
	v_sub_f32_e32 v11, v40, v41
	v_add_f32_e32 v10, v10, v11
	v_add_f32_e32 v10, v44, v10
	v_cndmask_b32_e32 v10, 0x7f800000, v10, vcc_lo
	v_cmp_gt_f32_e64 vcc_lo, 0x33800000, |v39|
	v_cndmask_b32_e32 v10, v10, v39, vcc_lo
	v_add_f32_e32 v10, v9, v10
.LBB446_78:
	s_or_b32 exec_lo, exec_lo, s15
	v_bfe_u32 v9, v10, 16, 1
	v_cmp_o_f32_e32 vcc_lo, v10, v10
	v_add3_u32 v9, v10, v9, 0x7fff
	v_cndmask_b32_sdwa v8, v8, v9, vcc_lo dst_sel:DWORD dst_unused:UNUSED_PAD src0_sel:DWORD src1_sel:WORD_1
	ds_write_b16 v7, v8 offset:2
.LBB446_79:
	s_or_b32 exec_lo, exec_lo, s16
	v_cmp_eq_u32_e64 s16, 0, v0
	v_cmp_ne_u32_e64 s15, 0, v0
	s_waitcnt lgkmcnt(0)
	s_barrier
	buffer_gl0_inv
	s_and_saveexec_b32 s24, s15
	s_cbranch_execz .LBB446_81
; %bb.80:
	v_add_nc_u32_e32 v7, -1, v0
	v_lshrrev_b32_e32 v8, 4, v7
	v_and_b32_e32 v8, 0xffffffe, v8
	v_lshl_add_u32 v7, v7, 1, v8
	ds_read_u16 v38, v7
.LBB446_81:
	s_or_b32 exec_lo, exec_lo, s24
	s_and_saveexec_b32 s26, s17
	s_cbranch_execz .LBB446_145
; %bb.82:
	v_mov_b32_e32 v9, 0
	v_mbcnt_lo_u32_b32 v40, -1, 0
	s_mov_b32 s25, 0
	ds_read_u16 v39, v9 offset:128
	v_cmp_eq_u32_e64 s17, 0, v40
	s_and_saveexec_b32 s27, s17
	s_cbranch_execz .LBB446_84
; %bb.83:
	s_add_i32 s24, s6, 32
	s_waitcnt lgkmcnt(0)
	v_or_b32_e32 v7, 0x10000, v39
	s_lshl_b64 s[24:25], s[24:25], 2
	s_add_u32 s24, s34, s24
	s_addc_u32 s25, s35, s25
	global_store_dword v9, v7, s[24:25]
.LBB446_84:
	s_or_b32 exec_lo, exec_lo, s27
	v_xad_u32 v7, v40, -1, s6
	v_add_nc_u32_e32 v8, 32, v7
	v_lshlrev_b64 v[10:11], 2, v[8:9]
	v_add_co_u32 v10, vcc_lo, s34, v10
	v_add_co_ci_u32_e64 v11, null, s35, v11, vcc_lo
	global_load_dword v54, v[10:11], off glc dlc
	s_waitcnt vmcnt(0)
	v_lshrrev_b32_e32 v41, 16, v54
	v_cmp_eq_u16_sdwa s25, v41, v9 src0_sel:BYTE_0 src1_sel:DWORD
	s_and_saveexec_b32 s24, s25
	s_cbranch_execz .LBB446_88
; %bb.85:
	v_mov_b32_e32 v8, 0
	s_mov_b32 s25, 0
.LBB446_86:                             ; =>This Inner Loop Header: Depth=1
	global_load_dword v54, v[10:11], off glc dlc
	s_waitcnt vmcnt(0)
	v_lshrrev_b32_e32 v41, 16, v54
	v_cmp_ne_u16_sdwa s27, v41, v8 src0_sel:BYTE_0 src1_sel:DWORD
	s_or_b32 s25, s27, s25
	s_andn2_b32 exec_lo, exec_lo, s25
	s_cbranch_execnz .LBB446_86
; %bb.87:
	s_or_b32 exec_lo, exec_lo, s25
.LBB446_88:
	s_or_b32 exec_lo, exec_lo, s24
	v_cmp_ne_u32_e32 vcc_lo, 31, v40
	v_mov_b32_e32 v10, 2
	v_and_b32_e32 v9, 0xffff, v54
	v_lshlrev_b32_e64 v42, v40, -1
	v_add_co_ci_u32_e64 v8, null, 0, v40, vcc_lo
	v_cmp_eq_u16_sdwa s24, v41, v10 src0_sel:BYTE_0 src1_sel:DWORD
	v_lshlrev_b32_e32 v11, 2, v8
	v_and_or_b32 v8, s24, v42, 0x80000000
	s_mov_b32 s24, exec_lo
	ds_bpermute_b32 v10, v11, v9
	v_ffbl_b32_e32 v8, v8
	v_cmpx_lt_u32_e64 v40, v8
	s_cbranch_execz .LBB446_92
; %bb.89:
	v_lshlrev_b32_e32 v9, 16, v9
	s_waitcnt lgkmcnt(0)
	v_lshlrev_b32_e32 v10, 16, v10
	v_max_f32_e32 v43, v9, v9
	v_max_f32_e32 v44, v10, v10
	v_cmp_u_f32_e32 vcc_lo, v10, v10
	v_min_f32_e32 v45, v44, v43
	v_max_f32_e32 v43, v44, v43
	v_cndmask_b32_e32 v44, v45, v10, vcc_lo
	v_cndmask_b32_e32 v45, v43, v10, vcc_lo
	v_cmp_u_f32_e32 vcc_lo, v9, v9
	v_cndmask_b32_e32 v43, v44, v9, vcc_lo
	v_cndmask_b32_e32 v9, v45, v9, vcc_lo
	v_cmp_class_f32_e64 s25, v43, 0x1f8
	v_cmp_neq_f32_e32 vcc_lo, v43, v9
	s_or_b32 s27, vcc_lo, s25
	s_and_saveexec_b32 s25, s27
	s_cbranch_execz .LBB446_91
; %bb.90:
	v_sub_f32_e32 v10, v43, v9
	s_mov_b32 s27, 0x3e9b6dac
	v_mul_f32_e32 v43, 0x3fb8aa3b, v10
	v_cmp_ngt_f32_e32 vcc_lo, 0xc2ce8ed0, v10
	v_fma_f32 v44, 0x3fb8aa3b, v10, -v43
	v_rndne_f32_e32 v45, v43
	v_fmamk_f32 v44, v10, 0x32a5705f, v44
	v_sub_f32_e32 v43, v43, v45
	v_add_f32_e32 v43, v43, v44
	v_cvt_i32_f32_e32 v44, v45
	v_exp_f32_e32 v43, v43
	v_ldexp_f32 v43, v43, v44
	v_cndmask_b32_e32 v43, 0, v43, vcc_lo
	v_cmp_nlt_f32_e32 vcc_lo, 0x42b17218, v10
	v_cndmask_b32_e32 v10, 0x7f800000, v43, vcc_lo
	v_add_f32_e32 v45, 1.0, v10
	v_cvt_f64_f32_e32 v[43:44], v45
	v_frexp_exp_i32_f64_e32 v43, v[43:44]
	v_frexp_mant_f32_e32 v44, v45
	v_cmp_gt_f32_e32 vcc_lo, 0x3f2aaaab, v44
	v_add_f32_e32 v44, -1.0, v45
	v_sub_f32_e32 v47, v44, v45
	v_sub_f32_e32 v44, v10, v44
	v_add_f32_e32 v47, 1.0, v47
	v_add_f32_e32 v44, v44, v47
	v_subrev_co_ci_u32_e64 v43, null, 0, v43, vcc_lo
	v_cmp_neq_f32_e32 vcc_lo, 0x7f800000, v10
	v_sub_nc_u32_e32 v46, 0, v43
	v_cvt_f32_i32_e32 v43, v43
	v_ldexp_f32 v45, v45, v46
	v_ldexp_f32 v44, v44, v46
	v_add_f32_e32 v48, 1.0, v45
	v_add_f32_e32 v46, -1.0, v45
	v_add_f32_e32 v47, -1.0, v48
	v_add_f32_e32 v49, 1.0, v46
	v_sub_f32_e32 v47, v45, v47
	v_sub_f32_e32 v45, v45, v49
	v_add_f32_e32 v47, v44, v47
	v_add_f32_e32 v44, v44, v45
	;; [unrolled: 1-line block ×4, first 2 shown]
	v_rcp_f32_e32 v45, v49
	v_sub_f32_e32 v48, v48, v49
	v_sub_f32_e32 v46, v46, v50
	v_add_f32_e32 v47, v47, v48
	v_add_f32_e32 v44, v44, v46
	v_mul_f32_e32 v51, v50, v45
	v_mul_f32_e32 v52, v49, v51
	v_fma_f32 v48, v51, v49, -v52
	v_fmac_f32_e32 v48, v51, v47
	v_add_f32_e32 v53, v52, v48
	v_sub_f32_e32 v54, v50, v53
	v_sub_f32_e32 v46, v53, v52
	;; [unrolled: 1-line block ×5, first 2 shown]
	v_add_f32_e32 v44, v44, v50
	v_add_f32_e32 v44, v46, v44
	;; [unrolled: 1-line block ×3, first 2 shown]
	v_mul_f32_e32 v48, v45, v46
	v_sub_f32_e32 v53, v54, v46
	v_mul_f32_e32 v50, v49, v48
	v_add_f32_e32 v44, v44, v53
	v_fma_f32 v49, v48, v49, -v50
	v_fmac_f32_e32 v49, v48, v47
	v_add_f32_e32 v47, v50, v49
	v_sub_f32_e32 v52, v46, v47
	v_sub_f32_e32 v50, v47, v50
	;; [unrolled: 1-line block ×5, first 2 shown]
	v_add_f32_e32 v44, v44, v46
	v_add_f32_e32 v46, v51, v48
	;; [unrolled: 1-line block ×3, first 2 shown]
	v_sub_f32_e32 v47, v46, v51
	v_add_f32_e32 v44, v52, v44
	v_sub_f32_e32 v47, v48, v47
	v_mul_f32_e32 v44, v45, v44
	v_add_f32_e32 v44, v47, v44
	v_add_f32_e32 v45, v46, v44
	v_mul_f32_e32 v47, v45, v45
	v_fmaak_f32 v48, s27, v47, 0x3ecc95a3
	v_mul_f32_e32 v49, v45, v47
	v_fmaak_f32 v47, v47, v48, 0x3f2aaada
	v_ldexp_f32 v48, v45, 1
	v_sub_f32_e32 v45, v45, v46
	v_mul_f32_e32 v47, v49, v47
	v_mul_f32_e32 v49, 0x3f317218, v43
	v_sub_f32_e32 v44, v44, v45
	v_add_f32_e32 v46, v48, v47
	v_ldexp_f32 v44, v44, 1
	v_sub_f32_e32 v45, v46, v48
	v_fma_f32 v48, 0x3f317218, v43, -v49
	v_sub_f32_e32 v45, v47, v45
	v_fmamk_f32 v43, v43, 0xb102e308, v48
	v_add_f32_e32 v44, v44, v45
	v_add_f32_e32 v45, v49, v43
	;; [unrolled: 1-line block ×3, first 2 shown]
	v_sub_f32_e32 v49, v45, v49
	v_add_f32_e32 v48, v45, v47
	v_sub_f32_e32 v46, v47, v46
	v_sub_f32_e32 v43, v43, v49
	;; [unrolled: 1-line block ×6, first 2 shown]
	v_add_f32_e32 v47, v43, v44
	v_sub_f32_e32 v45, v45, v51
	v_add_f32_e32 v45, v46, v45
	v_sub_f32_e32 v46, v47, v43
	v_add_f32_e32 v45, v47, v45
	v_sub_f32_e32 v47, v47, v46
	v_sub_f32_e32 v44, v44, v46
	v_add_f32_e32 v49, v48, v45
	v_sub_f32_e32 v43, v43, v47
	v_sub_f32_e32 v46, v49, v48
	v_add_f32_e32 v43, v44, v43
	v_sub_f32_e32 v44, v45, v46
	v_add_f32_e32 v43, v43, v44
	v_add_f32_e32 v43, v49, v43
	v_cndmask_b32_e32 v43, 0x7f800000, v43, vcc_lo
	v_cmp_gt_f32_e64 vcc_lo, 0x33800000, |v10|
	v_cndmask_b32_e32 v10, v43, v10, vcc_lo
	v_add_f32_e32 v10, v9, v10
.LBB446_91:
	s_or_b32 exec_lo, exec_lo, s25
	v_bfe_u32 v9, v10, 16, 1
	v_cmp_o_f32_e32 vcc_lo, v10, v10
	v_add3_u32 v9, v10, v9, 0x7fff
	v_mov_b32_e32 v10, 0x7fc0
	v_cndmask_b32_sdwa v54, v10, v9, vcc_lo dst_sel:DWORD dst_unused:UNUSED_PAD src0_sel:DWORD src1_sel:WORD_1
	v_and_b32_e32 v9, 0xffff, v54
.LBB446_92:
	s_or_b32 exec_lo, exec_lo, s24
	v_cmp_gt_u32_e32 vcc_lo, 30, v40
	v_add_nc_u32_e32 v44, 2, v40
	s_mov_b32 s24, exec_lo
	s_waitcnt lgkmcnt(0)
	v_cndmask_b32_e64 v10, 0, 2, vcc_lo
	v_add_lshl_u32 v43, v10, v40, 2
	ds_bpermute_b32 v10, v43, v9
	v_cmpx_le_u32_e64 v44, v8
	s_cbranch_execz .LBB446_96
; %bb.93:
	v_lshlrev_b32_e32 v9, 16, v9
	s_waitcnt lgkmcnt(0)
	v_lshlrev_b32_e32 v10, 16, v10
	v_max_f32_e32 v45, v9, v9
	v_max_f32_e32 v46, v10, v10
	v_cmp_u_f32_e32 vcc_lo, v10, v10
	v_min_f32_e32 v47, v46, v45
	v_max_f32_e32 v45, v46, v45
	v_cndmask_b32_e32 v46, v47, v10, vcc_lo
	v_cndmask_b32_e32 v47, v45, v10, vcc_lo
	v_cmp_u_f32_e32 vcc_lo, v9, v9
	v_cndmask_b32_e32 v45, v46, v9, vcc_lo
	v_cndmask_b32_e32 v9, v47, v9, vcc_lo
	v_cmp_class_f32_e64 s25, v45, 0x1f8
	v_cmp_neq_f32_e32 vcc_lo, v45, v9
	s_or_b32 s27, vcc_lo, s25
	s_and_saveexec_b32 s25, s27
	s_cbranch_execz .LBB446_95
; %bb.94:
	v_sub_f32_e32 v10, v45, v9
	s_mov_b32 s27, 0x3e9b6dac
	v_mul_f32_e32 v45, 0x3fb8aa3b, v10
	v_cmp_ngt_f32_e32 vcc_lo, 0xc2ce8ed0, v10
	v_fma_f32 v46, 0x3fb8aa3b, v10, -v45
	v_rndne_f32_e32 v47, v45
	v_fmamk_f32 v46, v10, 0x32a5705f, v46
	v_sub_f32_e32 v45, v45, v47
	v_add_f32_e32 v45, v45, v46
	v_cvt_i32_f32_e32 v46, v47
	v_exp_f32_e32 v45, v45
	v_ldexp_f32 v45, v45, v46
	v_cndmask_b32_e32 v45, 0, v45, vcc_lo
	v_cmp_nlt_f32_e32 vcc_lo, 0x42b17218, v10
	v_cndmask_b32_e32 v10, 0x7f800000, v45, vcc_lo
	v_add_f32_e32 v47, 1.0, v10
	v_cvt_f64_f32_e32 v[45:46], v47
	v_frexp_exp_i32_f64_e32 v45, v[45:46]
	v_frexp_mant_f32_e32 v46, v47
	v_cmp_gt_f32_e32 vcc_lo, 0x3f2aaaab, v46
	v_add_f32_e32 v46, -1.0, v47
	v_sub_f32_e32 v49, v46, v47
	v_sub_f32_e32 v46, v10, v46
	v_add_f32_e32 v49, 1.0, v49
	v_add_f32_e32 v46, v46, v49
	v_subrev_co_ci_u32_e64 v45, null, 0, v45, vcc_lo
	v_cmp_neq_f32_e32 vcc_lo, 0x7f800000, v10
	v_sub_nc_u32_e32 v48, 0, v45
	v_cvt_f32_i32_e32 v45, v45
	v_ldexp_f32 v47, v47, v48
	v_ldexp_f32 v46, v46, v48
	v_add_f32_e32 v50, 1.0, v47
	v_add_f32_e32 v48, -1.0, v47
	v_add_f32_e32 v49, -1.0, v50
	v_add_f32_e32 v51, 1.0, v48
	v_sub_f32_e32 v49, v47, v49
	v_sub_f32_e32 v47, v47, v51
	v_add_f32_e32 v49, v46, v49
	v_add_f32_e32 v46, v46, v47
	;; [unrolled: 1-line block ×4, first 2 shown]
	v_rcp_f32_e32 v47, v51
	v_sub_f32_e32 v50, v50, v51
	v_sub_f32_e32 v48, v48, v52
	v_add_f32_e32 v49, v49, v50
	v_add_f32_e32 v46, v46, v48
	v_mul_f32_e32 v53, v52, v47
	v_mul_f32_e32 v54, v51, v53
	v_fma_f32 v50, v53, v51, -v54
	v_fmac_f32_e32 v50, v53, v49
	v_add_f32_e32 v55, v54, v50
	v_sub_f32_e32 v56, v52, v55
	v_sub_f32_e32 v48, v55, v54
	;; [unrolled: 1-line block ×5, first 2 shown]
	v_add_f32_e32 v46, v46, v52
	v_add_f32_e32 v46, v48, v46
	v_add_f32_e32 v48, v56, v46
	v_mul_f32_e32 v50, v47, v48
	v_sub_f32_e32 v55, v56, v48
	v_mul_f32_e32 v52, v51, v50
	v_add_f32_e32 v46, v46, v55
	v_fma_f32 v51, v50, v51, -v52
	v_fmac_f32_e32 v51, v50, v49
	v_add_f32_e32 v49, v52, v51
	v_sub_f32_e32 v54, v48, v49
	v_sub_f32_e32 v52, v49, v52
	;; [unrolled: 1-line block ×5, first 2 shown]
	v_add_f32_e32 v46, v46, v48
	v_add_f32_e32 v48, v53, v50
	;; [unrolled: 1-line block ×3, first 2 shown]
	v_sub_f32_e32 v49, v48, v53
	v_add_f32_e32 v46, v54, v46
	v_sub_f32_e32 v49, v50, v49
	v_mul_f32_e32 v46, v47, v46
	v_add_f32_e32 v46, v49, v46
	v_add_f32_e32 v47, v48, v46
	v_mul_f32_e32 v49, v47, v47
	v_fmaak_f32 v50, s27, v49, 0x3ecc95a3
	v_mul_f32_e32 v51, v47, v49
	v_fmaak_f32 v49, v49, v50, 0x3f2aaada
	v_ldexp_f32 v50, v47, 1
	v_sub_f32_e32 v47, v47, v48
	v_mul_f32_e32 v49, v51, v49
	v_mul_f32_e32 v51, 0x3f317218, v45
	v_sub_f32_e32 v46, v46, v47
	v_add_f32_e32 v48, v50, v49
	v_ldexp_f32 v46, v46, 1
	v_sub_f32_e32 v47, v48, v50
	v_fma_f32 v50, 0x3f317218, v45, -v51
	v_sub_f32_e32 v47, v49, v47
	v_fmamk_f32 v45, v45, 0xb102e308, v50
	v_add_f32_e32 v46, v46, v47
	v_add_f32_e32 v47, v51, v45
	;; [unrolled: 1-line block ×3, first 2 shown]
	v_sub_f32_e32 v51, v47, v51
	v_add_f32_e32 v50, v47, v49
	v_sub_f32_e32 v48, v49, v48
	v_sub_f32_e32 v45, v45, v51
	;; [unrolled: 1-line block ×6, first 2 shown]
	v_add_f32_e32 v49, v45, v46
	v_sub_f32_e32 v47, v47, v53
	v_add_f32_e32 v47, v48, v47
	v_sub_f32_e32 v48, v49, v45
	;; [unrolled: 2-line block ×3, first 2 shown]
	v_sub_f32_e32 v46, v46, v48
	v_add_f32_e32 v51, v50, v47
	v_sub_f32_e32 v45, v45, v49
	v_sub_f32_e32 v48, v51, v50
	v_add_f32_e32 v45, v46, v45
	v_sub_f32_e32 v46, v47, v48
	v_add_f32_e32 v45, v45, v46
	v_add_f32_e32 v45, v51, v45
	v_cndmask_b32_e32 v45, 0x7f800000, v45, vcc_lo
	v_cmp_gt_f32_e64 vcc_lo, 0x33800000, |v10|
	v_cndmask_b32_e32 v10, v45, v10, vcc_lo
	v_add_f32_e32 v10, v9, v10
.LBB446_95:
	s_or_b32 exec_lo, exec_lo, s25
	v_bfe_u32 v9, v10, 16, 1
	v_cmp_o_f32_e32 vcc_lo, v10, v10
	v_add3_u32 v9, v10, v9, 0x7fff
	v_mov_b32_e32 v10, 0x7fc0
	v_cndmask_b32_sdwa v54, v10, v9, vcc_lo dst_sel:DWORD dst_unused:UNUSED_PAD src0_sel:DWORD src1_sel:WORD_1
	v_and_b32_e32 v9, 0xffff, v54
.LBB446_96:
	s_or_b32 exec_lo, exec_lo, s24
	v_cmp_gt_u32_e32 vcc_lo, 28, v40
	v_add_nc_u32_e32 v46, 4, v40
	s_mov_b32 s24, exec_lo
	s_waitcnt lgkmcnt(0)
	v_cndmask_b32_e64 v10, 0, 4, vcc_lo
	v_add_lshl_u32 v45, v10, v40, 2
	ds_bpermute_b32 v10, v45, v9
	v_cmpx_le_u32_e64 v46, v8
	s_cbranch_execz .LBB446_100
; %bb.97:
	v_lshlrev_b32_e32 v9, 16, v9
	s_waitcnt lgkmcnt(0)
	v_lshlrev_b32_e32 v10, 16, v10
	v_max_f32_e32 v47, v9, v9
	v_max_f32_e32 v48, v10, v10
	v_cmp_u_f32_e32 vcc_lo, v10, v10
	v_min_f32_e32 v49, v48, v47
	v_max_f32_e32 v47, v48, v47
	v_cndmask_b32_e32 v48, v49, v10, vcc_lo
	v_cndmask_b32_e32 v49, v47, v10, vcc_lo
	v_cmp_u_f32_e32 vcc_lo, v9, v9
	v_cndmask_b32_e32 v47, v48, v9, vcc_lo
	v_cndmask_b32_e32 v9, v49, v9, vcc_lo
	v_cmp_class_f32_e64 s25, v47, 0x1f8
	v_cmp_neq_f32_e32 vcc_lo, v47, v9
	s_or_b32 s27, vcc_lo, s25
	s_and_saveexec_b32 s25, s27
	s_cbranch_execz .LBB446_99
; %bb.98:
	v_sub_f32_e32 v10, v47, v9
	s_mov_b32 s27, 0x3e9b6dac
	v_mul_f32_e32 v47, 0x3fb8aa3b, v10
	v_cmp_ngt_f32_e32 vcc_lo, 0xc2ce8ed0, v10
	v_fma_f32 v48, 0x3fb8aa3b, v10, -v47
	v_rndne_f32_e32 v49, v47
	v_fmamk_f32 v48, v10, 0x32a5705f, v48
	v_sub_f32_e32 v47, v47, v49
	v_add_f32_e32 v47, v47, v48
	v_cvt_i32_f32_e32 v48, v49
	v_exp_f32_e32 v47, v47
	v_ldexp_f32 v47, v47, v48
	v_cndmask_b32_e32 v47, 0, v47, vcc_lo
	v_cmp_nlt_f32_e32 vcc_lo, 0x42b17218, v10
	v_cndmask_b32_e32 v10, 0x7f800000, v47, vcc_lo
	v_add_f32_e32 v49, 1.0, v10
	v_cvt_f64_f32_e32 v[47:48], v49
	v_frexp_exp_i32_f64_e32 v47, v[47:48]
	v_frexp_mant_f32_e32 v48, v49
	v_cmp_gt_f32_e32 vcc_lo, 0x3f2aaaab, v48
	v_add_f32_e32 v48, -1.0, v49
	v_sub_f32_e32 v51, v48, v49
	v_sub_f32_e32 v48, v10, v48
	v_add_f32_e32 v51, 1.0, v51
	v_add_f32_e32 v48, v48, v51
	v_subrev_co_ci_u32_e64 v47, null, 0, v47, vcc_lo
	v_cmp_neq_f32_e32 vcc_lo, 0x7f800000, v10
	v_sub_nc_u32_e32 v50, 0, v47
	v_cvt_f32_i32_e32 v47, v47
	v_ldexp_f32 v49, v49, v50
	v_ldexp_f32 v48, v48, v50
	v_add_f32_e32 v52, 1.0, v49
	v_add_f32_e32 v50, -1.0, v49
	v_add_f32_e32 v51, -1.0, v52
	v_add_f32_e32 v53, 1.0, v50
	v_sub_f32_e32 v51, v49, v51
	v_sub_f32_e32 v49, v49, v53
	v_add_f32_e32 v51, v48, v51
	v_add_f32_e32 v48, v48, v49
	;; [unrolled: 1-line block ×4, first 2 shown]
	v_rcp_f32_e32 v49, v53
	v_sub_f32_e32 v52, v52, v53
	v_sub_f32_e32 v50, v50, v54
	v_add_f32_e32 v51, v51, v52
	v_add_f32_e32 v48, v48, v50
	v_mul_f32_e32 v55, v54, v49
	v_mul_f32_e32 v56, v53, v55
	v_fma_f32 v52, v55, v53, -v56
	v_fmac_f32_e32 v52, v55, v51
	v_add_f32_e32 v57, v56, v52
	v_sub_f32_e32 v58, v54, v57
	v_sub_f32_e32 v50, v57, v56
	;; [unrolled: 1-line block ×5, first 2 shown]
	v_add_f32_e32 v48, v48, v54
	v_add_f32_e32 v48, v50, v48
	;; [unrolled: 1-line block ×3, first 2 shown]
	v_mul_f32_e32 v52, v49, v50
	v_sub_f32_e32 v57, v58, v50
	v_mul_f32_e32 v54, v53, v52
	v_add_f32_e32 v48, v48, v57
	v_fma_f32 v53, v52, v53, -v54
	v_fmac_f32_e32 v53, v52, v51
	v_add_f32_e32 v51, v54, v53
	v_sub_f32_e32 v56, v50, v51
	v_sub_f32_e32 v54, v51, v54
	;; [unrolled: 1-line block ×5, first 2 shown]
	v_add_f32_e32 v48, v48, v50
	v_add_f32_e32 v50, v55, v52
	;; [unrolled: 1-line block ×3, first 2 shown]
	v_sub_f32_e32 v51, v50, v55
	v_add_f32_e32 v48, v56, v48
	v_sub_f32_e32 v51, v52, v51
	v_mul_f32_e32 v48, v49, v48
	v_add_f32_e32 v48, v51, v48
	v_add_f32_e32 v49, v50, v48
	v_mul_f32_e32 v51, v49, v49
	v_fmaak_f32 v52, s27, v51, 0x3ecc95a3
	v_mul_f32_e32 v53, v49, v51
	v_fmaak_f32 v51, v51, v52, 0x3f2aaada
	v_ldexp_f32 v52, v49, 1
	v_sub_f32_e32 v49, v49, v50
	v_mul_f32_e32 v51, v53, v51
	v_mul_f32_e32 v53, 0x3f317218, v47
	v_sub_f32_e32 v48, v48, v49
	v_add_f32_e32 v50, v52, v51
	v_ldexp_f32 v48, v48, 1
	v_sub_f32_e32 v49, v50, v52
	v_fma_f32 v52, 0x3f317218, v47, -v53
	v_sub_f32_e32 v49, v51, v49
	v_fmamk_f32 v47, v47, 0xb102e308, v52
	v_add_f32_e32 v48, v48, v49
	v_add_f32_e32 v49, v53, v47
	;; [unrolled: 1-line block ×3, first 2 shown]
	v_sub_f32_e32 v53, v49, v53
	v_add_f32_e32 v52, v49, v51
	v_sub_f32_e32 v50, v51, v50
	v_sub_f32_e32 v47, v47, v53
	;; [unrolled: 1-line block ×6, first 2 shown]
	v_add_f32_e32 v51, v47, v48
	v_sub_f32_e32 v49, v49, v55
	v_add_f32_e32 v49, v50, v49
	v_sub_f32_e32 v50, v51, v47
	v_add_f32_e32 v49, v51, v49
	v_sub_f32_e32 v51, v51, v50
	v_sub_f32_e32 v48, v48, v50
	v_add_f32_e32 v53, v52, v49
	v_sub_f32_e32 v47, v47, v51
	v_sub_f32_e32 v50, v53, v52
	v_add_f32_e32 v47, v48, v47
	v_sub_f32_e32 v48, v49, v50
	v_add_f32_e32 v47, v47, v48
	v_add_f32_e32 v47, v53, v47
	v_cndmask_b32_e32 v47, 0x7f800000, v47, vcc_lo
	v_cmp_gt_f32_e64 vcc_lo, 0x33800000, |v10|
	v_cndmask_b32_e32 v10, v47, v10, vcc_lo
	v_add_f32_e32 v10, v9, v10
.LBB446_99:
	s_or_b32 exec_lo, exec_lo, s25
	v_bfe_u32 v9, v10, 16, 1
	v_cmp_o_f32_e32 vcc_lo, v10, v10
	v_add3_u32 v9, v10, v9, 0x7fff
	v_mov_b32_e32 v10, 0x7fc0
	v_cndmask_b32_sdwa v54, v10, v9, vcc_lo dst_sel:DWORD dst_unused:UNUSED_PAD src0_sel:DWORD src1_sel:WORD_1
	v_and_b32_e32 v9, 0xffff, v54
.LBB446_100:
	s_or_b32 exec_lo, exec_lo, s24
	v_cmp_gt_u32_e32 vcc_lo, 24, v40
	v_add_nc_u32_e32 v48, 8, v40
	s_mov_b32 s24, exec_lo
	s_waitcnt lgkmcnt(0)
	v_cndmask_b32_e64 v10, 0, 8, vcc_lo
	v_add_lshl_u32 v47, v10, v40, 2
	ds_bpermute_b32 v10, v47, v9
	v_cmpx_le_u32_e64 v48, v8
	s_cbranch_execz .LBB446_104
; %bb.101:
	v_lshlrev_b32_e32 v9, 16, v9
	s_waitcnt lgkmcnt(0)
	v_lshlrev_b32_e32 v10, 16, v10
	v_max_f32_e32 v49, v9, v9
	v_max_f32_e32 v50, v10, v10
	v_cmp_u_f32_e32 vcc_lo, v10, v10
	v_min_f32_e32 v51, v50, v49
	v_max_f32_e32 v49, v50, v49
	v_cndmask_b32_e32 v50, v51, v10, vcc_lo
	v_cndmask_b32_e32 v51, v49, v10, vcc_lo
	v_cmp_u_f32_e32 vcc_lo, v9, v9
	v_cndmask_b32_e32 v49, v50, v9, vcc_lo
	v_cndmask_b32_e32 v9, v51, v9, vcc_lo
	v_cmp_class_f32_e64 s25, v49, 0x1f8
	v_cmp_neq_f32_e32 vcc_lo, v49, v9
	s_or_b32 s27, vcc_lo, s25
	s_and_saveexec_b32 s25, s27
	s_cbranch_execz .LBB446_103
; %bb.102:
	v_sub_f32_e32 v10, v49, v9
	s_mov_b32 s27, 0x3e9b6dac
	v_mul_f32_e32 v49, 0x3fb8aa3b, v10
	v_cmp_ngt_f32_e32 vcc_lo, 0xc2ce8ed0, v10
	v_fma_f32 v50, 0x3fb8aa3b, v10, -v49
	v_rndne_f32_e32 v51, v49
	v_fmamk_f32 v50, v10, 0x32a5705f, v50
	v_sub_f32_e32 v49, v49, v51
	v_add_f32_e32 v49, v49, v50
	v_cvt_i32_f32_e32 v50, v51
	v_exp_f32_e32 v49, v49
	v_ldexp_f32 v49, v49, v50
	v_cndmask_b32_e32 v49, 0, v49, vcc_lo
	v_cmp_nlt_f32_e32 vcc_lo, 0x42b17218, v10
	v_cndmask_b32_e32 v10, 0x7f800000, v49, vcc_lo
	v_add_f32_e32 v51, 1.0, v10
	v_cvt_f64_f32_e32 v[49:50], v51
	v_frexp_exp_i32_f64_e32 v49, v[49:50]
	v_frexp_mant_f32_e32 v50, v51
	v_cmp_gt_f32_e32 vcc_lo, 0x3f2aaaab, v50
	v_add_f32_e32 v50, -1.0, v51
	v_sub_f32_e32 v53, v50, v51
	v_sub_f32_e32 v50, v10, v50
	v_add_f32_e32 v53, 1.0, v53
	v_add_f32_e32 v50, v50, v53
	v_subrev_co_ci_u32_e64 v49, null, 0, v49, vcc_lo
	v_cmp_neq_f32_e32 vcc_lo, 0x7f800000, v10
	v_sub_nc_u32_e32 v52, 0, v49
	v_cvt_f32_i32_e32 v49, v49
	v_ldexp_f32 v51, v51, v52
	v_ldexp_f32 v50, v50, v52
	v_add_f32_e32 v54, 1.0, v51
	v_add_f32_e32 v52, -1.0, v51
	v_add_f32_e32 v53, -1.0, v54
	v_add_f32_e32 v55, 1.0, v52
	v_sub_f32_e32 v53, v51, v53
	v_sub_f32_e32 v51, v51, v55
	v_add_f32_e32 v53, v50, v53
	v_add_f32_e32 v50, v50, v51
	;; [unrolled: 1-line block ×4, first 2 shown]
	v_rcp_f32_e32 v51, v55
	v_sub_f32_e32 v54, v54, v55
	v_sub_f32_e32 v52, v52, v56
	v_add_f32_e32 v53, v53, v54
	v_add_f32_e32 v50, v50, v52
	v_mul_f32_e32 v57, v56, v51
	v_mul_f32_e32 v58, v55, v57
	v_fma_f32 v54, v57, v55, -v58
	v_fmac_f32_e32 v54, v57, v53
	v_add_f32_e32 v59, v58, v54
	v_sub_f32_e32 v60, v56, v59
	v_sub_f32_e32 v52, v59, v58
	;; [unrolled: 1-line block ×5, first 2 shown]
	v_add_f32_e32 v50, v50, v56
	v_add_f32_e32 v50, v52, v50
	;; [unrolled: 1-line block ×3, first 2 shown]
	v_mul_f32_e32 v54, v51, v52
	v_sub_f32_e32 v59, v60, v52
	v_mul_f32_e32 v56, v55, v54
	v_add_f32_e32 v50, v50, v59
	v_fma_f32 v55, v54, v55, -v56
	v_fmac_f32_e32 v55, v54, v53
	v_add_f32_e32 v53, v56, v55
	v_sub_f32_e32 v58, v52, v53
	v_sub_f32_e32 v56, v53, v56
	;; [unrolled: 1-line block ×5, first 2 shown]
	v_add_f32_e32 v50, v50, v52
	v_add_f32_e32 v52, v57, v54
	;; [unrolled: 1-line block ×3, first 2 shown]
	v_sub_f32_e32 v53, v52, v57
	v_add_f32_e32 v50, v58, v50
	v_sub_f32_e32 v53, v54, v53
	v_mul_f32_e32 v50, v51, v50
	v_add_f32_e32 v50, v53, v50
	v_add_f32_e32 v51, v52, v50
	v_mul_f32_e32 v53, v51, v51
	v_fmaak_f32 v54, s27, v53, 0x3ecc95a3
	v_mul_f32_e32 v55, v51, v53
	v_fmaak_f32 v53, v53, v54, 0x3f2aaada
	v_ldexp_f32 v54, v51, 1
	v_sub_f32_e32 v51, v51, v52
	v_mul_f32_e32 v53, v55, v53
	v_mul_f32_e32 v55, 0x3f317218, v49
	v_sub_f32_e32 v50, v50, v51
	v_add_f32_e32 v52, v54, v53
	v_ldexp_f32 v50, v50, 1
	v_sub_f32_e32 v51, v52, v54
	v_fma_f32 v54, 0x3f317218, v49, -v55
	v_sub_f32_e32 v51, v53, v51
	v_fmamk_f32 v49, v49, 0xb102e308, v54
	v_add_f32_e32 v50, v50, v51
	v_add_f32_e32 v51, v55, v49
	v_add_f32_e32 v53, v52, v50
	v_sub_f32_e32 v55, v51, v55
	v_add_f32_e32 v54, v51, v53
	v_sub_f32_e32 v52, v53, v52
	v_sub_f32_e32 v49, v49, v55
	;; [unrolled: 1-line block ×6, first 2 shown]
	v_add_f32_e32 v53, v49, v50
	v_sub_f32_e32 v51, v51, v57
	v_add_f32_e32 v51, v52, v51
	v_sub_f32_e32 v52, v53, v49
	v_add_f32_e32 v51, v53, v51
	v_sub_f32_e32 v53, v53, v52
	v_sub_f32_e32 v50, v50, v52
	v_add_f32_e32 v55, v54, v51
	v_sub_f32_e32 v49, v49, v53
	v_sub_f32_e32 v52, v55, v54
	v_add_f32_e32 v49, v50, v49
	v_sub_f32_e32 v50, v51, v52
	v_add_f32_e32 v49, v49, v50
	v_add_f32_e32 v49, v55, v49
	v_cndmask_b32_e32 v49, 0x7f800000, v49, vcc_lo
	v_cmp_gt_f32_e64 vcc_lo, 0x33800000, |v10|
	v_cndmask_b32_e32 v10, v49, v10, vcc_lo
	v_add_f32_e32 v10, v9, v10
.LBB446_103:
	s_or_b32 exec_lo, exec_lo, s25
	v_bfe_u32 v9, v10, 16, 1
	v_cmp_o_f32_e32 vcc_lo, v10, v10
	v_add3_u32 v9, v10, v9, 0x7fff
	v_mov_b32_e32 v10, 0x7fc0
	v_cndmask_b32_sdwa v54, v10, v9, vcc_lo dst_sel:DWORD dst_unused:UNUSED_PAD src0_sel:DWORD src1_sel:WORD_1
	v_and_b32_e32 v9, 0xffff, v54
.LBB446_104:
	s_or_b32 exec_lo, exec_lo, s24
	v_lshl_or_b32 v50, v40, 2, 64
	v_add_nc_u32_e32 v51, 16, v40
	s_mov_b32 s24, exec_lo
	s_waitcnt lgkmcnt(0)
	ds_bpermute_b32 v10, v50, v9
	v_cmpx_le_u32_e64 v51, v8
	s_cbranch_execz .LBB446_108
; %bb.105:
	v_lshlrev_b32_e32 v8, 16, v9
	s_waitcnt lgkmcnt(0)
	v_lshlrev_b32_e32 v9, 16, v10
	v_max_f32_e32 v10, v8, v8
	v_max_f32_e32 v49, v9, v9
	v_cmp_u_f32_e32 vcc_lo, v9, v9
	v_min_f32_e32 v52, v49, v10
	v_max_f32_e32 v10, v49, v10
	v_cndmask_b32_e32 v49, v52, v9, vcc_lo
	v_cndmask_b32_e32 v52, v10, v9, vcc_lo
	v_cmp_u_f32_e32 vcc_lo, v8, v8
	v_cndmask_b32_e32 v10, v49, v8, vcc_lo
	v_cndmask_b32_e32 v8, v52, v8, vcc_lo
	v_cmp_class_f32_e64 s25, v10, 0x1f8
	v_cmp_neq_f32_e32 vcc_lo, v10, v8
	s_or_b32 s27, vcc_lo, s25
	s_and_saveexec_b32 s25, s27
	s_cbranch_execz .LBB446_107
; %bb.106:
	v_sub_f32_e32 v9, v10, v8
	s_mov_b32 s27, 0x3e9b6dac
	v_mul_f32_e32 v10, 0x3fb8aa3b, v9
	v_cmp_ngt_f32_e32 vcc_lo, 0xc2ce8ed0, v9
	v_fma_f32 v49, 0x3fb8aa3b, v9, -v10
	v_rndne_f32_e32 v52, v10
	v_fmamk_f32 v49, v9, 0x32a5705f, v49
	v_sub_f32_e32 v10, v10, v52
	v_add_f32_e32 v10, v10, v49
	v_cvt_i32_f32_e32 v49, v52
	v_exp_f32_e32 v10, v10
	v_ldexp_f32 v10, v10, v49
	v_cndmask_b32_e32 v10, 0, v10, vcc_lo
	v_cmp_nlt_f32_e32 vcc_lo, 0x42b17218, v9
	v_cndmask_b32_e32 v49, 0x7f800000, v10, vcc_lo
	v_add_f32_e32 v52, 1.0, v49
	v_cvt_f64_f32_e32 v[9:10], v52
	v_frexp_exp_i32_f64_e32 v9, v[9:10]
	v_frexp_mant_f32_e32 v10, v52
	v_cmp_gt_f32_e32 vcc_lo, 0x3f2aaaab, v10
	v_add_f32_e32 v10, -1.0, v52
	v_sub_f32_e32 v54, v10, v52
	v_sub_f32_e32 v10, v49, v10
	v_add_f32_e32 v54, 1.0, v54
	v_add_f32_e32 v10, v10, v54
	v_subrev_co_ci_u32_e64 v9, null, 0, v9, vcc_lo
	v_cmp_neq_f32_e32 vcc_lo, 0x7f800000, v49
	v_sub_nc_u32_e32 v53, 0, v9
	v_cvt_f32_i32_e32 v9, v9
	v_ldexp_f32 v52, v52, v53
	v_ldexp_f32 v10, v10, v53
	v_add_f32_e32 v55, 1.0, v52
	v_add_f32_e32 v53, -1.0, v52
	v_add_f32_e32 v54, -1.0, v55
	v_add_f32_e32 v56, 1.0, v53
	v_sub_f32_e32 v54, v52, v54
	v_sub_f32_e32 v52, v52, v56
	v_add_f32_e32 v54, v10, v54
	v_add_f32_e32 v10, v10, v52
	;; [unrolled: 1-line block ×4, first 2 shown]
	v_rcp_f32_e32 v52, v56
	v_sub_f32_e32 v55, v55, v56
	v_sub_f32_e32 v53, v53, v57
	v_add_f32_e32 v54, v54, v55
	v_add_f32_e32 v10, v10, v53
	v_mul_f32_e32 v58, v57, v52
	v_mul_f32_e32 v59, v56, v58
	v_fma_f32 v55, v58, v56, -v59
	v_fmac_f32_e32 v55, v58, v54
	v_add_f32_e32 v60, v59, v55
	v_sub_f32_e32 v61, v57, v60
	v_sub_f32_e32 v53, v60, v59
	v_sub_f32_e32 v57, v57, v61
	v_sub_f32_e32 v53, v53, v55
	v_sub_f32_e32 v57, v57, v60
	v_add_f32_e32 v10, v10, v57
	v_add_f32_e32 v10, v53, v10
	;; [unrolled: 1-line block ×3, first 2 shown]
	v_mul_f32_e32 v55, v52, v53
	v_sub_f32_e32 v60, v61, v53
	v_mul_f32_e32 v57, v56, v55
	v_add_f32_e32 v10, v10, v60
	v_fma_f32 v56, v55, v56, -v57
	v_fmac_f32_e32 v56, v55, v54
	v_add_f32_e32 v54, v57, v56
	v_sub_f32_e32 v59, v53, v54
	v_sub_f32_e32 v57, v54, v57
	;; [unrolled: 1-line block ×5, first 2 shown]
	v_add_f32_e32 v10, v10, v53
	v_add_f32_e32 v53, v58, v55
	;; [unrolled: 1-line block ×3, first 2 shown]
	v_sub_f32_e32 v54, v53, v58
	v_add_f32_e32 v10, v59, v10
	v_sub_f32_e32 v54, v55, v54
	v_mul_f32_e32 v10, v52, v10
	v_add_f32_e32 v10, v54, v10
	v_add_f32_e32 v52, v53, v10
	v_mul_f32_e32 v54, v52, v52
	v_fmaak_f32 v55, s27, v54, 0x3ecc95a3
	v_mul_f32_e32 v56, v52, v54
	v_fmaak_f32 v54, v54, v55, 0x3f2aaada
	v_ldexp_f32 v55, v52, 1
	v_sub_f32_e32 v52, v52, v53
	v_mul_f32_e32 v54, v56, v54
	v_mul_f32_e32 v56, 0x3f317218, v9
	v_sub_f32_e32 v10, v10, v52
	v_add_f32_e32 v53, v55, v54
	v_ldexp_f32 v10, v10, 1
	v_sub_f32_e32 v52, v53, v55
	v_fma_f32 v55, 0x3f317218, v9, -v56
	v_sub_f32_e32 v52, v54, v52
	v_fmamk_f32 v9, v9, 0xb102e308, v55
	v_add_f32_e32 v10, v10, v52
	v_add_f32_e32 v52, v56, v9
	;; [unrolled: 1-line block ×3, first 2 shown]
	v_sub_f32_e32 v56, v52, v56
	v_add_f32_e32 v55, v52, v54
	v_sub_f32_e32 v53, v54, v53
	v_sub_f32_e32 v9, v9, v56
	v_sub_f32_e32 v57, v55, v52
	v_sub_f32_e32 v10, v10, v53
	v_sub_f32_e32 v58, v55, v57
	v_sub_f32_e32 v53, v54, v57
	v_add_f32_e32 v54, v9, v10
	v_sub_f32_e32 v52, v52, v58
	v_add_f32_e32 v52, v53, v52
	v_sub_f32_e32 v53, v54, v9
	;; [unrolled: 2-line block ×3, first 2 shown]
	v_sub_f32_e32 v10, v10, v53
	v_add_f32_e32 v56, v55, v52
	v_sub_f32_e32 v9, v9, v54
	v_sub_f32_e32 v53, v56, v55
	v_add_f32_e32 v9, v10, v9
	v_sub_f32_e32 v10, v52, v53
	v_add_f32_e32 v9, v9, v10
	v_add_f32_e32 v9, v56, v9
	v_cndmask_b32_e32 v9, 0x7f800000, v9, vcc_lo
	v_cmp_gt_f32_e64 vcc_lo, 0x33800000, |v49|
	v_cndmask_b32_e32 v9, v9, v49, vcc_lo
	v_add_f32_e32 v9, v8, v9
.LBB446_107:
	s_or_b32 exec_lo, exec_lo, s25
	v_bfe_u32 v8, v9, 16, 1
	v_cmp_o_f32_e32 vcc_lo, v9, v9
	v_add3_u32 v8, v9, v8, 0x7fff
	v_mov_b32_e32 v9, 0x7fc0
	v_cndmask_b32_sdwa v54, v9, v8, vcc_lo dst_sel:DWORD dst_unused:UNUSED_PAD src0_sel:DWORD src1_sel:WORD_1
.LBB446_108:
	s_or_b32 exec_lo, exec_lo, s24
	v_mov_b32_e32 v8, 0
	v_mov_b32_e32 v52, 2
	;; [unrolled: 1-line block ×3, first 2 shown]
	s_mov_b32 s24, 0x3e9b6dac
	s_branch .LBB446_111
.LBB446_109:                            ;   in Loop: Header=BB446_111 Depth=1
	s_or_b32 exec_lo, exec_lo, s25
	v_bfe_u32 v9, v10, 16, 1
	v_cmp_o_f32_e32 vcc_lo, v10, v10
	v_subrev_nc_u32_e32 v7, 32, v7
	s_mov_b32 s25, 0
	v_add3_u32 v9, v10, v9, 0x7fff
	v_cndmask_b32_sdwa v54, v53, v9, vcc_lo dst_sel:DWORD dst_unused:UNUSED_PAD src0_sel:DWORD src1_sel:WORD_1
.LBB446_110:                            ;   in Loop: Header=BB446_111 Depth=1
	s_and_b32 vcc_lo, exec_lo, s25
	s_cbranch_vccnz .LBB446_139
.LBB446_111:                            ; =>This Loop Header: Depth=1
                                        ;     Child Loop BB446_114 Depth 2
	v_cmp_ne_u16_sdwa s25, v41, v52 src0_sel:BYTE_0 src1_sel:DWORD
	v_mov_b32_e32 v49, v54
                                        ; implicit-def: $vgpr54
                                        ; implicit-def: $vgpr41
	s_cmp_lg_u32 s25, exec_lo
	s_mov_b32 s25, -1
	s_cbranch_scc1 .LBB446_110
; %bb.112:                              ;   in Loop: Header=BB446_111 Depth=1
	s_waitcnt lgkmcnt(0)
	v_lshlrev_b64 v[9:10], 2, v[7:8]
	v_add_co_u32 v9, vcc_lo, s34, v9
	v_add_co_ci_u32_e64 v10, null, s35, v10, vcc_lo
	global_load_dword v54, v[9:10], off glc dlc
	s_waitcnt vmcnt(0)
	v_lshrrev_b32_e32 v41, 16, v54
	v_cmp_eq_u16_sdwa s27, v41, v8 src0_sel:BYTE_0 src1_sel:DWORD
	s_and_saveexec_b32 s25, s27
	s_cbranch_execz .LBB446_116
; %bb.113:                              ;   in Loop: Header=BB446_111 Depth=1
	s_mov_b32 s27, 0
.LBB446_114:                            ;   Parent Loop BB446_111 Depth=1
                                        ; =>  This Inner Loop Header: Depth=2
	global_load_dword v54, v[9:10], off glc dlc
	s_waitcnt vmcnt(0)
	v_lshrrev_b32_e32 v41, 16, v54
	v_cmp_ne_u16_sdwa s28, v41, v8 src0_sel:BYTE_0 src1_sel:DWORD
	s_or_b32 s27, s28, s27
	s_andn2_b32 exec_lo, exec_lo, s27
	s_cbranch_execnz .LBB446_114
; %bb.115:                              ;   in Loop: Header=BB446_111 Depth=1
	s_or_b32 exec_lo, exec_lo, s27
.LBB446_116:                            ;   in Loop: Header=BB446_111 Depth=1
	s_or_b32 exec_lo, exec_lo, s25
	v_and_b32_e32 v10, 0xffff, v54
	v_cmp_eq_u16_sdwa s25, v41, v52 src0_sel:BYTE_0 src1_sel:DWORD
	ds_bpermute_b32 v55, v11, v10
	v_and_or_b32 v9, s25, v42, 0x80000000
	s_mov_b32 s25, exec_lo
	v_ffbl_b32_e32 v9, v9
	v_cmpx_lt_u32_e64 v40, v9
	s_cbranch_execz .LBB446_120
; %bb.117:                              ;   in Loop: Header=BB446_111 Depth=1
	v_lshlrev_b32_e32 v10, 16, v10
	s_waitcnt lgkmcnt(0)
	v_lshlrev_b32_e32 v54, 16, v55
	v_max_f32_e32 v55, v10, v10
	v_max_f32_e32 v56, v54, v54
	v_cmp_u_f32_e32 vcc_lo, v54, v54
	v_min_f32_e32 v57, v56, v55
	v_max_f32_e32 v55, v56, v55
	v_cndmask_b32_e32 v56, v57, v54, vcc_lo
	v_cndmask_b32_e32 v57, v55, v54, vcc_lo
	v_cmp_u_f32_e32 vcc_lo, v10, v10
	v_cndmask_b32_e32 v55, v56, v10, vcc_lo
	v_cndmask_b32_e32 v10, v57, v10, vcc_lo
	v_cmp_class_f32_e64 s27, v55, 0x1f8
	v_cmp_neq_f32_e32 vcc_lo, v55, v10
	s_or_b32 s28, vcc_lo, s27
	s_and_saveexec_b32 s27, s28
	s_cbranch_execz .LBB446_119
; %bb.118:                              ;   in Loop: Header=BB446_111 Depth=1
	v_sub_f32_e32 v54, v55, v10
	v_mul_f32_e32 v55, 0x3fb8aa3b, v54
	v_cmp_ngt_f32_e32 vcc_lo, 0xc2ce8ed0, v54
	v_fma_f32 v56, 0x3fb8aa3b, v54, -v55
	v_rndne_f32_e32 v57, v55
	v_fmac_f32_e32 v56, 0x32a5705f, v54
	v_sub_f32_e32 v55, v55, v57
	v_add_f32_e32 v55, v55, v56
	v_cvt_i32_f32_e32 v56, v57
	v_exp_f32_e32 v55, v55
	v_ldexp_f32 v55, v55, v56
	v_cndmask_b32_e32 v55, 0, v55, vcc_lo
	v_cmp_nlt_f32_e32 vcc_lo, 0x42b17218, v54
	v_cndmask_b32_e32 v56, 0x7f800000, v55, vcc_lo
	v_add_f32_e32 v57, 1.0, v56
	v_cvt_f64_f32_e32 v[54:55], v57
	v_frexp_exp_i32_f64_e32 v54, v[54:55]
	v_frexp_mant_f32_e32 v55, v57
	v_cmp_gt_f32_e32 vcc_lo, 0x3f2aaaab, v55
	v_add_f32_e32 v55, -1.0, v57
	v_sub_f32_e32 v59, v55, v57
	v_sub_f32_e32 v55, v56, v55
	v_add_f32_e32 v59, 1.0, v59
	v_add_f32_e32 v55, v55, v59
	v_subrev_co_ci_u32_e64 v54, null, 0, v54, vcc_lo
	v_cmp_neq_f32_e32 vcc_lo, 0x7f800000, v56
	v_sub_nc_u32_e32 v58, 0, v54
	v_cvt_f32_i32_e32 v54, v54
	v_ldexp_f32 v57, v57, v58
	v_ldexp_f32 v55, v55, v58
	v_add_f32_e32 v60, 1.0, v57
	v_add_f32_e32 v58, -1.0, v57
	v_add_f32_e32 v59, -1.0, v60
	v_add_f32_e32 v61, 1.0, v58
	v_sub_f32_e32 v59, v57, v59
	v_sub_f32_e32 v57, v57, v61
	v_add_f32_e32 v59, v55, v59
	v_add_f32_e32 v55, v55, v57
	;; [unrolled: 1-line block ×4, first 2 shown]
	v_rcp_f32_e32 v57, v61
	v_sub_f32_e32 v60, v60, v61
	v_sub_f32_e32 v58, v58, v62
	v_add_f32_e32 v59, v59, v60
	v_add_f32_e32 v55, v55, v58
	v_mul_f32_e32 v63, v62, v57
	v_mul_f32_e32 v64, v61, v63
	v_fma_f32 v60, v63, v61, -v64
	v_fmac_f32_e32 v60, v63, v59
	v_add_f32_e32 v65, v64, v60
	v_sub_f32_e32 v66, v62, v65
	v_sub_f32_e32 v58, v65, v64
	;; [unrolled: 1-line block ×5, first 2 shown]
	v_add_f32_e32 v55, v55, v62
	v_add_f32_e32 v55, v58, v55
	;; [unrolled: 1-line block ×3, first 2 shown]
	v_mul_f32_e32 v60, v57, v58
	v_sub_f32_e32 v65, v66, v58
	v_mul_f32_e32 v62, v61, v60
	v_add_f32_e32 v55, v55, v65
	v_fma_f32 v61, v60, v61, -v62
	v_fmac_f32_e32 v61, v60, v59
	v_add_f32_e32 v59, v62, v61
	v_sub_f32_e32 v64, v58, v59
	v_sub_f32_e32 v62, v59, v62
	;; [unrolled: 1-line block ×5, first 2 shown]
	v_add_f32_e32 v55, v55, v58
	v_add_f32_e32 v58, v63, v60
	;; [unrolled: 1-line block ×3, first 2 shown]
	v_sub_f32_e32 v59, v58, v63
	v_add_f32_e32 v55, v64, v55
	v_sub_f32_e32 v59, v60, v59
	v_mul_f32_e32 v55, v57, v55
	v_add_f32_e32 v55, v59, v55
	v_add_f32_e32 v57, v58, v55
	v_mul_f32_e32 v59, v57, v57
	v_fmaak_f32 v60, s24, v59, 0x3ecc95a3
	v_mul_f32_e32 v61, v57, v59
	v_fmaak_f32 v59, v59, v60, 0x3f2aaada
	v_ldexp_f32 v60, v57, 1
	v_sub_f32_e32 v57, v57, v58
	v_mul_f32_e32 v59, v61, v59
	v_mul_f32_e32 v61, 0x3f317218, v54
	v_sub_f32_e32 v55, v55, v57
	v_add_f32_e32 v58, v60, v59
	v_ldexp_f32 v55, v55, 1
	v_sub_f32_e32 v57, v58, v60
	v_fma_f32 v60, 0x3f317218, v54, -v61
	v_sub_f32_e32 v57, v59, v57
	v_fmac_f32_e32 v60, 0xb102e308, v54
	v_add_f32_e32 v54, v55, v57
	v_add_f32_e32 v55, v61, v60
	;; [unrolled: 1-line block ×3, first 2 shown]
	v_sub_f32_e32 v61, v55, v61
	v_add_f32_e32 v59, v55, v57
	v_sub_f32_e32 v58, v57, v58
	v_sub_f32_e32 v60, v60, v61
	v_sub_f32_e32 v62, v59, v55
	v_sub_f32_e32 v54, v54, v58
	v_sub_f32_e32 v63, v59, v62
	v_sub_f32_e32 v57, v57, v62
	v_add_f32_e32 v58, v60, v54
	v_sub_f32_e32 v55, v55, v63
	v_add_f32_e32 v55, v57, v55
	v_sub_f32_e32 v57, v58, v60
	;; [unrolled: 2-line block ×3, first 2 shown]
	v_sub_f32_e32 v54, v54, v57
	v_add_f32_e32 v61, v59, v55
	v_sub_f32_e32 v58, v60, v58
	v_sub_f32_e32 v57, v61, v59
	v_add_f32_e32 v54, v54, v58
	v_sub_f32_e32 v55, v55, v57
	v_add_f32_e32 v54, v54, v55
	v_add_f32_e32 v54, v61, v54
	v_cndmask_b32_e32 v54, 0x7f800000, v54, vcc_lo
	v_cmp_gt_f32_e64 vcc_lo, 0x33800000, |v56|
	v_cndmask_b32_e32 v54, v54, v56, vcc_lo
	v_add_f32_e32 v54, v10, v54
.LBB446_119:                            ;   in Loop: Header=BB446_111 Depth=1
	s_or_b32 exec_lo, exec_lo, s27
	v_bfe_u32 v10, v54, 16, 1
	v_cmp_o_f32_e32 vcc_lo, v54, v54
	v_add3_u32 v10, v54, v10, 0x7fff
	v_cndmask_b32_sdwa v54, v53, v10, vcc_lo dst_sel:DWORD dst_unused:UNUSED_PAD src0_sel:DWORD src1_sel:WORD_1
	v_and_b32_e32 v10, 0xffff, v54
.LBB446_120:                            ;   in Loop: Header=BB446_111 Depth=1
	s_or_b32 exec_lo, exec_lo, s25
	s_waitcnt lgkmcnt(0)
	ds_bpermute_b32 v55, v43, v10
	s_mov_b32 s25, exec_lo
	v_cmpx_le_u32_e64 v44, v9
	s_cbranch_execz .LBB446_124
; %bb.121:                              ;   in Loop: Header=BB446_111 Depth=1
	v_lshlrev_b32_e32 v10, 16, v10
	s_waitcnt lgkmcnt(0)
	v_lshlrev_b32_e32 v54, 16, v55
	v_max_f32_e32 v55, v10, v10
	v_max_f32_e32 v56, v54, v54
	v_cmp_u_f32_e32 vcc_lo, v54, v54
	v_min_f32_e32 v57, v56, v55
	v_max_f32_e32 v55, v56, v55
	v_cndmask_b32_e32 v56, v57, v54, vcc_lo
	v_cndmask_b32_e32 v57, v55, v54, vcc_lo
	v_cmp_u_f32_e32 vcc_lo, v10, v10
	v_cndmask_b32_e32 v55, v56, v10, vcc_lo
	v_cndmask_b32_e32 v10, v57, v10, vcc_lo
	v_cmp_class_f32_e64 s27, v55, 0x1f8
	v_cmp_neq_f32_e32 vcc_lo, v55, v10
	s_or_b32 s28, vcc_lo, s27
	s_and_saveexec_b32 s27, s28
	s_cbranch_execz .LBB446_123
; %bb.122:                              ;   in Loop: Header=BB446_111 Depth=1
	v_sub_f32_e32 v54, v55, v10
	v_mul_f32_e32 v55, 0x3fb8aa3b, v54
	v_cmp_ngt_f32_e32 vcc_lo, 0xc2ce8ed0, v54
	v_fma_f32 v56, 0x3fb8aa3b, v54, -v55
	v_rndne_f32_e32 v57, v55
	v_fmac_f32_e32 v56, 0x32a5705f, v54
	v_sub_f32_e32 v55, v55, v57
	v_add_f32_e32 v55, v55, v56
	v_cvt_i32_f32_e32 v56, v57
	v_exp_f32_e32 v55, v55
	v_ldexp_f32 v55, v55, v56
	v_cndmask_b32_e32 v55, 0, v55, vcc_lo
	v_cmp_nlt_f32_e32 vcc_lo, 0x42b17218, v54
	v_cndmask_b32_e32 v56, 0x7f800000, v55, vcc_lo
	v_add_f32_e32 v57, 1.0, v56
	v_cvt_f64_f32_e32 v[54:55], v57
	v_frexp_exp_i32_f64_e32 v54, v[54:55]
	v_frexp_mant_f32_e32 v55, v57
	v_cmp_gt_f32_e32 vcc_lo, 0x3f2aaaab, v55
	v_add_f32_e32 v55, -1.0, v57
	v_sub_f32_e32 v59, v55, v57
	v_sub_f32_e32 v55, v56, v55
	v_add_f32_e32 v59, 1.0, v59
	v_add_f32_e32 v55, v55, v59
	v_subrev_co_ci_u32_e64 v54, null, 0, v54, vcc_lo
	v_cmp_neq_f32_e32 vcc_lo, 0x7f800000, v56
	v_sub_nc_u32_e32 v58, 0, v54
	v_cvt_f32_i32_e32 v54, v54
	v_ldexp_f32 v57, v57, v58
	v_ldexp_f32 v55, v55, v58
	v_add_f32_e32 v60, 1.0, v57
	v_add_f32_e32 v58, -1.0, v57
	v_add_f32_e32 v59, -1.0, v60
	v_add_f32_e32 v61, 1.0, v58
	v_sub_f32_e32 v59, v57, v59
	v_sub_f32_e32 v57, v57, v61
	v_add_f32_e32 v59, v55, v59
	v_add_f32_e32 v55, v55, v57
	;; [unrolled: 1-line block ×4, first 2 shown]
	v_rcp_f32_e32 v57, v61
	v_sub_f32_e32 v60, v60, v61
	v_sub_f32_e32 v58, v58, v62
	v_add_f32_e32 v59, v59, v60
	v_add_f32_e32 v55, v55, v58
	v_mul_f32_e32 v63, v62, v57
	v_mul_f32_e32 v64, v61, v63
	v_fma_f32 v60, v63, v61, -v64
	v_fmac_f32_e32 v60, v63, v59
	v_add_f32_e32 v65, v64, v60
	v_sub_f32_e32 v66, v62, v65
	v_sub_f32_e32 v58, v65, v64
	;; [unrolled: 1-line block ×5, first 2 shown]
	v_add_f32_e32 v55, v55, v62
	v_add_f32_e32 v55, v58, v55
	;; [unrolled: 1-line block ×3, first 2 shown]
	v_mul_f32_e32 v60, v57, v58
	v_sub_f32_e32 v65, v66, v58
	v_mul_f32_e32 v62, v61, v60
	v_add_f32_e32 v55, v55, v65
	v_fma_f32 v61, v60, v61, -v62
	v_fmac_f32_e32 v61, v60, v59
	v_add_f32_e32 v59, v62, v61
	v_sub_f32_e32 v64, v58, v59
	v_sub_f32_e32 v62, v59, v62
	;; [unrolled: 1-line block ×5, first 2 shown]
	v_add_f32_e32 v55, v55, v58
	v_add_f32_e32 v58, v63, v60
	;; [unrolled: 1-line block ×3, first 2 shown]
	v_sub_f32_e32 v59, v58, v63
	v_add_f32_e32 v55, v64, v55
	v_sub_f32_e32 v59, v60, v59
	v_mul_f32_e32 v55, v57, v55
	v_add_f32_e32 v55, v59, v55
	v_add_f32_e32 v57, v58, v55
	v_mul_f32_e32 v59, v57, v57
	v_fmaak_f32 v60, s24, v59, 0x3ecc95a3
	v_mul_f32_e32 v61, v57, v59
	v_fmaak_f32 v59, v59, v60, 0x3f2aaada
	v_ldexp_f32 v60, v57, 1
	v_sub_f32_e32 v57, v57, v58
	v_mul_f32_e32 v59, v61, v59
	v_mul_f32_e32 v61, 0x3f317218, v54
	v_sub_f32_e32 v55, v55, v57
	v_add_f32_e32 v58, v60, v59
	v_ldexp_f32 v55, v55, 1
	v_sub_f32_e32 v57, v58, v60
	v_fma_f32 v60, 0x3f317218, v54, -v61
	v_sub_f32_e32 v57, v59, v57
	v_fmac_f32_e32 v60, 0xb102e308, v54
	v_add_f32_e32 v54, v55, v57
	v_add_f32_e32 v55, v61, v60
	;; [unrolled: 1-line block ×3, first 2 shown]
	v_sub_f32_e32 v61, v55, v61
	v_add_f32_e32 v59, v55, v57
	v_sub_f32_e32 v58, v57, v58
	v_sub_f32_e32 v60, v60, v61
	;; [unrolled: 1-line block ×6, first 2 shown]
	v_add_f32_e32 v58, v60, v54
	v_sub_f32_e32 v55, v55, v63
	v_add_f32_e32 v55, v57, v55
	v_sub_f32_e32 v57, v58, v60
	;; [unrolled: 2-line block ×3, first 2 shown]
	v_sub_f32_e32 v54, v54, v57
	v_add_f32_e32 v61, v59, v55
	v_sub_f32_e32 v58, v60, v58
	v_sub_f32_e32 v57, v61, v59
	v_add_f32_e32 v54, v54, v58
	v_sub_f32_e32 v55, v55, v57
	v_add_f32_e32 v54, v54, v55
	v_add_f32_e32 v54, v61, v54
	v_cndmask_b32_e32 v54, 0x7f800000, v54, vcc_lo
	v_cmp_gt_f32_e64 vcc_lo, 0x33800000, |v56|
	v_cndmask_b32_e32 v54, v54, v56, vcc_lo
	v_add_f32_e32 v54, v10, v54
.LBB446_123:                            ;   in Loop: Header=BB446_111 Depth=1
	s_or_b32 exec_lo, exec_lo, s27
	v_bfe_u32 v10, v54, 16, 1
	v_cmp_o_f32_e32 vcc_lo, v54, v54
	v_add3_u32 v10, v54, v10, 0x7fff
	v_cndmask_b32_sdwa v54, v53, v10, vcc_lo dst_sel:DWORD dst_unused:UNUSED_PAD src0_sel:DWORD src1_sel:WORD_1
	v_and_b32_e32 v10, 0xffff, v54
.LBB446_124:                            ;   in Loop: Header=BB446_111 Depth=1
	s_or_b32 exec_lo, exec_lo, s25
	s_waitcnt lgkmcnt(0)
	ds_bpermute_b32 v55, v45, v10
	s_mov_b32 s25, exec_lo
	v_cmpx_le_u32_e64 v46, v9
	s_cbranch_execz .LBB446_128
; %bb.125:                              ;   in Loop: Header=BB446_111 Depth=1
	v_lshlrev_b32_e32 v10, 16, v10
	s_waitcnt lgkmcnt(0)
	v_lshlrev_b32_e32 v54, 16, v55
	v_max_f32_e32 v55, v10, v10
	v_max_f32_e32 v56, v54, v54
	v_cmp_u_f32_e32 vcc_lo, v54, v54
	v_min_f32_e32 v57, v56, v55
	v_max_f32_e32 v55, v56, v55
	v_cndmask_b32_e32 v56, v57, v54, vcc_lo
	v_cndmask_b32_e32 v57, v55, v54, vcc_lo
	v_cmp_u_f32_e32 vcc_lo, v10, v10
	v_cndmask_b32_e32 v55, v56, v10, vcc_lo
	v_cndmask_b32_e32 v10, v57, v10, vcc_lo
	v_cmp_class_f32_e64 s27, v55, 0x1f8
	v_cmp_neq_f32_e32 vcc_lo, v55, v10
	s_or_b32 s28, vcc_lo, s27
	s_and_saveexec_b32 s27, s28
	s_cbranch_execz .LBB446_127
; %bb.126:                              ;   in Loop: Header=BB446_111 Depth=1
	v_sub_f32_e32 v54, v55, v10
	v_mul_f32_e32 v55, 0x3fb8aa3b, v54
	v_cmp_ngt_f32_e32 vcc_lo, 0xc2ce8ed0, v54
	v_fma_f32 v56, 0x3fb8aa3b, v54, -v55
	v_rndne_f32_e32 v57, v55
	v_fmac_f32_e32 v56, 0x32a5705f, v54
	v_sub_f32_e32 v55, v55, v57
	v_add_f32_e32 v55, v55, v56
	v_cvt_i32_f32_e32 v56, v57
	v_exp_f32_e32 v55, v55
	v_ldexp_f32 v55, v55, v56
	v_cndmask_b32_e32 v55, 0, v55, vcc_lo
	v_cmp_nlt_f32_e32 vcc_lo, 0x42b17218, v54
	v_cndmask_b32_e32 v56, 0x7f800000, v55, vcc_lo
	v_add_f32_e32 v57, 1.0, v56
	v_cvt_f64_f32_e32 v[54:55], v57
	v_frexp_exp_i32_f64_e32 v54, v[54:55]
	v_frexp_mant_f32_e32 v55, v57
	v_cmp_gt_f32_e32 vcc_lo, 0x3f2aaaab, v55
	v_add_f32_e32 v55, -1.0, v57
	v_sub_f32_e32 v59, v55, v57
	v_sub_f32_e32 v55, v56, v55
	v_add_f32_e32 v59, 1.0, v59
	v_add_f32_e32 v55, v55, v59
	v_subrev_co_ci_u32_e64 v54, null, 0, v54, vcc_lo
	v_cmp_neq_f32_e32 vcc_lo, 0x7f800000, v56
	v_sub_nc_u32_e32 v58, 0, v54
	v_cvt_f32_i32_e32 v54, v54
	v_ldexp_f32 v57, v57, v58
	v_ldexp_f32 v55, v55, v58
	v_add_f32_e32 v60, 1.0, v57
	v_add_f32_e32 v58, -1.0, v57
	v_add_f32_e32 v59, -1.0, v60
	v_add_f32_e32 v61, 1.0, v58
	v_sub_f32_e32 v59, v57, v59
	v_sub_f32_e32 v57, v57, v61
	v_add_f32_e32 v59, v55, v59
	v_add_f32_e32 v55, v55, v57
	;; [unrolled: 1-line block ×4, first 2 shown]
	v_rcp_f32_e32 v57, v61
	v_sub_f32_e32 v60, v60, v61
	v_sub_f32_e32 v58, v58, v62
	v_add_f32_e32 v59, v59, v60
	v_add_f32_e32 v55, v55, v58
	v_mul_f32_e32 v63, v62, v57
	v_mul_f32_e32 v64, v61, v63
	v_fma_f32 v60, v63, v61, -v64
	v_fmac_f32_e32 v60, v63, v59
	v_add_f32_e32 v65, v64, v60
	v_sub_f32_e32 v66, v62, v65
	v_sub_f32_e32 v58, v65, v64
	;; [unrolled: 1-line block ×5, first 2 shown]
	v_add_f32_e32 v55, v55, v62
	v_add_f32_e32 v55, v58, v55
	;; [unrolled: 1-line block ×3, first 2 shown]
	v_mul_f32_e32 v60, v57, v58
	v_sub_f32_e32 v65, v66, v58
	v_mul_f32_e32 v62, v61, v60
	v_add_f32_e32 v55, v55, v65
	v_fma_f32 v61, v60, v61, -v62
	v_fmac_f32_e32 v61, v60, v59
	v_add_f32_e32 v59, v62, v61
	v_sub_f32_e32 v64, v58, v59
	v_sub_f32_e32 v62, v59, v62
	;; [unrolled: 1-line block ×5, first 2 shown]
	v_add_f32_e32 v55, v55, v58
	v_add_f32_e32 v58, v63, v60
	v_add_f32_e32 v55, v59, v55
	v_sub_f32_e32 v59, v58, v63
	v_add_f32_e32 v55, v64, v55
	v_sub_f32_e32 v59, v60, v59
	v_mul_f32_e32 v55, v57, v55
	v_add_f32_e32 v55, v59, v55
	v_add_f32_e32 v57, v58, v55
	v_mul_f32_e32 v59, v57, v57
	v_fmaak_f32 v60, s24, v59, 0x3ecc95a3
	v_mul_f32_e32 v61, v57, v59
	v_fmaak_f32 v59, v59, v60, 0x3f2aaada
	v_ldexp_f32 v60, v57, 1
	v_sub_f32_e32 v57, v57, v58
	v_mul_f32_e32 v59, v61, v59
	v_mul_f32_e32 v61, 0x3f317218, v54
	v_sub_f32_e32 v55, v55, v57
	v_add_f32_e32 v58, v60, v59
	v_ldexp_f32 v55, v55, 1
	v_sub_f32_e32 v57, v58, v60
	v_fma_f32 v60, 0x3f317218, v54, -v61
	v_sub_f32_e32 v57, v59, v57
	v_fmac_f32_e32 v60, 0xb102e308, v54
	v_add_f32_e32 v54, v55, v57
	v_add_f32_e32 v55, v61, v60
	;; [unrolled: 1-line block ×3, first 2 shown]
	v_sub_f32_e32 v61, v55, v61
	v_add_f32_e32 v59, v55, v57
	v_sub_f32_e32 v58, v57, v58
	v_sub_f32_e32 v60, v60, v61
	;; [unrolled: 1-line block ×6, first 2 shown]
	v_add_f32_e32 v58, v60, v54
	v_sub_f32_e32 v55, v55, v63
	v_add_f32_e32 v55, v57, v55
	v_sub_f32_e32 v57, v58, v60
	;; [unrolled: 2-line block ×3, first 2 shown]
	v_sub_f32_e32 v54, v54, v57
	v_add_f32_e32 v61, v59, v55
	v_sub_f32_e32 v58, v60, v58
	v_sub_f32_e32 v57, v61, v59
	v_add_f32_e32 v54, v54, v58
	v_sub_f32_e32 v55, v55, v57
	v_add_f32_e32 v54, v54, v55
	v_add_f32_e32 v54, v61, v54
	v_cndmask_b32_e32 v54, 0x7f800000, v54, vcc_lo
	v_cmp_gt_f32_e64 vcc_lo, 0x33800000, |v56|
	v_cndmask_b32_e32 v54, v54, v56, vcc_lo
	v_add_f32_e32 v54, v10, v54
.LBB446_127:                            ;   in Loop: Header=BB446_111 Depth=1
	s_or_b32 exec_lo, exec_lo, s27
	v_bfe_u32 v10, v54, 16, 1
	v_cmp_o_f32_e32 vcc_lo, v54, v54
	v_add3_u32 v10, v54, v10, 0x7fff
	v_cndmask_b32_sdwa v54, v53, v10, vcc_lo dst_sel:DWORD dst_unused:UNUSED_PAD src0_sel:DWORD src1_sel:WORD_1
	v_and_b32_e32 v10, 0xffff, v54
.LBB446_128:                            ;   in Loop: Header=BB446_111 Depth=1
	s_or_b32 exec_lo, exec_lo, s25
	s_waitcnt lgkmcnt(0)
	ds_bpermute_b32 v55, v47, v10
	s_mov_b32 s25, exec_lo
	v_cmpx_le_u32_e64 v48, v9
	s_cbranch_execz .LBB446_132
; %bb.129:                              ;   in Loop: Header=BB446_111 Depth=1
	v_lshlrev_b32_e32 v10, 16, v10
	s_waitcnt lgkmcnt(0)
	v_lshlrev_b32_e32 v54, 16, v55
	v_max_f32_e32 v55, v10, v10
	v_max_f32_e32 v56, v54, v54
	v_cmp_u_f32_e32 vcc_lo, v54, v54
	v_min_f32_e32 v57, v56, v55
	v_max_f32_e32 v55, v56, v55
	v_cndmask_b32_e32 v56, v57, v54, vcc_lo
	v_cndmask_b32_e32 v57, v55, v54, vcc_lo
	v_cmp_u_f32_e32 vcc_lo, v10, v10
	v_cndmask_b32_e32 v55, v56, v10, vcc_lo
	v_cndmask_b32_e32 v10, v57, v10, vcc_lo
	v_cmp_class_f32_e64 s27, v55, 0x1f8
	v_cmp_neq_f32_e32 vcc_lo, v55, v10
	s_or_b32 s28, vcc_lo, s27
	s_and_saveexec_b32 s27, s28
	s_cbranch_execz .LBB446_131
; %bb.130:                              ;   in Loop: Header=BB446_111 Depth=1
	v_sub_f32_e32 v54, v55, v10
	v_mul_f32_e32 v55, 0x3fb8aa3b, v54
	v_cmp_ngt_f32_e32 vcc_lo, 0xc2ce8ed0, v54
	v_fma_f32 v56, 0x3fb8aa3b, v54, -v55
	v_rndne_f32_e32 v57, v55
	v_fmac_f32_e32 v56, 0x32a5705f, v54
	v_sub_f32_e32 v55, v55, v57
	v_add_f32_e32 v55, v55, v56
	v_cvt_i32_f32_e32 v56, v57
	v_exp_f32_e32 v55, v55
	v_ldexp_f32 v55, v55, v56
	v_cndmask_b32_e32 v55, 0, v55, vcc_lo
	v_cmp_nlt_f32_e32 vcc_lo, 0x42b17218, v54
	v_cndmask_b32_e32 v56, 0x7f800000, v55, vcc_lo
	v_add_f32_e32 v57, 1.0, v56
	v_cvt_f64_f32_e32 v[54:55], v57
	v_frexp_exp_i32_f64_e32 v54, v[54:55]
	v_frexp_mant_f32_e32 v55, v57
	v_cmp_gt_f32_e32 vcc_lo, 0x3f2aaaab, v55
	v_add_f32_e32 v55, -1.0, v57
	v_sub_f32_e32 v59, v55, v57
	v_sub_f32_e32 v55, v56, v55
	v_add_f32_e32 v59, 1.0, v59
	v_add_f32_e32 v55, v55, v59
	v_subrev_co_ci_u32_e64 v54, null, 0, v54, vcc_lo
	v_cmp_neq_f32_e32 vcc_lo, 0x7f800000, v56
	v_sub_nc_u32_e32 v58, 0, v54
	v_cvt_f32_i32_e32 v54, v54
	v_ldexp_f32 v57, v57, v58
	v_ldexp_f32 v55, v55, v58
	v_add_f32_e32 v60, 1.0, v57
	v_add_f32_e32 v58, -1.0, v57
	v_add_f32_e32 v59, -1.0, v60
	v_add_f32_e32 v61, 1.0, v58
	v_sub_f32_e32 v59, v57, v59
	v_sub_f32_e32 v57, v57, v61
	v_add_f32_e32 v59, v55, v59
	v_add_f32_e32 v55, v55, v57
	;; [unrolled: 1-line block ×4, first 2 shown]
	v_rcp_f32_e32 v57, v61
	v_sub_f32_e32 v60, v60, v61
	v_sub_f32_e32 v58, v58, v62
	v_add_f32_e32 v59, v59, v60
	v_add_f32_e32 v55, v55, v58
	v_mul_f32_e32 v63, v62, v57
	v_mul_f32_e32 v64, v61, v63
	v_fma_f32 v60, v63, v61, -v64
	v_fmac_f32_e32 v60, v63, v59
	v_add_f32_e32 v65, v64, v60
	v_sub_f32_e32 v66, v62, v65
	v_sub_f32_e32 v58, v65, v64
	;; [unrolled: 1-line block ×5, first 2 shown]
	v_add_f32_e32 v55, v55, v62
	v_add_f32_e32 v55, v58, v55
	;; [unrolled: 1-line block ×3, first 2 shown]
	v_mul_f32_e32 v60, v57, v58
	v_sub_f32_e32 v65, v66, v58
	v_mul_f32_e32 v62, v61, v60
	v_add_f32_e32 v55, v55, v65
	v_fma_f32 v61, v60, v61, -v62
	v_fmac_f32_e32 v61, v60, v59
	v_add_f32_e32 v59, v62, v61
	v_sub_f32_e32 v64, v58, v59
	v_sub_f32_e32 v62, v59, v62
	;; [unrolled: 1-line block ×5, first 2 shown]
	v_add_f32_e32 v55, v55, v58
	v_add_f32_e32 v58, v63, v60
	;; [unrolled: 1-line block ×3, first 2 shown]
	v_sub_f32_e32 v59, v58, v63
	v_add_f32_e32 v55, v64, v55
	v_sub_f32_e32 v59, v60, v59
	v_mul_f32_e32 v55, v57, v55
	v_add_f32_e32 v55, v59, v55
	v_add_f32_e32 v57, v58, v55
	v_mul_f32_e32 v59, v57, v57
	v_fmaak_f32 v60, s24, v59, 0x3ecc95a3
	v_mul_f32_e32 v61, v57, v59
	v_fmaak_f32 v59, v59, v60, 0x3f2aaada
	v_ldexp_f32 v60, v57, 1
	v_sub_f32_e32 v57, v57, v58
	v_mul_f32_e32 v59, v61, v59
	v_mul_f32_e32 v61, 0x3f317218, v54
	v_sub_f32_e32 v55, v55, v57
	v_add_f32_e32 v58, v60, v59
	v_ldexp_f32 v55, v55, 1
	v_sub_f32_e32 v57, v58, v60
	v_fma_f32 v60, 0x3f317218, v54, -v61
	v_sub_f32_e32 v57, v59, v57
	v_fmac_f32_e32 v60, 0xb102e308, v54
	v_add_f32_e32 v54, v55, v57
	v_add_f32_e32 v55, v61, v60
	;; [unrolled: 1-line block ×3, first 2 shown]
	v_sub_f32_e32 v61, v55, v61
	v_add_f32_e32 v59, v55, v57
	v_sub_f32_e32 v58, v57, v58
	v_sub_f32_e32 v60, v60, v61
	;; [unrolled: 1-line block ×6, first 2 shown]
	v_add_f32_e32 v58, v60, v54
	v_sub_f32_e32 v55, v55, v63
	v_add_f32_e32 v55, v57, v55
	v_sub_f32_e32 v57, v58, v60
	;; [unrolled: 2-line block ×3, first 2 shown]
	v_sub_f32_e32 v54, v54, v57
	v_add_f32_e32 v61, v59, v55
	v_sub_f32_e32 v58, v60, v58
	v_sub_f32_e32 v57, v61, v59
	v_add_f32_e32 v54, v54, v58
	v_sub_f32_e32 v55, v55, v57
	v_add_f32_e32 v54, v54, v55
	v_add_f32_e32 v54, v61, v54
	v_cndmask_b32_e32 v54, 0x7f800000, v54, vcc_lo
	v_cmp_gt_f32_e64 vcc_lo, 0x33800000, |v56|
	v_cndmask_b32_e32 v54, v54, v56, vcc_lo
	v_add_f32_e32 v54, v10, v54
.LBB446_131:                            ;   in Loop: Header=BB446_111 Depth=1
	s_or_b32 exec_lo, exec_lo, s27
	v_bfe_u32 v10, v54, 16, 1
	v_cmp_o_f32_e32 vcc_lo, v54, v54
	v_add3_u32 v10, v54, v10, 0x7fff
	v_cndmask_b32_sdwa v54, v53, v10, vcc_lo dst_sel:DWORD dst_unused:UNUSED_PAD src0_sel:DWORD src1_sel:WORD_1
	v_and_b32_e32 v10, 0xffff, v54
.LBB446_132:                            ;   in Loop: Header=BB446_111 Depth=1
	s_or_b32 exec_lo, exec_lo, s25
	s_waitcnt lgkmcnt(0)
	ds_bpermute_b32 v55, v50, v10
	s_mov_b32 s25, exec_lo
	v_cmpx_le_u32_e64 v51, v9
	s_cbranch_execz .LBB446_136
; %bb.133:                              ;   in Loop: Header=BB446_111 Depth=1
	v_lshlrev_b32_e32 v9, 16, v10
	s_waitcnt lgkmcnt(0)
	v_lshlrev_b32_e32 v10, 16, v55
	v_max_f32_e32 v54, v9, v9
	v_max_f32_e32 v55, v10, v10
	v_cmp_u_f32_e32 vcc_lo, v10, v10
	v_min_f32_e32 v56, v55, v54
	v_max_f32_e32 v54, v55, v54
	v_cndmask_b32_e32 v55, v56, v10, vcc_lo
	v_cndmask_b32_e32 v56, v54, v10, vcc_lo
	v_cmp_u_f32_e32 vcc_lo, v9, v9
	v_cndmask_b32_e32 v54, v55, v9, vcc_lo
	v_cndmask_b32_e32 v9, v56, v9, vcc_lo
	v_cmp_class_f32_e64 s27, v54, 0x1f8
	v_cmp_neq_f32_e32 vcc_lo, v54, v9
	s_or_b32 s28, vcc_lo, s27
	s_and_saveexec_b32 s27, s28
	s_cbranch_execz .LBB446_135
; %bb.134:                              ;   in Loop: Header=BB446_111 Depth=1
	v_sub_f32_e32 v10, v54, v9
	v_mul_f32_e32 v54, 0x3fb8aa3b, v10
	v_cmp_ngt_f32_e32 vcc_lo, 0xc2ce8ed0, v10
	v_fma_f32 v55, 0x3fb8aa3b, v10, -v54
	v_rndne_f32_e32 v56, v54
	v_fmac_f32_e32 v55, 0x32a5705f, v10
	v_sub_f32_e32 v54, v54, v56
	v_add_f32_e32 v54, v54, v55
	v_cvt_i32_f32_e32 v55, v56
	v_exp_f32_e32 v54, v54
	v_ldexp_f32 v54, v54, v55
	v_cndmask_b32_e32 v54, 0, v54, vcc_lo
	v_cmp_nlt_f32_e32 vcc_lo, 0x42b17218, v10
	v_cndmask_b32_e32 v10, 0x7f800000, v54, vcc_lo
	v_add_f32_e32 v56, 1.0, v10
	v_cvt_f64_f32_e32 v[54:55], v56
	v_frexp_exp_i32_f64_e32 v54, v[54:55]
	v_frexp_mant_f32_e32 v55, v56
	v_cmp_gt_f32_e32 vcc_lo, 0x3f2aaaab, v55
	v_add_f32_e32 v55, -1.0, v56
	v_sub_f32_e32 v58, v55, v56
	v_sub_f32_e32 v55, v10, v55
	v_add_f32_e32 v58, 1.0, v58
	v_add_f32_e32 v55, v55, v58
	v_subrev_co_ci_u32_e64 v54, null, 0, v54, vcc_lo
	v_cmp_neq_f32_e32 vcc_lo, 0x7f800000, v10
	v_sub_nc_u32_e32 v57, 0, v54
	v_cvt_f32_i32_e32 v54, v54
	v_ldexp_f32 v56, v56, v57
	v_ldexp_f32 v55, v55, v57
	v_add_f32_e32 v59, 1.0, v56
	v_add_f32_e32 v57, -1.0, v56
	v_add_f32_e32 v58, -1.0, v59
	v_add_f32_e32 v60, 1.0, v57
	v_sub_f32_e32 v58, v56, v58
	v_sub_f32_e32 v56, v56, v60
	v_add_f32_e32 v58, v55, v58
	v_add_f32_e32 v55, v55, v56
	;; [unrolled: 1-line block ×4, first 2 shown]
	v_rcp_f32_e32 v56, v60
	v_sub_f32_e32 v59, v59, v60
	v_sub_f32_e32 v57, v57, v61
	v_add_f32_e32 v58, v58, v59
	v_add_f32_e32 v55, v55, v57
	v_mul_f32_e32 v62, v61, v56
	v_mul_f32_e32 v63, v60, v62
	v_fma_f32 v59, v62, v60, -v63
	v_fmac_f32_e32 v59, v62, v58
	v_add_f32_e32 v64, v63, v59
	v_sub_f32_e32 v65, v61, v64
	v_sub_f32_e32 v57, v64, v63
	;; [unrolled: 1-line block ×5, first 2 shown]
	v_add_f32_e32 v55, v55, v61
	v_add_f32_e32 v55, v57, v55
	;; [unrolled: 1-line block ×3, first 2 shown]
	v_mul_f32_e32 v59, v56, v57
	v_sub_f32_e32 v64, v65, v57
	v_mul_f32_e32 v61, v60, v59
	v_add_f32_e32 v55, v55, v64
	v_fma_f32 v60, v59, v60, -v61
	v_fmac_f32_e32 v60, v59, v58
	v_add_f32_e32 v58, v61, v60
	v_sub_f32_e32 v63, v57, v58
	v_sub_f32_e32 v61, v58, v61
	;; [unrolled: 1-line block ×5, first 2 shown]
	v_add_f32_e32 v55, v55, v57
	v_add_f32_e32 v57, v62, v59
	;; [unrolled: 1-line block ×3, first 2 shown]
	v_sub_f32_e32 v58, v57, v62
	v_add_f32_e32 v55, v63, v55
	v_sub_f32_e32 v58, v59, v58
	v_mul_f32_e32 v55, v56, v55
	v_add_f32_e32 v55, v58, v55
	v_add_f32_e32 v56, v57, v55
	v_mul_f32_e32 v58, v56, v56
	v_fmaak_f32 v59, s24, v58, 0x3ecc95a3
	v_mul_f32_e32 v60, v56, v58
	v_fmaak_f32 v58, v58, v59, 0x3f2aaada
	v_ldexp_f32 v59, v56, 1
	v_sub_f32_e32 v56, v56, v57
	v_mul_f32_e32 v58, v60, v58
	v_mul_f32_e32 v60, 0x3f317218, v54
	v_sub_f32_e32 v55, v55, v56
	v_add_f32_e32 v57, v59, v58
	v_ldexp_f32 v55, v55, 1
	v_sub_f32_e32 v56, v57, v59
	v_fma_f32 v59, 0x3f317218, v54, -v60
	v_sub_f32_e32 v56, v58, v56
	v_fmac_f32_e32 v59, 0xb102e308, v54
	v_add_f32_e32 v54, v55, v56
	v_add_f32_e32 v55, v60, v59
	;; [unrolled: 1-line block ×3, first 2 shown]
	v_sub_f32_e32 v60, v55, v60
	v_add_f32_e32 v58, v55, v56
	v_sub_f32_e32 v57, v56, v57
	v_sub_f32_e32 v59, v59, v60
	;; [unrolled: 1-line block ×6, first 2 shown]
	v_add_f32_e32 v57, v59, v54
	v_sub_f32_e32 v55, v55, v62
	v_add_f32_e32 v55, v56, v55
	v_sub_f32_e32 v56, v57, v59
	;; [unrolled: 2-line block ×3, first 2 shown]
	v_sub_f32_e32 v54, v54, v56
	v_add_f32_e32 v60, v58, v55
	v_sub_f32_e32 v57, v59, v57
	v_sub_f32_e32 v56, v60, v58
	v_add_f32_e32 v54, v54, v57
	v_sub_f32_e32 v55, v55, v56
	v_add_f32_e32 v54, v54, v55
	v_add_f32_e32 v54, v60, v54
	v_cndmask_b32_e32 v54, 0x7f800000, v54, vcc_lo
	v_cmp_gt_f32_e64 vcc_lo, 0x33800000, |v10|
	v_cndmask_b32_e32 v10, v54, v10, vcc_lo
	v_add_f32_e32 v10, v9, v10
.LBB446_135:                            ;   in Loop: Header=BB446_111 Depth=1
	s_or_b32 exec_lo, exec_lo, s27
	v_bfe_u32 v9, v10, 16, 1
	v_cmp_o_f32_e32 vcc_lo, v10, v10
	v_add3_u32 v9, v10, v9, 0x7fff
	v_cndmask_b32_sdwa v54, v53, v9, vcc_lo dst_sel:DWORD dst_unused:UNUSED_PAD src0_sel:DWORD src1_sel:WORD_1
.LBB446_136:                            ;   in Loop: Header=BB446_111 Depth=1
	s_or_b32 exec_lo, exec_lo, s25
	v_lshlrev_b32_e32 v9, 16, v49
	v_lshlrev_b32_e32 v10, 16, v54
	v_max_f32_e32 v54, v9, v9
	s_waitcnt lgkmcnt(0)
	v_max_f32_e32 v55, v10, v10
	v_cmp_u_f32_e32 vcc_lo, v10, v10
	v_min_f32_e32 v56, v55, v54
	v_max_f32_e32 v54, v55, v54
	v_cndmask_b32_e32 v55, v56, v10, vcc_lo
	v_cndmask_b32_e32 v56, v54, v10, vcc_lo
	v_cmp_u_f32_e32 vcc_lo, v9, v9
	v_cndmask_b32_e32 v54, v55, v9, vcc_lo
	v_cndmask_b32_e32 v9, v56, v9, vcc_lo
	v_cmp_class_f32_e64 s25, v54, 0x1f8
	v_cmp_neq_f32_e32 vcc_lo, v54, v9
	s_or_b32 s27, vcc_lo, s25
	s_and_saveexec_b32 s25, s27
	s_cbranch_execz .LBB446_109
; %bb.137:                              ;   in Loop: Header=BB446_111 Depth=1
	v_sub_f32_e32 v10, v54, v9
	v_mul_f32_e32 v54, 0x3fb8aa3b, v10
	v_cmp_ngt_f32_e32 vcc_lo, 0xc2ce8ed0, v10
	v_fma_f32 v55, 0x3fb8aa3b, v10, -v54
	v_rndne_f32_e32 v56, v54
	v_fmac_f32_e32 v55, 0x32a5705f, v10
	v_sub_f32_e32 v54, v54, v56
	v_add_f32_e32 v54, v54, v55
	v_cvt_i32_f32_e32 v55, v56
	v_exp_f32_e32 v54, v54
	v_ldexp_f32 v54, v54, v55
	v_cndmask_b32_e32 v54, 0, v54, vcc_lo
	v_cmp_nlt_f32_e32 vcc_lo, 0x42b17218, v10
	v_cndmask_b32_e32 v10, 0x7f800000, v54, vcc_lo
	v_add_f32_e32 v56, 1.0, v10
	v_cvt_f64_f32_e32 v[54:55], v56
	v_frexp_exp_i32_f64_e32 v54, v[54:55]
	v_frexp_mant_f32_e32 v55, v56
	v_cmp_gt_f32_e32 vcc_lo, 0x3f2aaaab, v55
	v_add_f32_e32 v55, -1.0, v56
	v_sub_f32_e32 v58, v55, v56
	v_sub_f32_e32 v55, v10, v55
	v_add_f32_e32 v58, 1.0, v58
	v_add_f32_e32 v55, v55, v58
	v_subrev_co_ci_u32_e64 v54, null, 0, v54, vcc_lo
	v_cmp_neq_f32_e32 vcc_lo, 0x7f800000, v10
	v_sub_nc_u32_e32 v57, 0, v54
	v_cvt_f32_i32_e32 v54, v54
	v_ldexp_f32 v56, v56, v57
	v_ldexp_f32 v55, v55, v57
	v_add_f32_e32 v59, 1.0, v56
	v_add_f32_e32 v57, -1.0, v56
	v_add_f32_e32 v58, -1.0, v59
	v_add_f32_e32 v60, 1.0, v57
	v_sub_f32_e32 v58, v56, v58
	v_sub_f32_e32 v56, v56, v60
	v_add_f32_e32 v58, v55, v58
	v_add_f32_e32 v55, v55, v56
	;; [unrolled: 1-line block ×4, first 2 shown]
	v_rcp_f32_e32 v56, v60
	v_sub_f32_e32 v59, v59, v60
	v_sub_f32_e32 v57, v57, v61
	v_add_f32_e32 v58, v58, v59
	v_add_f32_e32 v55, v55, v57
	v_mul_f32_e32 v62, v61, v56
	v_mul_f32_e32 v63, v60, v62
	v_fma_f32 v59, v62, v60, -v63
	v_fmac_f32_e32 v59, v62, v58
	v_add_f32_e32 v64, v63, v59
	v_sub_f32_e32 v65, v61, v64
	v_sub_f32_e32 v57, v64, v63
	;; [unrolled: 1-line block ×5, first 2 shown]
	v_add_f32_e32 v55, v55, v61
	v_add_f32_e32 v55, v57, v55
	;; [unrolled: 1-line block ×3, first 2 shown]
	v_mul_f32_e32 v59, v56, v57
	v_sub_f32_e32 v64, v65, v57
	v_mul_f32_e32 v61, v60, v59
	v_add_f32_e32 v55, v55, v64
	v_fma_f32 v60, v59, v60, -v61
	v_fmac_f32_e32 v60, v59, v58
	v_add_f32_e32 v58, v61, v60
	v_sub_f32_e32 v63, v57, v58
	v_sub_f32_e32 v61, v58, v61
	v_sub_f32_e32 v57, v57, v63
	v_sub_f32_e32 v57, v57, v58
	v_sub_f32_e32 v58, v61, v60
	v_add_f32_e32 v55, v55, v57
	v_add_f32_e32 v57, v62, v59
	;; [unrolled: 1-line block ×3, first 2 shown]
	v_sub_f32_e32 v58, v57, v62
	v_add_f32_e32 v55, v63, v55
	v_sub_f32_e32 v58, v59, v58
	v_mul_f32_e32 v55, v56, v55
	v_add_f32_e32 v55, v58, v55
	v_add_f32_e32 v56, v57, v55
	v_mul_f32_e32 v58, v56, v56
	v_fmaak_f32 v59, s24, v58, 0x3ecc95a3
	v_mul_f32_e32 v60, v56, v58
	v_fmaak_f32 v58, v58, v59, 0x3f2aaada
	v_ldexp_f32 v59, v56, 1
	v_sub_f32_e32 v56, v56, v57
	v_mul_f32_e32 v58, v60, v58
	v_mul_f32_e32 v60, 0x3f317218, v54
	v_sub_f32_e32 v55, v55, v56
	v_add_f32_e32 v57, v59, v58
	v_ldexp_f32 v55, v55, 1
	v_sub_f32_e32 v56, v57, v59
	v_fma_f32 v59, 0x3f317218, v54, -v60
	v_sub_f32_e32 v56, v58, v56
	v_fmac_f32_e32 v59, 0xb102e308, v54
	v_add_f32_e32 v54, v55, v56
	v_add_f32_e32 v55, v60, v59
	;; [unrolled: 1-line block ×3, first 2 shown]
	v_sub_f32_e32 v60, v55, v60
	v_add_f32_e32 v58, v55, v56
	v_sub_f32_e32 v57, v56, v57
	v_sub_f32_e32 v59, v59, v60
	;; [unrolled: 1-line block ×6, first 2 shown]
	v_add_f32_e32 v57, v59, v54
	v_sub_f32_e32 v55, v55, v62
	v_add_f32_e32 v55, v56, v55
	v_sub_f32_e32 v56, v57, v59
	;; [unrolled: 2-line block ×3, first 2 shown]
	v_sub_f32_e32 v54, v54, v56
	v_add_f32_e32 v60, v58, v55
	v_sub_f32_e32 v57, v59, v57
	v_sub_f32_e32 v56, v60, v58
	v_add_f32_e32 v54, v54, v57
	v_sub_f32_e32 v55, v55, v56
	v_add_f32_e32 v54, v54, v55
	v_add_f32_e32 v54, v60, v54
	v_cndmask_b32_e32 v54, 0x7f800000, v54, vcc_lo
	v_cmp_gt_f32_e64 vcc_lo, 0x33800000, |v10|
	v_cndmask_b32_e32 v10, v54, v10, vcc_lo
	v_add_f32_e32 v10, v9, v10
	s_branch .LBB446_109
.LBB446_138:
                                        ; implicit-def: $vgpr7
                                        ; implicit-def: $vgpr36
                                        ; implicit-def: $vgpr8
                                        ; implicit-def: $vgpr10
                                        ; implicit-def: $vgpr9
                                        ; implicit-def: $vgpr11
                                        ; implicit-def: $vgpr14
                                        ; implicit-def: $vgpr15
                                        ; implicit-def: $vgpr16
                                        ; implicit-def: $vgpr17
                                        ; implicit-def: $vgpr18
                                        ; implicit-def: $vgpr19
	s_load_dwordx8 s[24:31], s[4:5], 0x38
	s_cbranch_execnz .LBB446_174
	s_branch .LBB446_257
.LBB446_139:
	s_and_saveexec_b32 s24, s17
	s_cbranch_execz .LBB446_143
; %bb.140:
	v_lshlrev_b32_e32 v7, 16, v39
	v_lshlrev_b32_e32 v8, 16, v49
	v_max_f32_e32 v9, v7, v7
	s_waitcnt lgkmcnt(0)
	v_max_f32_e32 v10, v8, v8
	v_cmp_u_f32_e32 vcc_lo, v8, v8
	v_min_f32_e32 v11, v10, v9
	v_max_f32_e32 v9, v10, v9
	v_cndmask_b32_e32 v10, v11, v8, vcc_lo
	v_cndmask_b32_e32 v11, v9, v8, vcc_lo
	v_cmp_u_f32_e32 vcc_lo, v7, v7
	v_cndmask_b32_e32 v9, v10, v7, vcc_lo
	v_cndmask_b32_e32 v7, v11, v7, vcc_lo
	v_cmp_class_f32_e64 s17, v9, 0x1f8
	v_cmp_neq_f32_e32 vcc_lo, v9, v7
	s_or_b32 s25, vcc_lo, s17
	s_and_saveexec_b32 s17, s25
	s_cbranch_execz .LBB446_142
; %bb.141:
	v_sub_f32_e32 v8, v9, v7
	s_mov_b32 s25, 0x3e9b6dac
	v_mul_f32_e32 v9, 0x3fb8aa3b, v8
	v_cmp_ngt_f32_e32 vcc_lo, 0xc2ce8ed0, v8
	v_fma_f32 v10, 0x3fb8aa3b, v8, -v9
	v_rndne_f32_e32 v11, v9
	v_fmamk_f32 v10, v8, 0x32a5705f, v10
	v_sub_f32_e32 v9, v9, v11
	v_add_f32_e32 v9, v9, v10
	v_cvt_i32_f32_e32 v10, v11
	v_exp_f32_e32 v9, v9
	v_ldexp_f32 v9, v9, v10
	v_cndmask_b32_e32 v9, 0, v9, vcc_lo
	v_cmp_nlt_f32_e32 vcc_lo, 0x42b17218, v8
	v_cndmask_b32_e32 v10, 0x7f800000, v9, vcc_lo
	v_add_f32_e32 v11, 1.0, v10
	v_cvt_f64_f32_e32 v[8:9], v11
	v_frexp_exp_i32_f64_e32 v8, v[8:9]
	v_frexp_mant_f32_e32 v9, v11
	v_cmp_gt_f32_e32 vcc_lo, 0x3f2aaaab, v9
	v_add_f32_e32 v9, -1.0, v11
	v_sub_f32_e32 v40, v9, v11
	v_sub_f32_e32 v9, v10, v9
	v_add_f32_e32 v40, 1.0, v40
	v_add_f32_e32 v9, v9, v40
	v_subrev_co_ci_u32_e64 v8, null, 0, v8, vcc_lo
	v_cmp_neq_f32_e32 vcc_lo, 0x7f800000, v10
	v_sub_nc_u32_e32 v39, 0, v8
	v_cvt_f32_i32_e32 v8, v8
	v_ldexp_f32 v11, v11, v39
	v_ldexp_f32 v9, v9, v39
	v_add_f32_e32 v41, 1.0, v11
	v_add_f32_e32 v39, -1.0, v11
	v_add_f32_e32 v40, -1.0, v41
	v_add_f32_e32 v42, 1.0, v39
	v_sub_f32_e32 v40, v11, v40
	v_sub_f32_e32 v11, v11, v42
	v_add_f32_e32 v40, v9, v40
	v_add_f32_e32 v9, v9, v11
	;; [unrolled: 1-line block ×4, first 2 shown]
	v_rcp_f32_e32 v11, v42
	v_sub_f32_e32 v41, v41, v42
	v_sub_f32_e32 v39, v39, v43
	v_add_f32_e32 v40, v40, v41
	v_add_f32_e32 v9, v9, v39
	v_mul_f32_e32 v44, v43, v11
	v_mul_f32_e32 v45, v42, v44
	v_fma_f32 v41, v44, v42, -v45
	v_fmac_f32_e32 v41, v44, v40
	v_add_f32_e32 v46, v45, v41
	v_sub_f32_e32 v47, v43, v46
	v_sub_f32_e32 v39, v46, v45
	;; [unrolled: 1-line block ×5, first 2 shown]
	v_add_f32_e32 v9, v9, v43
	v_add_f32_e32 v9, v39, v9
	;; [unrolled: 1-line block ×3, first 2 shown]
	v_mul_f32_e32 v41, v11, v39
	v_sub_f32_e32 v46, v47, v39
	v_mul_f32_e32 v43, v42, v41
	v_add_f32_e32 v9, v9, v46
	v_fma_f32 v42, v41, v42, -v43
	v_fmac_f32_e32 v42, v41, v40
	v_add_f32_e32 v40, v43, v42
	v_sub_f32_e32 v45, v39, v40
	v_sub_f32_e32 v43, v40, v43
	;; [unrolled: 1-line block ×5, first 2 shown]
	v_add_f32_e32 v9, v9, v39
	v_add_f32_e32 v39, v44, v41
	;; [unrolled: 1-line block ×3, first 2 shown]
	v_sub_f32_e32 v40, v39, v44
	v_add_f32_e32 v9, v45, v9
	v_sub_f32_e32 v40, v41, v40
	v_mul_f32_e32 v9, v11, v9
	v_add_f32_e32 v9, v40, v9
	v_add_f32_e32 v11, v39, v9
	v_mul_f32_e32 v40, v11, v11
	v_fmaak_f32 v41, s25, v40, 0x3ecc95a3
	v_mul_f32_e32 v42, v11, v40
	v_fmaak_f32 v40, v40, v41, 0x3f2aaada
	v_ldexp_f32 v41, v11, 1
	v_sub_f32_e32 v11, v11, v39
	v_mul_f32_e32 v40, v42, v40
	v_mul_f32_e32 v42, 0x3f317218, v8
	v_sub_f32_e32 v9, v9, v11
	v_add_f32_e32 v39, v41, v40
	v_ldexp_f32 v9, v9, 1
	v_sub_f32_e32 v11, v39, v41
	v_fma_f32 v41, 0x3f317218, v8, -v42
	v_sub_f32_e32 v11, v40, v11
	v_fmamk_f32 v8, v8, 0xb102e308, v41
	v_add_f32_e32 v9, v9, v11
	v_add_f32_e32 v11, v42, v8
	;; [unrolled: 1-line block ×3, first 2 shown]
	v_sub_f32_e32 v42, v11, v42
	v_add_f32_e32 v41, v11, v40
	v_sub_f32_e32 v39, v40, v39
	v_sub_f32_e32 v8, v8, v42
	;; [unrolled: 1-line block ×6, first 2 shown]
	v_add_f32_e32 v40, v8, v9
	v_sub_f32_e32 v11, v11, v44
	v_add_f32_e32 v11, v39, v11
	v_sub_f32_e32 v39, v40, v8
	v_add_f32_e32 v11, v40, v11
	v_sub_f32_e32 v40, v40, v39
	v_sub_f32_e32 v9, v9, v39
	v_add_f32_e32 v42, v41, v11
	v_sub_f32_e32 v8, v8, v40
	v_sub_f32_e32 v39, v42, v41
	v_add_f32_e32 v8, v9, v8
	v_sub_f32_e32 v9, v11, v39
	v_add_f32_e32 v8, v8, v9
	v_add_f32_e32 v8, v42, v8
	v_cndmask_b32_e32 v8, 0x7f800000, v8, vcc_lo
	v_cmp_gt_f32_e64 vcc_lo, 0x33800000, |v10|
	v_cndmask_b32_e32 v8, v8, v10, vcc_lo
	v_add_f32_e32 v8, v7, v8
.LBB446_142:
	s_or_b32 exec_lo, exec_lo, s17
	v_bfe_u32 v7, v8, 16, 1
	v_mov_b32_e32 v9, 0x20000
	v_cmp_o_f32_e32 vcc_lo, v8, v8
	s_add_i32 s28, s6, 32
	s_mov_b32 s29, 0
	v_add3_u32 v7, v8, v7, 0x7fff
	s_lshl_b64 s[28:29], s[28:29], 2
	s_add_u32 s28, s34, s28
	s_addc_u32 s29, s35, s29
	v_or_b32_sdwa v7, v7, v9 dst_sel:DWORD dst_unused:UNUSED_PAD src0_sel:WORD_1 src1_sel:DWORD
	v_mov_b32_e32 v9, 0
	v_cndmask_b32_e32 v7, 0x27fc0, v7, vcc_lo
	global_store_dword v9, v7, s[28:29]
.LBB446_143:
	s_or_b32 exec_lo, exec_lo, s24
	s_and_b32 exec_lo, exec_lo, s16
; %bb.144:
	v_mov_b32_e32 v7, 0
	ds_write_b16 v7, v49
.LBB446_145:
	s_or_b32 exec_lo, exec_lo, s26
	v_mov_b32_e32 v7, 0
	s_waitcnt lgkmcnt(0)
	s_waitcnt_vscnt null, 0x0
	s_barrier
	buffer_gl0_inv
	ds_read_u16 v7, v7
	s_and_saveexec_b32 s6, s15
	s_cbranch_execz .LBB446_149
; %bb.146:
	v_lshlrev_b32_e32 v9, 16, v38
	v_max_f32_e32 v8, v9, v9
	v_cmp_u_f32_e32 vcc_lo, v9, v9
	v_min_f32_e32 v10, v8, v37
	v_max_f32_e32 v8, v8, v37
	v_cndmask_b32_e32 v10, v10, v9, vcc_lo
	v_cndmask_b32_e32 v8, v8, v9, vcc_lo
	v_cndmask_b32_e64 v10, v10, v36, s14
	v_cndmask_b32_e64 v8, v8, v36, s14
	v_cmp_class_f32_e64 s14, v10, 0x1f8
	v_cmp_neq_f32_e32 vcc_lo, v10, v8
	s_or_b32 s15, vcc_lo, s14
	s_and_saveexec_b32 s14, s15
	s_cbranch_execz .LBB446_148
; %bb.147:
	v_sub_f32_e32 v9, v10, v8
	s_mov_b32 s15, 0x3e9b6dac
	v_mul_f32_e32 v10, 0x3fb8aa3b, v9
	v_cmp_ngt_f32_e32 vcc_lo, 0xc2ce8ed0, v9
	v_fma_f32 v11, 0x3fb8aa3b, v9, -v10
	v_rndne_f32_e32 v36, v10
	v_fmamk_f32 v11, v9, 0x32a5705f, v11
	v_sub_f32_e32 v10, v10, v36
	v_add_f32_e32 v10, v10, v11
	v_cvt_i32_f32_e32 v11, v36
	v_exp_f32_e32 v10, v10
	v_ldexp_f32 v10, v10, v11
	v_cndmask_b32_e32 v10, 0, v10, vcc_lo
	v_cmp_nlt_f32_e32 vcc_lo, 0x42b17218, v9
	v_cndmask_b32_e32 v11, 0x7f800000, v10, vcc_lo
	v_add_f32_e32 v36, 1.0, v11
	v_cvt_f64_f32_e32 v[9:10], v36
	v_frexp_exp_i32_f64_e32 v9, v[9:10]
	v_frexp_mant_f32_e32 v10, v36
	v_cmp_gt_f32_e32 vcc_lo, 0x3f2aaaab, v10
	v_add_f32_e32 v10, -1.0, v36
	v_sub_f32_e32 v38, v10, v36
	v_sub_f32_e32 v10, v11, v10
	v_add_f32_e32 v38, 1.0, v38
	v_add_f32_e32 v10, v10, v38
	v_subrev_co_ci_u32_e64 v9, null, 0, v9, vcc_lo
	v_cmp_neq_f32_e32 vcc_lo, 0x7f800000, v11
	v_sub_nc_u32_e32 v37, 0, v9
	v_cvt_f32_i32_e32 v9, v9
	v_ldexp_f32 v36, v36, v37
	v_ldexp_f32 v10, v10, v37
	v_add_f32_e32 v39, 1.0, v36
	v_add_f32_e32 v37, -1.0, v36
	v_add_f32_e32 v38, -1.0, v39
	v_add_f32_e32 v40, 1.0, v37
	v_sub_f32_e32 v38, v36, v38
	v_sub_f32_e32 v36, v36, v40
	v_add_f32_e32 v38, v10, v38
	v_add_f32_e32 v10, v10, v36
	;; [unrolled: 1-line block ×4, first 2 shown]
	v_rcp_f32_e32 v36, v40
	v_sub_f32_e32 v39, v39, v40
	v_sub_f32_e32 v37, v37, v41
	v_add_f32_e32 v38, v38, v39
	v_add_f32_e32 v10, v10, v37
	v_mul_f32_e32 v42, v41, v36
	v_mul_f32_e32 v43, v40, v42
	v_fma_f32 v39, v42, v40, -v43
	v_fmac_f32_e32 v39, v42, v38
	v_add_f32_e32 v44, v43, v39
	v_sub_f32_e32 v45, v41, v44
	v_sub_f32_e32 v37, v44, v43
	;; [unrolled: 1-line block ×5, first 2 shown]
	v_add_f32_e32 v10, v10, v41
	v_add_f32_e32 v10, v37, v10
	;; [unrolled: 1-line block ×3, first 2 shown]
	v_mul_f32_e32 v39, v36, v37
	v_sub_f32_e32 v44, v45, v37
	v_mul_f32_e32 v41, v40, v39
	v_add_f32_e32 v10, v10, v44
	v_fma_f32 v40, v39, v40, -v41
	v_fmac_f32_e32 v40, v39, v38
	v_add_f32_e32 v38, v41, v40
	v_sub_f32_e32 v43, v37, v38
	v_sub_f32_e32 v41, v38, v41
	;; [unrolled: 1-line block ×5, first 2 shown]
	v_add_f32_e32 v10, v10, v37
	v_add_f32_e32 v37, v42, v39
	;; [unrolled: 1-line block ×3, first 2 shown]
	v_sub_f32_e32 v38, v37, v42
	v_add_f32_e32 v10, v43, v10
	v_sub_f32_e32 v38, v39, v38
	v_mul_f32_e32 v10, v36, v10
	v_add_f32_e32 v10, v38, v10
	v_add_f32_e32 v36, v37, v10
	v_mul_f32_e32 v38, v36, v36
	v_fmaak_f32 v39, s15, v38, 0x3ecc95a3
	v_mul_f32_e32 v40, v36, v38
	v_fmaak_f32 v38, v38, v39, 0x3f2aaada
	v_ldexp_f32 v39, v36, 1
	v_sub_f32_e32 v36, v36, v37
	v_mul_f32_e32 v38, v40, v38
	v_mul_f32_e32 v40, 0x3f317218, v9
	v_sub_f32_e32 v10, v10, v36
	v_add_f32_e32 v37, v39, v38
	v_ldexp_f32 v10, v10, 1
	v_sub_f32_e32 v36, v37, v39
	v_fma_f32 v39, 0x3f317218, v9, -v40
	v_sub_f32_e32 v36, v38, v36
	v_fmamk_f32 v9, v9, 0xb102e308, v39
	v_add_f32_e32 v10, v10, v36
	v_add_f32_e32 v36, v40, v9
	;; [unrolled: 1-line block ×3, first 2 shown]
	v_sub_f32_e32 v40, v36, v40
	v_add_f32_e32 v39, v36, v38
	v_sub_f32_e32 v37, v38, v37
	v_sub_f32_e32 v9, v9, v40
	;; [unrolled: 1-line block ×6, first 2 shown]
	v_add_f32_e32 v38, v9, v10
	v_sub_f32_e32 v36, v36, v42
	v_add_f32_e32 v36, v37, v36
	v_sub_f32_e32 v37, v38, v9
	;; [unrolled: 2-line block ×3, first 2 shown]
	v_sub_f32_e32 v10, v10, v37
	v_add_f32_e32 v40, v39, v36
	v_sub_f32_e32 v9, v9, v38
	v_sub_f32_e32 v37, v40, v39
	v_add_f32_e32 v9, v10, v9
	v_sub_f32_e32 v10, v36, v37
	v_add_f32_e32 v9, v9, v10
	v_add_f32_e32 v9, v40, v9
	v_cndmask_b32_e32 v9, 0x7f800000, v9, vcc_lo
	v_cmp_gt_f32_e64 vcc_lo, 0x33800000, |v11|
	v_cndmask_b32_e32 v9, v9, v11, vcc_lo
	v_add_f32_e32 v9, v8, v9
.LBB446_148:
	s_or_b32 exec_lo, exec_lo, s14
	v_bfe_u32 v8, v9, 16, 1
	v_cmp_o_f32_e32 vcc_lo, v9, v9
	v_add3_u32 v8, v9, v8, 0x7fff
	v_and_b32_e32 v8, 0xffff0000, v8
	v_cndmask_b32_e32 v36, 0x7fc00000, v8, vcc_lo
.LBB446_149:
	s_or_b32 exec_lo, exec_lo, s6
	s_waitcnt lgkmcnt(0)
	v_lshlrev_b32_e32 v9, 16, v7
	v_max_f32_e32 v7, v36, v36
	v_max_f32_e32 v8, v9, v9
	v_cmp_u_f32_e32 vcc_lo, v9, v9
	v_min_f32_e32 v10, v8, v7
	v_max_f32_e32 v7, v8, v7
	v_cndmask_b32_e32 v8, v10, v9, vcc_lo
	v_cndmask_b32_e32 v7, v7, v9, vcc_lo
	v_cmp_u_f32_e32 vcc_lo, v36, v36
	v_cndmask_b32_e32 v8, v8, v36, vcc_lo
	v_cndmask_b32_e32 v7, v7, v36, vcc_lo
	v_cmp_class_f32_e64 s6, v8, 0x1f8
	v_cmp_neq_f32_e32 vcc_lo, v8, v7
	s_or_b32 s14, vcc_lo, s6
	s_and_saveexec_b32 s6, s14
	s_cbranch_execz .LBB446_151
; %bb.150:
	v_sub_f32_e32 v8, v8, v7
	s_mov_b32 s14, 0x3e9b6dac
	v_mul_f32_e32 v9, 0x3fb8aa3b, v8
	v_cmp_ngt_f32_e32 vcc_lo, 0xc2ce8ed0, v8
	v_fma_f32 v10, 0x3fb8aa3b, v8, -v9
	v_rndne_f32_e32 v11, v9
	v_fmamk_f32 v10, v8, 0x32a5705f, v10
	v_sub_f32_e32 v9, v9, v11
	v_add_f32_e32 v9, v9, v10
	v_cvt_i32_f32_e32 v10, v11
	v_exp_f32_e32 v9, v9
	v_ldexp_f32 v9, v9, v10
	v_cndmask_b32_e32 v9, 0, v9, vcc_lo
	v_cmp_nlt_f32_e32 vcc_lo, 0x42b17218, v8
	v_cndmask_b32_e32 v10, 0x7f800000, v9, vcc_lo
	v_add_f32_e32 v11, 1.0, v10
	v_cvt_f64_f32_e32 v[8:9], v11
	v_frexp_exp_i32_f64_e32 v8, v[8:9]
	v_frexp_mant_f32_e32 v9, v11
	v_cmp_gt_f32_e32 vcc_lo, 0x3f2aaaab, v9
	v_add_f32_e32 v9, -1.0, v11
	v_sub_f32_e32 v37, v9, v11
	v_sub_f32_e32 v9, v10, v9
	v_add_f32_e32 v37, 1.0, v37
	v_add_f32_e32 v9, v9, v37
	v_subrev_co_ci_u32_e64 v8, null, 0, v8, vcc_lo
	v_cmp_neq_f32_e32 vcc_lo, 0x7f800000, v10
	v_sub_nc_u32_e32 v36, 0, v8
	v_cvt_f32_i32_e32 v8, v8
	v_ldexp_f32 v11, v11, v36
	v_ldexp_f32 v9, v9, v36
	v_add_f32_e32 v38, 1.0, v11
	v_add_f32_e32 v36, -1.0, v11
	v_add_f32_e32 v37, -1.0, v38
	v_add_f32_e32 v39, 1.0, v36
	v_sub_f32_e32 v37, v11, v37
	v_sub_f32_e32 v11, v11, v39
	v_add_f32_e32 v37, v9, v37
	v_add_f32_e32 v9, v9, v11
	;; [unrolled: 1-line block ×4, first 2 shown]
	v_rcp_f32_e32 v11, v39
	v_sub_f32_e32 v38, v38, v39
	v_sub_f32_e32 v36, v36, v40
	v_add_f32_e32 v37, v37, v38
	v_add_f32_e32 v9, v9, v36
	v_mul_f32_e32 v41, v40, v11
	v_mul_f32_e32 v42, v39, v41
	v_fma_f32 v38, v41, v39, -v42
	v_fmac_f32_e32 v38, v41, v37
	v_add_f32_e32 v43, v42, v38
	v_sub_f32_e32 v44, v40, v43
	v_sub_f32_e32 v36, v43, v42
	;; [unrolled: 1-line block ×5, first 2 shown]
	v_add_f32_e32 v9, v9, v40
	v_add_f32_e32 v9, v36, v9
	;; [unrolled: 1-line block ×3, first 2 shown]
	v_mul_f32_e32 v38, v11, v36
	v_sub_f32_e32 v43, v44, v36
	v_mul_f32_e32 v40, v39, v38
	v_add_f32_e32 v9, v9, v43
	v_fma_f32 v39, v38, v39, -v40
	v_fmac_f32_e32 v39, v38, v37
	v_add_f32_e32 v37, v40, v39
	v_sub_f32_e32 v42, v36, v37
	v_sub_f32_e32 v40, v37, v40
	;; [unrolled: 1-line block ×5, first 2 shown]
	v_add_f32_e32 v9, v9, v36
	v_add_f32_e32 v36, v41, v38
	;; [unrolled: 1-line block ×3, first 2 shown]
	v_sub_f32_e32 v37, v36, v41
	v_add_f32_e32 v9, v42, v9
	v_sub_f32_e32 v37, v38, v37
	v_mul_f32_e32 v9, v11, v9
	v_add_f32_e32 v9, v37, v9
	v_add_f32_e32 v11, v36, v9
	v_mul_f32_e32 v37, v11, v11
	v_fmaak_f32 v38, s14, v37, 0x3ecc95a3
	v_mul_f32_e32 v39, v11, v37
	v_fmaak_f32 v37, v37, v38, 0x3f2aaada
	v_ldexp_f32 v38, v11, 1
	v_sub_f32_e32 v11, v11, v36
	v_mul_f32_e32 v37, v39, v37
	v_mul_f32_e32 v39, 0x3f317218, v8
	v_sub_f32_e32 v9, v9, v11
	v_add_f32_e32 v36, v38, v37
	v_ldexp_f32 v9, v9, 1
	v_sub_f32_e32 v11, v36, v38
	v_fma_f32 v38, 0x3f317218, v8, -v39
	v_sub_f32_e32 v11, v37, v11
	v_fmamk_f32 v8, v8, 0xb102e308, v38
	v_add_f32_e32 v9, v9, v11
	v_add_f32_e32 v11, v39, v8
	;; [unrolled: 1-line block ×3, first 2 shown]
	v_sub_f32_e32 v39, v11, v39
	v_add_f32_e32 v38, v11, v37
	v_sub_f32_e32 v36, v37, v36
	v_sub_f32_e32 v8, v8, v39
	;; [unrolled: 1-line block ×6, first 2 shown]
	v_add_f32_e32 v37, v8, v9
	v_sub_f32_e32 v11, v11, v41
	v_add_f32_e32 v11, v36, v11
	v_sub_f32_e32 v36, v37, v8
	v_add_f32_e32 v11, v37, v11
	v_sub_f32_e32 v37, v37, v36
	v_sub_f32_e32 v9, v9, v36
	v_add_f32_e32 v39, v38, v11
	v_sub_f32_e32 v8, v8, v37
	v_sub_f32_e32 v36, v39, v38
	v_add_f32_e32 v8, v9, v8
	v_sub_f32_e32 v9, v11, v36
	v_add_f32_e32 v8, v8, v9
	v_add_f32_e32 v8, v39, v8
	v_cndmask_b32_e32 v8, 0x7f800000, v8, vcc_lo
	v_cmp_gt_f32_e64 vcc_lo, 0x33800000, |v10|
	v_cndmask_b32_e32 v8, v8, v10, vcc_lo
	v_add_f32_e32 v9, v7, v8
.LBB446_151:
	s_or_b32 exec_lo, exec_lo, s6
	v_bfe_u32 v7, v9, 16, 1
	v_cmp_o_f32_e32 vcc_lo, v9, v9
	v_mov_b32_e32 v8, 0x7fc0
	v_add3_u32 v7, v9, v7, 0x7fff
	v_cndmask_b32_sdwa v7, v8, v7, vcc_lo dst_sel:DWORD dst_unused:UNUSED_PAD src0_sel:DWORD src1_sel:WORD_1
	v_lshlrev_b32_e32 v10, 16, v7
	v_max_f32_e32 v9, v10, v10
	v_cmp_u_f32_e32 vcc_lo, v10, v10
	v_min_f32_e32 v11, v9, v17
	v_max_f32_e32 v9, v9, v17
	v_cndmask_b32_e32 v11, v11, v10, vcc_lo
	v_cndmask_b32_e32 v9, v9, v10, vcc_lo
	v_cndmask_b32_e64 v11, v11, v14, s0
	v_cndmask_b32_e64 v9, v9, v14, s0
	v_cmp_class_f32_e64 s0, v11, 0x1f8
	v_cmp_neq_f32_e32 vcc_lo, v11, v9
	s_or_b32 s6, vcc_lo, s0
	s_and_saveexec_b32 s0, s6
	s_cbranch_execz .LBB446_153
; %bb.152:
	v_sub_f32_e32 v10, v11, v9
	s_mov_b32 s6, 0x3e9b6dac
	v_mul_f32_e32 v11, 0x3fb8aa3b, v10
	v_cmp_ngt_f32_e32 vcc_lo, 0xc2ce8ed0, v10
	v_fma_f32 v14, 0x3fb8aa3b, v10, -v11
	v_rndne_f32_e32 v17, v11
	v_fmamk_f32 v14, v10, 0x32a5705f, v14
	v_sub_f32_e32 v11, v11, v17
	v_add_f32_e32 v11, v11, v14
	v_cvt_i32_f32_e32 v14, v17
	v_exp_f32_e32 v11, v11
	v_ldexp_f32 v11, v11, v14
	v_cndmask_b32_e32 v11, 0, v11, vcc_lo
	v_cmp_nlt_f32_e32 vcc_lo, 0x42b17218, v10
	v_cndmask_b32_e32 v14, 0x7f800000, v11, vcc_lo
	v_add_f32_e32 v17, 1.0, v14
	v_cvt_f64_f32_e32 v[10:11], v17
	v_frexp_exp_i32_f64_e32 v10, v[10:11]
	v_frexp_mant_f32_e32 v11, v17
	v_cmp_gt_f32_e32 vcc_lo, 0x3f2aaaab, v11
	v_add_f32_e32 v11, -1.0, v17
	v_sub_f32_e32 v37, v11, v17
	v_sub_f32_e32 v11, v14, v11
	v_add_f32_e32 v37, 1.0, v37
	v_add_f32_e32 v11, v11, v37
	v_subrev_co_ci_u32_e64 v10, null, 0, v10, vcc_lo
	v_cmp_neq_f32_e32 vcc_lo, 0x7f800000, v14
	v_sub_nc_u32_e32 v36, 0, v10
	v_cvt_f32_i32_e32 v10, v10
	v_ldexp_f32 v17, v17, v36
	v_ldexp_f32 v11, v11, v36
	v_add_f32_e32 v38, 1.0, v17
	v_add_f32_e32 v36, -1.0, v17
	v_add_f32_e32 v37, -1.0, v38
	v_add_f32_e32 v39, 1.0, v36
	v_sub_f32_e32 v37, v17, v37
	v_sub_f32_e32 v17, v17, v39
	v_add_f32_e32 v37, v11, v37
	v_add_f32_e32 v11, v11, v17
	;; [unrolled: 1-line block ×4, first 2 shown]
	v_rcp_f32_e32 v17, v39
	v_sub_f32_e32 v38, v38, v39
	v_sub_f32_e32 v36, v36, v40
	v_add_f32_e32 v37, v37, v38
	v_add_f32_e32 v11, v11, v36
	v_mul_f32_e32 v41, v40, v17
	v_mul_f32_e32 v42, v39, v41
	v_fma_f32 v38, v41, v39, -v42
	v_fmac_f32_e32 v38, v41, v37
	v_add_f32_e32 v43, v42, v38
	v_sub_f32_e32 v44, v40, v43
	v_sub_f32_e32 v36, v43, v42
	;; [unrolled: 1-line block ×5, first 2 shown]
	v_add_f32_e32 v11, v11, v40
	v_add_f32_e32 v11, v36, v11
	;; [unrolled: 1-line block ×3, first 2 shown]
	v_mul_f32_e32 v38, v17, v36
	v_sub_f32_e32 v43, v44, v36
	v_mul_f32_e32 v40, v39, v38
	v_add_f32_e32 v11, v11, v43
	v_fma_f32 v39, v38, v39, -v40
	v_fmac_f32_e32 v39, v38, v37
	v_add_f32_e32 v37, v40, v39
	v_sub_f32_e32 v42, v36, v37
	v_sub_f32_e32 v40, v37, v40
	;; [unrolled: 1-line block ×5, first 2 shown]
	v_add_f32_e32 v11, v11, v36
	v_add_f32_e32 v36, v41, v38
	;; [unrolled: 1-line block ×3, first 2 shown]
	v_sub_f32_e32 v37, v36, v41
	v_add_f32_e32 v11, v42, v11
	v_sub_f32_e32 v37, v38, v37
	v_mul_f32_e32 v11, v17, v11
	v_add_f32_e32 v11, v37, v11
	v_add_f32_e32 v17, v36, v11
	v_mul_f32_e32 v37, v17, v17
	v_fmaak_f32 v38, s6, v37, 0x3ecc95a3
	v_mul_f32_e32 v39, v17, v37
	v_fmaak_f32 v37, v37, v38, 0x3f2aaada
	v_ldexp_f32 v38, v17, 1
	v_sub_f32_e32 v17, v17, v36
	v_mul_f32_e32 v37, v39, v37
	v_mul_f32_e32 v39, 0x3f317218, v10
	v_sub_f32_e32 v11, v11, v17
	v_add_f32_e32 v36, v38, v37
	v_ldexp_f32 v11, v11, 1
	v_sub_f32_e32 v17, v36, v38
	v_fma_f32 v38, 0x3f317218, v10, -v39
	v_sub_f32_e32 v17, v37, v17
	v_fmamk_f32 v10, v10, 0xb102e308, v38
	v_add_f32_e32 v11, v11, v17
	v_add_f32_e32 v17, v39, v10
	;; [unrolled: 1-line block ×3, first 2 shown]
	v_sub_f32_e32 v39, v17, v39
	v_add_f32_e32 v38, v17, v37
	v_sub_f32_e32 v36, v37, v36
	v_sub_f32_e32 v10, v10, v39
	;; [unrolled: 1-line block ×6, first 2 shown]
	v_add_f32_e32 v37, v10, v11
	v_sub_f32_e32 v17, v17, v41
	v_add_f32_e32 v17, v36, v17
	v_sub_f32_e32 v36, v37, v10
	;; [unrolled: 2-line block ×3, first 2 shown]
	v_sub_f32_e32 v11, v11, v36
	v_add_f32_e32 v39, v38, v17
	v_sub_f32_e32 v10, v10, v37
	v_sub_f32_e32 v36, v39, v38
	v_add_f32_e32 v10, v11, v10
	v_sub_f32_e32 v11, v17, v36
	v_add_f32_e32 v10, v10, v11
	v_add_f32_e32 v10, v39, v10
	v_cndmask_b32_e32 v10, 0x7f800000, v10, vcc_lo
	v_cmp_gt_f32_e64 vcc_lo, 0x33800000, |v14|
	v_cndmask_b32_e32 v10, v10, v14, vcc_lo
	v_add_f32_e32 v10, v9, v10
.LBB446_153:
	s_or_b32 exec_lo, exec_lo, s0
	v_bfe_u32 v9, v10, 16, 1
	v_cmp_o_f32_e32 vcc_lo, v10, v10
	v_add3_u32 v9, v10, v9, 0x7fff
	v_cndmask_b32_sdwa v36, v8, v9, vcc_lo dst_sel:DWORD dst_unused:UNUSED_PAD src0_sel:DWORD src1_sel:WORD_1
	v_lshlrev_b32_e32 v10, 16, v36
	v_max_f32_e32 v8, v10, v10
	v_cmp_u_f32_e32 vcc_lo, v10, v10
	v_min_f32_e32 v9, v8, v19
	v_max_f32_e32 v8, v8, v19
	v_cndmask_b32_e32 v9, v9, v10, vcc_lo
	v_cndmask_b32_e32 v8, v8, v10, vcc_lo
	v_cndmask_b32_e64 v9, v9, v15, s1
	v_cndmask_b32_e64 v8, v8, v15, s1
	v_cmp_class_f32_e64 s0, v9, 0x1f8
	v_cmp_neq_f32_e32 vcc_lo, v9, v8
	s_or_b32 s1, vcc_lo, s0
	s_and_saveexec_b32 s0, s1
	s_cbranch_execz .LBB446_155
; %bb.154:
	v_sub_f32_e32 v9, v9, v8
	s_mov_b32 s1, 0x3e9b6dac
	v_mul_f32_e32 v10, 0x3fb8aa3b, v9
	v_cmp_ngt_f32_e32 vcc_lo, 0xc2ce8ed0, v9
	v_fma_f32 v11, 0x3fb8aa3b, v9, -v10
	v_rndne_f32_e32 v14, v10
	v_fmamk_f32 v11, v9, 0x32a5705f, v11
	v_sub_f32_e32 v10, v10, v14
	v_add_f32_e32 v10, v10, v11
	v_cvt_i32_f32_e32 v11, v14
	v_exp_f32_e32 v10, v10
	v_ldexp_f32 v10, v10, v11
	v_cndmask_b32_e32 v10, 0, v10, vcc_lo
	v_cmp_nlt_f32_e32 vcc_lo, 0x42b17218, v9
	v_cndmask_b32_e32 v11, 0x7f800000, v10, vcc_lo
	v_add_f32_e32 v14, 1.0, v11
	v_cvt_f64_f32_e32 v[9:10], v14
	v_frexp_exp_i32_f64_e32 v9, v[9:10]
	v_frexp_mant_f32_e32 v10, v14
	v_cmp_gt_f32_e32 vcc_lo, 0x3f2aaaab, v10
	v_add_f32_e32 v10, -1.0, v14
	v_sub_f32_e32 v17, v10, v14
	v_sub_f32_e32 v10, v11, v10
	v_add_f32_e32 v17, 1.0, v17
	v_add_f32_e32 v10, v10, v17
	v_subrev_co_ci_u32_e64 v9, null, 0, v9, vcc_lo
	v_cmp_neq_f32_e32 vcc_lo, 0x7f800000, v11
	v_sub_nc_u32_e32 v15, 0, v9
	v_cvt_f32_i32_e32 v9, v9
	v_ldexp_f32 v14, v14, v15
	v_ldexp_f32 v10, v10, v15
	v_add_f32_e32 v19, 1.0, v14
	v_add_f32_e32 v15, -1.0, v14
	v_add_f32_e32 v17, -1.0, v19
	v_add_f32_e32 v37, 1.0, v15
	v_sub_f32_e32 v17, v14, v17
	v_sub_f32_e32 v14, v14, v37
	v_add_f32_e32 v17, v10, v17
	v_add_f32_e32 v10, v10, v14
	;; [unrolled: 1-line block ×4, first 2 shown]
	v_rcp_f32_e32 v14, v37
	v_sub_f32_e32 v19, v19, v37
	v_sub_f32_e32 v15, v15, v38
	v_add_f32_e32 v17, v17, v19
	v_add_f32_e32 v10, v10, v15
	v_mul_f32_e32 v39, v38, v14
	v_mul_f32_e32 v40, v37, v39
	v_fma_f32 v19, v39, v37, -v40
	v_fmac_f32_e32 v19, v39, v17
	v_add_f32_e32 v41, v40, v19
	v_sub_f32_e32 v42, v38, v41
	v_sub_f32_e32 v15, v41, v40
	;; [unrolled: 1-line block ×5, first 2 shown]
	v_add_f32_e32 v10, v10, v38
	v_add_f32_e32 v10, v15, v10
	;; [unrolled: 1-line block ×3, first 2 shown]
	v_mul_f32_e32 v19, v14, v15
	v_sub_f32_e32 v41, v42, v15
	v_mul_f32_e32 v38, v37, v19
	v_add_f32_e32 v10, v10, v41
	v_fma_f32 v37, v19, v37, -v38
	v_fmac_f32_e32 v37, v19, v17
	v_add_f32_e32 v17, v38, v37
	v_sub_f32_e32 v40, v15, v17
	v_sub_f32_e32 v38, v17, v38
	;; [unrolled: 1-line block ×5, first 2 shown]
	v_add_f32_e32 v10, v10, v15
	v_add_f32_e32 v15, v39, v19
	;; [unrolled: 1-line block ×3, first 2 shown]
	v_sub_f32_e32 v17, v15, v39
	v_add_f32_e32 v10, v40, v10
	v_sub_f32_e32 v17, v19, v17
	v_mul_f32_e32 v10, v14, v10
	v_add_f32_e32 v10, v17, v10
	v_add_f32_e32 v14, v15, v10
	v_mul_f32_e32 v17, v14, v14
	v_fmaak_f32 v19, s1, v17, 0x3ecc95a3
	v_mul_f32_e32 v37, v14, v17
	v_fmaak_f32 v17, v17, v19, 0x3f2aaada
	v_ldexp_f32 v19, v14, 1
	v_sub_f32_e32 v14, v14, v15
	v_mul_f32_e32 v17, v37, v17
	v_mul_f32_e32 v37, 0x3f317218, v9
	v_sub_f32_e32 v10, v10, v14
	v_add_f32_e32 v15, v19, v17
	v_ldexp_f32 v10, v10, 1
	v_sub_f32_e32 v14, v15, v19
	v_fma_f32 v19, 0x3f317218, v9, -v37
	v_sub_f32_e32 v14, v17, v14
	v_fmamk_f32 v9, v9, 0xb102e308, v19
	v_add_f32_e32 v10, v10, v14
	v_add_f32_e32 v14, v37, v9
	;; [unrolled: 1-line block ×3, first 2 shown]
	v_sub_f32_e32 v37, v14, v37
	v_add_f32_e32 v19, v14, v17
	v_sub_f32_e32 v15, v17, v15
	v_sub_f32_e32 v9, v9, v37
	;; [unrolled: 1-line block ×6, first 2 shown]
	v_add_f32_e32 v17, v9, v10
	v_sub_f32_e32 v14, v14, v39
	v_add_f32_e32 v14, v15, v14
	v_sub_f32_e32 v15, v17, v9
	;; [unrolled: 2-line block ×3, first 2 shown]
	v_sub_f32_e32 v10, v10, v15
	v_add_f32_e32 v37, v19, v14
	v_sub_f32_e32 v9, v9, v17
	v_sub_f32_e32 v15, v37, v19
	v_add_f32_e32 v9, v10, v9
	v_sub_f32_e32 v10, v14, v15
	v_add_f32_e32 v9, v9, v10
	v_add_f32_e32 v9, v37, v9
	v_cndmask_b32_e32 v9, 0x7f800000, v9, vcc_lo
	v_cmp_gt_f32_e64 vcc_lo, 0x33800000, |v11|
	v_cndmask_b32_e32 v9, v9, v11, vcc_lo
	v_add_f32_e32 v10, v8, v9
.LBB446_155:
	s_or_b32 exec_lo, exec_lo, s0
	v_bfe_u32 v8, v10, 16, 1
	v_cmp_o_f32_e32 vcc_lo, v10, v10
	v_mov_b32_e32 v9, 0x7fc0
	v_add3_u32 v8, v10, v8, 0x7fff
	v_cndmask_b32_sdwa v8, v9, v8, vcc_lo dst_sel:DWORD dst_unused:UNUSED_PAD src0_sel:DWORD src1_sel:WORD_1
	v_lshlrev_b32_e32 v11, 16, v8
	v_max_f32_e32 v10, v11, v11
	v_cmp_u_f32_e32 vcc_lo, v11, v11
	v_min_f32_e32 v14, v10, v21
	v_max_f32_e32 v10, v10, v21
	v_cndmask_b32_e32 v14, v14, v11, vcc_lo
	v_cndmask_b32_e32 v10, v10, v11, vcc_lo
	v_cndmask_b32_e64 v14, v14, v16, s2
	v_cndmask_b32_e64 v10, v10, v16, s2
	v_cmp_class_f32_e64 s0, v14, 0x1f8
	v_cmp_neq_f32_e32 vcc_lo, v14, v10
	s_or_b32 s1, vcc_lo, s0
	s_and_saveexec_b32 s0, s1
	s_cbranch_execz .LBB446_157
; %bb.156:
	v_sub_f32_e32 v11, v14, v10
	s_mov_b32 s1, 0x3e9b6dac
	v_mul_f32_e32 v14, 0x3fb8aa3b, v11
	v_cmp_ngt_f32_e32 vcc_lo, 0xc2ce8ed0, v11
	v_fma_f32 v15, 0x3fb8aa3b, v11, -v14
	v_rndne_f32_e32 v16, v14
	v_fmamk_f32 v15, v11, 0x32a5705f, v15
	v_sub_f32_e32 v14, v14, v16
	v_add_f32_e32 v14, v14, v15
	v_cvt_i32_f32_e32 v15, v16
	v_exp_f32_e32 v14, v14
	v_ldexp_f32 v14, v14, v15
	v_cndmask_b32_e32 v14, 0, v14, vcc_lo
	v_cmp_nlt_f32_e32 vcc_lo, 0x42b17218, v11
	v_cndmask_b32_e32 v11, 0x7f800000, v14, vcc_lo
	v_add_f32_e32 v16, 1.0, v11
	v_cvt_f64_f32_e32 v[14:15], v16
	v_frexp_exp_i32_f64_e32 v14, v[14:15]
	v_frexp_mant_f32_e32 v15, v16
	v_cmp_gt_f32_e32 vcc_lo, 0x3f2aaaab, v15
	v_add_f32_e32 v15, -1.0, v16
	v_sub_f32_e32 v19, v15, v16
	v_sub_f32_e32 v15, v11, v15
	v_add_f32_e32 v19, 1.0, v19
	v_add_f32_e32 v15, v15, v19
	v_subrev_co_ci_u32_e64 v14, null, 0, v14, vcc_lo
	v_cmp_neq_f32_e32 vcc_lo, 0x7f800000, v11
	v_sub_nc_u32_e32 v17, 0, v14
	v_cvt_f32_i32_e32 v14, v14
	v_ldexp_f32 v16, v16, v17
	v_ldexp_f32 v15, v15, v17
	v_add_f32_e32 v21, 1.0, v16
	v_add_f32_e32 v17, -1.0, v16
	v_add_f32_e32 v19, -1.0, v21
	v_add_f32_e32 v37, 1.0, v17
	v_sub_f32_e32 v19, v16, v19
	v_sub_f32_e32 v16, v16, v37
	v_add_f32_e32 v19, v15, v19
	v_add_f32_e32 v15, v15, v16
	;; [unrolled: 1-line block ×4, first 2 shown]
	v_rcp_f32_e32 v16, v37
	v_sub_f32_e32 v21, v21, v37
	v_sub_f32_e32 v17, v17, v38
	v_add_f32_e32 v19, v19, v21
	v_add_f32_e32 v15, v15, v17
	v_mul_f32_e32 v39, v38, v16
	v_mul_f32_e32 v40, v37, v39
	v_fma_f32 v21, v39, v37, -v40
	v_fmac_f32_e32 v21, v39, v19
	v_add_f32_e32 v41, v40, v21
	v_sub_f32_e32 v42, v38, v41
	v_sub_f32_e32 v17, v41, v40
	;; [unrolled: 1-line block ×5, first 2 shown]
	v_add_f32_e32 v15, v15, v38
	v_add_f32_e32 v15, v17, v15
	v_add_f32_e32 v17, v42, v15
	v_mul_f32_e32 v21, v16, v17
	v_sub_f32_e32 v41, v42, v17
	v_mul_f32_e32 v38, v37, v21
	v_add_f32_e32 v15, v15, v41
	v_fma_f32 v37, v21, v37, -v38
	v_fmac_f32_e32 v37, v21, v19
	v_add_f32_e32 v19, v38, v37
	v_sub_f32_e32 v40, v17, v19
	v_sub_f32_e32 v38, v19, v38
	;; [unrolled: 1-line block ×5, first 2 shown]
	v_add_f32_e32 v15, v15, v17
	v_add_f32_e32 v17, v39, v21
	;; [unrolled: 1-line block ×3, first 2 shown]
	v_sub_f32_e32 v19, v17, v39
	v_add_f32_e32 v15, v40, v15
	v_sub_f32_e32 v19, v21, v19
	v_mul_f32_e32 v15, v16, v15
	v_add_f32_e32 v15, v19, v15
	v_add_f32_e32 v16, v17, v15
	v_mul_f32_e32 v19, v16, v16
	v_fmaak_f32 v21, s1, v19, 0x3ecc95a3
	v_mul_f32_e32 v37, v16, v19
	v_fmaak_f32 v19, v19, v21, 0x3f2aaada
	v_ldexp_f32 v21, v16, 1
	v_sub_f32_e32 v16, v16, v17
	v_mul_f32_e32 v19, v37, v19
	v_mul_f32_e32 v37, 0x3f317218, v14
	v_sub_f32_e32 v15, v15, v16
	v_add_f32_e32 v17, v21, v19
	v_ldexp_f32 v15, v15, 1
	v_sub_f32_e32 v16, v17, v21
	v_fma_f32 v21, 0x3f317218, v14, -v37
	v_sub_f32_e32 v16, v19, v16
	v_fmamk_f32 v14, v14, 0xb102e308, v21
	v_add_f32_e32 v15, v15, v16
	v_add_f32_e32 v16, v37, v14
	;; [unrolled: 1-line block ×3, first 2 shown]
	v_sub_f32_e32 v37, v16, v37
	v_add_f32_e32 v21, v16, v19
	v_sub_f32_e32 v17, v19, v17
	v_sub_f32_e32 v14, v14, v37
	;; [unrolled: 1-line block ×6, first 2 shown]
	v_add_f32_e32 v19, v14, v15
	v_sub_f32_e32 v16, v16, v39
	v_add_f32_e32 v16, v17, v16
	v_sub_f32_e32 v17, v19, v14
	;; [unrolled: 2-line block ×3, first 2 shown]
	v_sub_f32_e32 v15, v15, v17
	v_add_f32_e32 v37, v21, v16
	v_sub_f32_e32 v14, v14, v19
	v_sub_f32_e32 v17, v37, v21
	v_add_f32_e32 v14, v15, v14
	v_sub_f32_e32 v15, v16, v17
	v_add_f32_e32 v14, v14, v15
	v_add_f32_e32 v14, v37, v14
	v_cndmask_b32_e32 v14, 0x7f800000, v14, vcc_lo
	v_cmp_gt_f32_e64 vcc_lo, 0x33800000, |v11|
	v_cndmask_b32_e32 v11, v14, v11, vcc_lo
	v_add_f32_e32 v11, v10, v11
.LBB446_157:
	s_or_b32 exec_lo, exec_lo, s0
	v_bfe_u32 v10, v11, 16, 1
	v_cmp_o_f32_e32 vcc_lo, v11, v11
	v_add3_u32 v10, v11, v10, 0x7fff
	v_cndmask_b32_sdwa v10, v9, v10, vcc_lo dst_sel:DWORD dst_unused:UNUSED_PAD src0_sel:DWORD src1_sel:WORD_1
	v_lshlrev_b32_e32 v14, 16, v10
	v_max_f32_e32 v9, v14, v14
	v_cmp_u_f32_e32 vcc_lo, v14, v14
	v_min_f32_e32 v11, v9, v23
	v_max_f32_e32 v9, v9, v23
	v_cndmask_b32_e32 v11, v11, v14, vcc_lo
	v_cndmask_b32_e32 v9, v9, v14, vcc_lo
	v_cndmask_b32_e64 v11, v11, v18, s3
	v_cndmask_b32_e64 v9, v9, v18, s3
	v_cmp_class_f32_e64 s0, v11, 0x1f8
	v_cmp_neq_f32_e32 vcc_lo, v11, v9
	s_or_b32 s1, vcc_lo, s0
	s_and_saveexec_b32 s0, s1
	s_cbranch_execz .LBB446_159
; %bb.158:
	v_sub_f32_e32 v11, v11, v9
	s_mov_b32 s1, 0x3e9b6dac
	v_mul_f32_e32 v14, 0x3fb8aa3b, v11
	v_cmp_ngt_f32_e32 vcc_lo, 0xc2ce8ed0, v11
	v_fma_f32 v15, 0x3fb8aa3b, v11, -v14
	v_rndne_f32_e32 v16, v14
	v_fmamk_f32 v15, v11, 0x32a5705f, v15
	v_sub_f32_e32 v14, v14, v16
	v_add_f32_e32 v14, v14, v15
	v_cvt_i32_f32_e32 v15, v16
	v_exp_f32_e32 v14, v14
	v_ldexp_f32 v14, v14, v15
	v_cndmask_b32_e32 v14, 0, v14, vcc_lo
	v_cmp_nlt_f32_e32 vcc_lo, 0x42b17218, v11
	v_cndmask_b32_e32 v11, 0x7f800000, v14, vcc_lo
	v_add_f32_e32 v16, 1.0, v11
	v_cvt_f64_f32_e32 v[14:15], v16
	v_frexp_exp_i32_f64_e32 v14, v[14:15]
	v_frexp_mant_f32_e32 v15, v16
	v_cmp_gt_f32_e32 vcc_lo, 0x3f2aaaab, v15
	v_add_f32_e32 v15, -1.0, v16
	v_sub_f32_e32 v18, v15, v16
	v_sub_f32_e32 v15, v11, v15
	v_add_f32_e32 v18, 1.0, v18
	v_add_f32_e32 v15, v15, v18
	v_subrev_co_ci_u32_e64 v14, null, 0, v14, vcc_lo
	v_cmp_neq_f32_e32 vcc_lo, 0x7f800000, v11
	v_sub_nc_u32_e32 v17, 0, v14
	v_cvt_f32_i32_e32 v14, v14
	v_ldexp_f32 v16, v16, v17
	v_ldexp_f32 v15, v15, v17
	v_add_f32_e32 v19, 1.0, v16
	v_add_f32_e32 v17, -1.0, v16
	v_add_f32_e32 v18, -1.0, v19
	v_add_f32_e32 v21, 1.0, v17
	v_sub_f32_e32 v18, v16, v18
	v_sub_f32_e32 v16, v16, v21
	v_add_f32_e32 v18, v15, v18
	v_add_f32_e32 v15, v15, v16
	;; [unrolled: 1-line block ×4, first 2 shown]
	v_rcp_f32_e32 v16, v21
	v_sub_f32_e32 v19, v19, v21
	v_sub_f32_e32 v17, v17, v23
	v_add_f32_e32 v18, v18, v19
	v_add_f32_e32 v15, v15, v17
	v_mul_f32_e32 v37, v23, v16
	v_mul_f32_e32 v38, v21, v37
	v_fma_f32 v19, v37, v21, -v38
	v_fmac_f32_e32 v19, v37, v18
	v_add_f32_e32 v39, v38, v19
	v_sub_f32_e32 v40, v23, v39
	v_sub_f32_e32 v17, v39, v38
	;; [unrolled: 1-line block ×5, first 2 shown]
	v_add_f32_e32 v15, v15, v23
	v_add_f32_e32 v15, v17, v15
	;; [unrolled: 1-line block ×3, first 2 shown]
	v_mul_f32_e32 v19, v16, v17
	v_sub_f32_e32 v39, v40, v17
	v_mul_f32_e32 v23, v21, v19
	v_add_f32_e32 v15, v15, v39
	v_fma_f32 v21, v19, v21, -v23
	v_fmac_f32_e32 v21, v19, v18
	v_add_f32_e32 v18, v23, v21
	v_sub_f32_e32 v38, v17, v18
	v_sub_f32_e32 v23, v18, v23
	;; [unrolled: 1-line block ×5, first 2 shown]
	v_add_f32_e32 v15, v15, v17
	v_add_f32_e32 v17, v37, v19
	;; [unrolled: 1-line block ×3, first 2 shown]
	v_sub_f32_e32 v18, v17, v37
	v_add_f32_e32 v15, v38, v15
	v_sub_f32_e32 v18, v19, v18
	v_mul_f32_e32 v15, v16, v15
	v_add_f32_e32 v15, v18, v15
	v_add_f32_e32 v16, v17, v15
	v_mul_f32_e32 v18, v16, v16
	v_fmaak_f32 v19, s1, v18, 0x3ecc95a3
	v_mul_f32_e32 v21, v16, v18
	v_fmaak_f32 v18, v18, v19, 0x3f2aaada
	v_ldexp_f32 v19, v16, 1
	v_sub_f32_e32 v16, v16, v17
	v_mul_f32_e32 v18, v21, v18
	v_mul_f32_e32 v21, 0x3f317218, v14
	v_sub_f32_e32 v15, v15, v16
	v_add_f32_e32 v17, v19, v18
	v_ldexp_f32 v15, v15, 1
	v_sub_f32_e32 v16, v17, v19
	v_fma_f32 v19, 0x3f317218, v14, -v21
	v_sub_f32_e32 v16, v18, v16
	v_fmamk_f32 v14, v14, 0xb102e308, v19
	v_add_f32_e32 v15, v15, v16
	v_add_f32_e32 v16, v21, v14
	;; [unrolled: 1-line block ×3, first 2 shown]
	v_sub_f32_e32 v21, v16, v21
	v_add_f32_e32 v19, v16, v18
	v_sub_f32_e32 v17, v18, v17
	v_sub_f32_e32 v14, v14, v21
	;; [unrolled: 1-line block ×6, first 2 shown]
	v_add_f32_e32 v18, v14, v15
	v_sub_f32_e32 v16, v16, v37
	v_add_f32_e32 v16, v17, v16
	v_sub_f32_e32 v17, v18, v14
	;; [unrolled: 2-line block ×3, first 2 shown]
	v_sub_f32_e32 v15, v15, v17
	v_add_f32_e32 v21, v19, v16
	v_sub_f32_e32 v14, v14, v18
	v_sub_f32_e32 v17, v21, v19
	v_add_f32_e32 v14, v15, v14
	v_sub_f32_e32 v15, v16, v17
	v_add_f32_e32 v14, v14, v15
	v_add_f32_e32 v14, v21, v14
	v_cndmask_b32_e32 v14, 0x7f800000, v14, vcc_lo
	v_cmp_gt_f32_e64 vcc_lo, 0x33800000, |v11|
	v_cndmask_b32_e32 v11, v14, v11, vcc_lo
	v_add_f32_e32 v14, v9, v11
.LBB446_159:
	s_or_b32 exec_lo, exec_lo, s0
	v_bfe_u32 v9, v14, 16, 1
	v_cmp_o_f32_e32 vcc_lo, v14, v14
	v_mov_b32_e32 v11, 0x7fc0
	v_add3_u32 v9, v14, v9, 0x7fff
	v_cndmask_b32_sdwa v9, v11, v9, vcc_lo dst_sel:DWORD dst_unused:UNUSED_PAD src0_sel:DWORD src1_sel:WORD_1
	v_lshlrev_b32_e32 v15, 16, v9
	v_max_f32_e32 v14, v15, v15
	v_cmp_u_f32_e32 vcc_lo, v15, v15
	v_min_f32_e32 v16, v14, v25
	v_max_f32_e32 v14, v14, v25
	v_cndmask_b32_e32 v16, v16, v15, vcc_lo
	v_cndmask_b32_e32 v14, v14, v15, vcc_lo
	v_cndmask_b32_e64 v16, v16, v20, s13
	v_cndmask_b32_e64 v14, v14, v20, s13
	v_cmp_class_f32_e64 s0, v16, 0x1f8
	v_cmp_neq_f32_e32 vcc_lo, v16, v14
	s_or_b32 s1, vcc_lo, s0
	s_and_saveexec_b32 s0, s1
	s_cbranch_execz .LBB446_161
; %bb.160:
	v_sub_f32_e32 v15, v16, v14
	s_mov_b32 s1, 0x3e9b6dac
	v_mul_f32_e32 v16, 0x3fb8aa3b, v15
	v_cmp_ngt_f32_e32 vcc_lo, 0xc2ce8ed0, v15
	v_fma_f32 v17, 0x3fb8aa3b, v15, -v16
	v_rndne_f32_e32 v18, v16
	v_fmamk_f32 v17, v15, 0x32a5705f, v17
	v_sub_f32_e32 v16, v16, v18
	v_add_f32_e32 v16, v16, v17
	v_cvt_i32_f32_e32 v17, v18
	v_exp_f32_e32 v16, v16
	v_ldexp_f32 v16, v16, v17
	v_cndmask_b32_e32 v16, 0, v16, vcc_lo
	v_cmp_nlt_f32_e32 vcc_lo, 0x42b17218, v15
	v_cndmask_b32_e32 v17, 0x7f800000, v16, vcc_lo
	v_add_f32_e32 v18, 1.0, v17
	v_cvt_f64_f32_e32 v[15:16], v18
	v_frexp_exp_i32_f64_e32 v15, v[15:16]
	v_frexp_mant_f32_e32 v16, v18
	v_cmp_gt_f32_e32 vcc_lo, 0x3f2aaaab, v16
	v_add_f32_e32 v16, -1.0, v18
	v_sub_f32_e32 v20, v16, v18
	v_sub_f32_e32 v16, v17, v16
	v_add_f32_e32 v20, 1.0, v20
	v_add_f32_e32 v16, v16, v20
	v_subrev_co_ci_u32_e64 v15, null, 0, v15, vcc_lo
	v_cmp_neq_f32_e32 vcc_lo, 0x7f800000, v17
	v_sub_nc_u32_e32 v19, 0, v15
	v_cvt_f32_i32_e32 v15, v15
	v_ldexp_f32 v18, v18, v19
	v_ldexp_f32 v16, v16, v19
	v_add_f32_e32 v21, 1.0, v18
	v_add_f32_e32 v19, -1.0, v18
	v_add_f32_e32 v20, -1.0, v21
	v_add_f32_e32 v23, 1.0, v19
	v_sub_f32_e32 v20, v18, v20
	v_sub_f32_e32 v18, v18, v23
	v_add_f32_e32 v20, v16, v20
	v_add_f32_e32 v16, v16, v18
	v_add_f32_e32 v23, v21, v20
	v_add_f32_e32 v25, v19, v16
	v_rcp_f32_e32 v18, v23
	v_sub_f32_e32 v21, v21, v23
	v_sub_f32_e32 v19, v19, v25
	v_add_f32_e32 v20, v20, v21
	v_add_f32_e32 v16, v16, v19
	v_mul_f32_e32 v37, v25, v18
	v_mul_f32_e32 v38, v23, v37
	v_fma_f32 v21, v37, v23, -v38
	v_fmac_f32_e32 v21, v37, v20
	v_add_f32_e32 v39, v38, v21
	v_sub_f32_e32 v40, v25, v39
	v_sub_f32_e32 v19, v39, v38
	;; [unrolled: 1-line block ×5, first 2 shown]
	v_add_f32_e32 v16, v16, v25
	v_add_f32_e32 v16, v19, v16
	;; [unrolled: 1-line block ×3, first 2 shown]
	v_mul_f32_e32 v21, v18, v19
	v_sub_f32_e32 v39, v40, v19
	v_mul_f32_e32 v25, v23, v21
	v_add_f32_e32 v16, v16, v39
	v_fma_f32 v23, v21, v23, -v25
	v_fmac_f32_e32 v23, v21, v20
	v_add_f32_e32 v20, v25, v23
	v_sub_f32_e32 v38, v19, v20
	v_sub_f32_e32 v25, v20, v25
	;; [unrolled: 1-line block ×5, first 2 shown]
	v_add_f32_e32 v16, v16, v19
	v_add_f32_e32 v19, v37, v21
	;; [unrolled: 1-line block ×3, first 2 shown]
	v_sub_f32_e32 v20, v19, v37
	v_add_f32_e32 v16, v38, v16
	v_sub_f32_e32 v20, v21, v20
	v_mul_f32_e32 v16, v18, v16
	v_add_f32_e32 v16, v20, v16
	v_add_f32_e32 v18, v19, v16
	v_mul_f32_e32 v20, v18, v18
	v_fmaak_f32 v21, s1, v20, 0x3ecc95a3
	v_mul_f32_e32 v23, v18, v20
	v_fmaak_f32 v20, v20, v21, 0x3f2aaada
	v_ldexp_f32 v21, v18, 1
	v_sub_f32_e32 v18, v18, v19
	v_mul_f32_e32 v20, v23, v20
	v_mul_f32_e32 v23, 0x3f317218, v15
	v_sub_f32_e32 v16, v16, v18
	v_add_f32_e32 v19, v21, v20
	v_ldexp_f32 v16, v16, 1
	v_sub_f32_e32 v18, v19, v21
	v_fma_f32 v21, 0x3f317218, v15, -v23
	v_sub_f32_e32 v18, v20, v18
	v_fmamk_f32 v15, v15, 0xb102e308, v21
	v_add_f32_e32 v16, v16, v18
	v_add_f32_e32 v18, v23, v15
	;; [unrolled: 1-line block ×3, first 2 shown]
	v_sub_f32_e32 v23, v18, v23
	v_add_f32_e32 v21, v18, v20
	v_sub_f32_e32 v19, v20, v19
	v_sub_f32_e32 v15, v15, v23
	;; [unrolled: 1-line block ×6, first 2 shown]
	v_add_f32_e32 v20, v15, v16
	v_sub_f32_e32 v18, v18, v37
	v_add_f32_e32 v18, v19, v18
	v_sub_f32_e32 v19, v20, v15
	;; [unrolled: 2-line block ×3, first 2 shown]
	v_sub_f32_e32 v16, v16, v19
	v_add_f32_e32 v23, v21, v18
	v_sub_f32_e32 v15, v15, v20
	v_sub_f32_e32 v19, v23, v21
	v_add_f32_e32 v15, v16, v15
	v_sub_f32_e32 v16, v18, v19
	v_add_f32_e32 v15, v15, v16
	v_add_f32_e32 v15, v23, v15
	v_cndmask_b32_e32 v15, 0x7f800000, v15, vcc_lo
	v_cmp_gt_f32_e64 vcc_lo, 0x33800000, |v17|
	v_cndmask_b32_e32 v15, v15, v17, vcc_lo
	v_add_f32_e32 v15, v14, v15
.LBB446_161:
	s_or_b32 exec_lo, exec_lo, s0
	v_bfe_u32 v14, v15, 16, 1
	v_cmp_o_f32_e32 vcc_lo, v15, v15
	v_add3_u32 v14, v15, v14, 0x7fff
	v_cndmask_b32_sdwa v11, v11, v14, vcc_lo dst_sel:DWORD dst_unused:UNUSED_PAD src0_sel:DWORD src1_sel:WORD_1
	v_lshlrev_b32_e32 v16, 16, v11
	v_max_f32_e32 v14, v16, v16
	v_cmp_u_f32_e32 vcc_lo, v16, v16
	v_min_f32_e32 v15, v14, v27
	v_max_f32_e32 v14, v14, v27
	v_cndmask_b32_e32 v15, v15, v16, vcc_lo
	v_cndmask_b32_e32 v14, v14, v16, vcc_lo
	v_cndmask_b32_e64 v15, v15, v22, s7
	v_cndmask_b32_e64 v14, v14, v22, s7
	v_cmp_class_f32_e64 s0, v15, 0x1f8
	v_cmp_neq_f32_e32 vcc_lo, v15, v14
	s_or_b32 s1, vcc_lo, s0
	s_and_saveexec_b32 s0, s1
	s_cbranch_execz .LBB446_163
; %bb.162:
	v_sub_f32_e32 v15, v15, v14
	s_mov_b32 s1, 0x3e9b6dac
	v_mul_f32_e32 v16, 0x3fb8aa3b, v15
	v_cmp_ngt_f32_e32 vcc_lo, 0xc2ce8ed0, v15
	v_fma_f32 v17, 0x3fb8aa3b, v15, -v16
	v_rndne_f32_e32 v18, v16
	v_fmamk_f32 v17, v15, 0x32a5705f, v17
	v_sub_f32_e32 v16, v16, v18
	v_add_f32_e32 v16, v16, v17
	v_cvt_i32_f32_e32 v17, v18
	v_exp_f32_e32 v16, v16
	v_ldexp_f32 v16, v16, v17
	v_cndmask_b32_e32 v16, 0, v16, vcc_lo
	v_cmp_nlt_f32_e32 vcc_lo, 0x42b17218, v15
	v_cndmask_b32_e32 v17, 0x7f800000, v16, vcc_lo
	v_add_f32_e32 v18, 1.0, v17
	v_cvt_f64_f32_e32 v[15:16], v18
	v_frexp_exp_i32_f64_e32 v15, v[15:16]
	v_frexp_mant_f32_e32 v16, v18
	v_cmp_gt_f32_e32 vcc_lo, 0x3f2aaaab, v16
	v_add_f32_e32 v16, -1.0, v18
	v_sub_f32_e32 v20, v16, v18
	v_sub_f32_e32 v16, v17, v16
	v_add_f32_e32 v20, 1.0, v20
	v_add_f32_e32 v16, v16, v20
	v_subrev_co_ci_u32_e64 v15, null, 0, v15, vcc_lo
	v_cmp_neq_f32_e32 vcc_lo, 0x7f800000, v17
	v_sub_nc_u32_e32 v19, 0, v15
	v_cvt_f32_i32_e32 v15, v15
	v_ldexp_f32 v18, v18, v19
	v_ldexp_f32 v16, v16, v19
	v_add_f32_e32 v21, 1.0, v18
	v_add_f32_e32 v19, -1.0, v18
	v_add_f32_e32 v20, -1.0, v21
	v_add_f32_e32 v22, 1.0, v19
	v_sub_f32_e32 v20, v18, v20
	v_sub_f32_e32 v18, v18, v22
	v_add_f32_e32 v20, v16, v20
	v_add_f32_e32 v16, v16, v18
	;; [unrolled: 1-line block ×4, first 2 shown]
	v_rcp_f32_e32 v18, v22
	v_sub_f32_e32 v21, v21, v22
	v_sub_f32_e32 v19, v19, v23
	v_add_f32_e32 v20, v20, v21
	v_add_f32_e32 v16, v16, v19
	v_mul_f32_e32 v25, v23, v18
	v_mul_f32_e32 v27, v22, v25
	v_fma_f32 v21, v25, v22, -v27
	v_fmac_f32_e32 v21, v25, v20
	v_add_f32_e32 v37, v27, v21
	v_sub_f32_e32 v38, v23, v37
	v_sub_f32_e32 v19, v37, v27
	;; [unrolled: 1-line block ×5, first 2 shown]
	v_add_f32_e32 v16, v16, v23
	v_add_f32_e32 v16, v19, v16
	v_add_f32_e32 v19, v38, v16
	v_mul_f32_e32 v21, v18, v19
	v_sub_f32_e32 v37, v38, v19
	v_mul_f32_e32 v23, v22, v21
	v_add_f32_e32 v16, v16, v37
	v_fma_f32 v22, v21, v22, -v23
	v_fmac_f32_e32 v22, v21, v20
	v_add_f32_e32 v20, v23, v22
	v_sub_f32_e32 v27, v19, v20
	v_sub_f32_e32 v23, v20, v23
	;; [unrolled: 1-line block ×5, first 2 shown]
	v_add_f32_e32 v16, v16, v19
	v_add_f32_e32 v19, v25, v21
	;; [unrolled: 1-line block ×3, first 2 shown]
	v_sub_f32_e32 v20, v19, v25
	v_add_f32_e32 v16, v27, v16
	v_sub_f32_e32 v20, v21, v20
	v_mul_f32_e32 v16, v18, v16
	v_add_f32_e32 v16, v20, v16
	v_add_f32_e32 v18, v19, v16
	v_mul_f32_e32 v20, v18, v18
	v_fmaak_f32 v21, s1, v20, 0x3ecc95a3
	v_mul_f32_e32 v22, v18, v20
	v_fmaak_f32 v20, v20, v21, 0x3f2aaada
	v_ldexp_f32 v21, v18, 1
	v_sub_f32_e32 v18, v18, v19
	v_mul_f32_e32 v20, v22, v20
	v_mul_f32_e32 v22, 0x3f317218, v15
	v_sub_f32_e32 v16, v16, v18
	v_add_f32_e32 v19, v21, v20
	v_ldexp_f32 v16, v16, 1
	v_sub_f32_e32 v18, v19, v21
	v_fma_f32 v21, 0x3f317218, v15, -v22
	v_sub_f32_e32 v18, v20, v18
	v_fmamk_f32 v15, v15, 0xb102e308, v21
	v_add_f32_e32 v16, v16, v18
	v_add_f32_e32 v18, v22, v15
	;; [unrolled: 1-line block ×3, first 2 shown]
	v_sub_f32_e32 v22, v18, v22
	v_add_f32_e32 v21, v18, v20
	v_sub_f32_e32 v19, v20, v19
	v_sub_f32_e32 v15, v15, v22
	;; [unrolled: 1-line block ×6, first 2 shown]
	v_add_f32_e32 v20, v15, v16
	v_sub_f32_e32 v18, v18, v25
	v_add_f32_e32 v18, v19, v18
	v_sub_f32_e32 v19, v20, v15
	;; [unrolled: 2-line block ×3, first 2 shown]
	v_sub_f32_e32 v16, v16, v19
	v_add_f32_e32 v22, v21, v18
	v_sub_f32_e32 v15, v15, v20
	v_sub_f32_e32 v19, v22, v21
	v_add_f32_e32 v15, v16, v15
	v_sub_f32_e32 v16, v18, v19
	v_add_f32_e32 v15, v15, v16
	v_add_f32_e32 v15, v22, v15
	v_cndmask_b32_e32 v15, 0x7f800000, v15, vcc_lo
	v_cmp_gt_f32_e64 vcc_lo, 0x33800000, |v17|
	v_cndmask_b32_e32 v15, v15, v17, vcc_lo
	v_add_f32_e32 v16, v14, v15
.LBB446_163:
	s_or_b32 exec_lo, exec_lo, s0
	v_bfe_u32 v14, v16, 16, 1
	v_cmp_o_f32_e32 vcc_lo, v16, v16
	v_mov_b32_e32 v15, 0x7fc0
	v_add3_u32 v14, v16, v14, 0x7fff
	v_cndmask_b32_sdwa v14, v15, v14, vcc_lo dst_sel:DWORD dst_unused:UNUSED_PAD src0_sel:DWORD src1_sel:WORD_1
	v_lshlrev_b32_e32 v17, 16, v14
	v_max_f32_e32 v16, v17, v17
	v_cmp_u_f32_e32 vcc_lo, v17, v17
	v_min_f32_e32 v18, v16, v29
	v_max_f32_e32 v16, v16, v29
	v_cndmask_b32_e32 v18, v18, v17, vcc_lo
	v_cndmask_b32_e32 v16, v16, v17, vcc_lo
	v_cndmask_b32_e64 v18, v18, v24, s8
	v_cndmask_b32_e64 v16, v16, v24, s8
	v_cmp_class_f32_e64 s0, v18, 0x1f8
	v_cmp_neq_f32_e32 vcc_lo, v18, v16
	s_or_b32 s1, vcc_lo, s0
	s_and_saveexec_b32 s0, s1
	s_cbranch_execz .LBB446_165
; %bb.164:
	v_sub_f32_e32 v17, v18, v16
	s_mov_b32 s1, 0x3e9b6dac
	v_mul_f32_e32 v18, 0x3fb8aa3b, v17
	v_cmp_ngt_f32_e32 vcc_lo, 0xc2ce8ed0, v17
	v_fma_f32 v19, 0x3fb8aa3b, v17, -v18
	v_rndne_f32_e32 v20, v18
	v_fmamk_f32 v19, v17, 0x32a5705f, v19
	v_sub_f32_e32 v18, v18, v20
	v_add_f32_e32 v18, v18, v19
	v_cvt_i32_f32_e32 v19, v20
	v_exp_f32_e32 v18, v18
	v_ldexp_f32 v18, v18, v19
	v_cndmask_b32_e32 v18, 0, v18, vcc_lo
	v_cmp_nlt_f32_e32 vcc_lo, 0x42b17218, v17
	v_cndmask_b32_e32 v19, 0x7f800000, v18, vcc_lo
	v_add_f32_e32 v20, 1.0, v19
	v_cvt_f64_f32_e32 v[17:18], v20
	v_frexp_exp_i32_f64_e32 v17, v[17:18]
	v_frexp_mant_f32_e32 v18, v20
	v_cmp_gt_f32_e32 vcc_lo, 0x3f2aaaab, v18
	v_add_f32_e32 v18, -1.0, v20
	v_sub_f32_e32 v22, v18, v20
	v_sub_f32_e32 v18, v19, v18
	v_add_f32_e32 v22, 1.0, v22
	v_add_f32_e32 v18, v18, v22
	v_subrev_co_ci_u32_e64 v17, null, 0, v17, vcc_lo
	v_cmp_neq_f32_e32 vcc_lo, 0x7f800000, v19
	v_sub_nc_u32_e32 v21, 0, v17
	v_cvt_f32_i32_e32 v17, v17
	v_ldexp_f32 v20, v20, v21
	v_ldexp_f32 v18, v18, v21
	v_add_f32_e32 v23, 1.0, v20
	v_add_f32_e32 v21, -1.0, v20
	v_add_f32_e32 v22, -1.0, v23
	v_add_f32_e32 v24, 1.0, v21
	v_sub_f32_e32 v22, v20, v22
	v_sub_f32_e32 v20, v20, v24
	v_add_f32_e32 v22, v18, v22
	v_add_f32_e32 v18, v18, v20
	;; [unrolled: 1-line block ×4, first 2 shown]
	v_rcp_f32_e32 v20, v24
	v_sub_f32_e32 v23, v23, v24
	v_sub_f32_e32 v21, v21, v25
	v_add_f32_e32 v22, v22, v23
	v_add_f32_e32 v18, v18, v21
	v_mul_f32_e32 v27, v25, v20
	v_mul_f32_e32 v29, v24, v27
	v_fma_f32 v23, v27, v24, -v29
	v_fmac_f32_e32 v23, v27, v22
	v_add_f32_e32 v37, v29, v23
	v_sub_f32_e32 v38, v25, v37
	v_sub_f32_e32 v21, v37, v29
	;; [unrolled: 1-line block ×5, first 2 shown]
	v_add_f32_e32 v18, v18, v25
	v_add_f32_e32 v18, v21, v18
	;; [unrolled: 1-line block ×3, first 2 shown]
	v_mul_f32_e32 v23, v20, v21
	v_sub_f32_e32 v37, v38, v21
	v_mul_f32_e32 v25, v24, v23
	v_add_f32_e32 v18, v18, v37
	v_fma_f32 v24, v23, v24, -v25
	v_fmac_f32_e32 v24, v23, v22
	v_add_f32_e32 v22, v25, v24
	v_sub_f32_e32 v29, v21, v22
	v_sub_f32_e32 v25, v22, v25
	;; [unrolled: 1-line block ×5, first 2 shown]
	v_add_f32_e32 v18, v18, v21
	v_add_f32_e32 v21, v27, v23
	;; [unrolled: 1-line block ×3, first 2 shown]
	v_sub_f32_e32 v22, v21, v27
	v_add_f32_e32 v18, v29, v18
	v_sub_f32_e32 v22, v23, v22
	v_mul_f32_e32 v18, v20, v18
	v_add_f32_e32 v18, v22, v18
	v_add_f32_e32 v20, v21, v18
	v_mul_f32_e32 v22, v20, v20
	v_fmaak_f32 v23, s1, v22, 0x3ecc95a3
	v_mul_f32_e32 v24, v20, v22
	v_fmaak_f32 v22, v22, v23, 0x3f2aaada
	v_ldexp_f32 v23, v20, 1
	v_sub_f32_e32 v20, v20, v21
	v_mul_f32_e32 v22, v24, v22
	v_mul_f32_e32 v24, 0x3f317218, v17
	v_sub_f32_e32 v18, v18, v20
	v_add_f32_e32 v21, v23, v22
	v_ldexp_f32 v18, v18, 1
	v_sub_f32_e32 v20, v21, v23
	v_fma_f32 v23, 0x3f317218, v17, -v24
	v_sub_f32_e32 v20, v22, v20
	v_fmamk_f32 v17, v17, 0xb102e308, v23
	v_add_f32_e32 v18, v18, v20
	v_add_f32_e32 v20, v24, v17
	;; [unrolled: 1-line block ×3, first 2 shown]
	v_sub_f32_e32 v24, v20, v24
	v_add_f32_e32 v23, v20, v22
	v_sub_f32_e32 v21, v22, v21
	v_sub_f32_e32 v17, v17, v24
	;; [unrolled: 1-line block ×6, first 2 shown]
	v_add_f32_e32 v22, v17, v18
	v_sub_f32_e32 v20, v20, v27
	v_add_f32_e32 v20, v21, v20
	v_sub_f32_e32 v21, v22, v17
	;; [unrolled: 2-line block ×3, first 2 shown]
	v_sub_f32_e32 v18, v18, v21
	v_add_f32_e32 v24, v23, v20
	v_sub_f32_e32 v17, v17, v22
	v_sub_f32_e32 v21, v24, v23
	v_add_f32_e32 v17, v18, v17
	v_sub_f32_e32 v18, v20, v21
	v_add_f32_e32 v17, v17, v18
	v_add_f32_e32 v17, v24, v17
	v_cndmask_b32_e32 v17, 0x7f800000, v17, vcc_lo
	v_cmp_gt_f32_e64 vcc_lo, 0x33800000, |v19|
	v_cndmask_b32_e32 v17, v17, v19, vcc_lo
	v_add_f32_e32 v17, v16, v17
.LBB446_165:
	s_or_b32 exec_lo, exec_lo, s0
	v_bfe_u32 v16, v17, 16, 1
	v_cmp_o_f32_e32 vcc_lo, v17, v17
	v_add3_u32 v16, v17, v16, 0x7fff
	v_cndmask_b32_sdwa v15, v15, v16, vcc_lo dst_sel:DWORD dst_unused:UNUSED_PAD src0_sel:DWORD src1_sel:WORD_1
	v_lshlrev_b32_e32 v18, 16, v15
	v_max_f32_e32 v16, v18, v18
	v_cmp_u_f32_e32 vcc_lo, v18, v18
	v_min_f32_e32 v17, v16, v31
	v_max_f32_e32 v16, v16, v31
	v_cndmask_b32_e32 v17, v17, v18, vcc_lo
	v_cndmask_b32_e32 v16, v16, v18, vcc_lo
	v_cndmask_b32_e64 v17, v17, v26, s9
	v_cndmask_b32_e64 v16, v16, v26, s9
	v_cmp_class_f32_e64 s0, v17, 0x1f8
	v_cmp_neq_f32_e32 vcc_lo, v17, v16
	s_or_b32 s1, vcc_lo, s0
	s_and_saveexec_b32 s0, s1
	s_cbranch_execz .LBB446_167
; %bb.166:
	v_sub_f32_e32 v17, v17, v16
	s_mov_b32 s1, 0x3e9b6dac
	v_mul_f32_e32 v18, 0x3fb8aa3b, v17
	v_cmp_ngt_f32_e32 vcc_lo, 0xc2ce8ed0, v17
	v_fma_f32 v19, 0x3fb8aa3b, v17, -v18
	v_rndne_f32_e32 v20, v18
	v_fmamk_f32 v19, v17, 0x32a5705f, v19
	v_sub_f32_e32 v18, v18, v20
	v_add_f32_e32 v18, v18, v19
	v_cvt_i32_f32_e32 v19, v20
	v_exp_f32_e32 v18, v18
	v_ldexp_f32 v18, v18, v19
	v_cndmask_b32_e32 v18, 0, v18, vcc_lo
	v_cmp_nlt_f32_e32 vcc_lo, 0x42b17218, v17
	v_cndmask_b32_e32 v19, 0x7f800000, v18, vcc_lo
	v_add_f32_e32 v20, 1.0, v19
	v_cvt_f64_f32_e32 v[17:18], v20
	v_frexp_exp_i32_f64_e32 v17, v[17:18]
	v_frexp_mant_f32_e32 v18, v20
	v_cmp_gt_f32_e32 vcc_lo, 0x3f2aaaab, v18
	v_add_f32_e32 v18, -1.0, v20
	v_sub_f32_e32 v22, v18, v20
	v_sub_f32_e32 v18, v19, v18
	v_add_f32_e32 v22, 1.0, v22
	v_add_f32_e32 v18, v18, v22
	v_subrev_co_ci_u32_e64 v17, null, 0, v17, vcc_lo
	v_cmp_neq_f32_e32 vcc_lo, 0x7f800000, v19
	v_sub_nc_u32_e32 v21, 0, v17
	v_cvt_f32_i32_e32 v17, v17
	v_ldexp_f32 v20, v20, v21
	v_ldexp_f32 v18, v18, v21
	v_add_f32_e32 v23, 1.0, v20
	v_add_f32_e32 v21, -1.0, v20
	v_add_f32_e32 v22, -1.0, v23
	v_add_f32_e32 v24, 1.0, v21
	v_sub_f32_e32 v22, v20, v22
	v_sub_f32_e32 v20, v20, v24
	v_add_f32_e32 v22, v18, v22
	v_add_f32_e32 v18, v18, v20
	;; [unrolled: 1-line block ×4, first 2 shown]
	v_rcp_f32_e32 v20, v24
	v_sub_f32_e32 v23, v23, v24
	v_sub_f32_e32 v21, v21, v25
	v_add_f32_e32 v22, v22, v23
	v_add_f32_e32 v18, v18, v21
	v_mul_f32_e32 v26, v25, v20
	v_mul_f32_e32 v27, v24, v26
	v_fma_f32 v23, v26, v24, -v27
	v_fmac_f32_e32 v23, v26, v22
	v_add_f32_e32 v29, v27, v23
	v_sub_f32_e32 v31, v25, v29
	v_sub_f32_e32 v21, v29, v27
	v_sub_f32_e32 v25, v25, v31
	v_sub_f32_e32 v21, v21, v23
	v_sub_f32_e32 v25, v25, v29
	v_add_f32_e32 v18, v18, v25
	v_add_f32_e32 v18, v21, v18
	;; [unrolled: 1-line block ×3, first 2 shown]
	v_mul_f32_e32 v23, v20, v21
	v_sub_f32_e32 v29, v31, v21
	v_mul_f32_e32 v25, v24, v23
	v_add_f32_e32 v18, v18, v29
	v_fma_f32 v24, v23, v24, -v25
	v_fmac_f32_e32 v24, v23, v22
	v_add_f32_e32 v22, v25, v24
	v_sub_f32_e32 v27, v21, v22
	v_sub_f32_e32 v25, v22, v25
	;; [unrolled: 1-line block ×5, first 2 shown]
	v_add_f32_e32 v18, v18, v21
	v_add_f32_e32 v21, v26, v23
	;; [unrolled: 1-line block ×3, first 2 shown]
	v_sub_f32_e32 v22, v21, v26
	v_add_f32_e32 v18, v27, v18
	v_sub_f32_e32 v22, v23, v22
	v_mul_f32_e32 v18, v20, v18
	v_add_f32_e32 v18, v22, v18
	v_add_f32_e32 v20, v21, v18
	v_mul_f32_e32 v22, v20, v20
	v_fmaak_f32 v23, s1, v22, 0x3ecc95a3
	v_mul_f32_e32 v24, v20, v22
	v_fmaak_f32 v22, v22, v23, 0x3f2aaada
	v_ldexp_f32 v23, v20, 1
	v_sub_f32_e32 v20, v20, v21
	v_mul_f32_e32 v22, v24, v22
	v_mul_f32_e32 v24, 0x3f317218, v17
	v_sub_f32_e32 v18, v18, v20
	v_add_f32_e32 v21, v23, v22
	v_ldexp_f32 v18, v18, 1
	v_sub_f32_e32 v20, v21, v23
	v_fma_f32 v23, 0x3f317218, v17, -v24
	v_sub_f32_e32 v20, v22, v20
	v_fmamk_f32 v17, v17, 0xb102e308, v23
	v_add_f32_e32 v18, v18, v20
	v_add_f32_e32 v20, v24, v17
	;; [unrolled: 1-line block ×3, first 2 shown]
	v_sub_f32_e32 v24, v20, v24
	v_add_f32_e32 v23, v20, v22
	v_sub_f32_e32 v21, v22, v21
	v_sub_f32_e32 v17, v17, v24
	;; [unrolled: 1-line block ×6, first 2 shown]
	v_add_f32_e32 v22, v17, v18
	v_sub_f32_e32 v20, v20, v26
	v_add_f32_e32 v20, v21, v20
	v_sub_f32_e32 v21, v22, v17
	v_add_f32_e32 v20, v22, v20
	v_sub_f32_e32 v22, v22, v21
	v_sub_f32_e32 v18, v18, v21
	v_add_f32_e32 v24, v23, v20
	v_sub_f32_e32 v17, v17, v22
	v_sub_f32_e32 v21, v24, v23
	v_add_f32_e32 v17, v18, v17
	v_sub_f32_e32 v18, v20, v21
	v_add_f32_e32 v17, v17, v18
	v_add_f32_e32 v17, v24, v17
	v_cndmask_b32_e32 v17, 0x7f800000, v17, vcc_lo
	v_cmp_gt_f32_e64 vcc_lo, 0x33800000, |v19|
	v_cndmask_b32_e32 v17, v17, v19, vcc_lo
	v_add_f32_e32 v18, v16, v17
.LBB446_167:
	s_or_b32 exec_lo, exec_lo, s0
	v_bfe_u32 v16, v18, 16, 1
	v_cmp_o_f32_e32 vcc_lo, v18, v18
	v_mov_b32_e32 v17, 0x7fc0
	v_add3_u32 v16, v18, v16, 0x7fff
	v_cndmask_b32_sdwa v16, v17, v16, vcc_lo dst_sel:DWORD dst_unused:UNUSED_PAD src0_sel:DWORD src1_sel:WORD_1
	v_lshlrev_b32_e32 v19, 16, v16
	v_max_f32_e32 v18, v19, v19
	v_cmp_u_f32_e32 vcc_lo, v19, v19
	v_min_f32_e32 v20, v18, v33
	v_max_f32_e32 v18, v18, v33
	v_cndmask_b32_e32 v20, v20, v19, vcc_lo
	v_cndmask_b32_e32 v18, v18, v19, vcc_lo
	v_cndmask_b32_e64 v20, v20, v28, s10
	v_cndmask_b32_e64 v18, v18, v28, s10
	v_cmp_class_f32_e64 s0, v20, 0x1f8
	v_cmp_neq_f32_e32 vcc_lo, v20, v18
	s_or_b32 s1, vcc_lo, s0
	s_and_saveexec_b32 s0, s1
	s_cbranch_execz .LBB446_169
; %bb.168:
	v_sub_f32_e32 v19, v20, v18
	s_mov_b32 s1, 0x3e9b6dac
	v_mul_f32_e32 v20, 0x3fb8aa3b, v19
	v_cmp_ngt_f32_e32 vcc_lo, 0xc2ce8ed0, v19
	v_fma_f32 v21, 0x3fb8aa3b, v19, -v20
	v_rndne_f32_e32 v22, v20
	v_fmamk_f32 v21, v19, 0x32a5705f, v21
	v_sub_f32_e32 v20, v20, v22
	v_add_f32_e32 v20, v20, v21
	v_cvt_i32_f32_e32 v21, v22
	v_exp_f32_e32 v20, v20
	v_ldexp_f32 v20, v20, v21
	v_cndmask_b32_e32 v20, 0, v20, vcc_lo
	v_cmp_nlt_f32_e32 vcc_lo, 0x42b17218, v19
	v_cndmask_b32_e32 v21, 0x7f800000, v20, vcc_lo
	v_add_f32_e32 v22, 1.0, v21
	v_cvt_f64_f32_e32 v[19:20], v22
	v_frexp_exp_i32_f64_e32 v19, v[19:20]
	v_frexp_mant_f32_e32 v20, v22
	v_cmp_gt_f32_e32 vcc_lo, 0x3f2aaaab, v20
	v_add_f32_e32 v20, -1.0, v22
	v_sub_f32_e32 v24, v20, v22
	v_sub_f32_e32 v20, v21, v20
	v_add_f32_e32 v24, 1.0, v24
	v_add_f32_e32 v20, v20, v24
	v_subrev_co_ci_u32_e64 v19, null, 0, v19, vcc_lo
	v_cmp_neq_f32_e32 vcc_lo, 0x7f800000, v21
	v_sub_nc_u32_e32 v23, 0, v19
	v_cvt_f32_i32_e32 v19, v19
	v_ldexp_f32 v22, v22, v23
	v_ldexp_f32 v20, v20, v23
	v_add_f32_e32 v25, 1.0, v22
	v_add_f32_e32 v23, -1.0, v22
	v_add_f32_e32 v24, -1.0, v25
	v_add_f32_e32 v26, 1.0, v23
	v_sub_f32_e32 v24, v22, v24
	v_sub_f32_e32 v22, v22, v26
	v_add_f32_e32 v24, v20, v24
	v_add_f32_e32 v20, v20, v22
	;; [unrolled: 1-line block ×4, first 2 shown]
	v_rcp_f32_e32 v22, v26
	v_sub_f32_e32 v25, v25, v26
	v_sub_f32_e32 v23, v23, v27
	v_add_f32_e32 v24, v24, v25
	v_add_f32_e32 v20, v20, v23
	v_mul_f32_e32 v28, v27, v22
	v_mul_f32_e32 v29, v26, v28
	v_fma_f32 v25, v28, v26, -v29
	v_fmac_f32_e32 v25, v28, v24
	v_add_f32_e32 v31, v29, v25
	v_sub_f32_e32 v33, v27, v31
	v_sub_f32_e32 v23, v31, v29
	v_sub_f32_e32 v27, v27, v33
	v_sub_f32_e32 v23, v23, v25
	v_sub_f32_e32 v27, v27, v31
	v_add_f32_e32 v20, v20, v27
	v_add_f32_e32 v20, v23, v20
	;; [unrolled: 1-line block ×3, first 2 shown]
	v_mul_f32_e32 v25, v22, v23
	v_sub_f32_e32 v31, v33, v23
	v_mul_f32_e32 v27, v26, v25
	v_add_f32_e32 v20, v20, v31
	v_fma_f32 v26, v25, v26, -v27
	v_fmac_f32_e32 v26, v25, v24
	v_add_f32_e32 v24, v27, v26
	v_sub_f32_e32 v29, v23, v24
	v_sub_f32_e32 v27, v24, v27
	;; [unrolled: 1-line block ×5, first 2 shown]
	v_add_f32_e32 v20, v20, v23
	v_add_f32_e32 v23, v28, v25
	;; [unrolled: 1-line block ×3, first 2 shown]
	v_sub_f32_e32 v24, v23, v28
	v_add_f32_e32 v20, v29, v20
	v_sub_f32_e32 v24, v25, v24
	v_mul_f32_e32 v20, v22, v20
	v_add_f32_e32 v20, v24, v20
	v_add_f32_e32 v22, v23, v20
	v_mul_f32_e32 v24, v22, v22
	v_fmaak_f32 v25, s1, v24, 0x3ecc95a3
	v_mul_f32_e32 v26, v22, v24
	v_fmaak_f32 v24, v24, v25, 0x3f2aaada
	v_ldexp_f32 v25, v22, 1
	v_sub_f32_e32 v22, v22, v23
	v_mul_f32_e32 v24, v26, v24
	v_mul_f32_e32 v26, 0x3f317218, v19
	v_sub_f32_e32 v20, v20, v22
	v_add_f32_e32 v23, v25, v24
	v_ldexp_f32 v20, v20, 1
	v_sub_f32_e32 v22, v23, v25
	v_fma_f32 v25, 0x3f317218, v19, -v26
	v_sub_f32_e32 v22, v24, v22
	v_fmamk_f32 v19, v19, 0xb102e308, v25
	v_add_f32_e32 v20, v20, v22
	v_add_f32_e32 v22, v26, v19
	;; [unrolled: 1-line block ×3, first 2 shown]
	v_sub_f32_e32 v26, v22, v26
	v_add_f32_e32 v25, v22, v24
	v_sub_f32_e32 v23, v24, v23
	v_sub_f32_e32 v19, v19, v26
	;; [unrolled: 1-line block ×6, first 2 shown]
	v_add_f32_e32 v24, v19, v20
	v_sub_f32_e32 v22, v22, v28
	v_add_f32_e32 v22, v23, v22
	v_sub_f32_e32 v23, v24, v19
	;; [unrolled: 2-line block ×3, first 2 shown]
	v_sub_f32_e32 v20, v20, v23
	v_add_f32_e32 v26, v25, v22
	v_sub_f32_e32 v19, v19, v24
	v_sub_f32_e32 v23, v26, v25
	v_add_f32_e32 v19, v20, v19
	v_sub_f32_e32 v20, v22, v23
	v_add_f32_e32 v19, v19, v20
	v_add_f32_e32 v19, v26, v19
	v_cndmask_b32_e32 v19, 0x7f800000, v19, vcc_lo
	v_cmp_gt_f32_e64 vcc_lo, 0x33800000, |v21|
	v_cndmask_b32_e32 v19, v19, v21, vcc_lo
	v_add_f32_e32 v19, v18, v19
.LBB446_169:
	s_or_b32 exec_lo, exec_lo, s0
	v_bfe_u32 v18, v19, 16, 1
	v_cmp_o_f32_e32 vcc_lo, v19, v19
	v_add3_u32 v18, v19, v18, 0x7fff
	v_cndmask_b32_sdwa v17, v17, v18, vcc_lo dst_sel:DWORD dst_unused:UNUSED_PAD src0_sel:DWORD src1_sel:WORD_1
	v_lshlrev_b32_e32 v20, 16, v17
	v_max_f32_e32 v18, v20, v20
	v_cmp_u_f32_e32 vcc_lo, v20, v20
	v_min_f32_e32 v19, v18, v34
	v_max_f32_e32 v18, v18, v34
	v_cndmask_b32_e32 v19, v19, v20, vcc_lo
	v_cndmask_b32_e32 v18, v18, v20, vcc_lo
	v_cndmask_b32_e64 v19, v19, v30, s11
	v_cndmask_b32_e64 v18, v18, v30, s11
	v_cmp_class_f32_e64 s0, v19, 0x1f8
	v_cmp_neq_f32_e32 vcc_lo, v19, v18
	s_or_b32 s1, vcc_lo, s0
	s_and_saveexec_b32 s0, s1
	s_cbranch_execz .LBB446_171
; %bb.170:
	v_sub_f32_e32 v19, v19, v18
	s_mov_b32 s1, 0x3e9b6dac
	v_mul_f32_e32 v20, 0x3fb8aa3b, v19
	v_cmp_ngt_f32_e32 vcc_lo, 0xc2ce8ed0, v19
	v_fma_f32 v21, 0x3fb8aa3b, v19, -v20
	v_rndne_f32_e32 v22, v20
	v_fmamk_f32 v21, v19, 0x32a5705f, v21
	v_sub_f32_e32 v20, v20, v22
	v_add_f32_e32 v20, v20, v21
	v_cvt_i32_f32_e32 v21, v22
	v_exp_f32_e32 v20, v20
	v_ldexp_f32 v20, v20, v21
	v_cndmask_b32_e32 v20, 0, v20, vcc_lo
	v_cmp_nlt_f32_e32 vcc_lo, 0x42b17218, v19
	v_cndmask_b32_e32 v21, 0x7f800000, v20, vcc_lo
	v_add_f32_e32 v22, 1.0, v21
	v_cvt_f64_f32_e32 v[19:20], v22
	v_frexp_exp_i32_f64_e32 v19, v[19:20]
	v_frexp_mant_f32_e32 v20, v22
	v_cmp_gt_f32_e32 vcc_lo, 0x3f2aaaab, v20
	v_add_f32_e32 v20, -1.0, v22
	v_sub_f32_e32 v24, v20, v22
	v_sub_f32_e32 v20, v21, v20
	v_add_f32_e32 v24, 1.0, v24
	v_add_f32_e32 v20, v20, v24
	v_subrev_co_ci_u32_e64 v19, null, 0, v19, vcc_lo
	v_cmp_neq_f32_e32 vcc_lo, 0x7f800000, v21
	v_sub_nc_u32_e32 v23, 0, v19
	v_cvt_f32_i32_e32 v19, v19
	v_ldexp_f32 v22, v22, v23
	v_ldexp_f32 v20, v20, v23
	v_add_f32_e32 v25, 1.0, v22
	v_add_f32_e32 v23, -1.0, v22
	v_add_f32_e32 v24, -1.0, v25
	v_add_f32_e32 v26, 1.0, v23
	v_sub_f32_e32 v24, v22, v24
	v_sub_f32_e32 v22, v22, v26
	v_add_f32_e32 v24, v20, v24
	v_add_f32_e32 v20, v20, v22
	;; [unrolled: 1-line block ×4, first 2 shown]
	v_rcp_f32_e32 v22, v26
	v_sub_f32_e32 v25, v25, v26
	v_sub_f32_e32 v23, v23, v27
	v_add_f32_e32 v24, v24, v25
	v_add_f32_e32 v20, v20, v23
	v_mul_f32_e32 v28, v27, v22
	v_mul_f32_e32 v29, v26, v28
	v_fma_f32 v25, v28, v26, -v29
	v_fmac_f32_e32 v25, v28, v24
	v_add_f32_e32 v30, v29, v25
	v_sub_f32_e32 v31, v27, v30
	v_sub_f32_e32 v23, v30, v29
	;; [unrolled: 1-line block ×5, first 2 shown]
	v_add_f32_e32 v20, v20, v27
	v_add_f32_e32 v20, v23, v20
	;; [unrolled: 1-line block ×3, first 2 shown]
	v_mul_f32_e32 v25, v22, v23
	v_sub_f32_e32 v30, v31, v23
	v_mul_f32_e32 v27, v26, v25
	v_add_f32_e32 v20, v20, v30
	v_fma_f32 v26, v25, v26, -v27
	v_fmac_f32_e32 v26, v25, v24
	v_add_f32_e32 v24, v27, v26
	v_sub_f32_e32 v29, v23, v24
	v_sub_f32_e32 v27, v24, v27
	;; [unrolled: 1-line block ×5, first 2 shown]
	v_add_f32_e32 v20, v20, v23
	v_add_f32_e32 v23, v28, v25
	;; [unrolled: 1-line block ×3, first 2 shown]
	v_sub_f32_e32 v24, v23, v28
	v_add_f32_e32 v20, v29, v20
	v_sub_f32_e32 v24, v25, v24
	v_mul_f32_e32 v20, v22, v20
	v_add_f32_e32 v20, v24, v20
	v_add_f32_e32 v22, v23, v20
	v_mul_f32_e32 v24, v22, v22
	v_fmaak_f32 v25, s1, v24, 0x3ecc95a3
	v_mul_f32_e32 v26, v22, v24
	v_fmaak_f32 v24, v24, v25, 0x3f2aaada
	v_ldexp_f32 v25, v22, 1
	v_sub_f32_e32 v22, v22, v23
	v_mul_f32_e32 v24, v26, v24
	v_mul_f32_e32 v26, 0x3f317218, v19
	v_sub_f32_e32 v20, v20, v22
	v_add_f32_e32 v23, v25, v24
	v_ldexp_f32 v20, v20, 1
	v_sub_f32_e32 v22, v23, v25
	v_fma_f32 v25, 0x3f317218, v19, -v26
	v_sub_f32_e32 v22, v24, v22
	v_fmamk_f32 v19, v19, 0xb102e308, v25
	v_add_f32_e32 v20, v20, v22
	v_add_f32_e32 v22, v26, v19
	;; [unrolled: 1-line block ×3, first 2 shown]
	v_sub_f32_e32 v26, v22, v26
	v_add_f32_e32 v25, v22, v24
	v_sub_f32_e32 v23, v24, v23
	v_sub_f32_e32 v19, v19, v26
	;; [unrolled: 1-line block ×6, first 2 shown]
	v_add_f32_e32 v24, v19, v20
	v_sub_f32_e32 v22, v22, v28
	v_add_f32_e32 v22, v23, v22
	v_sub_f32_e32 v23, v24, v19
	v_add_f32_e32 v22, v24, v22
	v_sub_f32_e32 v24, v24, v23
	v_sub_f32_e32 v20, v20, v23
	v_add_f32_e32 v26, v25, v22
	v_sub_f32_e32 v19, v19, v24
	v_sub_f32_e32 v23, v26, v25
	v_add_f32_e32 v19, v20, v19
	v_sub_f32_e32 v20, v22, v23
	v_add_f32_e32 v19, v19, v20
	v_add_f32_e32 v19, v26, v19
	v_cndmask_b32_e32 v19, 0x7f800000, v19, vcc_lo
	v_cmp_gt_f32_e64 vcc_lo, 0x33800000, |v21|
	v_cndmask_b32_e32 v19, v19, v21, vcc_lo
	v_add_f32_e32 v20, v18, v19
.LBB446_171:
	s_or_b32 exec_lo, exec_lo, s0
	v_bfe_u32 v18, v20, 16, 1
	v_cmp_o_f32_e32 vcc_lo, v20, v20
	v_mov_b32_e32 v19, 0x7fc0
	v_add3_u32 v18, v20, v18, 0x7fff
	v_cndmask_b32_sdwa v18, v19, v18, vcc_lo dst_sel:DWORD dst_unused:UNUSED_PAD src0_sel:DWORD src1_sel:WORD_1
	v_lshlrev_b32_e32 v21, 16, v18
	v_max_f32_e32 v20, v21, v21
	v_cmp_u_f32_e32 vcc_lo, v21, v21
	v_min_f32_e32 v22, v20, v35
	v_max_f32_e32 v20, v20, v35
	v_cndmask_b32_e32 v22, v22, v21, vcc_lo
	v_cndmask_b32_e32 v20, v20, v21, vcc_lo
	v_cndmask_b32_e64 v22, v22, v32, s12
	v_cndmask_b32_e64 v20, v20, v32, s12
	v_cmp_class_f32_e64 s0, v22, 0x1f8
	v_cmp_neq_f32_e32 vcc_lo, v22, v20
	s_or_b32 s1, vcc_lo, s0
	s_and_saveexec_b32 s0, s1
	s_cbranch_execz .LBB446_173
; %bb.172:
	v_sub_f32_e32 v21, v22, v20
	s_mov_b32 s1, 0x3e9b6dac
	v_mul_f32_e32 v22, 0x3fb8aa3b, v21
	v_cmp_ngt_f32_e32 vcc_lo, 0xc2ce8ed0, v21
	v_fma_f32 v23, 0x3fb8aa3b, v21, -v22
	v_rndne_f32_e32 v24, v22
	v_fmamk_f32 v23, v21, 0x32a5705f, v23
	v_sub_f32_e32 v22, v22, v24
	v_add_f32_e32 v22, v22, v23
	v_cvt_i32_f32_e32 v23, v24
	v_exp_f32_e32 v22, v22
	v_ldexp_f32 v22, v22, v23
	v_cndmask_b32_e32 v22, 0, v22, vcc_lo
	v_cmp_nlt_f32_e32 vcc_lo, 0x42b17218, v21
	v_cndmask_b32_e32 v23, 0x7f800000, v22, vcc_lo
	v_add_f32_e32 v24, 1.0, v23
	v_cvt_f64_f32_e32 v[21:22], v24
	v_frexp_exp_i32_f64_e32 v21, v[21:22]
	v_frexp_mant_f32_e32 v22, v24
	v_cmp_gt_f32_e32 vcc_lo, 0x3f2aaaab, v22
	v_add_f32_e32 v22, -1.0, v24
	v_sub_f32_e32 v26, v22, v24
	v_sub_f32_e32 v22, v23, v22
	v_add_f32_e32 v26, 1.0, v26
	v_add_f32_e32 v22, v22, v26
	v_subrev_co_ci_u32_e64 v21, null, 0, v21, vcc_lo
	v_cmp_neq_f32_e32 vcc_lo, 0x7f800000, v23
	v_sub_nc_u32_e32 v25, 0, v21
	v_cvt_f32_i32_e32 v21, v21
	v_ldexp_f32 v24, v24, v25
	v_ldexp_f32 v22, v22, v25
	v_add_f32_e32 v27, 1.0, v24
	v_add_f32_e32 v25, -1.0, v24
	v_add_f32_e32 v26, -1.0, v27
	v_add_f32_e32 v28, 1.0, v25
	v_sub_f32_e32 v26, v24, v26
	v_sub_f32_e32 v24, v24, v28
	v_add_f32_e32 v26, v22, v26
	v_add_f32_e32 v22, v22, v24
	;; [unrolled: 1-line block ×4, first 2 shown]
	v_rcp_f32_e32 v24, v28
	v_sub_f32_e32 v27, v27, v28
	v_sub_f32_e32 v25, v25, v29
	v_add_f32_e32 v26, v26, v27
	v_add_f32_e32 v22, v22, v25
	v_mul_f32_e32 v30, v29, v24
	v_mul_f32_e32 v31, v28, v30
	v_fma_f32 v27, v30, v28, -v31
	v_fmac_f32_e32 v27, v30, v26
	v_add_f32_e32 v32, v31, v27
	v_sub_f32_e32 v33, v29, v32
	v_sub_f32_e32 v25, v32, v31
	;; [unrolled: 1-line block ×5, first 2 shown]
	v_add_f32_e32 v22, v22, v29
	v_add_f32_e32 v22, v25, v22
	;; [unrolled: 1-line block ×3, first 2 shown]
	v_mul_f32_e32 v27, v24, v25
	v_sub_f32_e32 v32, v33, v25
	v_mul_f32_e32 v29, v28, v27
	v_add_f32_e32 v22, v22, v32
	v_fma_f32 v28, v27, v28, -v29
	v_fmac_f32_e32 v28, v27, v26
	v_add_f32_e32 v26, v29, v28
	v_sub_f32_e32 v31, v25, v26
	v_sub_f32_e32 v29, v26, v29
	v_sub_f32_e32 v25, v25, v31
	v_sub_f32_e32 v25, v25, v26
	v_sub_f32_e32 v26, v29, v28
	v_add_f32_e32 v22, v22, v25
	v_add_f32_e32 v25, v30, v27
	;; [unrolled: 1-line block ×3, first 2 shown]
	v_sub_f32_e32 v26, v25, v30
	v_add_f32_e32 v22, v31, v22
	v_sub_f32_e32 v26, v27, v26
	v_mul_f32_e32 v22, v24, v22
	v_add_f32_e32 v22, v26, v22
	v_add_f32_e32 v24, v25, v22
	v_mul_f32_e32 v26, v24, v24
	v_fmaak_f32 v27, s1, v26, 0x3ecc95a3
	v_mul_f32_e32 v28, v24, v26
	v_fmaak_f32 v26, v26, v27, 0x3f2aaada
	v_ldexp_f32 v27, v24, 1
	v_sub_f32_e32 v24, v24, v25
	v_mul_f32_e32 v26, v28, v26
	v_mul_f32_e32 v28, 0x3f317218, v21
	v_sub_f32_e32 v22, v22, v24
	v_add_f32_e32 v25, v27, v26
	v_ldexp_f32 v22, v22, 1
	v_sub_f32_e32 v24, v25, v27
	v_fma_f32 v27, 0x3f317218, v21, -v28
	v_sub_f32_e32 v24, v26, v24
	v_fmamk_f32 v21, v21, 0xb102e308, v27
	v_add_f32_e32 v22, v22, v24
	v_add_f32_e32 v24, v28, v21
	;; [unrolled: 1-line block ×3, first 2 shown]
	v_sub_f32_e32 v28, v24, v28
	v_add_f32_e32 v27, v24, v26
	v_sub_f32_e32 v25, v26, v25
	v_sub_f32_e32 v21, v21, v28
	;; [unrolled: 1-line block ×6, first 2 shown]
	v_add_f32_e32 v26, v21, v22
	v_sub_f32_e32 v24, v24, v30
	v_add_f32_e32 v24, v25, v24
	v_sub_f32_e32 v25, v26, v21
	;; [unrolled: 2-line block ×3, first 2 shown]
	v_sub_f32_e32 v22, v22, v25
	v_add_f32_e32 v28, v27, v24
	v_sub_f32_e32 v21, v21, v26
	v_sub_f32_e32 v25, v28, v27
	v_add_f32_e32 v21, v22, v21
	v_sub_f32_e32 v22, v24, v25
	v_add_f32_e32 v21, v21, v22
	v_add_f32_e32 v21, v28, v21
	v_cndmask_b32_e32 v21, 0x7f800000, v21, vcc_lo
	v_cmp_gt_f32_e64 vcc_lo, 0x33800000, |v23|
	v_cndmask_b32_e32 v21, v21, v23, vcc_lo
	v_add_f32_e32 v21, v20, v21
.LBB446_173:
	s_or_b32 exec_lo, exec_lo, s0
	v_bfe_u32 v20, v21, 16, 1
	v_cmp_o_f32_e32 vcc_lo, v21, v21
	v_add3_u32 v20, v21, v20, 0x7fff
	v_cndmask_b32_sdwa v19, v19, v20, vcc_lo dst_sel:DWORD dst_unused:UNUSED_PAD src0_sel:DWORD src1_sel:WORD_1
	s_load_dwordx8 s[24:31], s[4:5], 0x38
	s_branch .LBB446_257
.LBB446_174:
	v_cmp_eq_u32_e64 s13, 0, v0
	s_waitcnt lgkmcnt(0)
	s_cmp_lg_u64 s[28:29], 0
	v_cmp_ne_u32_e64 s0, 0, v0
	v_mov_b32_e32 v7, v1
	s_cselect_b32 s1, -1, 0
	s_and_b32 s2, s13, s1
	s_and_saveexec_b32 s1, s2
	s_cbranch_execz .LBB446_178
; %bb.175:
	v_mov_b32_e32 v7, 0
	v_lshlrev_b32_e32 v10, 16, v1
	global_load_ushort v7, v7, s[24:25]
	s_waitcnt vmcnt(0)
	v_lshlrev_b32_e32 v8, 16, v7
	v_max_f32_e32 v7, v10, v10
	v_max_f32_e32 v9, v8, v8
	v_cmp_u_f32_e32 vcc_lo, v8, v8
	v_min_f32_e32 v11, v9, v7
	v_max_f32_e32 v7, v9, v7
	v_cndmask_b32_e32 v9, v11, v8, vcc_lo
	v_cndmask_b32_e32 v7, v7, v8, vcc_lo
	v_cmp_u_f32_e32 vcc_lo, v10, v10
	v_cndmask_b32_e32 v9, v9, v10, vcc_lo
	v_cndmask_b32_e32 v7, v7, v10, vcc_lo
	v_cmp_class_f32_e64 s2, v9, 0x1f8
	v_cmp_neq_f32_e32 vcc_lo, v9, v7
	s_or_b32 s3, vcc_lo, s2
	s_and_saveexec_b32 s2, s3
	s_cbranch_execz .LBB446_177
; %bb.176:
	v_sub_f32_e32 v8, v9, v7
	s_mov_b32 s3, 0x3e9b6dac
	v_mul_f32_e32 v9, 0x3fb8aa3b, v8
	v_cmp_ngt_f32_e32 vcc_lo, 0xc2ce8ed0, v8
	v_fma_f32 v10, 0x3fb8aa3b, v8, -v9
	v_rndne_f32_e32 v11, v9
	v_fmamk_f32 v10, v8, 0x32a5705f, v10
	v_sub_f32_e32 v9, v9, v11
	v_add_f32_e32 v9, v9, v10
	v_cvt_i32_f32_e32 v10, v11
	v_exp_f32_e32 v9, v9
	v_ldexp_f32 v9, v9, v10
	v_cndmask_b32_e32 v9, 0, v9, vcc_lo
	v_cmp_nlt_f32_e32 vcc_lo, 0x42b17218, v8
	v_cndmask_b32_e32 v10, 0x7f800000, v9, vcc_lo
	v_add_f32_e32 v11, 1.0, v10
	v_cvt_f64_f32_e32 v[8:9], v11
	v_frexp_exp_i32_f64_e32 v8, v[8:9]
	v_frexp_mant_f32_e32 v9, v11
	v_cmp_gt_f32_e32 vcc_lo, 0x3f2aaaab, v9
	v_add_f32_e32 v9, -1.0, v11
	v_sub_f32_e32 v15, v9, v11
	v_sub_f32_e32 v9, v10, v9
	v_add_f32_e32 v15, 1.0, v15
	v_add_f32_e32 v9, v9, v15
	v_subrev_co_ci_u32_e64 v8, null, 0, v8, vcc_lo
	v_cmp_neq_f32_e32 vcc_lo, 0x7f800000, v10
	v_sub_nc_u32_e32 v14, 0, v8
	v_cvt_f32_i32_e32 v8, v8
	v_ldexp_f32 v11, v11, v14
	v_ldexp_f32 v9, v9, v14
	v_add_f32_e32 v16, 1.0, v11
	v_add_f32_e32 v14, -1.0, v11
	v_add_f32_e32 v15, -1.0, v16
	v_add_f32_e32 v17, 1.0, v14
	v_sub_f32_e32 v15, v11, v15
	v_sub_f32_e32 v11, v11, v17
	v_add_f32_e32 v15, v9, v15
	v_add_f32_e32 v9, v9, v11
	;; [unrolled: 1-line block ×4, first 2 shown]
	v_rcp_f32_e32 v11, v17
	v_sub_f32_e32 v16, v16, v17
	v_sub_f32_e32 v14, v14, v18
	v_add_f32_e32 v15, v15, v16
	v_add_f32_e32 v9, v9, v14
	v_mul_f32_e32 v19, v18, v11
	v_mul_f32_e32 v20, v17, v19
	v_fma_f32 v16, v19, v17, -v20
	v_fmac_f32_e32 v16, v19, v15
	v_add_f32_e32 v21, v20, v16
	v_sub_f32_e32 v22, v18, v21
	v_sub_f32_e32 v14, v21, v20
	;; [unrolled: 1-line block ×5, first 2 shown]
	v_add_f32_e32 v9, v9, v18
	v_add_f32_e32 v9, v14, v9
	;; [unrolled: 1-line block ×3, first 2 shown]
	v_mul_f32_e32 v16, v11, v14
	v_sub_f32_e32 v21, v22, v14
	v_mul_f32_e32 v18, v17, v16
	v_add_f32_e32 v9, v9, v21
	v_fma_f32 v17, v16, v17, -v18
	v_fmac_f32_e32 v17, v16, v15
	v_add_f32_e32 v15, v18, v17
	v_sub_f32_e32 v20, v14, v15
	v_sub_f32_e32 v18, v15, v18
	;; [unrolled: 1-line block ×5, first 2 shown]
	v_add_f32_e32 v9, v9, v14
	v_add_f32_e32 v14, v19, v16
	;; [unrolled: 1-line block ×3, first 2 shown]
	v_sub_f32_e32 v15, v14, v19
	v_add_f32_e32 v9, v20, v9
	v_sub_f32_e32 v15, v16, v15
	v_mul_f32_e32 v9, v11, v9
	v_add_f32_e32 v9, v15, v9
	v_add_f32_e32 v11, v14, v9
	v_mul_f32_e32 v15, v11, v11
	v_fmaak_f32 v16, s3, v15, 0x3ecc95a3
	v_mul_f32_e32 v17, v11, v15
	v_fmaak_f32 v15, v15, v16, 0x3f2aaada
	v_ldexp_f32 v16, v11, 1
	v_sub_f32_e32 v11, v11, v14
	v_mul_f32_e32 v15, v17, v15
	v_mul_f32_e32 v17, 0x3f317218, v8
	v_sub_f32_e32 v9, v9, v11
	v_add_f32_e32 v14, v16, v15
	v_ldexp_f32 v9, v9, 1
	v_sub_f32_e32 v11, v14, v16
	v_fma_f32 v16, 0x3f317218, v8, -v17
	v_sub_f32_e32 v11, v15, v11
	v_fmamk_f32 v8, v8, 0xb102e308, v16
	v_add_f32_e32 v9, v9, v11
	v_add_f32_e32 v11, v17, v8
	;; [unrolled: 1-line block ×3, first 2 shown]
	v_sub_f32_e32 v17, v11, v17
	v_add_f32_e32 v16, v11, v15
	v_sub_f32_e32 v14, v15, v14
	v_sub_f32_e32 v8, v8, v17
	;; [unrolled: 1-line block ×6, first 2 shown]
	v_add_f32_e32 v15, v8, v9
	v_sub_f32_e32 v11, v11, v19
	v_add_f32_e32 v11, v14, v11
	v_sub_f32_e32 v14, v15, v8
	;; [unrolled: 2-line block ×3, first 2 shown]
	v_sub_f32_e32 v9, v9, v14
	v_add_f32_e32 v17, v16, v11
	v_sub_f32_e32 v8, v8, v15
	v_sub_f32_e32 v14, v17, v16
	v_add_f32_e32 v8, v9, v8
	v_sub_f32_e32 v9, v11, v14
	v_add_f32_e32 v8, v8, v9
	v_add_f32_e32 v8, v17, v8
	v_cndmask_b32_e32 v8, 0x7f800000, v8, vcc_lo
	v_cmp_gt_f32_e64 vcc_lo, 0x33800000, |v10|
	v_cndmask_b32_e32 v8, v8, v10, vcc_lo
	v_add_f32_e32 v8, v7, v8
.LBB446_177:
	s_or_b32 exec_lo, exec_lo, s2
	v_bfe_u32 v7, v8, 16, 1
	v_cmp_o_f32_e32 vcc_lo, v8, v8
	v_add3_u32 v7, v8, v7, 0x7fff
	v_mov_b32_e32 v8, 0x7fc0
	v_cndmask_b32_sdwa v7, v8, v7, vcc_lo dst_sel:DWORD dst_unused:UNUSED_PAD src0_sel:DWORD src1_sel:WORD_1
.LBB446_178:
	s_or_b32 exec_lo, exec_lo, s1
	v_mov_b32_e32 v8, 16
	v_lshlrev_b32_e32 v26, 16, v7
	v_lshlrev_b32_sdwa v1, v8, v1 dst_sel:DWORD dst_unused:UNUSED_PAD src0_sel:DWORD src1_sel:WORD_1
	v_max_f32_e32 v28, v26, v26
	v_cmp_u_f32_e64 s12, v26, v26
	v_max_f32_e32 v16, v1, v1
	v_cmp_u_f32_e64 s1, v1, v1
	v_min_f32_e32 v27, v28, v16
	v_max_f32_e32 v29, v28, v16
	v_cndmask_b32_e64 v9, v27, v26, s12
	v_cndmask_b32_e64 v10, v29, v26, s12
	;; [unrolled: 1-line block ×4, first 2 shown]
	v_mov_b32_e32 v10, v26
	v_cmp_class_f32_e64 s2, v11, 0x1f8
	v_cmp_neq_f32_e32 vcc_lo, v11, v9
	s_or_b32 s3, vcc_lo, s2
	s_and_saveexec_b32 s2, s3
	s_cbranch_execz .LBB446_180
; %bb.179:
	v_sub_f32_e32 v10, v11, v9
	s_mov_b32 s3, 0x3e9b6dac
	v_mul_f32_e32 v11, 0x3fb8aa3b, v10
	v_cmp_ngt_f32_e32 vcc_lo, 0xc2ce8ed0, v10
	v_fma_f32 v14, 0x3fb8aa3b, v10, -v11
	v_rndne_f32_e32 v15, v11
	v_fmamk_f32 v14, v10, 0x32a5705f, v14
	v_sub_f32_e32 v11, v11, v15
	v_add_f32_e32 v11, v11, v14
	v_cvt_i32_f32_e32 v14, v15
	v_exp_f32_e32 v11, v11
	v_ldexp_f32 v11, v11, v14
	v_cndmask_b32_e32 v11, 0, v11, vcc_lo
	v_cmp_nlt_f32_e32 vcc_lo, 0x42b17218, v10
	v_cndmask_b32_e32 v14, 0x7f800000, v11, vcc_lo
	v_add_f32_e32 v15, 1.0, v14
	v_cvt_f64_f32_e32 v[10:11], v15
	v_frexp_exp_i32_f64_e32 v10, v[10:11]
	v_frexp_mant_f32_e32 v11, v15
	v_cmp_gt_f32_e32 vcc_lo, 0x3f2aaaab, v11
	v_add_f32_e32 v11, -1.0, v15
	v_sub_f32_e32 v18, v11, v15
	v_sub_f32_e32 v11, v14, v11
	v_add_f32_e32 v18, 1.0, v18
	v_add_f32_e32 v11, v11, v18
	v_subrev_co_ci_u32_e64 v10, null, 0, v10, vcc_lo
	v_cmp_neq_f32_e32 vcc_lo, 0x7f800000, v14
	v_sub_nc_u32_e32 v17, 0, v10
	v_cvt_f32_i32_e32 v10, v10
	v_ldexp_f32 v15, v15, v17
	v_ldexp_f32 v11, v11, v17
	v_add_f32_e32 v19, 1.0, v15
	v_add_f32_e32 v17, -1.0, v15
	v_add_f32_e32 v18, -1.0, v19
	v_add_f32_e32 v20, 1.0, v17
	v_sub_f32_e32 v18, v15, v18
	v_sub_f32_e32 v15, v15, v20
	v_add_f32_e32 v18, v11, v18
	v_add_f32_e32 v11, v11, v15
	;; [unrolled: 1-line block ×4, first 2 shown]
	v_rcp_f32_e32 v15, v20
	v_sub_f32_e32 v19, v19, v20
	v_sub_f32_e32 v17, v17, v21
	v_add_f32_e32 v18, v18, v19
	v_add_f32_e32 v11, v11, v17
	v_mul_f32_e32 v22, v21, v15
	v_mul_f32_e32 v23, v20, v22
	v_fma_f32 v19, v22, v20, -v23
	v_fmac_f32_e32 v19, v22, v18
	v_add_f32_e32 v24, v23, v19
	v_sub_f32_e32 v25, v21, v24
	v_sub_f32_e32 v17, v24, v23
	;; [unrolled: 1-line block ×5, first 2 shown]
	v_add_f32_e32 v11, v11, v21
	v_add_f32_e32 v11, v17, v11
	;; [unrolled: 1-line block ×3, first 2 shown]
	v_mul_f32_e32 v19, v15, v17
	v_sub_f32_e32 v24, v25, v17
	v_mul_f32_e32 v21, v20, v19
	v_add_f32_e32 v11, v11, v24
	v_fma_f32 v20, v19, v20, -v21
	v_fmac_f32_e32 v20, v19, v18
	v_add_f32_e32 v18, v21, v20
	v_sub_f32_e32 v23, v17, v18
	v_sub_f32_e32 v21, v18, v21
	;; [unrolled: 1-line block ×5, first 2 shown]
	v_add_f32_e32 v11, v11, v17
	v_add_f32_e32 v17, v22, v19
	;; [unrolled: 1-line block ×3, first 2 shown]
	v_sub_f32_e32 v18, v17, v22
	v_add_f32_e32 v11, v23, v11
	v_sub_f32_e32 v18, v19, v18
	v_mul_f32_e32 v11, v15, v11
	v_add_f32_e32 v11, v18, v11
	v_add_f32_e32 v15, v17, v11
	v_mul_f32_e32 v18, v15, v15
	v_fmaak_f32 v19, s3, v18, 0x3ecc95a3
	v_mul_f32_e32 v20, v15, v18
	v_fmaak_f32 v18, v18, v19, 0x3f2aaada
	v_ldexp_f32 v19, v15, 1
	v_sub_f32_e32 v15, v15, v17
	v_mul_f32_e32 v18, v20, v18
	v_mul_f32_e32 v20, 0x3f317218, v10
	v_sub_f32_e32 v11, v11, v15
	v_add_f32_e32 v17, v19, v18
	v_ldexp_f32 v11, v11, 1
	v_sub_f32_e32 v15, v17, v19
	v_fma_f32 v19, 0x3f317218, v10, -v20
	v_sub_f32_e32 v15, v18, v15
	v_fmamk_f32 v10, v10, 0xb102e308, v19
	v_add_f32_e32 v11, v11, v15
	v_add_f32_e32 v15, v20, v10
	;; [unrolled: 1-line block ×3, first 2 shown]
	v_sub_f32_e32 v20, v15, v20
	v_add_f32_e32 v19, v15, v18
	v_sub_f32_e32 v17, v18, v17
	v_sub_f32_e32 v10, v10, v20
	;; [unrolled: 1-line block ×6, first 2 shown]
	v_add_f32_e32 v18, v10, v11
	v_sub_f32_e32 v15, v15, v22
	v_add_f32_e32 v15, v17, v15
	v_sub_f32_e32 v17, v18, v10
	;; [unrolled: 2-line block ×3, first 2 shown]
	v_sub_f32_e32 v11, v11, v17
	v_add_f32_e32 v20, v19, v15
	v_sub_f32_e32 v10, v10, v18
	v_sub_f32_e32 v17, v20, v19
	v_add_f32_e32 v10, v11, v10
	v_sub_f32_e32 v11, v15, v17
	v_add_f32_e32 v10, v10, v11
	v_add_f32_e32 v10, v20, v10
	v_cndmask_b32_e32 v10, 0x7f800000, v10, vcc_lo
	v_cmp_gt_f32_e64 vcc_lo, 0x33800000, |v14|
	v_cndmask_b32_e32 v10, v10, v14, vcc_lo
	v_add_f32_e32 v10, v9, v10
.LBB446_180:
	s_or_b32 exec_lo, exec_lo, s2
	v_bfe_u32 v9, v10, 16, 1
	v_cmp_o_f32_e32 vcc_lo, v10, v10
	v_lshlrev_b32_sdwa v8, v8, v2 dst_sel:DWORD dst_unused:UNUSED_PAD src0_sel:DWORD src1_sel:WORD_0
	v_add3_u32 v9, v10, v9, 0x7fff
	v_max_f32_e32 v10, v8, v8
	v_cmp_u_f32_e64 s2, v8, v8
	v_and_b32_e32 v9, 0xffff0000, v9
	v_cndmask_b32_e32 v11, 0x7fc00000, v9, vcc_lo
	v_max_f32_e32 v9, v11, v11
	v_cmp_u_f32_e32 vcc_lo, v11, v11
	v_min_f32_e32 v14, v9, v10
	v_max_f32_e32 v9, v9, v10
	v_cndmask_b32_e32 v14, v14, v11, vcc_lo
	v_cndmask_b32_e32 v9, v9, v11, vcc_lo
	v_cndmask_b32_e64 v14, v14, v8, s2
	v_cndmask_b32_e64 v9, v9, v8, s2
	v_cmp_class_f32_e64 s3, v14, 0x1f8
	v_cmp_neq_f32_e32 vcc_lo, v14, v9
	s_or_b32 s4, vcc_lo, s3
	s_and_saveexec_b32 s3, s4
	s_cbranch_execz .LBB446_182
; %bb.181:
	v_sub_f32_e32 v11, v14, v9
	s_mov_b32 s4, 0x3e9b6dac
	v_mul_f32_e32 v14, 0x3fb8aa3b, v11
	v_cmp_ngt_f32_e32 vcc_lo, 0xc2ce8ed0, v11
	v_fma_f32 v15, 0x3fb8aa3b, v11, -v14
	v_rndne_f32_e32 v17, v14
	v_fmamk_f32 v15, v11, 0x32a5705f, v15
	v_sub_f32_e32 v14, v14, v17
	v_add_f32_e32 v14, v14, v15
	v_cvt_i32_f32_e32 v15, v17
	v_exp_f32_e32 v14, v14
	v_ldexp_f32 v14, v14, v15
	v_cndmask_b32_e32 v14, 0, v14, vcc_lo
	v_cmp_nlt_f32_e32 vcc_lo, 0x42b17218, v11
	v_cndmask_b32_e32 v11, 0x7f800000, v14, vcc_lo
	v_add_f32_e32 v17, 1.0, v11
	v_cvt_f64_f32_e32 v[14:15], v17
	v_frexp_exp_i32_f64_e32 v14, v[14:15]
	v_frexp_mant_f32_e32 v15, v17
	v_cmp_gt_f32_e32 vcc_lo, 0x3f2aaaab, v15
	v_add_f32_e32 v15, -1.0, v17
	v_sub_f32_e32 v19, v15, v17
	v_sub_f32_e32 v15, v11, v15
	v_add_f32_e32 v19, 1.0, v19
	v_add_f32_e32 v15, v15, v19
	v_subrev_co_ci_u32_e64 v14, null, 0, v14, vcc_lo
	v_cmp_neq_f32_e32 vcc_lo, 0x7f800000, v11
	v_sub_nc_u32_e32 v18, 0, v14
	v_cvt_f32_i32_e32 v14, v14
	v_ldexp_f32 v17, v17, v18
	v_ldexp_f32 v15, v15, v18
	v_add_f32_e32 v20, 1.0, v17
	v_add_f32_e32 v18, -1.0, v17
	v_add_f32_e32 v19, -1.0, v20
	v_add_f32_e32 v21, 1.0, v18
	v_sub_f32_e32 v19, v17, v19
	v_sub_f32_e32 v17, v17, v21
	v_add_f32_e32 v19, v15, v19
	v_add_f32_e32 v15, v15, v17
	;; [unrolled: 1-line block ×4, first 2 shown]
	v_rcp_f32_e32 v17, v21
	v_sub_f32_e32 v20, v20, v21
	v_sub_f32_e32 v18, v18, v22
	v_add_f32_e32 v19, v19, v20
	v_add_f32_e32 v15, v15, v18
	v_mul_f32_e32 v23, v22, v17
	v_mul_f32_e32 v24, v21, v23
	v_fma_f32 v20, v23, v21, -v24
	v_fmac_f32_e32 v20, v23, v19
	v_add_f32_e32 v25, v24, v20
	v_sub_f32_e32 v30, v22, v25
	v_sub_f32_e32 v18, v25, v24
	;; [unrolled: 1-line block ×5, first 2 shown]
	v_add_f32_e32 v15, v15, v22
	v_add_f32_e32 v15, v18, v15
	v_add_f32_e32 v18, v30, v15
	v_mul_f32_e32 v20, v17, v18
	v_sub_f32_e32 v25, v30, v18
	v_mul_f32_e32 v22, v21, v20
	v_add_f32_e32 v15, v15, v25
	v_fma_f32 v21, v20, v21, -v22
	v_fmac_f32_e32 v21, v20, v19
	v_add_f32_e32 v19, v22, v21
	v_sub_f32_e32 v24, v18, v19
	v_sub_f32_e32 v22, v19, v22
	;; [unrolled: 1-line block ×5, first 2 shown]
	v_add_f32_e32 v15, v15, v18
	v_add_f32_e32 v18, v23, v20
	v_add_f32_e32 v15, v19, v15
	v_sub_f32_e32 v19, v18, v23
	v_add_f32_e32 v15, v24, v15
	v_sub_f32_e32 v19, v20, v19
	v_mul_f32_e32 v15, v17, v15
	v_add_f32_e32 v15, v19, v15
	v_add_f32_e32 v17, v18, v15
	v_mul_f32_e32 v19, v17, v17
	v_fmaak_f32 v20, s4, v19, 0x3ecc95a3
	v_mul_f32_e32 v21, v17, v19
	v_fmaak_f32 v19, v19, v20, 0x3f2aaada
	v_ldexp_f32 v20, v17, 1
	v_sub_f32_e32 v17, v17, v18
	v_mul_f32_e32 v19, v21, v19
	v_mul_f32_e32 v21, 0x3f317218, v14
	v_sub_f32_e32 v15, v15, v17
	v_add_f32_e32 v18, v20, v19
	v_ldexp_f32 v15, v15, 1
	v_sub_f32_e32 v17, v18, v20
	v_fma_f32 v20, 0x3f317218, v14, -v21
	v_sub_f32_e32 v17, v19, v17
	v_fmamk_f32 v14, v14, 0xb102e308, v20
	v_add_f32_e32 v15, v15, v17
	v_add_f32_e32 v17, v21, v14
	;; [unrolled: 1-line block ×3, first 2 shown]
	v_sub_f32_e32 v21, v17, v21
	v_add_f32_e32 v20, v17, v19
	v_sub_f32_e32 v18, v19, v18
	v_sub_f32_e32 v14, v14, v21
	v_sub_f32_e32 v22, v20, v17
	v_sub_f32_e32 v15, v15, v18
	v_sub_f32_e32 v23, v20, v22
	v_sub_f32_e32 v18, v19, v22
	v_add_f32_e32 v19, v14, v15
	v_sub_f32_e32 v17, v17, v23
	v_add_f32_e32 v17, v18, v17
	v_sub_f32_e32 v18, v19, v14
	;; [unrolled: 2-line block ×3, first 2 shown]
	v_sub_f32_e32 v15, v15, v18
	v_add_f32_e32 v21, v20, v17
	v_sub_f32_e32 v14, v14, v19
	v_sub_f32_e32 v18, v21, v20
	v_add_f32_e32 v14, v15, v14
	v_sub_f32_e32 v15, v17, v18
	v_add_f32_e32 v14, v14, v15
	v_add_f32_e32 v14, v21, v14
	v_cndmask_b32_e32 v14, 0x7f800000, v14, vcc_lo
	v_cmp_gt_f32_e64 vcc_lo, 0x33800000, |v11|
	v_cndmask_b32_e32 v11, v14, v11, vcc_lo
	v_add_f32_e32 v11, v9, v11
.LBB446_182:
	s_or_b32 exec_lo, exec_lo, s3
	v_bfe_u32 v9, v11, 16, 1
	v_cmp_o_f32_e32 vcc_lo, v11, v11
	v_add3_u32 v14, v11, v9, 0x7fff
	v_mov_b32_e32 v9, 16
	v_and_b32_e32 v14, 0xffff0000, v14
	v_lshlrev_b32_sdwa v2, v9, v2 dst_sel:DWORD dst_unused:UNUSED_PAD src0_sel:DWORD src1_sel:WORD_1
	v_cndmask_b32_e32 v15, 0x7fc00000, v14, vcc_lo
	v_max_f32_e32 v11, v2, v2
	v_cmp_u_f32_e64 s3, v2, v2
	v_max_f32_e32 v14, v15, v15
	v_cmp_u_f32_e32 vcc_lo, v15, v15
	v_min_f32_e32 v17, v14, v11
	v_max_f32_e32 v14, v14, v11
	v_cndmask_b32_e32 v17, v17, v15, vcc_lo
	v_cndmask_b32_e32 v14, v14, v15, vcc_lo
	v_cndmask_b32_e64 v17, v17, v2, s3
	v_cndmask_b32_e64 v14, v14, v2, s3
	v_cmp_class_f32_e64 s4, v17, 0x1f8
	v_cmp_neq_f32_e32 vcc_lo, v17, v14
	s_or_b32 s5, vcc_lo, s4
	s_and_saveexec_b32 s4, s5
	s_cbranch_execz .LBB446_184
; %bb.183:
	v_sub_f32_e32 v15, v17, v14
	s_mov_b32 s5, 0x3e9b6dac
	v_mul_f32_e32 v17, 0x3fb8aa3b, v15
	v_cmp_ngt_f32_e32 vcc_lo, 0xc2ce8ed0, v15
	v_fma_f32 v18, 0x3fb8aa3b, v15, -v17
	v_rndne_f32_e32 v19, v17
	v_fmamk_f32 v18, v15, 0x32a5705f, v18
	v_sub_f32_e32 v17, v17, v19
	v_add_f32_e32 v17, v17, v18
	v_cvt_i32_f32_e32 v18, v19
	v_exp_f32_e32 v17, v17
	v_ldexp_f32 v17, v17, v18
	v_cndmask_b32_e32 v17, 0, v17, vcc_lo
	v_cmp_nlt_f32_e32 vcc_lo, 0x42b17218, v15
	v_cndmask_b32_e32 v15, 0x7f800000, v17, vcc_lo
	v_add_f32_e32 v19, 1.0, v15
	v_cvt_f64_f32_e32 v[17:18], v19
	v_frexp_exp_i32_f64_e32 v17, v[17:18]
	v_frexp_mant_f32_e32 v18, v19
	v_cmp_gt_f32_e32 vcc_lo, 0x3f2aaaab, v18
	v_add_f32_e32 v18, -1.0, v19
	v_sub_f32_e32 v21, v18, v19
	v_sub_f32_e32 v18, v15, v18
	v_add_f32_e32 v21, 1.0, v21
	v_add_f32_e32 v18, v18, v21
	v_subrev_co_ci_u32_e64 v17, null, 0, v17, vcc_lo
	v_cmp_neq_f32_e32 vcc_lo, 0x7f800000, v15
	v_sub_nc_u32_e32 v20, 0, v17
	v_cvt_f32_i32_e32 v17, v17
	v_ldexp_f32 v19, v19, v20
	v_ldexp_f32 v18, v18, v20
	v_add_f32_e32 v22, 1.0, v19
	v_add_f32_e32 v20, -1.0, v19
	v_add_f32_e32 v21, -1.0, v22
	v_add_f32_e32 v23, 1.0, v20
	v_sub_f32_e32 v21, v19, v21
	v_sub_f32_e32 v19, v19, v23
	v_add_f32_e32 v21, v18, v21
	v_add_f32_e32 v18, v18, v19
	;; [unrolled: 1-line block ×4, first 2 shown]
	v_rcp_f32_e32 v19, v23
	v_sub_f32_e32 v22, v22, v23
	v_sub_f32_e32 v20, v20, v24
	v_add_f32_e32 v21, v21, v22
	v_add_f32_e32 v18, v18, v20
	v_mul_f32_e32 v25, v24, v19
	v_mul_f32_e32 v30, v23, v25
	v_fma_f32 v22, v25, v23, -v30
	v_fmac_f32_e32 v22, v25, v21
	v_add_f32_e32 v31, v30, v22
	v_sub_f32_e32 v32, v24, v31
	v_sub_f32_e32 v20, v31, v30
	;; [unrolled: 1-line block ×5, first 2 shown]
	v_add_f32_e32 v18, v18, v24
	v_add_f32_e32 v18, v20, v18
	;; [unrolled: 1-line block ×3, first 2 shown]
	v_mul_f32_e32 v22, v19, v20
	v_sub_f32_e32 v31, v32, v20
	v_mul_f32_e32 v24, v23, v22
	v_add_f32_e32 v18, v18, v31
	v_fma_f32 v23, v22, v23, -v24
	v_fmac_f32_e32 v23, v22, v21
	v_add_f32_e32 v21, v24, v23
	v_sub_f32_e32 v30, v20, v21
	v_sub_f32_e32 v24, v21, v24
	;; [unrolled: 1-line block ×5, first 2 shown]
	v_add_f32_e32 v18, v18, v20
	v_add_f32_e32 v20, v25, v22
	;; [unrolled: 1-line block ×3, first 2 shown]
	v_sub_f32_e32 v21, v20, v25
	v_add_f32_e32 v18, v30, v18
	v_sub_f32_e32 v21, v22, v21
	v_mul_f32_e32 v18, v19, v18
	v_add_f32_e32 v18, v21, v18
	v_add_f32_e32 v19, v20, v18
	v_mul_f32_e32 v21, v19, v19
	v_fmaak_f32 v22, s5, v21, 0x3ecc95a3
	v_mul_f32_e32 v23, v19, v21
	v_fmaak_f32 v21, v21, v22, 0x3f2aaada
	v_ldexp_f32 v22, v19, 1
	v_sub_f32_e32 v19, v19, v20
	v_mul_f32_e32 v21, v23, v21
	v_mul_f32_e32 v23, 0x3f317218, v17
	v_sub_f32_e32 v18, v18, v19
	v_add_f32_e32 v20, v22, v21
	v_ldexp_f32 v18, v18, 1
	v_sub_f32_e32 v19, v20, v22
	v_fma_f32 v22, 0x3f317218, v17, -v23
	v_sub_f32_e32 v19, v21, v19
	v_fmamk_f32 v17, v17, 0xb102e308, v22
	v_add_f32_e32 v18, v18, v19
	v_add_f32_e32 v19, v23, v17
	;; [unrolled: 1-line block ×3, first 2 shown]
	v_sub_f32_e32 v23, v19, v23
	v_add_f32_e32 v22, v19, v21
	v_sub_f32_e32 v20, v21, v20
	v_sub_f32_e32 v17, v17, v23
	;; [unrolled: 1-line block ×6, first 2 shown]
	v_add_f32_e32 v21, v17, v18
	v_sub_f32_e32 v19, v19, v25
	v_add_f32_e32 v19, v20, v19
	v_sub_f32_e32 v20, v21, v17
	;; [unrolled: 2-line block ×3, first 2 shown]
	v_sub_f32_e32 v18, v18, v20
	v_add_f32_e32 v23, v22, v19
	v_sub_f32_e32 v17, v17, v21
	v_sub_f32_e32 v20, v23, v22
	v_add_f32_e32 v17, v18, v17
	v_sub_f32_e32 v18, v19, v20
	v_add_f32_e32 v17, v17, v18
	v_add_f32_e32 v17, v23, v17
	v_cndmask_b32_e32 v17, 0x7f800000, v17, vcc_lo
	v_cmp_gt_f32_e64 vcc_lo, 0x33800000, |v15|
	v_cndmask_b32_e32 v15, v17, v15, vcc_lo
	v_add_f32_e32 v15, v14, v15
.LBB446_184:
	s_or_b32 exec_lo, exec_lo, s4
	v_bfe_u32 v14, v15, 16, 1
	v_cmp_o_f32_e32 vcc_lo, v15, v15
	v_lshlrev_b32_sdwa v9, v9, v3 dst_sel:DWORD dst_unused:UNUSED_PAD src0_sel:DWORD src1_sel:WORD_0
	v_add3_u32 v14, v15, v14, 0x7fff
	v_max_f32_e32 v15, v9, v9
	v_cmp_u_f32_e64 s4, v9, v9
	v_and_b32_e32 v14, 0xffff0000, v14
	v_cndmask_b32_e32 v17, 0x7fc00000, v14, vcc_lo
	v_max_f32_e32 v14, v17, v17
	v_cmp_u_f32_e32 vcc_lo, v17, v17
	v_min_f32_e32 v18, v14, v15
	v_max_f32_e32 v14, v14, v15
	v_cndmask_b32_e32 v18, v18, v17, vcc_lo
	v_cndmask_b32_e32 v14, v14, v17, vcc_lo
	v_cndmask_b32_e64 v18, v18, v9, s4
	v_cndmask_b32_e64 v14, v14, v9, s4
	v_cmp_class_f32_e64 s5, v18, 0x1f8
	v_cmp_neq_f32_e32 vcc_lo, v18, v14
	s_or_b32 s6, vcc_lo, s5
	s_and_saveexec_b32 s5, s6
	s_cbranch_execz .LBB446_186
; %bb.185:
	v_sub_f32_e32 v17, v18, v14
	s_mov_b32 s6, 0x3e9b6dac
	v_mul_f32_e32 v18, 0x3fb8aa3b, v17
	v_cmp_ngt_f32_e32 vcc_lo, 0xc2ce8ed0, v17
	v_fma_f32 v19, 0x3fb8aa3b, v17, -v18
	v_rndne_f32_e32 v20, v18
	v_fmamk_f32 v19, v17, 0x32a5705f, v19
	v_sub_f32_e32 v18, v18, v20
	v_add_f32_e32 v18, v18, v19
	v_cvt_i32_f32_e32 v19, v20
	v_exp_f32_e32 v18, v18
	v_ldexp_f32 v18, v18, v19
	v_cndmask_b32_e32 v18, 0, v18, vcc_lo
	v_cmp_nlt_f32_e32 vcc_lo, 0x42b17218, v17
	v_cndmask_b32_e32 v19, 0x7f800000, v18, vcc_lo
	v_add_f32_e32 v20, 1.0, v19
	v_cvt_f64_f32_e32 v[17:18], v20
	v_frexp_exp_i32_f64_e32 v17, v[17:18]
	v_frexp_mant_f32_e32 v18, v20
	v_cmp_gt_f32_e32 vcc_lo, 0x3f2aaaab, v18
	v_add_f32_e32 v18, -1.0, v20
	v_sub_f32_e32 v22, v18, v20
	v_sub_f32_e32 v18, v19, v18
	v_add_f32_e32 v22, 1.0, v22
	v_add_f32_e32 v18, v18, v22
	v_subrev_co_ci_u32_e64 v17, null, 0, v17, vcc_lo
	v_cmp_neq_f32_e32 vcc_lo, 0x7f800000, v19
	v_sub_nc_u32_e32 v21, 0, v17
	v_cvt_f32_i32_e32 v17, v17
	v_ldexp_f32 v20, v20, v21
	v_ldexp_f32 v18, v18, v21
	v_add_f32_e32 v23, 1.0, v20
	v_add_f32_e32 v21, -1.0, v20
	v_add_f32_e32 v22, -1.0, v23
	v_add_f32_e32 v24, 1.0, v21
	v_sub_f32_e32 v22, v20, v22
	v_sub_f32_e32 v20, v20, v24
	v_add_f32_e32 v22, v18, v22
	v_add_f32_e32 v18, v18, v20
	;; [unrolled: 1-line block ×4, first 2 shown]
	v_rcp_f32_e32 v20, v24
	v_sub_f32_e32 v23, v23, v24
	v_sub_f32_e32 v21, v21, v25
	v_add_f32_e32 v22, v22, v23
	v_add_f32_e32 v18, v18, v21
	v_mul_f32_e32 v30, v25, v20
	v_mul_f32_e32 v31, v24, v30
	v_fma_f32 v23, v30, v24, -v31
	v_fmac_f32_e32 v23, v30, v22
	v_add_f32_e32 v32, v31, v23
	v_sub_f32_e32 v33, v25, v32
	v_sub_f32_e32 v21, v32, v31
	;; [unrolled: 1-line block ×5, first 2 shown]
	v_add_f32_e32 v18, v18, v25
	v_add_f32_e32 v18, v21, v18
	v_add_f32_e32 v21, v33, v18
	v_mul_f32_e32 v23, v20, v21
	v_sub_f32_e32 v32, v33, v21
	v_mul_f32_e32 v25, v24, v23
	v_add_f32_e32 v18, v18, v32
	v_fma_f32 v24, v23, v24, -v25
	v_fmac_f32_e32 v24, v23, v22
	v_add_f32_e32 v22, v25, v24
	v_sub_f32_e32 v31, v21, v22
	v_sub_f32_e32 v25, v22, v25
	;; [unrolled: 1-line block ×5, first 2 shown]
	v_add_f32_e32 v18, v18, v21
	v_add_f32_e32 v21, v30, v23
	v_add_f32_e32 v18, v22, v18
	v_sub_f32_e32 v22, v21, v30
	v_add_f32_e32 v18, v31, v18
	v_sub_f32_e32 v22, v23, v22
	v_mul_f32_e32 v18, v20, v18
	v_add_f32_e32 v18, v22, v18
	v_add_f32_e32 v20, v21, v18
	v_mul_f32_e32 v22, v20, v20
	v_fmaak_f32 v23, s6, v22, 0x3ecc95a3
	v_mul_f32_e32 v24, v20, v22
	v_fmaak_f32 v22, v22, v23, 0x3f2aaada
	v_ldexp_f32 v23, v20, 1
	v_sub_f32_e32 v20, v20, v21
	v_mul_f32_e32 v22, v24, v22
	v_mul_f32_e32 v24, 0x3f317218, v17
	v_sub_f32_e32 v18, v18, v20
	v_add_f32_e32 v21, v23, v22
	v_ldexp_f32 v18, v18, 1
	v_sub_f32_e32 v20, v21, v23
	v_fma_f32 v23, 0x3f317218, v17, -v24
	v_sub_f32_e32 v20, v22, v20
	v_fmamk_f32 v17, v17, 0xb102e308, v23
	v_add_f32_e32 v18, v18, v20
	v_add_f32_e32 v20, v24, v17
	;; [unrolled: 1-line block ×3, first 2 shown]
	v_sub_f32_e32 v24, v20, v24
	v_add_f32_e32 v23, v20, v22
	v_sub_f32_e32 v21, v22, v21
	v_sub_f32_e32 v17, v17, v24
	;; [unrolled: 1-line block ×6, first 2 shown]
	v_add_f32_e32 v22, v17, v18
	v_sub_f32_e32 v20, v20, v30
	v_add_f32_e32 v20, v21, v20
	v_sub_f32_e32 v21, v22, v17
	;; [unrolled: 2-line block ×3, first 2 shown]
	v_sub_f32_e32 v18, v18, v21
	v_add_f32_e32 v24, v23, v20
	v_sub_f32_e32 v17, v17, v22
	v_sub_f32_e32 v21, v24, v23
	v_add_f32_e32 v17, v18, v17
	v_sub_f32_e32 v18, v20, v21
	v_add_f32_e32 v17, v17, v18
	v_add_f32_e32 v17, v24, v17
	v_cndmask_b32_e32 v17, 0x7f800000, v17, vcc_lo
	v_cmp_gt_f32_e64 vcc_lo, 0x33800000, |v19|
	v_cndmask_b32_e32 v17, v17, v19, vcc_lo
	v_add_f32_e32 v17, v14, v17
.LBB446_186:
	s_or_b32 exec_lo, exec_lo, s5
	v_bfe_u32 v14, v17, 16, 1
	v_cmp_o_f32_e32 vcc_lo, v17, v17
	v_add3_u32 v18, v17, v14, 0x7fff
	v_mov_b32_e32 v14, 16
	v_and_b32_e32 v18, 0xffff0000, v18
	v_lshlrev_b32_sdwa v3, v14, v3 dst_sel:DWORD dst_unused:UNUSED_PAD src0_sel:DWORD src1_sel:WORD_1
	v_cndmask_b32_e32 v19, 0x7fc00000, v18, vcc_lo
	v_max_f32_e32 v17, v3, v3
	v_cmp_u_f32_e64 s5, v3, v3
	v_max_f32_e32 v18, v19, v19
	v_cmp_u_f32_e32 vcc_lo, v19, v19
	v_min_f32_e32 v20, v18, v17
	v_max_f32_e32 v18, v18, v17
	v_cndmask_b32_e32 v20, v20, v19, vcc_lo
	v_cndmask_b32_e32 v18, v18, v19, vcc_lo
	v_cndmask_b32_e64 v20, v20, v3, s5
	v_cndmask_b32_e64 v18, v18, v3, s5
	v_cmp_class_f32_e64 s6, v20, 0x1f8
	v_cmp_neq_f32_e32 vcc_lo, v20, v18
	s_or_b32 s7, vcc_lo, s6
	s_and_saveexec_b32 s6, s7
	s_cbranch_execz .LBB446_188
; %bb.187:
	v_sub_f32_e32 v19, v20, v18
	s_mov_b32 s7, 0x3e9b6dac
	v_mul_f32_e32 v20, 0x3fb8aa3b, v19
	v_cmp_ngt_f32_e32 vcc_lo, 0xc2ce8ed0, v19
	v_fma_f32 v21, 0x3fb8aa3b, v19, -v20
	v_rndne_f32_e32 v22, v20
	v_fmamk_f32 v21, v19, 0x32a5705f, v21
	v_sub_f32_e32 v20, v20, v22
	v_add_f32_e32 v20, v20, v21
	v_cvt_i32_f32_e32 v21, v22
	v_exp_f32_e32 v20, v20
	v_ldexp_f32 v20, v20, v21
	v_cndmask_b32_e32 v20, 0, v20, vcc_lo
	v_cmp_nlt_f32_e32 vcc_lo, 0x42b17218, v19
	v_cndmask_b32_e32 v21, 0x7f800000, v20, vcc_lo
	v_add_f32_e32 v22, 1.0, v21
	v_cvt_f64_f32_e32 v[19:20], v22
	v_frexp_exp_i32_f64_e32 v19, v[19:20]
	v_frexp_mant_f32_e32 v20, v22
	v_cmp_gt_f32_e32 vcc_lo, 0x3f2aaaab, v20
	v_add_f32_e32 v20, -1.0, v22
	v_sub_f32_e32 v24, v20, v22
	v_sub_f32_e32 v20, v21, v20
	v_add_f32_e32 v24, 1.0, v24
	v_add_f32_e32 v20, v20, v24
	v_subrev_co_ci_u32_e64 v19, null, 0, v19, vcc_lo
	v_cmp_neq_f32_e32 vcc_lo, 0x7f800000, v21
	v_sub_nc_u32_e32 v23, 0, v19
	v_cvt_f32_i32_e32 v19, v19
	v_ldexp_f32 v22, v22, v23
	v_ldexp_f32 v20, v20, v23
	v_add_f32_e32 v25, 1.0, v22
	v_add_f32_e32 v23, -1.0, v22
	v_add_f32_e32 v24, -1.0, v25
	v_add_f32_e32 v30, 1.0, v23
	v_sub_f32_e32 v24, v22, v24
	v_sub_f32_e32 v22, v22, v30
	v_add_f32_e32 v24, v20, v24
	v_add_f32_e32 v20, v20, v22
	v_add_f32_e32 v30, v25, v24
	v_add_f32_e32 v31, v23, v20
	v_rcp_f32_e32 v22, v30
	v_sub_f32_e32 v25, v25, v30
	v_sub_f32_e32 v23, v23, v31
	v_add_f32_e32 v24, v24, v25
	v_add_f32_e32 v20, v20, v23
	v_mul_f32_e32 v32, v31, v22
	v_mul_f32_e32 v33, v30, v32
	v_fma_f32 v25, v32, v30, -v33
	v_fmac_f32_e32 v25, v32, v24
	v_add_f32_e32 v34, v33, v25
	v_sub_f32_e32 v35, v31, v34
	v_sub_f32_e32 v23, v34, v33
	;; [unrolled: 1-line block ×5, first 2 shown]
	v_add_f32_e32 v20, v20, v31
	v_add_f32_e32 v20, v23, v20
	;; [unrolled: 1-line block ×3, first 2 shown]
	v_mul_f32_e32 v25, v22, v23
	v_sub_f32_e32 v34, v35, v23
	v_mul_f32_e32 v31, v30, v25
	v_add_f32_e32 v20, v20, v34
	v_fma_f32 v30, v25, v30, -v31
	v_fmac_f32_e32 v30, v25, v24
	v_add_f32_e32 v24, v31, v30
	v_sub_f32_e32 v33, v23, v24
	v_sub_f32_e32 v31, v24, v31
	v_sub_f32_e32 v23, v23, v33
	v_sub_f32_e32 v23, v23, v24
	v_sub_f32_e32 v24, v31, v30
	v_add_f32_e32 v20, v20, v23
	v_add_f32_e32 v23, v32, v25
	;; [unrolled: 1-line block ×3, first 2 shown]
	v_sub_f32_e32 v24, v23, v32
	v_add_f32_e32 v20, v33, v20
	v_sub_f32_e32 v24, v25, v24
	v_mul_f32_e32 v20, v22, v20
	v_add_f32_e32 v20, v24, v20
	v_add_f32_e32 v22, v23, v20
	v_mul_f32_e32 v24, v22, v22
	v_fmaak_f32 v25, s7, v24, 0x3ecc95a3
	v_mul_f32_e32 v30, v22, v24
	v_fmaak_f32 v24, v24, v25, 0x3f2aaada
	v_ldexp_f32 v25, v22, 1
	v_sub_f32_e32 v22, v22, v23
	v_mul_f32_e32 v24, v30, v24
	v_mul_f32_e32 v30, 0x3f317218, v19
	v_sub_f32_e32 v20, v20, v22
	v_add_f32_e32 v23, v25, v24
	v_ldexp_f32 v20, v20, 1
	v_sub_f32_e32 v22, v23, v25
	v_fma_f32 v25, 0x3f317218, v19, -v30
	v_sub_f32_e32 v22, v24, v22
	v_fmamk_f32 v19, v19, 0xb102e308, v25
	v_add_f32_e32 v20, v20, v22
	v_add_f32_e32 v22, v30, v19
	;; [unrolled: 1-line block ×3, first 2 shown]
	v_sub_f32_e32 v30, v22, v30
	v_add_f32_e32 v25, v22, v24
	v_sub_f32_e32 v23, v24, v23
	v_sub_f32_e32 v19, v19, v30
	;; [unrolled: 1-line block ×6, first 2 shown]
	v_add_f32_e32 v24, v19, v20
	v_sub_f32_e32 v22, v22, v32
	v_add_f32_e32 v22, v23, v22
	v_sub_f32_e32 v23, v24, v19
	;; [unrolled: 2-line block ×3, first 2 shown]
	v_sub_f32_e32 v20, v20, v23
	v_add_f32_e32 v30, v25, v22
	v_sub_f32_e32 v19, v19, v24
	v_sub_f32_e32 v23, v30, v25
	v_add_f32_e32 v19, v20, v19
	v_sub_f32_e32 v20, v22, v23
	v_add_f32_e32 v19, v19, v20
	v_add_f32_e32 v19, v30, v19
	v_cndmask_b32_e32 v19, 0x7f800000, v19, vcc_lo
	v_cmp_gt_f32_e64 vcc_lo, 0x33800000, |v21|
	v_cndmask_b32_e32 v19, v19, v21, vcc_lo
	v_add_f32_e32 v19, v18, v19
.LBB446_188:
	s_or_b32 exec_lo, exec_lo, s6
	v_bfe_u32 v18, v19, 16, 1
	v_cmp_o_f32_e32 vcc_lo, v19, v19
	v_lshlrev_b32_sdwa v14, v14, v4 dst_sel:DWORD dst_unused:UNUSED_PAD src0_sel:DWORD src1_sel:WORD_0
	v_add3_u32 v18, v19, v18, 0x7fff
	v_max_f32_e32 v19, v14, v14
	v_cmp_u_f32_e64 s6, v14, v14
	v_and_b32_e32 v18, 0xffff0000, v18
	v_cndmask_b32_e32 v20, 0x7fc00000, v18, vcc_lo
	v_max_f32_e32 v18, v20, v20
	v_cmp_u_f32_e32 vcc_lo, v20, v20
	v_min_f32_e32 v21, v18, v19
	v_max_f32_e32 v18, v18, v19
	v_cndmask_b32_e32 v21, v21, v20, vcc_lo
	v_cndmask_b32_e32 v18, v18, v20, vcc_lo
	v_cndmask_b32_e64 v21, v21, v14, s6
	v_cndmask_b32_e64 v18, v18, v14, s6
	v_cmp_class_f32_e64 s7, v21, 0x1f8
	v_cmp_neq_f32_e32 vcc_lo, v21, v18
	s_or_b32 s8, vcc_lo, s7
	s_and_saveexec_b32 s7, s8
	s_cbranch_execz .LBB446_190
; %bb.189:
	v_sub_f32_e32 v20, v21, v18
	s_mov_b32 s8, 0x3e9b6dac
	v_mul_f32_e32 v21, 0x3fb8aa3b, v20
	v_cmp_ngt_f32_e32 vcc_lo, 0xc2ce8ed0, v20
	v_fma_f32 v22, 0x3fb8aa3b, v20, -v21
	v_rndne_f32_e32 v23, v21
	v_fmamk_f32 v22, v20, 0x32a5705f, v22
	v_sub_f32_e32 v21, v21, v23
	v_add_f32_e32 v21, v21, v22
	v_cvt_i32_f32_e32 v22, v23
	v_exp_f32_e32 v21, v21
	v_ldexp_f32 v21, v21, v22
	v_cndmask_b32_e32 v21, 0, v21, vcc_lo
	v_cmp_nlt_f32_e32 vcc_lo, 0x42b17218, v20
	v_cndmask_b32_e32 v22, 0x7f800000, v21, vcc_lo
	v_add_f32_e32 v23, 1.0, v22
	v_cvt_f64_f32_e32 v[20:21], v23
	v_frexp_exp_i32_f64_e32 v20, v[20:21]
	v_frexp_mant_f32_e32 v21, v23
	v_cmp_gt_f32_e32 vcc_lo, 0x3f2aaaab, v21
	v_add_f32_e32 v21, -1.0, v23
	v_sub_f32_e32 v25, v21, v23
	v_sub_f32_e32 v21, v22, v21
	v_add_f32_e32 v25, 1.0, v25
	v_add_f32_e32 v21, v21, v25
	v_subrev_co_ci_u32_e64 v20, null, 0, v20, vcc_lo
	v_cmp_neq_f32_e32 vcc_lo, 0x7f800000, v22
	v_sub_nc_u32_e32 v24, 0, v20
	v_cvt_f32_i32_e32 v20, v20
	v_ldexp_f32 v23, v23, v24
	v_ldexp_f32 v21, v21, v24
	v_add_f32_e32 v30, 1.0, v23
	v_add_f32_e32 v24, -1.0, v23
	v_add_f32_e32 v25, -1.0, v30
	v_add_f32_e32 v31, 1.0, v24
	v_sub_f32_e32 v25, v23, v25
	v_sub_f32_e32 v23, v23, v31
	v_add_f32_e32 v25, v21, v25
	v_add_f32_e32 v21, v21, v23
	v_add_f32_e32 v31, v30, v25
	v_add_f32_e32 v32, v24, v21
	v_rcp_f32_e32 v23, v31
	v_sub_f32_e32 v30, v30, v31
	v_sub_f32_e32 v24, v24, v32
	v_add_f32_e32 v25, v25, v30
	v_add_f32_e32 v21, v21, v24
	v_mul_f32_e32 v33, v32, v23
	v_mul_f32_e32 v34, v31, v33
	v_fma_f32 v30, v33, v31, -v34
	v_fmac_f32_e32 v30, v33, v25
	v_add_f32_e32 v35, v34, v30
	v_sub_f32_e32 v36, v32, v35
	v_sub_f32_e32 v24, v35, v34
	;; [unrolled: 1-line block ×5, first 2 shown]
	v_add_f32_e32 v21, v21, v32
	v_add_f32_e32 v21, v24, v21
	v_add_f32_e32 v24, v36, v21
	v_mul_f32_e32 v30, v23, v24
	v_sub_f32_e32 v35, v36, v24
	v_mul_f32_e32 v32, v31, v30
	v_add_f32_e32 v21, v21, v35
	v_fma_f32 v31, v30, v31, -v32
	v_fmac_f32_e32 v31, v30, v25
	v_add_f32_e32 v25, v32, v31
	v_sub_f32_e32 v34, v24, v25
	v_sub_f32_e32 v32, v25, v32
	v_sub_f32_e32 v24, v24, v34
	v_sub_f32_e32 v24, v24, v25
	v_sub_f32_e32 v25, v32, v31
	v_add_f32_e32 v21, v21, v24
	v_add_f32_e32 v24, v33, v30
	v_add_f32_e32 v21, v25, v21
	v_sub_f32_e32 v25, v24, v33
	v_add_f32_e32 v21, v34, v21
	v_sub_f32_e32 v25, v30, v25
	v_mul_f32_e32 v21, v23, v21
	v_add_f32_e32 v21, v25, v21
	v_add_f32_e32 v23, v24, v21
	v_mul_f32_e32 v25, v23, v23
	v_fmaak_f32 v30, s8, v25, 0x3ecc95a3
	v_mul_f32_e32 v31, v23, v25
	v_fmaak_f32 v25, v25, v30, 0x3f2aaada
	v_ldexp_f32 v30, v23, 1
	v_sub_f32_e32 v23, v23, v24
	v_mul_f32_e32 v25, v31, v25
	v_mul_f32_e32 v31, 0x3f317218, v20
	v_sub_f32_e32 v21, v21, v23
	v_add_f32_e32 v24, v30, v25
	v_ldexp_f32 v21, v21, 1
	v_sub_f32_e32 v23, v24, v30
	v_fma_f32 v30, 0x3f317218, v20, -v31
	v_sub_f32_e32 v23, v25, v23
	v_fmamk_f32 v20, v20, 0xb102e308, v30
	v_add_f32_e32 v21, v21, v23
	v_add_f32_e32 v23, v31, v20
	;; [unrolled: 1-line block ×3, first 2 shown]
	v_sub_f32_e32 v31, v23, v31
	v_add_f32_e32 v30, v23, v25
	v_sub_f32_e32 v24, v25, v24
	v_sub_f32_e32 v20, v20, v31
	;; [unrolled: 1-line block ×6, first 2 shown]
	v_add_f32_e32 v25, v20, v21
	v_sub_f32_e32 v23, v23, v33
	v_add_f32_e32 v23, v24, v23
	v_sub_f32_e32 v24, v25, v20
	;; [unrolled: 2-line block ×3, first 2 shown]
	v_sub_f32_e32 v21, v21, v24
	v_add_f32_e32 v31, v30, v23
	v_sub_f32_e32 v20, v20, v25
	v_sub_f32_e32 v24, v31, v30
	v_add_f32_e32 v20, v21, v20
	v_sub_f32_e32 v21, v23, v24
	v_add_f32_e32 v20, v20, v21
	v_add_f32_e32 v20, v31, v20
	v_cndmask_b32_e32 v20, 0x7f800000, v20, vcc_lo
	v_cmp_gt_f32_e64 vcc_lo, 0x33800000, |v22|
	v_cndmask_b32_e32 v20, v20, v22, vcc_lo
	v_add_f32_e32 v20, v18, v20
.LBB446_190:
	s_or_b32 exec_lo, exec_lo, s7
	v_bfe_u32 v18, v20, 16, 1
	v_cmp_o_f32_e32 vcc_lo, v20, v20
	v_add3_u32 v21, v20, v18, 0x7fff
	v_mov_b32_e32 v18, 16
	v_and_b32_e32 v21, 0xffff0000, v21
	v_lshlrev_b32_sdwa v4, v18, v4 dst_sel:DWORD dst_unused:UNUSED_PAD src0_sel:DWORD src1_sel:WORD_1
	v_cndmask_b32_e32 v22, 0x7fc00000, v21, vcc_lo
	v_max_f32_e32 v20, v4, v4
	v_cmp_u_f32_e64 s7, v4, v4
	v_max_f32_e32 v21, v22, v22
	v_cmp_u_f32_e32 vcc_lo, v22, v22
	v_min_f32_e32 v23, v21, v20
	v_max_f32_e32 v21, v21, v20
	v_cndmask_b32_e32 v23, v23, v22, vcc_lo
	v_cndmask_b32_e32 v21, v21, v22, vcc_lo
	v_cndmask_b32_e64 v23, v23, v4, s7
	v_cndmask_b32_e64 v21, v21, v4, s7
	v_cmp_class_f32_e64 s8, v23, 0x1f8
	v_cmp_neq_f32_e32 vcc_lo, v23, v21
	s_or_b32 s9, vcc_lo, s8
	s_and_saveexec_b32 s8, s9
	s_cbranch_execz .LBB446_192
; %bb.191:
	v_sub_f32_e32 v22, v23, v21
	s_mov_b32 s9, 0x3e9b6dac
	v_mul_f32_e32 v23, 0x3fb8aa3b, v22
	v_cmp_ngt_f32_e32 vcc_lo, 0xc2ce8ed0, v22
	v_fma_f32 v24, 0x3fb8aa3b, v22, -v23
	v_rndne_f32_e32 v25, v23
	v_fmamk_f32 v24, v22, 0x32a5705f, v24
	v_sub_f32_e32 v23, v23, v25
	v_add_f32_e32 v23, v23, v24
	v_cvt_i32_f32_e32 v24, v25
	v_exp_f32_e32 v23, v23
	v_ldexp_f32 v23, v23, v24
	v_cndmask_b32_e32 v23, 0, v23, vcc_lo
	v_cmp_nlt_f32_e32 vcc_lo, 0x42b17218, v22
	v_cndmask_b32_e32 v24, 0x7f800000, v23, vcc_lo
	v_add_f32_e32 v25, 1.0, v24
	v_cvt_f64_f32_e32 v[22:23], v25
	v_frexp_exp_i32_f64_e32 v22, v[22:23]
	v_frexp_mant_f32_e32 v23, v25
	v_cmp_gt_f32_e32 vcc_lo, 0x3f2aaaab, v23
	v_add_f32_e32 v23, -1.0, v25
	v_sub_f32_e32 v31, v23, v25
	v_sub_f32_e32 v23, v24, v23
	v_add_f32_e32 v31, 1.0, v31
	v_add_f32_e32 v23, v23, v31
	v_subrev_co_ci_u32_e64 v22, null, 0, v22, vcc_lo
	v_cmp_neq_f32_e32 vcc_lo, 0x7f800000, v24
	v_sub_nc_u32_e32 v30, 0, v22
	v_cvt_f32_i32_e32 v22, v22
	v_ldexp_f32 v25, v25, v30
	v_ldexp_f32 v23, v23, v30
	v_add_f32_e32 v32, 1.0, v25
	v_add_f32_e32 v30, -1.0, v25
	v_add_f32_e32 v31, -1.0, v32
	v_add_f32_e32 v33, 1.0, v30
	v_sub_f32_e32 v31, v25, v31
	v_sub_f32_e32 v25, v25, v33
	v_add_f32_e32 v31, v23, v31
	v_add_f32_e32 v23, v23, v25
	v_add_f32_e32 v33, v32, v31
	v_add_f32_e32 v34, v30, v23
	v_rcp_f32_e32 v25, v33
	v_sub_f32_e32 v32, v32, v33
	v_sub_f32_e32 v30, v30, v34
	v_add_f32_e32 v31, v31, v32
	v_add_f32_e32 v23, v23, v30
	v_mul_f32_e32 v35, v34, v25
	v_mul_f32_e32 v36, v33, v35
	v_fma_f32 v32, v35, v33, -v36
	v_fmac_f32_e32 v32, v35, v31
	v_add_f32_e32 v37, v36, v32
	v_sub_f32_e32 v38, v34, v37
	v_sub_f32_e32 v30, v37, v36
	;; [unrolled: 1-line block ×5, first 2 shown]
	v_add_f32_e32 v23, v23, v34
	v_add_f32_e32 v23, v30, v23
	;; [unrolled: 1-line block ×3, first 2 shown]
	v_mul_f32_e32 v32, v25, v30
	v_sub_f32_e32 v37, v38, v30
	v_mul_f32_e32 v34, v33, v32
	v_add_f32_e32 v23, v23, v37
	v_fma_f32 v33, v32, v33, -v34
	v_fmac_f32_e32 v33, v32, v31
	v_add_f32_e32 v31, v34, v33
	v_sub_f32_e32 v36, v30, v31
	v_sub_f32_e32 v34, v31, v34
	;; [unrolled: 1-line block ×5, first 2 shown]
	v_add_f32_e32 v23, v23, v30
	v_add_f32_e32 v30, v35, v32
	;; [unrolled: 1-line block ×3, first 2 shown]
	v_sub_f32_e32 v31, v30, v35
	v_add_f32_e32 v23, v36, v23
	v_sub_f32_e32 v31, v32, v31
	v_mul_f32_e32 v23, v25, v23
	v_add_f32_e32 v23, v31, v23
	v_add_f32_e32 v25, v30, v23
	v_mul_f32_e32 v31, v25, v25
	v_fmaak_f32 v32, s9, v31, 0x3ecc95a3
	v_mul_f32_e32 v33, v25, v31
	v_fmaak_f32 v31, v31, v32, 0x3f2aaada
	v_ldexp_f32 v32, v25, 1
	v_sub_f32_e32 v25, v25, v30
	v_mul_f32_e32 v31, v33, v31
	v_mul_f32_e32 v33, 0x3f317218, v22
	v_sub_f32_e32 v23, v23, v25
	v_add_f32_e32 v30, v32, v31
	v_ldexp_f32 v23, v23, 1
	v_sub_f32_e32 v25, v30, v32
	v_fma_f32 v32, 0x3f317218, v22, -v33
	v_sub_f32_e32 v25, v31, v25
	v_fmamk_f32 v22, v22, 0xb102e308, v32
	v_add_f32_e32 v23, v23, v25
	v_add_f32_e32 v25, v33, v22
	;; [unrolled: 1-line block ×3, first 2 shown]
	v_sub_f32_e32 v33, v25, v33
	v_add_f32_e32 v32, v25, v31
	v_sub_f32_e32 v30, v31, v30
	v_sub_f32_e32 v22, v22, v33
	;; [unrolled: 1-line block ×6, first 2 shown]
	v_add_f32_e32 v31, v22, v23
	v_sub_f32_e32 v25, v25, v35
	v_add_f32_e32 v25, v30, v25
	v_sub_f32_e32 v30, v31, v22
	;; [unrolled: 2-line block ×3, first 2 shown]
	v_sub_f32_e32 v23, v23, v30
	v_add_f32_e32 v33, v32, v25
	v_sub_f32_e32 v22, v22, v31
	v_sub_f32_e32 v30, v33, v32
	v_add_f32_e32 v22, v23, v22
	v_sub_f32_e32 v23, v25, v30
	v_add_f32_e32 v22, v22, v23
	v_add_f32_e32 v22, v33, v22
	v_cndmask_b32_e32 v22, 0x7f800000, v22, vcc_lo
	v_cmp_gt_f32_e64 vcc_lo, 0x33800000, |v24|
	v_cndmask_b32_e32 v22, v22, v24, vcc_lo
	v_add_f32_e32 v22, v21, v22
.LBB446_192:
	s_or_b32 exec_lo, exec_lo, s8
	v_bfe_u32 v21, v22, 16, 1
	v_cmp_o_f32_e32 vcc_lo, v22, v22
	v_lshlrev_b32_sdwa v18, v18, v5 dst_sel:DWORD dst_unused:UNUSED_PAD src0_sel:DWORD src1_sel:WORD_0
	v_add3_u32 v21, v22, v21, 0x7fff
	v_max_f32_e32 v22, v18, v18
	v_cmp_u_f32_e64 s8, v18, v18
	v_and_b32_e32 v21, 0xffff0000, v21
	v_cndmask_b32_e32 v23, 0x7fc00000, v21, vcc_lo
	v_max_f32_e32 v21, v23, v23
	v_cmp_u_f32_e32 vcc_lo, v23, v23
	v_min_f32_e32 v24, v21, v22
	v_max_f32_e32 v21, v21, v22
	v_cndmask_b32_e32 v24, v24, v23, vcc_lo
	v_cndmask_b32_e32 v21, v21, v23, vcc_lo
	v_cndmask_b32_e64 v24, v24, v18, s8
	v_cndmask_b32_e64 v21, v21, v18, s8
	v_cmp_class_f32_e64 s9, v24, 0x1f8
	v_cmp_neq_f32_e32 vcc_lo, v24, v21
	s_or_b32 s10, vcc_lo, s9
	s_and_saveexec_b32 s9, s10
	s_cbranch_execz .LBB446_194
; %bb.193:
	v_sub_f32_e32 v23, v24, v21
	s_mov_b32 s10, 0x3e9b6dac
	v_mul_f32_e32 v24, 0x3fb8aa3b, v23
	v_cmp_ngt_f32_e32 vcc_lo, 0xc2ce8ed0, v23
	v_fma_f32 v25, 0x3fb8aa3b, v23, -v24
	v_rndne_f32_e32 v30, v24
	v_fmamk_f32 v25, v23, 0x32a5705f, v25
	v_sub_f32_e32 v24, v24, v30
	v_add_f32_e32 v24, v24, v25
	v_cvt_i32_f32_e32 v25, v30
	v_exp_f32_e32 v24, v24
	v_ldexp_f32 v24, v24, v25
	v_cndmask_b32_e32 v24, 0, v24, vcc_lo
	v_cmp_nlt_f32_e32 vcc_lo, 0x42b17218, v23
	v_cndmask_b32_e32 v25, 0x7f800000, v24, vcc_lo
	v_add_f32_e32 v30, 1.0, v25
	v_cvt_f64_f32_e32 v[23:24], v30
	v_frexp_exp_i32_f64_e32 v23, v[23:24]
	v_frexp_mant_f32_e32 v24, v30
	v_cmp_gt_f32_e32 vcc_lo, 0x3f2aaaab, v24
	v_add_f32_e32 v24, -1.0, v30
	v_sub_f32_e32 v32, v24, v30
	v_sub_f32_e32 v24, v25, v24
	v_add_f32_e32 v32, 1.0, v32
	v_add_f32_e32 v24, v24, v32
	v_subrev_co_ci_u32_e64 v23, null, 0, v23, vcc_lo
	v_cmp_neq_f32_e32 vcc_lo, 0x7f800000, v25
	v_sub_nc_u32_e32 v31, 0, v23
	v_cvt_f32_i32_e32 v23, v23
	v_ldexp_f32 v30, v30, v31
	v_ldexp_f32 v24, v24, v31
	v_add_f32_e32 v33, 1.0, v30
	v_add_f32_e32 v31, -1.0, v30
	v_add_f32_e32 v32, -1.0, v33
	v_add_f32_e32 v34, 1.0, v31
	v_sub_f32_e32 v32, v30, v32
	v_sub_f32_e32 v30, v30, v34
	v_add_f32_e32 v32, v24, v32
	v_add_f32_e32 v24, v24, v30
	;; [unrolled: 1-line block ×4, first 2 shown]
	v_rcp_f32_e32 v30, v34
	v_sub_f32_e32 v33, v33, v34
	v_sub_f32_e32 v31, v31, v35
	v_add_f32_e32 v32, v32, v33
	v_add_f32_e32 v24, v24, v31
	v_mul_f32_e32 v36, v35, v30
	v_mul_f32_e32 v37, v34, v36
	v_fma_f32 v33, v36, v34, -v37
	v_fmac_f32_e32 v33, v36, v32
	v_add_f32_e32 v38, v37, v33
	v_sub_f32_e32 v39, v35, v38
	v_sub_f32_e32 v31, v38, v37
	;; [unrolled: 1-line block ×5, first 2 shown]
	v_add_f32_e32 v24, v24, v35
	v_add_f32_e32 v24, v31, v24
	;; [unrolled: 1-line block ×3, first 2 shown]
	v_mul_f32_e32 v33, v30, v31
	v_sub_f32_e32 v38, v39, v31
	v_mul_f32_e32 v35, v34, v33
	v_add_f32_e32 v24, v24, v38
	v_fma_f32 v34, v33, v34, -v35
	v_fmac_f32_e32 v34, v33, v32
	v_add_f32_e32 v32, v35, v34
	v_sub_f32_e32 v37, v31, v32
	v_sub_f32_e32 v35, v32, v35
	v_sub_f32_e32 v31, v31, v37
	v_sub_f32_e32 v31, v31, v32
	v_sub_f32_e32 v32, v35, v34
	v_add_f32_e32 v24, v24, v31
	v_add_f32_e32 v31, v36, v33
	;; [unrolled: 1-line block ×3, first 2 shown]
	v_sub_f32_e32 v32, v31, v36
	v_add_f32_e32 v24, v37, v24
	v_sub_f32_e32 v32, v33, v32
	v_mul_f32_e32 v24, v30, v24
	v_add_f32_e32 v24, v32, v24
	v_add_f32_e32 v30, v31, v24
	v_mul_f32_e32 v32, v30, v30
	v_fmaak_f32 v33, s10, v32, 0x3ecc95a3
	v_mul_f32_e32 v34, v30, v32
	v_fmaak_f32 v32, v32, v33, 0x3f2aaada
	v_ldexp_f32 v33, v30, 1
	v_sub_f32_e32 v30, v30, v31
	v_mul_f32_e32 v32, v34, v32
	v_mul_f32_e32 v34, 0x3f317218, v23
	v_sub_f32_e32 v24, v24, v30
	v_add_f32_e32 v31, v33, v32
	v_ldexp_f32 v24, v24, 1
	v_sub_f32_e32 v30, v31, v33
	v_fma_f32 v33, 0x3f317218, v23, -v34
	v_sub_f32_e32 v30, v32, v30
	v_fmamk_f32 v23, v23, 0xb102e308, v33
	v_add_f32_e32 v24, v24, v30
	v_add_f32_e32 v30, v34, v23
	;; [unrolled: 1-line block ×3, first 2 shown]
	v_sub_f32_e32 v34, v30, v34
	v_add_f32_e32 v33, v30, v32
	v_sub_f32_e32 v31, v32, v31
	v_sub_f32_e32 v23, v23, v34
	;; [unrolled: 1-line block ×6, first 2 shown]
	v_add_f32_e32 v32, v23, v24
	v_sub_f32_e32 v30, v30, v36
	v_add_f32_e32 v30, v31, v30
	v_sub_f32_e32 v31, v32, v23
	v_add_f32_e32 v30, v32, v30
	v_sub_f32_e32 v32, v32, v31
	v_sub_f32_e32 v24, v24, v31
	v_add_f32_e32 v34, v33, v30
	v_sub_f32_e32 v23, v23, v32
	v_sub_f32_e32 v31, v34, v33
	v_add_f32_e32 v23, v24, v23
	v_sub_f32_e32 v24, v30, v31
	v_add_f32_e32 v23, v23, v24
	v_add_f32_e32 v23, v34, v23
	v_cndmask_b32_e32 v23, 0x7f800000, v23, vcc_lo
	v_cmp_gt_f32_e64 vcc_lo, 0x33800000, |v25|
	v_cndmask_b32_e32 v23, v23, v25, vcc_lo
	v_add_f32_e32 v23, v21, v23
.LBB446_194:
	s_or_b32 exec_lo, exec_lo, s9
	v_bfe_u32 v21, v23, 16, 1
	v_cmp_o_f32_e32 vcc_lo, v23, v23
	v_add3_u32 v24, v23, v21, 0x7fff
	v_mov_b32_e32 v21, 16
	v_and_b32_e32 v24, 0xffff0000, v24
	v_lshlrev_b32_sdwa v5, v21, v5 dst_sel:DWORD dst_unused:UNUSED_PAD src0_sel:DWORD src1_sel:WORD_1
	v_cndmask_b32_e32 v25, 0x7fc00000, v24, vcc_lo
	v_max_f32_e32 v23, v5, v5
	v_cmp_u_f32_e64 s9, v5, v5
	v_max_f32_e32 v24, v25, v25
	v_cmp_u_f32_e32 vcc_lo, v25, v25
	v_min_f32_e32 v30, v24, v23
	v_max_f32_e32 v24, v24, v23
	v_cndmask_b32_e32 v30, v30, v25, vcc_lo
	v_cndmask_b32_e32 v24, v24, v25, vcc_lo
	v_cndmask_b32_e64 v30, v30, v5, s9
	v_cndmask_b32_e64 v24, v24, v5, s9
	v_cmp_class_f32_e64 s10, v30, 0x1f8
	v_cmp_neq_f32_e32 vcc_lo, v30, v24
	s_or_b32 s11, vcc_lo, s10
	s_and_saveexec_b32 s10, s11
	s_cbranch_execz .LBB446_196
; %bb.195:
	v_sub_f32_e32 v25, v30, v24
	s_mov_b32 s11, 0x3e9b6dac
	v_mul_f32_e32 v30, 0x3fb8aa3b, v25
	v_cmp_ngt_f32_e32 vcc_lo, 0xc2ce8ed0, v25
	v_fma_f32 v31, 0x3fb8aa3b, v25, -v30
	v_rndne_f32_e32 v32, v30
	v_fmamk_f32 v31, v25, 0x32a5705f, v31
	v_sub_f32_e32 v30, v30, v32
	v_add_f32_e32 v30, v30, v31
	v_cvt_i32_f32_e32 v31, v32
	v_exp_f32_e32 v30, v30
	v_ldexp_f32 v30, v30, v31
	v_cndmask_b32_e32 v30, 0, v30, vcc_lo
	v_cmp_nlt_f32_e32 vcc_lo, 0x42b17218, v25
	v_cndmask_b32_e32 v25, 0x7f800000, v30, vcc_lo
	v_add_f32_e32 v32, 1.0, v25
	v_cvt_f64_f32_e32 v[30:31], v32
	v_frexp_exp_i32_f64_e32 v30, v[30:31]
	v_frexp_mant_f32_e32 v31, v32
	v_cmp_gt_f32_e32 vcc_lo, 0x3f2aaaab, v31
	v_add_f32_e32 v31, -1.0, v32
	v_sub_f32_e32 v34, v31, v32
	v_sub_f32_e32 v31, v25, v31
	v_add_f32_e32 v34, 1.0, v34
	v_add_f32_e32 v31, v31, v34
	v_subrev_co_ci_u32_e64 v30, null, 0, v30, vcc_lo
	v_cmp_neq_f32_e32 vcc_lo, 0x7f800000, v25
	v_sub_nc_u32_e32 v33, 0, v30
	v_cvt_f32_i32_e32 v30, v30
	v_ldexp_f32 v32, v32, v33
	v_ldexp_f32 v31, v31, v33
	v_add_f32_e32 v35, 1.0, v32
	v_add_f32_e32 v33, -1.0, v32
	v_add_f32_e32 v34, -1.0, v35
	v_add_f32_e32 v36, 1.0, v33
	v_sub_f32_e32 v34, v32, v34
	v_sub_f32_e32 v32, v32, v36
	v_add_f32_e32 v34, v31, v34
	v_add_f32_e32 v31, v31, v32
	;; [unrolled: 1-line block ×4, first 2 shown]
	v_rcp_f32_e32 v32, v36
	v_sub_f32_e32 v35, v35, v36
	v_sub_f32_e32 v33, v33, v37
	v_add_f32_e32 v34, v34, v35
	v_add_f32_e32 v31, v31, v33
	v_mul_f32_e32 v38, v37, v32
	v_mul_f32_e32 v39, v36, v38
	v_fma_f32 v35, v38, v36, -v39
	v_fmac_f32_e32 v35, v38, v34
	v_add_f32_e32 v40, v39, v35
	v_sub_f32_e32 v41, v37, v40
	v_sub_f32_e32 v33, v40, v39
	;; [unrolled: 1-line block ×5, first 2 shown]
	v_add_f32_e32 v31, v31, v37
	v_add_f32_e32 v31, v33, v31
	;; [unrolled: 1-line block ×3, first 2 shown]
	v_mul_f32_e32 v35, v32, v33
	v_sub_f32_e32 v40, v41, v33
	v_mul_f32_e32 v37, v36, v35
	v_add_f32_e32 v31, v31, v40
	v_fma_f32 v36, v35, v36, -v37
	v_fmac_f32_e32 v36, v35, v34
	v_add_f32_e32 v34, v37, v36
	v_sub_f32_e32 v39, v33, v34
	v_sub_f32_e32 v37, v34, v37
	;; [unrolled: 1-line block ×5, first 2 shown]
	v_add_f32_e32 v31, v31, v33
	v_add_f32_e32 v33, v38, v35
	;; [unrolled: 1-line block ×3, first 2 shown]
	v_sub_f32_e32 v34, v33, v38
	v_add_f32_e32 v31, v39, v31
	v_sub_f32_e32 v34, v35, v34
	v_mul_f32_e32 v31, v32, v31
	v_add_f32_e32 v31, v34, v31
	v_add_f32_e32 v32, v33, v31
	v_mul_f32_e32 v34, v32, v32
	v_fmaak_f32 v35, s11, v34, 0x3ecc95a3
	v_mul_f32_e32 v36, v32, v34
	v_fmaak_f32 v34, v34, v35, 0x3f2aaada
	v_ldexp_f32 v35, v32, 1
	v_sub_f32_e32 v32, v32, v33
	v_mul_f32_e32 v34, v36, v34
	v_mul_f32_e32 v36, 0x3f317218, v30
	v_sub_f32_e32 v31, v31, v32
	v_add_f32_e32 v33, v35, v34
	v_ldexp_f32 v31, v31, 1
	v_sub_f32_e32 v32, v33, v35
	v_fma_f32 v35, 0x3f317218, v30, -v36
	v_sub_f32_e32 v32, v34, v32
	v_fmamk_f32 v30, v30, 0xb102e308, v35
	v_add_f32_e32 v31, v31, v32
	v_add_f32_e32 v32, v36, v30
	;; [unrolled: 1-line block ×3, first 2 shown]
	v_sub_f32_e32 v36, v32, v36
	v_add_f32_e32 v35, v32, v34
	v_sub_f32_e32 v33, v34, v33
	v_sub_f32_e32 v30, v30, v36
	;; [unrolled: 1-line block ×6, first 2 shown]
	v_add_f32_e32 v34, v30, v31
	v_sub_f32_e32 v32, v32, v38
	v_add_f32_e32 v32, v33, v32
	v_sub_f32_e32 v33, v34, v30
	;; [unrolled: 2-line block ×3, first 2 shown]
	v_sub_f32_e32 v31, v31, v33
	v_add_f32_e32 v36, v35, v32
	v_sub_f32_e32 v30, v30, v34
	v_sub_f32_e32 v33, v36, v35
	v_add_f32_e32 v30, v31, v30
	v_sub_f32_e32 v31, v32, v33
	v_add_f32_e32 v30, v30, v31
	v_add_f32_e32 v30, v36, v30
	v_cndmask_b32_e32 v30, 0x7f800000, v30, vcc_lo
	v_cmp_gt_f32_e64 vcc_lo, 0x33800000, |v25|
	v_cndmask_b32_e32 v25, v30, v25, vcc_lo
	v_add_f32_e32 v25, v24, v25
.LBB446_196:
	s_or_b32 exec_lo, exec_lo, s10
	v_bfe_u32 v24, v25, 16, 1
	v_cmp_o_f32_e32 vcc_lo, v25, v25
	v_lshlrev_b32_sdwa v21, v21, v6 dst_sel:DWORD dst_unused:UNUSED_PAD src0_sel:DWORD src1_sel:WORD_0
	v_add3_u32 v24, v25, v24, 0x7fff
	v_cmp_u_f32_e64 s10, v21, v21
	v_and_b32_e32 v24, 0xffff0000, v24
	v_cndmask_b32_e32 v30, 0x7fc00000, v24, vcc_lo
	v_max_f32_e32 v24, v21, v21
	v_max_f32_e32 v25, v30, v30
	v_cmp_u_f32_e32 vcc_lo, v30, v30
	v_min_f32_e32 v31, v25, v24
	v_max_f32_e32 v25, v25, v24
	v_cndmask_b32_e32 v31, v31, v30, vcc_lo
	v_cndmask_b32_e32 v25, v25, v30, vcc_lo
	v_cndmask_b32_e64 v31, v31, v21, s10
	v_cndmask_b32_e64 v25, v25, v21, s10
	v_cmp_class_f32_e64 s11, v31, 0x1f8
	v_cmp_neq_f32_e32 vcc_lo, v31, v25
	s_or_b32 s14, vcc_lo, s11
	s_and_saveexec_b32 s11, s14
	s_cbranch_execz .LBB446_198
; %bb.197:
	v_sub_f32_e32 v30, v31, v25
	s_mov_b32 s14, 0x3e9b6dac
	v_mul_f32_e32 v31, 0x3fb8aa3b, v30
	v_cmp_ngt_f32_e32 vcc_lo, 0xc2ce8ed0, v30
	v_fma_f32 v32, 0x3fb8aa3b, v30, -v31
	v_rndne_f32_e32 v33, v31
	v_fmamk_f32 v32, v30, 0x32a5705f, v32
	v_sub_f32_e32 v31, v31, v33
	v_add_f32_e32 v31, v31, v32
	v_cvt_i32_f32_e32 v32, v33
	v_exp_f32_e32 v31, v31
	v_ldexp_f32 v31, v31, v32
	v_cndmask_b32_e32 v31, 0, v31, vcc_lo
	v_cmp_nlt_f32_e32 vcc_lo, 0x42b17218, v30
	v_cndmask_b32_e32 v32, 0x7f800000, v31, vcc_lo
	v_add_f32_e32 v33, 1.0, v32
	v_cvt_f64_f32_e32 v[30:31], v33
	v_frexp_exp_i32_f64_e32 v30, v[30:31]
	v_frexp_mant_f32_e32 v31, v33
	v_cmp_gt_f32_e32 vcc_lo, 0x3f2aaaab, v31
	v_add_f32_e32 v31, -1.0, v33
	v_sub_f32_e32 v35, v31, v33
	v_sub_f32_e32 v31, v32, v31
	v_add_f32_e32 v35, 1.0, v35
	v_add_f32_e32 v31, v31, v35
	v_subrev_co_ci_u32_e64 v30, null, 0, v30, vcc_lo
	v_cmp_neq_f32_e32 vcc_lo, 0x7f800000, v32
	v_sub_nc_u32_e32 v34, 0, v30
	v_cvt_f32_i32_e32 v30, v30
	v_ldexp_f32 v33, v33, v34
	v_ldexp_f32 v31, v31, v34
	v_add_f32_e32 v36, 1.0, v33
	v_add_f32_e32 v34, -1.0, v33
	v_add_f32_e32 v35, -1.0, v36
	v_add_f32_e32 v37, 1.0, v34
	v_sub_f32_e32 v35, v33, v35
	v_sub_f32_e32 v33, v33, v37
	v_add_f32_e32 v35, v31, v35
	v_add_f32_e32 v31, v31, v33
	;; [unrolled: 1-line block ×4, first 2 shown]
	v_rcp_f32_e32 v33, v37
	v_sub_f32_e32 v36, v36, v37
	v_sub_f32_e32 v34, v34, v38
	v_add_f32_e32 v35, v35, v36
	v_add_f32_e32 v31, v31, v34
	v_mul_f32_e32 v39, v38, v33
	v_mul_f32_e32 v40, v37, v39
	v_fma_f32 v36, v39, v37, -v40
	v_fmac_f32_e32 v36, v39, v35
	v_add_f32_e32 v41, v40, v36
	v_sub_f32_e32 v42, v38, v41
	v_sub_f32_e32 v34, v41, v40
	;; [unrolled: 1-line block ×5, first 2 shown]
	v_add_f32_e32 v31, v31, v38
	v_add_f32_e32 v31, v34, v31
	v_add_f32_e32 v34, v42, v31
	v_mul_f32_e32 v36, v33, v34
	v_sub_f32_e32 v41, v42, v34
	v_mul_f32_e32 v38, v37, v36
	v_add_f32_e32 v31, v31, v41
	v_fma_f32 v37, v36, v37, -v38
	v_fmac_f32_e32 v37, v36, v35
	v_add_f32_e32 v35, v38, v37
	v_sub_f32_e32 v40, v34, v35
	v_sub_f32_e32 v38, v35, v38
	;; [unrolled: 1-line block ×5, first 2 shown]
	v_add_f32_e32 v31, v31, v34
	v_add_f32_e32 v34, v39, v36
	;; [unrolled: 1-line block ×3, first 2 shown]
	v_sub_f32_e32 v35, v34, v39
	v_add_f32_e32 v31, v40, v31
	v_sub_f32_e32 v35, v36, v35
	v_mul_f32_e32 v31, v33, v31
	v_add_f32_e32 v31, v35, v31
	v_add_f32_e32 v33, v34, v31
	v_mul_f32_e32 v35, v33, v33
	v_fmaak_f32 v36, s14, v35, 0x3ecc95a3
	v_mul_f32_e32 v37, v33, v35
	v_fmaak_f32 v35, v35, v36, 0x3f2aaada
	v_ldexp_f32 v36, v33, 1
	v_sub_f32_e32 v33, v33, v34
	v_mul_f32_e32 v35, v37, v35
	v_mul_f32_e32 v37, 0x3f317218, v30
	v_sub_f32_e32 v31, v31, v33
	v_add_f32_e32 v34, v36, v35
	v_ldexp_f32 v31, v31, 1
	v_sub_f32_e32 v33, v34, v36
	v_fma_f32 v36, 0x3f317218, v30, -v37
	v_sub_f32_e32 v33, v35, v33
	v_fmamk_f32 v30, v30, 0xb102e308, v36
	v_add_f32_e32 v31, v31, v33
	v_add_f32_e32 v33, v37, v30
	;; [unrolled: 1-line block ×3, first 2 shown]
	v_sub_f32_e32 v37, v33, v37
	v_add_f32_e32 v36, v33, v35
	v_sub_f32_e32 v34, v35, v34
	v_sub_f32_e32 v30, v30, v37
	v_sub_f32_e32 v38, v36, v33
	v_sub_f32_e32 v31, v31, v34
	v_sub_f32_e32 v39, v36, v38
	v_sub_f32_e32 v34, v35, v38
	v_add_f32_e32 v35, v30, v31
	v_sub_f32_e32 v33, v33, v39
	v_add_f32_e32 v33, v34, v33
	v_sub_f32_e32 v34, v35, v30
	;; [unrolled: 2-line block ×3, first 2 shown]
	v_sub_f32_e32 v31, v31, v34
	v_add_f32_e32 v37, v36, v33
	v_sub_f32_e32 v30, v30, v35
	v_sub_f32_e32 v34, v37, v36
	v_add_f32_e32 v30, v31, v30
	v_sub_f32_e32 v31, v33, v34
	v_add_f32_e32 v30, v30, v31
	v_add_f32_e32 v30, v37, v30
	v_cndmask_b32_e32 v30, 0x7f800000, v30, vcc_lo
	v_cmp_gt_f32_e64 vcc_lo, 0x33800000, |v32|
	v_cndmask_b32_e32 v30, v30, v32, vcc_lo
	v_add_f32_e32 v30, v25, v30
.LBB446_198:
	s_or_b32 exec_lo, exec_lo, s11
	v_bfe_u32 v25, v30, 16, 1
	v_mov_b32_e32 v31, 16
	v_cmp_o_f32_e32 vcc_lo, v30, v30
	v_add3_u32 v25, v30, v25, 0x7fff
	v_lshlrev_b32_sdwa v6, v31, v6 dst_sel:DWORD dst_unused:UNUSED_PAD src0_sel:DWORD src1_sel:WORD_1
	v_and_b32_e32 v25, 0xffff0000, v25
	v_cmp_u_f32_e64 s11, v6, v6
	v_cndmask_b32_e32 v31, 0x7fc00000, v25, vcc_lo
	v_max_f32_e32 v25, v6, v6
	v_max_f32_e32 v30, v31, v31
	v_cmp_u_f32_e32 vcc_lo, v31, v31
	v_min_f32_e32 v32, v30, v25
	v_max_f32_e32 v30, v30, v25
	v_cndmask_b32_e32 v32, v32, v31, vcc_lo
	v_cndmask_b32_e32 v30, v30, v31, vcc_lo
	v_cndmask_b32_e64 v32, v32, v6, s11
	v_cndmask_b32_e64 v30, v30, v6, s11
	v_cmp_class_f32_e64 s14, v32, 0x1f8
	v_cmp_neq_f32_e32 vcc_lo, v32, v30
	s_or_b32 s15, vcc_lo, s14
	s_and_saveexec_b32 s14, s15
	s_cbranch_execz .LBB446_200
; %bb.199:
	v_sub_f32_e32 v31, v32, v30
	s_mov_b32 s15, 0x3e9b6dac
	v_mul_f32_e32 v32, 0x3fb8aa3b, v31
	v_cmp_ngt_f32_e32 vcc_lo, 0xc2ce8ed0, v31
	v_fma_f32 v33, 0x3fb8aa3b, v31, -v32
	v_rndne_f32_e32 v34, v32
	v_fmamk_f32 v33, v31, 0x32a5705f, v33
	v_sub_f32_e32 v32, v32, v34
	v_add_f32_e32 v32, v32, v33
	v_cvt_i32_f32_e32 v33, v34
	v_exp_f32_e32 v32, v32
	v_ldexp_f32 v32, v32, v33
	v_cndmask_b32_e32 v32, 0, v32, vcc_lo
	v_cmp_nlt_f32_e32 vcc_lo, 0x42b17218, v31
	v_cndmask_b32_e32 v33, 0x7f800000, v32, vcc_lo
	v_add_f32_e32 v34, 1.0, v33
	v_cvt_f64_f32_e32 v[31:32], v34
	v_frexp_exp_i32_f64_e32 v31, v[31:32]
	v_frexp_mant_f32_e32 v32, v34
	v_cmp_gt_f32_e32 vcc_lo, 0x3f2aaaab, v32
	v_add_f32_e32 v32, -1.0, v34
	v_sub_f32_e32 v36, v32, v34
	v_sub_f32_e32 v32, v33, v32
	v_add_f32_e32 v36, 1.0, v36
	v_add_f32_e32 v32, v32, v36
	v_subrev_co_ci_u32_e64 v31, null, 0, v31, vcc_lo
	v_cmp_neq_f32_e32 vcc_lo, 0x7f800000, v33
	v_sub_nc_u32_e32 v35, 0, v31
	v_cvt_f32_i32_e32 v31, v31
	v_ldexp_f32 v34, v34, v35
	v_ldexp_f32 v32, v32, v35
	v_add_f32_e32 v37, 1.0, v34
	v_add_f32_e32 v35, -1.0, v34
	v_add_f32_e32 v36, -1.0, v37
	v_add_f32_e32 v38, 1.0, v35
	v_sub_f32_e32 v36, v34, v36
	v_sub_f32_e32 v34, v34, v38
	v_add_f32_e32 v36, v32, v36
	v_add_f32_e32 v32, v32, v34
	;; [unrolled: 1-line block ×4, first 2 shown]
	v_rcp_f32_e32 v34, v38
	v_sub_f32_e32 v37, v37, v38
	v_sub_f32_e32 v35, v35, v39
	v_add_f32_e32 v36, v36, v37
	v_add_f32_e32 v32, v32, v35
	v_mul_f32_e32 v40, v39, v34
	v_mul_f32_e32 v41, v38, v40
	v_fma_f32 v37, v40, v38, -v41
	v_fmac_f32_e32 v37, v40, v36
	v_add_f32_e32 v42, v41, v37
	v_sub_f32_e32 v43, v39, v42
	v_sub_f32_e32 v35, v42, v41
	;; [unrolled: 1-line block ×5, first 2 shown]
	v_add_f32_e32 v32, v32, v39
	v_add_f32_e32 v32, v35, v32
	;; [unrolled: 1-line block ×3, first 2 shown]
	v_mul_f32_e32 v37, v34, v35
	v_sub_f32_e32 v42, v43, v35
	v_mul_f32_e32 v39, v38, v37
	v_add_f32_e32 v32, v32, v42
	v_fma_f32 v38, v37, v38, -v39
	v_fmac_f32_e32 v38, v37, v36
	v_add_f32_e32 v36, v39, v38
	v_sub_f32_e32 v41, v35, v36
	v_sub_f32_e32 v39, v36, v39
	v_sub_f32_e32 v35, v35, v41
	v_sub_f32_e32 v35, v35, v36
	v_sub_f32_e32 v36, v39, v38
	v_add_f32_e32 v32, v32, v35
	v_add_f32_e32 v35, v40, v37
	;; [unrolled: 1-line block ×3, first 2 shown]
	v_sub_f32_e32 v36, v35, v40
	v_add_f32_e32 v32, v41, v32
	v_sub_f32_e32 v36, v37, v36
	v_mul_f32_e32 v32, v34, v32
	v_add_f32_e32 v32, v36, v32
	v_add_f32_e32 v34, v35, v32
	v_mul_f32_e32 v36, v34, v34
	v_fmaak_f32 v37, s15, v36, 0x3ecc95a3
	v_mul_f32_e32 v38, v34, v36
	v_fmaak_f32 v36, v36, v37, 0x3f2aaada
	v_ldexp_f32 v37, v34, 1
	v_sub_f32_e32 v34, v34, v35
	v_mul_f32_e32 v36, v38, v36
	v_mul_f32_e32 v38, 0x3f317218, v31
	v_sub_f32_e32 v32, v32, v34
	v_add_f32_e32 v35, v37, v36
	v_ldexp_f32 v32, v32, 1
	v_sub_f32_e32 v34, v35, v37
	v_fma_f32 v37, 0x3f317218, v31, -v38
	v_sub_f32_e32 v34, v36, v34
	v_fmamk_f32 v31, v31, 0xb102e308, v37
	v_add_f32_e32 v32, v32, v34
	v_add_f32_e32 v34, v38, v31
	;; [unrolled: 1-line block ×3, first 2 shown]
	v_sub_f32_e32 v38, v34, v38
	v_add_f32_e32 v37, v34, v36
	v_sub_f32_e32 v35, v36, v35
	v_sub_f32_e32 v31, v31, v38
	;; [unrolled: 1-line block ×6, first 2 shown]
	v_add_f32_e32 v36, v31, v32
	v_sub_f32_e32 v34, v34, v40
	v_add_f32_e32 v34, v35, v34
	v_sub_f32_e32 v35, v36, v31
	;; [unrolled: 2-line block ×3, first 2 shown]
	v_sub_f32_e32 v32, v32, v35
	v_add_f32_e32 v38, v37, v34
	v_sub_f32_e32 v31, v31, v36
	v_sub_f32_e32 v35, v38, v37
	v_add_f32_e32 v31, v32, v31
	v_sub_f32_e32 v32, v34, v35
	v_add_f32_e32 v31, v31, v32
	v_add_f32_e32 v31, v38, v31
	v_cndmask_b32_e32 v31, 0x7f800000, v31, vcc_lo
	v_cmp_gt_f32_e64 vcc_lo, 0x33800000, |v33|
	v_cndmask_b32_e32 v31, v31, v33, vcc_lo
	v_add_f32_e32 v31, v30, v31
.LBB446_200:
	s_or_b32 exec_lo, exec_lo, s14
	v_bfe_u32 v30, v31, 16, 1
	v_lshrrev_b32_e32 v32, 4, v0
	v_cmp_o_f32_e32 vcc_lo, v31, v31
	v_mov_b32_e32 v33, 0x7fc0
	s_mov_b32 s15, exec_lo
	v_add3_u32 v30, v31, v30, 0x7fff
	v_and_b32_e32 v32, 2, v32
	v_cndmask_b32_sdwa v31, v33, v30, vcc_lo dst_sel:DWORD dst_unused:UNUSED_PAD src0_sel:DWORD src1_sel:WORD_1
	v_lshl_add_u32 v30, v0, 1, v32
	ds_write_b16 v30, v31
	s_waitcnt lgkmcnt(0)
	s_barrier
	buffer_gl0_inv
	v_cmpx_gt_u32_e32 32, v0
	s_cbranch_execz .LBB446_228
; %bb.201:
	v_lshrrev_b32_e32 v30, 3, v0
	v_lshlrev_b32_e32 v32, 2, v0
	v_and_b32_e32 v30, 6, v30
	v_add_nc_u32_e32 v30, v30, v32
	ds_read_u16 v32, v30 offset:2
	ds_read_u16 v33, v30
	s_waitcnt lgkmcnt(1)
	v_lshlrev_b32_e32 v34, 16, v32
	s_waitcnt lgkmcnt(0)
	v_lshlrev_b32_e32 v32, 16, v33
	v_max_f32_e32 v35, v34, v34
	v_max_f32_e32 v33, v32, v32
	v_cmp_u_f32_e64 s14, v32, v32
	v_cmp_u_f32_e32 vcc_lo, v34, v34
	v_min_f32_e32 v36, v33, v35
	v_max_f32_e32 v35, v33, v35
	v_cndmask_b32_e64 v36, v36, v32, s14
	v_cndmask_b32_e64 v35, v35, v32, s14
	v_cndmask_b32_e32 v36, v36, v34, vcc_lo
	v_cndmask_b32_e32 v34, v35, v34, vcc_lo
	v_mov_b32_e32 v35, v32
	v_cmp_class_f32_e64 s16, v36, 0x1f8
	v_cmp_neq_f32_e32 vcc_lo, v36, v34
	s_or_b32 s17, vcc_lo, s16
	s_and_saveexec_b32 s16, s17
	s_cbranch_execz .LBB446_203
; %bb.202:
	v_sub_f32_e32 v35, v36, v34
	s_mov_b32 s17, 0x3e9b6dac
	v_mul_f32_e32 v36, 0x3fb8aa3b, v35
	v_cmp_ngt_f32_e32 vcc_lo, 0xc2ce8ed0, v35
	v_fma_f32 v37, 0x3fb8aa3b, v35, -v36
	v_rndne_f32_e32 v38, v36
	v_fmamk_f32 v37, v35, 0x32a5705f, v37
	v_sub_f32_e32 v36, v36, v38
	v_add_f32_e32 v36, v36, v37
	v_cvt_i32_f32_e32 v37, v38
	v_exp_f32_e32 v36, v36
	v_ldexp_f32 v36, v36, v37
	v_cndmask_b32_e32 v36, 0, v36, vcc_lo
	v_cmp_nlt_f32_e32 vcc_lo, 0x42b17218, v35
	v_cndmask_b32_e32 v37, 0x7f800000, v36, vcc_lo
	v_add_f32_e32 v38, 1.0, v37
	v_cvt_f64_f32_e32 v[35:36], v38
	v_frexp_exp_i32_f64_e32 v35, v[35:36]
	v_frexp_mant_f32_e32 v36, v38
	v_cmp_gt_f32_e32 vcc_lo, 0x3f2aaaab, v36
	v_add_f32_e32 v36, -1.0, v38
	v_sub_f32_e32 v40, v36, v38
	v_sub_f32_e32 v36, v37, v36
	v_add_f32_e32 v40, 1.0, v40
	v_add_f32_e32 v36, v36, v40
	v_subrev_co_ci_u32_e64 v35, null, 0, v35, vcc_lo
	v_cmp_neq_f32_e32 vcc_lo, 0x7f800000, v37
	v_sub_nc_u32_e32 v39, 0, v35
	v_cvt_f32_i32_e32 v35, v35
	v_ldexp_f32 v38, v38, v39
	v_ldexp_f32 v36, v36, v39
	v_add_f32_e32 v41, 1.0, v38
	v_add_f32_e32 v39, -1.0, v38
	v_add_f32_e32 v40, -1.0, v41
	v_add_f32_e32 v42, 1.0, v39
	v_sub_f32_e32 v40, v38, v40
	v_sub_f32_e32 v38, v38, v42
	v_add_f32_e32 v40, v36, v40
	v_add_f32_e32 v36, v36, v38
	v_add_f32_e32 v42, v41, v40
	v_add_f32_e32 v43, v39, v36
	v_rcp_f32_e32 v38, v42
	v_sub_f32_e32 v41, v41, v42
	v_sub_f32_e32 v39, v39, v43
	v_add_f32_e32 v40, v40, v41
	v_add_f32_e32 v36, v36, v39
	v_mul_f32_e32 v44, v43, v38
	v_mul_f32_e32 v45, v42, v44
	v_fma_f32 v41, v44, v42, -v45
	v_fmac_f32_e32 v41, v44, v40
	v_add_f32_e32 v46, v45, v41
	v_sub_f32_e32 v47, v43, v46
	v_sub_f32_e32 v39, v46, v45
	;; [unrolled: 1-line block ×5, first 2 shown]
	v_add_f32_e32 v36, v36, v43
	v_add_f32_e32 v36, v39, v36
	;; [unrolled: 1-line block ×3, first 2 shown]
	v_mul_f32_e32 v41, v38, v39
	v_sub_f32_e32 v46, v47, v39
	v_mul_f32_e32 v43, v42, v41
	v_add_f32_e32 v36, v36, v46
	v_fma_f32 v42, v41, v42, -v43
	v_fmac_f32_e32 v42, v41, v40
	v_add_f32_e32 v40, v43, v42
	v_sub_f32_e32 v45, v39, v40
	v_sub_f32_e32 v43, v40, v43
	;; [unrolled: 1-line block ×5, first 2 shown]
	v_add_f32_e32 v36, v36, v39
	v_add_f32_e32 v39, v44, v41
	;; [unrolled: 1-line block ×3, first 2 shown]
	v_sub_f32_e32 v40, v39, v44
	v_add_f32_e32 v36, v45, v36
	v_sub_f32_e32 v40, v41, v40
	v_mul_f32_e32 v36, v38, v36
	v_add_f32_e32 v36, v40, v36
	v_add_f32_e32 v38, v39, v36
	v_mul_f32_e32 v40, v38, v38
	v_fmaak_f32 v41, s17, v40, 0x3ecc95a3
	v_mul_f32_e32 v42, v38, v40
	v_fmaak_f32 v40, v40, v41, 0x3f2aaada
	v_ldexp_f32 v41, v38, 1
	v_sub_f32_e32 v38, v38, v39
	v_mul_f32_e32 v40, v42, v40
	v_mul_f32_e32 v42, 0x3f317218, v35
	v_sub_f32_e32 v36, v36, v38
	v_add_f32_e32 v39, v41, v40
	v_ldexp_f32 v36, v36, 1
	v_sub_f32_e32 v38, v39, v41
	v_fma_f32 v41, 0x3f317218, v35, -v42
	v_sub_f32_e32 v38, v40, v38
	v_fmamk_f32 v35, v35, 0xb102e308, v41
	v_add_f32_e32 v36, v36, v38
	v_add_f32_e32 v38, v42, v35
	;; [unrolled: 1-line block ×3, first 2 shown]
	v_sub_f32_e32 v42, v38, v42
	v_add_f32_e32 v41, v38, v40
	v_sub_f32_e32 v39, v40, v39
	v_sub_f32_e32 v35, v35, v42
	;; [unrolled: 1-line block ×6, first 2 shown]
	v_add_f32_e32 v40, v35, v36
	v_sub_f32_e32 v38, v38, v44
	v_add_f32_e32 v38, v39, v38
	v_sub_f32_e32 v39, v40, v35
	;; [unrolled: 2-line block ×3, first 2 shown]
	v_sub_f32_e32 v36, v36, v39
	v_add_f32_e32 v42, v41, v38
	v_sub_f32_e32 v35, v35, v40
	v_sub_f32_e32 v39, v42, v41
	v_add_f32_e32 v35, v36, v35
	v_sub_f32_e32 v36, v38, v39
	v_add_f32_e32 v35, v35, v36
	v_add_f32_e32 v35, v42, v35
	v_cndmask_b32_e32 v35, 0x7f800000, v35, vcc_lo
	v_cmp_gt_f32_e64 vcc_lo, 0x33800000, |v37|
	v_cndmask_b32_e32 v35, v35, v37, vcc_lo
	v_add_f32_e32 v35, v34, v35
.LBB446_203:
	s_or_b32 exec_lo, exec_lo, s16
	v_bfe_u32 v34, v35, 16, 1
	v_cmp_o_f32_e32 vcc_lo, v35, v35
	v_mov_b32_e32 v36, 0x7fc0
	s_mov_b32 s16, exec_lo
	v_add3_u32 v34, v35, v34, 0x7fff
	v_cndmask_b32_sdwa v36, v36, v34, vcc_lo dst_sel:DWORD dst_unused:UNUSED_PAD src0_sel:DWORD src1_sel:WORD_1
	v_mbcnt_lo_u32_b32 v34, -1, 0
	v_and_b32_e32 v37, 0xffff, v36
	v_and_b32_e32 v35, 15, v34
	v_mov_b32_dpp v38, v37 row_shr:1 row_mask:0xf bank_mask:0xf
	v_cmpx_ne_u32_e32 0, v35
	s_xor_b32 s16, exec_lo, s16
	s_cbranch_execz .LBB446_207
; %bb.204:
	v_lshlrev_b32_e32 v36, 16, v37
	v_lshlrev_b32_e32 v37, 16, v38
	v_max_f32_e32 v38, v36, v36
	v_max_f32_e32 v39, v37, v37
	v_cmp_u_f32_e32 vcc_lo, v37, v37
	v_min_f32_e32 v40, v39, v38
	v_max_f32_e32 v38, v39, v38
	v_cndmask_b32_e32 v39, v40, v37, vcc_lo
	v_cndmask_b32_e32 v40, v38, v37, vcc_lo
	v_cmp_u_f32_e32 vcc_lo, v36, v36
	v_cndmask_b32_e32 v38, v39, v36, vcc_lo
	v_cndmask_b32_e32 v36, v40, v36, vcc_lo
	v_cmp_class_f32_e64 s17, v38, 0x1f8
	v_cmp_neq_f32_e32 vcc_lo, v38, v36
	s_or_b32 s24, vcc_lo, s17
	s_and_saveexec_b32 s17, s24
	s_cbranch_execz .LBB446_206
; %bb.205:
	v_sub_f32_e32 v37, v38, v36
	s_mov_b32 s24, 0x3e9b6dac
	v_mul_f32_e32 v38, 0x3fb8aa3b, v37
	v_cmp_ngt_f32_e32 vcc_lo, 0xc2ce8ed0, v37
	v_fma_f32 v39, 0x3fb8aa3b, v37, -v38
	v_rndne_f32_e32 v40, v38
	v_fmamk_f32 v39, v37, 0x32a5705f, v39
	v_sub_f32_e32 v38, v38, v40
	v_add_f32_e32 v38, v38, v39
	v_cvt_i32_f32_e32 v39, v40
	v_exp_f32_e32 v38, v38
	v_ldexp_f32 v38, v38, v39
	v_cndmask_b32_e32 v38, 0, v38, vcc_lo
	v_cmp_nlt_f32_e32 vcc_lo, 0x42b17218, v37
	v_cndmask_b32_e32 v39, 0x7f800000, v38, vcc_lo
	v_add_f32_e32 v40, 1.0, v39
	v_cvt_f64_f32_e32 v[37:38], v40
	v_frexp_exp_i32_f64_e32 v37, v[37:38]
	v_frexp_mant_f32_e32 v38, v40
	v_cmp_gt_f32_e32 vcc_lo, 0x3f2aaaab, v38
	v_add_f32_e32 v38, -1.0, v40
	v_sub_f32_e32 v42, v38, v40
	v_sub_f32_e32 v38, v39, v38
	v_add_f32_e32 v42, 1.0, v42
	v_add_f32_e32 v38, v38, v42
	v_subrev_co_ci_u32_e64 v37, null, 0, v37, vcc_lo
	v_cmp_neq_f32_e32 vcc_lo, 0x7f800000, v39
	v_sub_nc_u32_e32 v41, 0, v37
	v_cvt_f32_i32_e32 v37, v37
	v_ldexp_f32 v40, v40, v41
	v_ldexp_f32 v38, v38, v41
	v_add_f32_e32 v43, 1.0, v40
	v_add_f32_e32 v41, -1.0, v40
	v_add_f32_e32 v42, -1.0, v43
	v_add_f32_e32 v44, 1.0, v41
	v_sub_f32_e32 v42, v40, v42
	v_sub_f32_e32 v40, v40, v44
	v_add_f32_e32 v42, v38, v42
	v_add_f32_e32 v38, v38, v40
	;; [unrolled: 1-line block ×4, first 2 shown]
	v_rcp_f32_e32 v40, v44
	v_sub_f32_e32 v43, v43, v44
	v_sub_f32_e32 v41, v41, v45
	v_add_f32_e32 v42, v42, v43
	v_add_f32_e32 v38, v38, v41
	v_mul_f32_e32 v46, v45, v40
	v_mul_f32_e32 v47, v44, v46
	v_fma_f32 v43, v46, v44, -v47
	v_fmac_f32_e32 v43, v46, v42
	v_add_f32_e32 v48, v47, v43
	v_sub_f32_e32 v49, v45, v48
	v_sub_f32_e32 v41, v48, v47
	;; [unrolled: 1-line block ×5, first 2 shown]
	v_add_f32_e32 v38, v38, v45
	v_add_f32_e32 v38, v41, v38
	;; [unrolled: 1-line block ×3, first 2 shown]
	v_mul_f32_e32 v43, v40, v41
	v_sub_f32_e32 v48, v49, v41
	v_mul_f32_e32 v45, v44, v43
	v_add_f32_e32 v38, v38, v48
	v_fma_f32 v44, v43, v44, -v45
	v_fmac_f32_e32 v44, v43, v42
	v_add_f32_e32 v42, v45, v44
	v_sub_f32_e32 v47, v41, v42
	v_sub_f32_e32 v45, v42, v45
	;; [unrolled: 1-line block ×5, first 2 shown]
	v_add_f32_e32 v38, v38, v41
	v_add_f32_e32 v41, v46, v43
	;; [unrolled: 1-line block ×3, first 2 shown]
	v_sub_f32_e32 v42, v41, v46
	v_add_f32_e32 v38, v47, v38
	v_sub_f32_e32 v42, v43, v42
	v_mul_f32_e32 v38, v40, v38
	v_add_f32_e32 v38, v42, v38
	v_add_f32_e32 v40, v41, v38
	v_mul_f32_e32 v42, v40, v40
	v_fmaak_f32 v43, s24, v42, 0x3ecc95a3
	v_mul_f32_e32 v44, v40, v42
	v_fmaak_f32 v42, v42, v43, 0x3f2aaada
	v_ldexp_f32 v43, v40, 1
	v_sub_f32_e32 v40, v40, v41
	v_mul_f32_e32 v42, v44, v42
	v_mul_f32_e32 v44, 0x3f317218, v37
	v_sub_f32_e32 v38, v38, v40
	v_add_f32_e32 v41, v43, v42
	v_ldexp_f32 v38, v38, 1
	v_sub_f32_e32 v40, v41, v43
	v_fma_f32 v43, 0x3f317218, v37, -v44
	v_sub_f32_e32 v40, v42, v40
	v_fmamk_f32 v37, v37, 0xb102e308, v43
	v_add_f32_e32 v38, v38, v40
	v_add_f32_e32 v40, v44, v37
	;; [unrolled: 1-line block ×3, first 2 shown]
	v_sub_f32_e32 v44, v40, v44
	v_add_f32_e32 v43, v40, v42
	v_sub_f32_e32 v41, v42, v41
	v_sub_f32_e32 v37, v37, v44
	;; [unrolled: 1-line block ×6, first 2 shown]
	v_add_f32_e32 v42, v37, v38
	v_sub_f32_e32 v40, v40, v46
	v_add_f32_e32 v40, v41, v40
	v_sub_f32_e32 v41, v42, v37
	;; [unrolled: 2-line block ×3, first 2 shown]
	v_sub_f32_e32 v38, v38, v41
	v_add_f32_e32 v44, v43, v40
	v_sub_f32_e32 v37, v37, v42
	v_sub_f32_e32 v41, v44, v43
	v_add_f32_e32 v37, v38, v37
	v_sub_f32_e32 v38, v40, v41
	v_add_f32_e32 v37, v37, v38
	v_add_f32_e32 v37, v44, v37
	v_cndmask_b32_e32 v37, 0x7f800000, v37, vcc_lo
	v_cmp_gt_f32_e64 vcc_lo, 0x33800000, |v39|
	v_cndmask_b32_e32 v37, v37, v39, vcc_lo
	v_add_f32_e32 v37, v36, v37
.LBB446_206:
	s_or_b32 exec_lo, exec_lo, s17
	v_bfe_u32 v36, v37, 16, 1
	v_cmp_o_f32_e32 vcc_lo, v37, v37
	v_add3_u32 v36, v37, v36, 0x7fff
	v_mov_b32_e32 v37, 0x7fc0
	v_cndmask_b32_sdwa v36, v37, v36, vcc_lo dst_sel:DWORD dst_unused:UNUSED_PAD src0_sel:DWORD src1_sel:WORD_1
	v_and_b32_e32 v37, 0xffff, v36
.LBB446_207:
	s_or_b32 exec_lo, exec_lo, s16
	v_mov_b32_dpp v38, v37 row_shr:2 row_mask:0xf bank_mask:0xf
	s_mov_b32 s16, exec_lo
	v_cmpx_lt_u32_e32 1, v35
	s_cbranch_execz .LBB446_211
; %bb.208:
	v_lshlrev_b32_e32 v36, 16, v37
	v_lshlrev_b32_e32 v37, 16, v38
	v_max_f32_e32 v38, v36, v36
	v_max_f32_e32 v39, v37, v37
	v_cmp_u_f32_e32 vcc_lo, v37, v37
	v_min_f32_e32 v40, v39, v38
	v_max_f32_e32 v38, v39, v38
	v_cndmask_b32_e32 v39, v40, v37, vcc_lo
	v_cndmask_b32_e32 v40, v38, v37, vcc_lo
	v_cmp_u_f32_e32 vcc_lo, v36, v36
	v_cndmask_b32_e32 v38, v39, v36, vcc_lo
	v_cndmask_b32_e32 v36, v40, v36, vcc_lo
	v_cmp_class_f32_e64 s17, v38, 0x1f8
	v_cmp_neq_f32_e32 vcc_lo, v38, v36
	s_or_b32 s24, vcc_lo, s17
	s_and_saveexec_b32 s17, s24
	s_cbranch_execz .LBB446_210
; %bb.209:
	v_sub_f32_e32 v37, v38, v36
	s_mov_b32 s24, 0x3e9b6dac
	v_mul_f32_e32 v38, 0x3fb8aa3b, v37
	v_cmp_ngt_f32_e32 vcc_lo, 0xc2ce8ed0, v37
	v_fma_f32 v39, 0x3fb8aa3b, v37, -v38
	v_rndne_f32_e32 v40, v38
	v_fmamk_f32 v39, v37, 0x32a5705f, v39
	v_sub_f32_e32 v38, v38, v40
	v_add_f32_e32 v38, v38, v39
	v_cvt_i32_f32_e32 v39, v40
	v_exp_f32_e32 v38, v38
	v_ldexp_f32 v38, v38, v39
	v_cndmask_b32_e32 v38, 0, v38, vcc_lo
	v_cmp_nlt_f32_e32 vcc_lo, 0x42b17218, v37
	v_cndmask_b32_e32 v39, 0x7f800000, v38, vcc_lo
	v_add_f32_e32 v40, 1.0, v39
	v_cvt_f64_f32_e32 v[37:38], v40
	v_frexp_exp_i32_f64_e32 v37, v[37:38]
	v_frexp_mant_f32_e32 v38, v40
	v_cmp_gt_f32_e32 vcc_lo, 0x3f2aaaab, v38
	v_add_f32_e32 v38, -1.0, v40
	v_sub_f32_e32 v42, v38, v40
	v_sub_f32_e32 v38, v39, v38
	v_add_f32_e32 v42, 1.0, v42
	v_add_f32_e32 v38, v38, v42
	v_subrev_co_ci_u32_e64 v37, null, 0, v37, vcc_lo
	v_cmp_neq_f32_e32 vcc_lo, 0x7f800000, v39
	v_sub_nc_u32_e32 v41, 0, v37
	v_cvt_f32_i32_e32 v37, v37
	v_ldexp_f32 v40, v40, v41
	v_ldexp_f32 v38, v38, v41
	v_add_f32_e32 v43, 1.0, v40
	v_add_f32_e32 v41, -1.0, v40
	v_add_f32_e32 v42, -1.0, v43
	v_add_f32_e32 v44, 1.0, v41
	v_sub_f32_e32 v42, v40, v42
	v_sub_f32_e32 v40, v40, v44
	v_add_f32_e32 v42, v38, v42
	v_add_f32_e32 v38, v38, v40
	;; [unrolled: 1-line block ×4, first 2 shown]
	v_rcp_f32_e32 v40, v44
	v_sub_f32_e32 v43, v43, v44
	v_sub_f32_e32 v41, v41, v45
	v_add_f32_e32 v42, v42, v43
	v_add_f32_e32 v38, v38, v41
	v_mul_f32_e32 v46, v45, v40
	v_mul_f32_e32 v47, v44, v46
	v_fma_f32 v43, v46, v44, -v47
	v_fmac_f32_e32 v43, v46, v42
	v_add_f32_e32 v48, v47, v43
	v_sub_f32_e32 v49, v45, v48
	v_sub_f32_e32 v41, v48, v47
	v_sub_f32_e32 v45, v45, v49
	v_sub_f32_e32 v41, v41, v43
	v_sub_f32_e32 v45, v45, v48
	v_add_f32_e32 v38, v38, v45
	v_add_f32_e32 v38, v41, v38
	;; [unrolled: 1-line block ×3, first 2 shown]
	v_mul_f32_e32 v43, v40, v41
	v_sub_f32_e32 v48, v49, v41
	v_mul_f32_e32 v45, v44, v43
	v_add_f32_e32 v38, v38, v48
	v_fma_f32 v44, v43, v44, -v45
	v_fmac_f32_e32 v44, v43, v42
	v_add_f32_e32 v42, v45, v44
	v_sub_f32_e32 v47, v41, v42
	v_sub_f32_e32 v45, v42, v45
	;; [unrolled: 1-line block ×5, first 2 shown]
	v_add_f32_e32 v38, v38, v41
	v_add_f32_e32 v41, v46, v43
	v_add_f32_e32 v38, v42, v38
	v_sub_f32_e32 v42, v41, v46
	v_add_f32_e32 v38, v47, v38
	v_sub_f32_e32 v42, v43, v42
	v_mul_f32_e32 v38, v40, v38
	v_add_f32_e32 v38, v42, v38
	v_add_f32_e32 v40, v41, v38
	v_mul_f32_e32 v42, v40, v40
	v_fmaak_f32 v43, s24, v42, 0x3ecc95a3
	v_mul_f32_e32 v44, v40, v42
	v_fmaak_f32 v42, v42, v43, 0x3f2aaada
	v_ldexp_f32 v43, v40, 1
	v_sub_f32_e32 v40, v40, v41
	v_mul_f32_e32 v42, v44, v42
	v_mul_f32_e32 v44, 0x3f317218, v37
	v_sub_f32_e32 v38, v38, v40
	v_add_f32_e32 v41, v43, v42
	v_ldexp_f32 v38, v38, 1
	v_sub_f32_e32 v40, v41, v43
	v_fma_f32 v43, 0x3f317218, v37, -v44
	v_sub_f32_e32 v40, v42, v40
	v_fmamk_f32 v37, v37, 0xb102e308, v43
	v_add_f32_e32 v38, v38, v40
	v_add_f32_e32 v40, v44, v37
	;; [unrolled: 1-line block ×3, first 2 shown]
	v_sub_f32_e32 v44, v40, v44
	v_add_f32_e32 v43, v40, v42
	v_sub_f32_e32 v41, v42, v41
	v_sub_f32_e32 v37, v37, v44
	v_sub_f32_e32 v45, v43, v40
	v_sub_f32_e32 v38, v38, v41
	v_sub_f32_e32 v46, v43, v45
	v_sub_f32_e32 v41, v42, v45
	v_add_f32_e32 v42, v37, v38
	v_sub_f32_e32 v40, v40, v46
	v_add_f32_e32 v40, v41, v40
	v_sub_f32_e32 v41, v42, v37
	;; [unrolled: 2-line block ×3, first 2 shown]
	v_sub_f32_e32 v38, v38, v41
	v_add_f32_e32 v44, v43, v40
	v_sub_f32_e32 v37, v37, v42
	v_sub_f32_e32 v41, v44, v43
	v_add_f32_e32 v37, v38, v37
	v_sub_f32_e32 v38, v40, v41
	v_add_f32_e32 v37, v37, v38
	v_add_f32_e32 v37, v44, v37
	v_cndmask_b32_e32 v37, 0x7f800000, v37, vcc_lo
	v_cmp_gt_f32_e64 vcc_lo, 0x33800000, |v39|
	v_cndmask_b32_e32 v37, v37, v39, vcc_lo
	v_add_f32_e32 v37, v36, v37
.LBB446_210:
	s_or_b32 exec_lo, exec_lo, s17
	v_bfe_u32 v36, v37, 16, 1
	v_cmp_o_f32_e32 vcc_lo, v37, v37
	v_add3_u32 v36, v37, v36, 0x7fff
	v_mov_b32_e32 v37, 0x7fc0
	v_cndmask_b32_sdwa v36, v37, v36, vcc_lo dst_sel:DWORD dst_unused:UNUSED_PAD src0_sel:DWORD src1_sel:WORD_1
	v_and_b32_e32 v37, 0xffff, v36
.LBB446_211:
	s_or_b32 exec_lo, exec_lo, s16
	v_mov_b32_dpp v38, v37 row_shr:4 row_mask:0xf bank_mask:0xf
	s_mov_b32 s16, exec_lo
	v_cmpx_lt_u32_e32 3, v35
	s_cbranch_execz .LBB446_215
; %bb.212:
	v_lshlrev_b32_e32 v36, 16, v37
	v_lshlrev_b32_e32 v37, 16, v38
	v_max_f32_e32 v38, v36, v36
	v_max_f32_e32 v39, v37, v37
	v_cmp_u_f32_e32 vcc_lo, v37, v37
	v_min_f32_e32 v40, v39, v38
	v_max_f32_e32 v38, v39, v38
	v_cndmask_b32_e32 v39, v40, v37, vcc_lo
	v_cndmask_b32_e32 v40, v38, v37, vcc_lo
	v_cmp_u_f32_e32 vcc_lo, v36, v36
	v_cndmask_b32_e32 v38, v39, v36, vcc_lo
	v_cndmask_b32_e32 v36, v40, v36, vcc_lo
	v_cmp_class_f32_e64 s17, v38, 0x1f8
	v_cmp_neq_f32_e32 vcc_lo, v38, v36
	s_or_b32 s24, vcc_lo, s17
	s_and_saveexec_b32 s17, s24
	s_cbranch_execz .LBB446_214
; %bb.213:
	v_sub_f32_e32 v37, v38, v36
	s_mov_b32 s24, 0x3e9b6dac
	v_mul_f32_e32 v38, 0x3fb8aa3b, v37
	v_cmp_ngt_f32_e32 vcc_lo, 0xc2ce8ed0, v37
	v_fma_f32 v39, 0x3fb8aa3b, v37, -v38
	v_rndne_f32_e32 v40, v38
	v_fmamk_f32 v39, v37, 0x32a5705f, v39
	v_sub_f32_e32 v38, v38, v40
	v_add_f32_e32 v38, v38, v39
	v_cvt_i32_f32_e32 v39, v40
	v_exp_f32_e32 v38, v38
	v_ldexp_f32 v38, v38, v39
	v_cndmask_b32_e32 v38, 0, v38, vcc_lo
	v_cmp_nlt_f32_e32 vcc_lo, 0x42b17218, v37
	v_cndmask_b32_e32 v39, 0x7f800000, v38, vcc_lo
	v_add_f32_e32 v40, 1.0, v39
	v_cvt_f64_f32_e32 v[37:38], v40
	v_frexp_exp_i32_f64_e32 v37, v[37:38]
	v_frexp_mant_f32_e32 v38, v40
	v_cmp_gt_f32_e32 vcc_lo, 0x3f2aaaab, v38
	v_add_f32_e32 v38, -1.0, v40
	v_sub_f32_e32 v42, v38, v40
	v_sub_f32_e32 v38, v39, v38
	v_add_f32_e32 v42, 1.0, v42
	v_add_f32_e32 v38, v38, v42
	v_subrev_co_ci_u32_e64 v37, null, 0, v37, vcc_lo
	v_cmp_neq_f32_e32 vcc_lo, 0x7f800000, v39
	v_sub_nc_u32_e32 v41, 0, v37
	v_cvt_f32_i32_e32 v37, v37
	v_ldexp_f32 v40, v40, v41
	v_ldexp_f32 v38, v38, v41
	v_add_f32_e32 v43, 1.0, v40
	v_add_f32_e32 v41, -1.0, v40
	v_add_f32_e32 v42, -1.0, v43
	v_add_f32_e32 v44, 1.0, v41
	v_sub_f32_e32 v42, v40, v42
	v_sub_f32_e32 v40, v40, v44
	v_add_f32_e32 v42, v38, v42
	v_add_f32_e32 v38, v38, v40
	v_add_f32_e32 v44, v43, v42
	v_add_f32_e32 v45, v41, v38
	v_rcp_f32_e32 v40, v44
	v_sub_f32_e32 v43, v43, v44
	v_sub_f32_e32 v41, v41, v45
	v_add_f32_e32 v42, v42, v43
	v_add_f32_e32 v38, v38, v41
	v_mul_f32_e32 v46, v45, v40
	v_mul_f32_e32 v47, v44, v46
	v_fma_f32 v43, v46, v44, -v47
	v_fmac_f32_e32 v43, v46, v42
	v_add_f32_e32 v48, v47, v43
	v_sub_f32_e32 v49, v45, v48
	v_sub_f32_e32 v41, v48, v47
	;; [unrolled: 1-line block ×5, first 2 shown]
	v_add_f32_e32 v38, v38, v45
	v_add_f32_e32 v38, v41, v38
	;; [unrolled: 1-line block ×3, first 2 shown]
	v_mul_f32_e32 v43, v40, v41
	v_sub_f32_e32 v48, v49, v41
	v_mul_f32_e32 v45, v44, v43
	v_add_f32_e32 v38, v38, v48
	v_fma_f32 v44, v43, v44, -v45
	v_fmac_f32_e32 v44, v43, v42
	v_add_f32_e32 v42, v45, v44
	v_sub_f32_e32 v47, v41, v42
	v_sub_f32_e32 v45, v42, v45
	;; [unrolled: 1-line block ×5, first 2 shown]
	v_add_f32_e32 v38, v38, v41
	v_add_f32_e32 v41, v46, v43
	;; [unrolled: 1-line block ×3, first 2 shown]
	v_sub_f32_e32 v42, v41, v46
	v_add_f32_e32 v38, v47, v38
	v_sub_f32_e32 v42, v43, v42
	v_mul_f32_e32 v38, v40, v38
	v_add_f32_e32 v38, v42, v38
	v_add_f32_e32 v40, v41, v38
	v_mul_f32_e32 v42, v40, v40
	v_fmaak_f32 v43, s24, v42, 0x3ecc95a3
	v_mul_f32_e32 v44, v40, v42
	v_fmaak_f32 v42, v42, v43, 0x3f2aaada
	v_ldexp_f32 v43, v40, 1
	v_sub_f32_e32 v40, v40, v41
	v_mul_f32_e32 v42, v44, v42
	v_mul_f32_e32 v44, 0x3f317218, v37
	v_sub_f32_e32 v38, v38, v40
	v_add_f32_e32 v41, v43, v42
	v_ldexp_f32 v38, v38, 1
	v_sub_f32_e32 v40, v41, v43
	v_fma_f32 v43, 0x3f317218, v37, -v44
	v_sub_f32_e32 v40, v42, v40
	v_fmamk_f32 v37, v37, 0xb102e308, v43
	v_add_f32_e32 v38, v38, v40
	v_add_f32_e32 v40, v44, v37
	;; [unrolled: 1-line block ×3, first 2 shown]
	v_sub_f32_e32 v44, v40, v44
	v_add_f32_e32 v43, v40, v42
	v_sub_f32_e32 v41, v42, v41
	v_sub_f32_e32 v37, v37, v44
	;; [unrolled: 1-line block ×6, first 2 shown]
	v_add_f32_e32 v42, v37, v38
	v_sub_f32_e32 v40, v40, v46
	v_add_f32_e32 v40, v41, v40
	v_sub_f32_e32 v41, v42, v37
	;; [unrolled: 2-line block ×3, first 2 shown]
	v_sub_f32_e32 v38, v38, v41
	v_add_f32_e32 v44, v43, v40
	v_sub_f32_e32 v37, v37, v42
	v_sub_f32_e32 v41, v44, v43
	v_add_f32_e32 v37, v38, v37
	v_sub_f32_e32 v38, v40, v41
	v_add_f32_e32 v37, v37, v38
	v_add_f32_e32 v37, v44, v37
	v_cndmask_b32_e32 v37, 0x7f800000, v37, vcc_lo
	v_cmp_gt_f32_e64 vcc_lo, 0x33800000, |v39|
	v_cndmask_b32_e32 v37, v37, v39, vcc_lo
	v_add_f32_e32 v37, v36, v37
.LBB446_214:
	s_or_b32 exec_lo, exec_lo, s17
	v_bfe_u32 v36, v37, 16, 1
	v_cmp_o_f32_e32 vcc_lo, v37, v37
	v_add3_u32 v36, v37, v36, 0x7fff
	v_mov_b32_e32 v37, 0x7fc0
	v_cndmask_b32_sdwa v36, v37, v36, vcc_lo dst_sel:DWORD dst_unused:UNUSED_PAD src0_sel:DWORD src1_sel:WORD_1
	v_and_b32_e32 v37, 0xffff, v36
.LBB446_215:
	s_or_b32 exec_lo, exec_lo, s16
	v_mov_b32_dpp v38, v37 row_shr:8 row_mask:0xf bank_mask:0xf
	s_mov_b32 s16, exec_lo
	v_cmpx_lt_u32_e32 7, v35
	s_cbranch_execz .LBB446_219
; %bb.216:
	v_lshlrev_b32_e32 v35, 16, v37
	v_lshlrev_b32_e32 v36, 16, v38
	v_max_f32_e32 v37, v35, v35
	v_max_f32_e32 v38, v36, v36
	v_cmp_u_f32_e32 vcc_lo, v36, v36
	v_min_f32_e32 v39, v38, v37
	v_max_f32_e32 v37, v38, v37
	v_cndmask_b32_e32 v38, v39, v36, vcc_lo
	v_cndmask_b32_e32 v39, v37, v36, vcc_lo
	v_cmp_u_f32_e32 vcc_lo, v35, v35
	v_cndmask_b32_e32 v37, v38, v35, vcc_lo
	v_cndmask_b32_e32 v35, v39, v35, vcc_lo
	v_cmp_class_f32_e64 s17, v37, 0x1f8
	v_cmp_neq_f32_e32 vcc_lo, v37, v35
	s_or_b32 s24, vcc_lo, s17
	s_and_saveexec_b32 s17, s24
	s_cbranch_execz .LBB446_218
; %bb.217:
	v_sub_f32_e32 v36, v37, v35
	s_mov_b32 s24, 0x3e9b6dac
	v_mul_f32_e32 v37, 0x3fb8aa3b, v36
	v_cmp_ngt_f32_e32 vcc_lo, 0xc2ce8ed0, v36
	v_fma_f32 v38, 0x3fb8aa3b, v36, -v37
	v_rndne_f32_e32 v39, v37
	v_fmamk_f32 v38, v36, 0x32a5705f, v38
	v_sub_f32_e32 v37, v37, v39
	v_add_f32_e32 v37, v37, v38
	v_cvt_i32_f32_e32 v38, v39
	v_exp_f32_e32 v37, v37
	v_ldexp_f32 v37, v37, v38
	v_cndmask_b32_e32 v37, 0, v37, vcc_lo
	v_cmp_nlt_f32_e32 vcc_lo, 0x42b17218, v36
	v_cndmask_b32_e32 v38, 0x7f800000, v37, vcc_lo
	v_add_f32_e32 v39, 1.0, v38
	v_cvt_f64_f32_e32 v[36:37], v39
	v_frexp_exp_i32_f64_e32 v36, v[36:37]
	v_frexp_mant_f32_e32 v37, v39
	v_cmp_gt_f32_e32 vcc_lo, 0x3f2aaaab, v37
	v_add_f32_e32 v37, -1.0, v39
	v_sub_f32_e32 v41, v37, v39
	v_sub_f32_e32 v37, v38, v37
	v_add_f32_e32 v41, 1.0, v41
	v_add_f32_e32 v37, v37, v41
	v_subrev_co_ci_u32_e64 v36, null, 0, v36, vcc_lo
	v_cmp_neq_f32_e32 vcc_lo, 0x7f800000, v38
	v_sub_nc_u32_e32 v40, 0, v36
	v_cvt_f32_i32_e32 v36, v36
	v_ldexp_f32 v39, v39, v40
	v_ldexp_f32 v37, v37, v40
	v_add_f32_e32 v42, 1.0, v39
	v_add_f32_e32 v40, -1.0, v39
	v_add_f32_e32 v41, -1.0, v42
	v_add_f32_e32 v43, 1.0, v40
	v_sub_f32_e32 v41, v39, v41
	v_sub_f32_e32 v39, v39, v43
	v_add_f32_e32 v41, v37, v41
	v_add_f32_e32 v37, v37, v39
	;; [unrolled: 1-line block ×4, first 2 shown]
	v_rcp_f32_e32 v39, v43
	v_sub_f32_e32 v42, v42, v43
	v_sub_f32_e32 v40, v40, v44
	v_add_f32_e32 v41, v41, v42
	v_add_f32_e32 v37, v37, v40
	v_mul_f32_e32 v45, v44, v39
	v_mul_f32_e32 v46, v43, v45
	v_fma_f32 v42, v45, v43, -v46
	v_fmac_f32_e32 v42, v45, v41
	v_add_f32_e32 v47, v46, v42
	v_sub_f32_e32 v48, v44, v47
	v_sub_f32_e32 v40, v47, v46
	;; [unrolled: 1-line block ×5, first 2 shown]
	v_add_f32_e32 v37, v37, v44
	v_add_f32_e32 v37, v40, v37
	;; [unrolled: 1-line block ×3, first 2 shown]
	v_mul_f32_e32 v42, v39, v40
	v_sub_f32_e32 v47, v48, v40
	v_mul_f32_e32 v44, v43, v42
	v_add_f32_e32 v37, v37, v47
	v_fma_f32 v43, v42, v43, -v44
	v_fmac_f32_e32 v43, v42, v41
	v_add_f32_e32 v41, v44, v43
	v_sub_f32_e32 v46, v40, v41
	v_sub_f32_e32 v44, v41, v44
	;; [unrolled: 1-line block ×5, first 2 shown]
	v_add_f32_e32 v37, v37, v40
	v_add_f32_e32 v40, v45, v42
	v_add_f32_e32 v37, v41, v37
	v_sub_f32_e32 v41, v40, v45
	v_add_f32_e32 v37, v46, v37
	v_sub_f32_e32 v41, v42, v41
	v_mul_f32_e32 v37, v39, v37
	v_add_f32_e32 v37, v41, v37
	v_add_f32_e32 v39, v40, v37
	v_mul_f32_e32 v41, v39, v39
	v_fmaak_f32 v42, s24, v41, 0x3ecc95a3
	v_mul_f32_e32 v43, v39, v41
	v_fmaak_f32 v41, v41, v42, 0x3f2aaada
	v_ldexp_f32 v42, v39, 1
	v_sub_f32_e32 v39, v39, v40
	v_mul_f32_e32 v41, v43, v41
	v_mul_f32_e32 v43, 0x3f317218, v36
	v_sub_f32_e32 v37, v37, v39
	v_add_f32_e32 v40, v42, v41
	v_ldexp_f32 v37, v37, 1
	v_sub_f32_e32 v39, v40, v42
	v_fma_f32 v42, 0x3f317218, v36, -v43
	v_sub_f32_e32 v39, v41, v39
	v_fmamk_f32 v36, v36, 0xb102e308, v42
	v_add_f32_e32 v37, v37, v39
	v_add_f32_e32 v39, v43, v36
	;; [unrolled: 1-line block ×3, first 2 shown]
	v_sub_f32_e32 v43, v39, v43
	v_add_f32_e32 v42, v39, v41
	v_sub_f32_e32 v40, v41, v40
	v_sub_f32_e32 v36, v36, v43
	;; [unrolled: 1-line block ×6, first 2 shown]
	v_add_f32_e32 v41, v36, v37
	v_sub_f32_e32 v39, v39, v45
	v_add_f32_e32 v39, v40, v39
	v_sub_f32_e32 v40, v41, v36
	;; [unrolled: 2-line block ×3, first 2 shown]
	v_sub_f32_e32 v37, v37, v40
	v_add_f32_e32 v43, v42, v39
	v_sub_f32_e32 v36, v36, v41
	v_sub_f32_e32 v40, v43, v42
	v_add_f32_e32 v36, v37, v36
	v_sub_f32_e32 v37, v39, v40
	v_add_f32_e32 v36, v36, v37
	v_add_f32_e32 v36, v43, v36
	v_cndmask_b32_e32 v36, 0x7f800000, v36, vcc_lo
	v_cmp_gt_f32_e64 vcc_lo, 0x33800000, |v38|
	v_cndmask_b32_e32 v36, v36, v38, vcc_lo
	v_add_f32_e32 v36, v35, v36
.LBB446_218:
	s_or_b32 exec_lo, exec_lo, s17
	v_bfe_u32 v35, v36, 16, 1
	v_cmp_o_f32_e32 vcc_lo, v36, v36
	v_add3_u32 v35, v36, v35, 0x7fff
	v_mov_b32_e32 v36, 0x7fc0
	v_cndmask_b32_sdwa v36, v36, v35, vcc_lo dst_sel:DWORD dst_unused:UNUSED_PAD src0_sel:DWORD src1_sel:WORD_1
	v_and_b32_e32 v37, 0xffff, v36
.LBB446_219:
	s_or_b32 exec_lo, exec_lo, s16
	ds_swizzle_b32 v35, v37 offset:swizzle(BROADCAST,32,15)
	v_and_b32_e32 v38, 16, v34
	s_mov_b32 s16, exec_lo
	v_cmpx_ne_u32_e32 0, v38
	s_cbranch_execz .LBB446_223
; %bb.220:
	v_lshlrev_b32_e32 v38, 16, v37
	s_waitcnt lgkmcnt(0)
	v_lshlrev_b32_e32 v36, 16, v35
	v_max_f32_e32 v35, v38, v38
	v_max_f32_e32 v37, v36, v36
	v_cmp_u_f32_e32 vcc_lo, v36, v36
	v_min_f32_e32 v39, v37, v35
	v_max_f32_e32 v35, v37, v35
	v_cndmask_b32_e32 v37, v39, v36, vcc_lo
	v_cndmask_b32_e32 v35, v35, v36, vcc_lo
	v_cmp_u_f32_e32 vcc_lo, v38, v38
	v_cndmask_b32_e32 v37, v37, v38, vcc_lo
	v_cndmask_b32_e32 v35, v35, v38, vcc_lo
	v_cmp_class_f32_e64 s17, v37, 0x1f8
	v_cmp_neq_f32_e32 vcc_lo, v37, v35
	s_or_b32 s24, vcc_lo, s17
	s_and_saveexec_b32 s17, s24
	s_cbranch_execz .LBB446_222
; %bb.221:
	v_sub_f32_e32 v36, v37, v35
	s_mov_b32 s24, 0x3e9b6dac
	v_mul_f32_e32 v37, 0x3fb8aa3b, v36
	v_cmp_ngt_f32_e32 vcc_lo, 0xc2ce8ed0, v36
	v_fma_f32 v38, 0x3fb8aa3b, v36, -v37
	v_rndne_f32_e32 v39, v37
	v_fmamk_f32 v38, v36, 0x32a5705f, v38
	v_sub_f32_e32 v37, v37, v39
	v_add_f32_e32 v37, v37, v38
	v_cvt_i32_f32_e32 v38, v39
	v_exp_f32_e32 v37, v37
	v_ldexp_f32 v37, v37, v38
	v_cndmask_b32_e32 v37, 0, v37, vcc_lo
	v_cmp_nlt_f32_e32 vcc_lo, 0x42b17218, v36
	v_cndmask_b32_e32 v38, 0x7f800000, v37, vcc_lo
	v_add_f32_e32 v39, 1.0, v38
	v_cvt_f64_f32_e32 v[36:37], v39
	v_frexp_exp_i32_f64_e32 v36, v[36:37]
	v_frexp_mant_f32_e32 v37, v39
	v_cmp_gt_f32_e32 vcc_lo, 0x3f2aaaab, v37
	v_add_f32_e32 v37, -1.0, v39
	v_sub_f32_e32 v41, v37, v39
	v_sub_f32_e32 v37, v38, v37
	v_add_f32_e32 v41, 1.0, v41
	v_add_f32_e32 v37, v37, v41
	v_subrev_co_ci_u32_e64 v36, null, 0, v36, vcc_lo
	v_cmp_neq_f32_e32 vcc_lo, 0x7f800000, v38
	v_sub_nc_u32_e32 v40, 0, v36
	v_cvt_f32_i32_e32 v36, v36
	v_ldexp_f32 v39, v39, v40
	v_ldexp_f32 v37, v37, v40
	v_add_f32_e32 v42, 1.0, v39
	v_add_f32_e32 v40, -1.0, v39
	v_add_f32_e32 v41, -1.0, v42
	v_add_f32_e32 v43, 1.0, v40
	v_sub_f32_e32 v41, v39, v41
	v_sub_f32_e32 v39, v39, v43
	v_add_f32_e32 v41, v37, v41
	v_add_f32_e32 v37, v37, v39
	;; [unrolled: 1-line block ×4, first 2 shown]
	v_rcp_f32_e32 v39, v43
	v_sub_f32_e32 v42, v42, v43
	v_sub_f32_e32 v40, v40, v44
	v_add_f32_e32 v41, v41, v42
	v_add_f32_e32 v37, v37, v40
	v_mul_f32_e32 v45, v44, v39
	v_mul_f32_e32 v46, v43, v45
	v_fma_f32 v42, v45, v43, -v46
	v_fmac_f32_e32 v42, v45, v41
	v_add_f32_e32 v47, v46, v42
	v_sub_f32_e32 v48, v44, v47
	v_sub_f32_e32 v40, v47, v46
	;; [unrolled: 1-line block ×5, first 2 shown]
	v_add_f32_e32 v37, v37, v44
	v_add_f32_e32 v37, v40, v37
	;; [unrolled: 1-line block ×3, first 2 shown]
	v_mul_f32_e32 v42, v39, v40
	v_sub_f32_e32 v47, v48, v40
	v_mul_f32_e32 v44, v43, v42
	v_add_f32_e32 v37, v37, v47
	v_fma_f32 v43, v42, v43, -v44
	v_fmac_f32_e32 v43, v42, v41
	v_add_f32_e32 v41, v44, v43
	v_sub_f32_e32 v46, v40, v41
	v_sub_f32_e32 v44, v41, v44
	;; [unrolled: 1-line block ×5, first 2 shown]
	v_add_f32_e32 v37, v37, v40
	v_add_f32_e32 v40, v45, v42
	;; [unrolled: 1-line block ×3, first 2 shown]
	v_sub_f32_e32 v41, v40, v45
	v_add_f32_e32 v37, v46, v37
	v_sub_f32_e32 v41, v42, v41
	v_mul_f32_e32 v37, v39, v37
	v_add_f32_e32 v37, v41, v37
	v_add_f32_e32 v39, v40, v37
	v_mul_f32_e32 v41, v39, v39
	v_fmaak_f32 v42, s24, v41, 0x3ecc95a3
	v_mul_f32_e32 v43, v39, v41
	v_fmaak_f32 v41, v41, v42, 0x3f2aaada
	v_ldexp_f32 v42, v39, 1
	v_sub_f32_e32 v39, v39, v40
	v_mul_f32_e32 v41, v43, v41
	v_mul_f32_e32 v43, 0x3f317218, v36
	v_sub_f32_e32 v37, v37, v39
	v_add_f32_e32 v40, v42, v41
	v_ldexp_f32 v37, v37, 1
	v_sub_f32_e32 v39, v40, v42
	v_fma_f32 v42, 0x3f317218, v36, -v43
	v_sub_f32_e32 v39, v41, v39
	v_fmamk_f32 v36, v36, 0xb102e308, v42
	v_add_f32_e32 v37, v37, v39
	v_add_f32_e32 v39, v43, v36
	;; [unrolled: 1-line block ×3, first 2 shown]
	v_sub_f32_e32 v43, v39, v43
	v_add_f32_e32 v42, v39, v41
	v_sub_f32_e32 v40, v41, v40
	v_sub_f32_e32 v36, v36, v43
	;; [unrolled: 1-line block ×6, first 2 shown]
	v_add_f32_e32 v41, v36, v37
	v_sub_f32_e32 v39, v39, v45
	v_add_f32_e32 v39, v40, v39
	v_sub_f32_e32 v40, v41, v36
	;; [unrolled: 2-line block ×3, first 2 shown]
	v_sub_f32_e32 v37, v37, v40
	v_add_f32_e32 v43, v42, v39
	v_sub_f32_e32 v36, v36, v41
	v_sub_f32_e32 v40, v43, v42
	v_add_f32_e32 v36, v37, v36
	v_sub_f32_e32 v37, v39, v40
	v_add_f32_e32 v36, v36, v37
	v_add_f32_e32 v36, v43, v36
	v_cndmask_b32_e32 v36, 0x7f800000, v36, vcc_lo
	v_cmp_gt_f32_e64 vcc_lo, 0x33800000, |v38|
	v_cndmask_b32_e32 v36, v36, v38, vcc_lo
	v_add_f32_e32 v36, v35, v36
.LBB446_222:
	s_or_b32 exec_lo, exec_lo, s17
	v_bfe_u32 v35, v36, 16, 1
	v_cmp_o_f32_e32 vcc_lo, v36, v36
	v_add3_u32 v35, v36, v35, 0x7fff
	v_mov_b32_e32 v36, 0x7fc0
	v_cndmask_b32_sdwa v36, v36, v35, vcc_lo dst_sel:DWORD dst_unused:UNUSED_PAD src0_sel:DWORD src1_sel:WORD_1
.LBB446_223:
	s_or_b32 exec_lo, exec_lo, s16
	s_waitcnt lgkmcnt(0)
	v_add_nc_u32_e32 v35, -1, v34
	v_cmp_gt_i32_e32 vcc_lo, 0, v35
	v_cndmask_b32_e32 v34, v35, v34, vcc_lo
	v_and_b32_e32 v35, 0xffff, v36
	v_lshlrev_b32_e32 v34, 2, v34
	ds_bpermute_b32 v34, v34, v35
	s_waitcnt lgkmcnt(0)
	v_lshlrev_b32_e32 v34, 16, v34
	v_max_f32_e32 v35, v34, v34
	v_cmp_u_f32_e32 vcc_lo, v34, v34
	v_min_f32_e32 v36, v35, v33
	v_max_f32_e32 v33, v35, v33
	v_cndmask_b32_e32 v35, v36, v34, vcc_lo
	v_cndmask_b32_e32 v36, v33, v34, vcc_lo
	v_cndmask_b32_e64 v33, v35, v32, s14
	v_cndmask_b32_e64 v32, v36, v32, s14
	v_cmp_class_f32_e64 s14, v33, 0x1f8
	v_cmp_neq_f32_e32 vcc_lo, v33, v32
	s_or_b32 s16, vcc_lo, s14
	s_and_saveexec_b32 s14, s16
	s_cbranch_execz .LBB446_225
; %bb.224:
	v_sub_f32_e32 v33, v33, v32
	s_mov_b32 s16, 0x3e9b6dac
	v_mul_f32_e32 v34, 0x3fb8aa3b, v33
	v_cmp_ngt_f32_e32 vcc_lo, 0xc2ce8ed0, v33
	v_fma_f32 v35, 0x3fb8aa3b, v33, -v34
	v_rndne_f32_e32 v36, v34
	v_fmamk_f32 v35, v33, 0x32a5705f, v35
	v_sub_f32_e32 v34, v34, v36
	v_add_f32_e32 v34, v34, v35
	v_cvt_i32_f32_e32 v35, v36
	v_exp_f32_e32 v34, v34
	v_ldexp_f32 v34, v34, v35
	v_cndmask_b32_e32 v34, 0, v34, vcc_lo
	v_cmp_nlt_f32_e32 vcc_lo, 0x42b17218, v33
	v_cndmask_b32_e32 v35, 0x7f800000, v34, vcc_lo
	v_add_f32_e32 v36, 1.0, v35
	v_cvt_f64_f32_e32 v[33:34], v36
	v_frexp_exp_i32_f64_e32 v33, v[33:34]
	v_frexp_mant_f32_e32 v34, v36
	v_cmp_gt_f32_e32 vcc_lo, 0x3f2aaaab, v34
	v_add_f32_e32 v34, -1.0, v36
	v_sub_f32_e32 v38, v34, v36
	v_sub_f32_e32 v34, v35, v34
	v_add_f32_e32 v38, 1.0, v38
	v_add_f32_e32 v34, v34, v38
	v_subrev_co_ci_u32_e64 v33, null, 0, v33, vcc_lo
	v_cmp_neq_f32_e32 vcc_lo, 0x7f800000, v35
	v_sub_nc_u32_e32 v37, 0, v33
	v_cvt_f32_i32_e32 v33, v33
	v_ldexp_f32 v36, v36, v37
	v_ldexp_f32 v34, v34, v37
	v_add_f32_e32 v39, 1.0, v36
	v_add_f32_e32 v37, -1.0, v36
	v_add_f32_e32 v38, -1.0, v39
	v_add_f32_e32 v40, 1.0, v37
	v_sub_f32_e32 v38, v36, v38
	v_sub_f32_e32 v36, v36, v40
	v_add_f32_e32 v38, v34, v38
	v_add_f32_e32 v34, v34, v36
	v_add_f32_e32 v40, v39, v38
	v_add_f32_e32 v41, v37, v34
	v_rcp_f32_e32 v36, v40
	v_sub_f32_e32 v39, v39, v40
	v_sub_f32_e32 v37, v37, v41
	v_add_f32_e32 v38, v38, v39
	v_add_f32_e32 v34, v34, v37
	v_mul_f32_e32 v42, v41, v36
	v_mul_f32_e32 v43, v40, v42
	v_fma_f32 v39, v42, v40, -v43
	v_fmac_f32_e32 v39, v42, v38
	v_add_f32_e32 v44, v43, v39
	v_sub_f32_e32 v45, v41, v44
	v_sub_f32_e32 v37, v44, v43
	;; [unrolled: 1-line block ×5, first 2 shown]
	v_add_f32_e32 v34, v34, v41
	v_add_f32_e32 v34, v37, v34
	;; [unrolled: 1-line block ×3, first 2 shown]
	v_mul_f32_e32 v39, v36, v37
	v_sub_f32_e32 v44, v45, v37
	v_mul_f32_e32 v41, v40, v39
	v_add_f32_e32 v34, v34, v44
	v_fma_f32 v40, v39, v40, -v41
	v_fmac_f32_e32 v40, v39, v38
	v_add_f32_e32 v38, v41, v40
	v_sub_f32_e32 v43, v37, v38
	v_sub_f32_e32 v41, v38, v41
	;; [unrolled: 1-line block ×5, first 2 shown]
	v_add_f32_e32 v34, v34, v37
	v_add_f32_e32 v37, v42, v39
	;; [unrolled: 1-line block ×3, first 2 shown]
	v_sub_f32_e32 v38, v37, v42
	v_add_f32_e32 v34, v43, v34
	v_sub_f32_e32 v38, v39, v38
	v_mul_f32_e32 v34, v36, v34
	v_add_f32_e32 v34, v38, v34
	v_add_f32_e32 v36, v37, v34
	v_mul_f32_e32 v38, v36, v36
	v_fmaak_f32 v39, s16, v38, 0x3ecc95a3
	v_mul_f32_e32 v40, v36, v38
	v_fmaak_f32 v38, v38, v39, 0x3f2aaada
	v_ldexp_f32 v39, v36, 1
	v_sub_f32_e32 v36, v36, v37
	v_mul_f32_e32 v38, v40, v38
	v_mul_f32_e32 v40, 0x3f317218, v33
	v_sub_f32_e32 v34, v34, v36
	v_add_f32_e32 v37, v39, v38
	v_ldexp_f32 v34, v34, 1
	v_sub_f32_e32 v36, v37, v39
	v_fma_f32 v39, 0x3f317218, v33, -v40
	v_sub_f32_e32 v36, v38, v36
	v_fmamk_f32 v33, v33, 0xb102e308, v39
	v_add_f32_e32 v34, v34, v36
	v_add_f32_e32 v36, v40, v33
	;; [unrolled: 1-line block ×3, first 2 shown]
	v_sub_f32_e32 v40, v36, v40
	v_add_f32_e32 v39, v36, v38
	v_sub_f32_e32 v37, v38, v37
	v_sub_f32_e32 v33, v33, v40
	;; [unrolled: 1-line block ×6, first 2 shown]
	v_add_f32_e32 v38, v33, v34
	v_sub_f32_e32 v36, v36, v42
	v_add_f32_e32 v36, v37, v36
	v_sub_f32_e32 v37, v38, v33
	;; [unrolled: 2-line block ×3, first 2 shown]
	v_sub_f32_e32 v34, v34, v37
	v_add_f32_e32 v40, v39, v36
	v_sub_f32_e32 v33, v33, v38
	v_sub_f32_e32 v37, v40, v39
	v_add_f32_e32 v33, v34, v33
	v_sub_f32_e32 v34, v36, v37
	v_add_f32_e32 v33, v33, v34
	v_add_f32_e32 v33, v40, v33
	v_cndmask_b32_e32 v33, 0x7f800000, v33, vcc_lo
	v_cmp_gt_f32_e64 vcc_lo, 0x33800000, |v35|
	v_cndmask_b32_e32 v33, v33, v35, vcc_lo
	v_add_f32_e32 v34, v32, v33
.LBB446_225:
	s_or_b32 exec_lo, exec_lo, s14
	v_bfe_u32 v33, v34, 16, 1
	v_cmp_o_f32_e32 vcc_lo, v34, v34
	v_mov_b32_e32 v32, 0x7fc0
	; wave barrier
	v_add3_u32 v33, v34, v33, 0x7fff
	v_cndmask_b32_sdwa v33, v32, v33, vcc_lo dst_sel:DWORD dst_unused:UNUSED_PAD src0_sel:DWORD src1_sel:WORD_1
	v_cndmask_b32_e64 v31, v33, v31, s13
	ds_write_b16 v30, v31
	; wave barrier
	ds_read_u16 v34, v30 offset:2
	v_lshlrev_b32_e32 v33, 16, v31
	v_cmp_u_f32_e32 vcc_lo, v33, v33
	s_waitcnt lgkmcnt(0)
	v_lshlrev_b32_e32 v31, 16, v34
	v_max_f32_e32 v34, v33, v33
	v_max_f32_e32 v35, v31, v31
	v_min_f32_e32 v36, v34, v35
	v_max_f32_e32 v34, v34, v35
	v_cndmask_b32_e32 v35, v36, v33, vcc_lo
	v_cndmask_b32_e32 v36, v34, v33, vcc_lo
	v_cmp_u_f32_e32 vcc_lo, v31, v31
	v_cndmask_b32_e32 v34, v35, v31, vcc_lo
	v_cndmask_b32_e32 v31, v36, v31, vcc_lo
	v_cmp_class_f32_e64 s13, v34, 0x1f8
	v_cmp_neq_f32_e32 vcc_lo, v34, v31
	s_or_b32 s14, vcc_lo, s13
	s_and_saveexec_b32 s13, s14
	s_cbranch_execz .LBB446_227
; %bb.226:
	v_sub_f32_e32 v33, v34, v31
	s_mov_b32 s14, 0x3e9b6dac
	v_mul_f32_e32 v34, 0x3fb8aa3b, v33
	v_cmp_ngt_f32_e32 vcc_lo, 0xc2ce8ed0, v33
	v_fma_f32 v35, 0x3fb8aa3b, v33, -v34
	v_rndne_f32_e32 v36, v34
	v_fmamk_f32 v35, v33, 0x32a5705f, v35
	v_sub_f32_e32 v34, v34, v36
	v_add_f32_e32 v34, v34, v35
	v_cvt_i32_f32_e32 v35, v36
	v_exp_f32_e32 v34, v34
	v_ldexp_f32 v34, v34, v35
	v_cndmask_b32_e32 v34, 0, v34, vcc_lo
	v_cmp_nlt_f32_e32 vcc_lo, 0x42b17218, v33
	v_cndmask_b32_e32 v35, 0x7f800000, v34, vcc_lo
	v_add_f32_e32 v36, 1.0, v35
	v_cvt_f64_f32_e32 v[33:34], v36
	v_frexp_exp_i32_f64_e32 v33, v[33:34]
	v_frexp_mant_f32_e32 v34, v36
	v_cmp_gt_f32_e32 vcc_lo, 0x3f2aaaab, v34
	v_add_f32_e32 v34, -1.0, v36
	v_sub_f32_e32 v38, v34, v36
	v_sub_f32_e32 v34, v35, v34
	v_add_f32_e32 v38, 1.0, v38
	v_add_f32_e32 v34, v34, v38
	v_subrev_co_ci_u32_e64 v33, null, 0, v33, vcc_lo
	v_cmp_neq_f32_e32 vcc_lo, 0x7f800000, v35
	v_sub_nc_u32_e32 v37, 0, v33
	v_cvt_f32_i32_e32 v33, v33
	v_ldexp_f32 v36, v36, v37
	v_ldexp_f32 v34, v34, v37
	v_add_f32_e32 v39, 1.0, v36
	v_add_f32_e32 v37, -1.0, v36
	v_add_f32_e32 v38, -1.0, v39
	v_add_f32_e32 v40, 1.0, v37
	v_sub_f32_e32 v38, v36, v38
	v_sub_f32_e32 v36, v36, v40
	v_add_f32_e32 v38, v34, v38
	v_add_f32_e32 v34, v34, v36
	;; [unrolled: 1-line block ×4, first 2 shown]
	v_rcp_f32_e32 v36, v40
	v_sub_f32_e32 v39, v39, v40
	v_sub_f32_e32 v37, v37, v41
	v_add_f32_e32 v38, v38, v39
	v_add_f32_e32 v34, v34, v37
	v_mul_f32_e32 v42, v41, v36
	v_mul_f32_e32 v43, v40, v42
	v_fma_f32 v39, v42, v40, -v43
	v_fmac_f32_e32 v39, v42, v38
	v_add_f32_e32 v44, v43, v39
	v_sub_f32_e32 v45, v41, v44
	v_sub_f32_e32 v37, v44, v43
	;; [unrolled: 1-line block ×5, first 2 shown]
	v_add_f32_e32 v34, v34, v41
	v_add_f32_e32 v34, v37, v34
	v_add_f32_e32 v37, v45, v34
	v_mul_f32_e32 v39, v36, v37
	v_sub_f32_e32 v44, v45, v37
	v_mul_f32_e32 v41, v40, v39
	v_add_f32_e32 v34, v34, v44
	v_fma_f32 v40, v39, v40, -v41
	v_fmac_f32_e32 v40, v39, v38
	v_add_f32_e32 v38, v41, v40
	v_sub_f32_e32 v43, v37, v38
	v_sub_f32_e32 v41, v38, v41
	v_sub_f32_e32 v37, v37, v43
	v_sub_f32_e32 v37, v37, v38
	v_sub_f32_e32 v38, v41, v40
	v_add_f32_e32 v34, v34, v37
	v_add_f32_e32 v37, v42, v39
	;; [unrolled: 1-line block ×3, first 2 shown]
	v_sub_f32_e32 v38, v37, v42
	v_add_f32_e32 v34, v43, v34
	v_sub_f32_e32 v38, v39, v38
	v_mul_f32_e32 v34, v36, v34
	v_add_f32_e32 v34, v38, v34
	v_add_f32_e32 v36, v37, v34
	v_mul_f32_e32 v38, v36, v36
	v_fmaak_f32 v39, s14, v38, 0x3ecc95a3
	v_mul_f32_e32 v40, v36, v38
	v_fmaak_f32 v38, v38, v39, 0x3f2aaada
	v_ldexp_f32 v39, v36, 1
	v_sub_f32_e32 v36, v36, v37
	v_mul_f32_e32 v38, v40, v38
	v_mul_f32_e32 v40, 0x3f317218, v33
	v_sub_f32_e32 v34, v34, v36
	v_add_f32_e32 v37, v39, v38
	v_ldexp_f32 v34, v34, 1
	v_sub_f32_e32 v36, v37, v39
	v_fma_f32 v39, 0x3f317218, v33, -v40
	v_sub_f32_e32 v36, v38, v36
	v_fmamk_f32 v33, v33, 0xb102e308, v39
	v_add_f32_e32 v34, v34, v36
	v_add_f32_e32 v36, v40, v33
	v_add_f32_e32 v38, v37, v34
	v_sub_f32_e32 v40, v36, v40
	v_add_f32_e32 v39, v36, v38
	v_sub_f32_e32 v37, v38, v37
	v_sub_f32_e32 v33, v33, v40
	v_sub_f32_e32 v41, v39, v36
	v_sub_f32_e32 v34, v34, v37
	v_sub_f32_e32 v42, v39, v41
	v_sub_f32_e32 v37, v38, v41
	v_add_f32_e32 v38, v33, v34
	v_sub_f32_e32 v36, v36, v42
	v_add_f32_e32 v36, v37, v36
	v_sub_f32_e32 v37, v38, v33
	v_add_f32_e32 v36, v38, v36
	v_sub_f32_e32 v38, v38, v37
	v_sub_f32_e32 v34, v34, v37
	v_add_f32_e32 v40, v39, v36
	v_sub_f32_e32 v33, v33, v38
	v_sub_f32_e32 v37, v40, v39
	v_add_f32_e32 v33, v34, v33
	v_sub_f32_e32 v34, v36, v37
	v_add_f32_e32 v33, v33, v34
	v_add_f32_e32 v33, v40, v33
	v_cndmask_b32_e32 v33, 0x7f800000, v33, vcc_lo
	v_cmp_gt_f32_e64 vcc_lo, 0x33800000, |v35|
	v_cndmask_b32_e32 v33, v33, v35, vcc_lo
	v_add_f32_e32 v33, v31, v33
.LBB446_227:
	s_or_b32 exec_lo, exec_lo, s13
	v_bfe_u32 v31, v33, 16, 1
	v_cmp_o_f32_e32 vcc_lo, v33, v33
	v_add3_u32 v31, v33, v31, 0x7fff
	v_cndmask_b32_sdwa v31, v32, v31, vcc_lo dst_sel:DWORD dst_unused:UNUSED_PAD src0_sel:DWORD src1_sel:WORD_1
	ds_write_b16 v30, v31 offset:2
.LBB446_228:
	s_or_b32 exec_lo, exec_lo, s15
	s_waitcnt lgkmcnt(0)
	s_barrier
	buffer_gl0_inv
	s_and_saveexec_b32 s13, s0
	s_cbranch_execz .LBB446_232
; %bb.229:
	v_add_nc_u32_e32 v7, -1, v0
	v_lshrrev_b32_e32 v27, 4, v7
	v_and_b32_e32 v27, 0xffffffe, v27
	v_lshl_add_u32 v7, v7, 1, v27
	ds_read_u16 v7, v7
	s_waitcnt lgkmcnt(0)
	v_lshlrev_b32_e32 v27, 16, v7
	v_max_f32_e32 v7, v27, v27
	v_cmp_u_f32_e32 vcc_lo, v27, v27
	v_min_f32_e32 v29, v7, v28
	v_max_f32_e32 v7, v7, v28
	v_cndmask_b32_e32 v28, v29, v27, vcc_lo
	v_cndmask_b32_e32 v7, v7, v27, vcc_lo
	v_cndmask_b32_e64 v28, v28, v26, s12
	v_cndmask_b32_e64 v7, v7, v26, s12
	v_cmp_class_f32_e64 s0, v28, 0x1f8
	v_cmp_neq_f32_e32 vcc_lo, v28, v7
	s_or_b32 s12, vcc_lo, s0
	s_and_saveexec_b32 s0, s12
	s_cbranch_execz .LBB446_231
; %bb.230:
	v_sub_f32_e32 v26, v28, v7
	s_mov_b32 s12, 0x3e9b6dac
	v_mul_f32_e32 v27, 0x3fb8aa3b, v26
	v_cmp_ngt_f32_e32 vcc_lo, 0xc2ce8ed0, v26
	v_fma_f32 v28, 0x3fb8aa3b, v26, -v27
	v_rndne_f32_e32 v29, v27
	v_fmamk_f32 v28, v26, 0x32a5705f, v28
	v_sub_f32_e32 v27, v27, v29
	v_add_f32_e32 v27, v27, v28
	v_cvt_i32_f32_e32 v28, v29
	v_exp_f32_e32 v27, v27
	v_ldexp_f32 v27, v27, v28
	v_cndmask_b32_e32 v27, 0, v27, vcc_lo
	v_cmp_nlt_f32_e32 vcc_lo, 0x42b17218, v26
	v_cndmask_b32_e32 v28, 0x7f800000, v27, vcc_lo
	v_add_f32_e32 v29, 1.0, v28
	v_cvt_f64_f32_e32 v[26:27], v29
	v_frexp_exp_i32_f64_e32 v26, v[26:27]
	v_frexp_mant_f32_e32 v27, v29
	v_cmp_gt_f32_e32 vcc_lo, 0x3f2aaaab, v27
	v_add_f32_e32 v27, -1.0, v29
	v_sub_f32_e32 v31, v27, v29
	v_sub_f32_e32 v27, v28, v27
	v_add_f32_e32 v31, 1.0, v31
	v_add_f32_e32 v27, v27, v31
	v_subrev_co_ci_u32_e64 v26, null, 0, v26, vcc_lo
	v_cmp_neq_f32_e32 vcc_lo, 0x7f800000, v28
	v_sub_nc_u32_e32 v30, 0, v26
	v_cvt_f32_i32_e32 v26, v26
	v_ldexp_f32 v29, v29, v30
	v_ldexp_f32 v27, v27, v30
	v_add_f32_e32 v32, 1.0, v29
	v_add_f32_e32 v30, -1.0, v29
	v_add_f32_e32 v31, -1.0, v32
	v_add_f32_e32 v33, 1.0, v30
	v_sub_f32_e32 v31, v29, v31
	v_sub_f32_e32 v29, v29, v33
	v_add_f32_e32 v31, v27, v31
	v_add_f32_e32 v27, v27, v29
	;; [unrolled: 1-line block ×4, first 2 shown]
	v_rcp_f32_e32 v29, v33
	v_sub_f32_e32 v32, v32, v33
	v_sub_f32_e32 v30, v30, v34
	v_add_f32_e32 v31, v31, v32
	v_add_f32_e32 v27, v27, v30
	v_mul_f32_e32 v35, v34, v29
	v_mul_f32_e32 v36, v33, v35
	v_fma_f32 v32, v35, v33, -v36
	v_fmac_f32_e32 v32, v35, v31
	v_add_f32_e32 v37, v36, v32
	v_sub_f32_e32 v38, v34, v37
	v_sub_f32_e32 v30, v37, v36
	;; [unrolled: 1-line block ×5, first 2 shown]
	v_add_f32_e32 v27, v27, v34
	v_add_f32_e32 v27, v30, v27
	;; [unrolled: 1-line block ×3, first 2 shown]
	v_mul_f32_e32 v32, v29, v30
	v_sub_f32_e32 v37, v38, v30
	v_mul_f32_e32 v34, v33, v32
	v_add_f32_e32 v27, v27, v37
	v_fma_f32 v33, v32, v33, -v34
	v_fmac_f32_e32 v33, v32, v31
	v_add_f32_e32 v31, v34, v33
	v_sub_f32_e32 v36, v30, v31
	v_sub_f32_e32 v34, v31, v34
	;; [unrolled: 1-line block ×5, first 2 shown]
	v_add_f32_e32 v27, v27, v30
	v_add_f32_e32 v30, v35, v32
	;; [unrolled: 1-line block ×3, first 2 shown]
	v_sub_f32_e32 v31, v30, v35
	v_add_f32_e32 v27, v36, v27
	v_sub_f32_e32 v31, v32, v31
	v_mul_f32_e32 v27, v29, v27
	v_add_f32_e32 v27, v31, v27
	v_add_f32_e32 v29, v30, v27
	v_mul_f32_e32 v31, v29, v29
	v_fmaak_f32 v32, s12, v31, 0x3ecc95a3
	v_mul_f32_e32 v33, v29, v31
	v_fmaak_f32 v31, v31, v32, 0x3f2aaada
	v_ldexp_f32 v32, v29, 1
	v_sub_f32_e32 v29, v29, v30
	v_mul_f32_e32 v31, v33, v31
	v_mul_f32_e32 v33, 0x3f317218, v26
	v_sub_f32_e32 v27, v27, v29
	v_add_f32_e32 v30, v32, v31
	v_ldexp_f32 v27, v27, 1
	v_sub_f32_e32 v29, v30, v32
	v_fma_f32 v32, 0x3f317218, v26, -v33
	v_sub_f32_e32 v29, v31, v29
	v_fmamk_f32 v26, v26, 0xb102e308, v32
	v_add_f32_e32 v27, v27, v29
	v_add_f32_e32 v29, v33, v26
	;; [unrolled: 1-line block ×3, first 2 shown]
	v_sub_f32_e32 v33, v29, v33
	v_add_f32_e32 v32, v29, v31
	v_sub_f32_e32 v30, v31, v30
	v_sub_f32_e32 v26, v26, v33
	;; [unrolled: 1-line block ×6, first 2 shown]
	v_add_f32_e32 v31, v26, v27
	v_sub_f32_e32 v29, v29, v35
	v_add_f32_e32 v29, v30, v29
	v_sub_f32_e32 v30, v31, v26
	;; [unrolled: 2-line block ×3, first 2 shown]
	v_sub_f32_e32 v27, v27, v30
	v_add_f32_e32 v33, v32, v29
	v_sub_f32_e32 v26, v26, v31
	v_sub_f32_e32 v30, v33, v32
	v_add_f32_e32 v26, v27, v26
	v_sub_f32_e32 v27, v29, v30
	v_add_f32_e32 v26, v26, v27
	v_add_f32_e32 v26, v33, v26
	v_cndmask_b32_e32 v26, 0x7f800000, v26, vcc_lo
	v_cmp_gt_f32_e64 vcc_lo, 0x33800000, |v28|
	v_cndmask_b32_e32 v26, v26, v28, vcc_lo
	v_add_f32_e32 v27, v7, v26
.LBB446_231:
	s_or_b32 exec_lo, exec_lo, s0
	v_bfe_u32 v7, v27, 16, 1
	v_cmp_o_f32_e32 vcc_lo, v27, v27
	v_mov_b32_e32 v26, 0x7fc0
	;;#ASMSTART
	;;#ASMEND
	v_add3_u32 v7, v27, v7, 0x7fff
	v_cndmask_b32_sdwa v7, v26, v7, vcc_lo dst_sel:DWORD dst_unused:UNUSED_PAD src0_sel:DWORD src1_sel:WORD_1
	v_lshlrev_b32_e32 v26, 16, v7
	v_max_f32_e32 v28, v26, v26
	v_min_f32_e32 v27, v28, v16
	v_max_f32_e32 v29, v28, v16
.LBB446_232:
	s_or_b32 exec_lo, exec_lo, s13
	v_cmp_u_f32_e32 vcc_lo, v26, v26
	v_cndmask_b32_e32 v16, v27, v26, vcc_lo
	v_cndmask_b32_e32 v27, v29, v26, vcc_lo
	v_cndmask_b32_e64 v16, v16, v1, s1
	v_cndmask_b32_e64 v1, v27, v1, s1
	v_cmp_class_f32_e64 s0, v16, 0x1f8
	v_cmp_neq_f32_e32 vcc_lo, v16, v1
	s_or_b32 s1, vcc_lo, s0
	s_and_saveexec_b32 s0, s1
	s_cbranch_execz .LBB446_234
; %bb.233:
	v_sub_f32_e32 v16, v16, v1
	s_mov_b32 s1, 0x3e9b6dac
	v_mul_f32_e32 v26, 0x3fb8aa3b, v16
	v_cmp_ngt_f32_e32 vcc_lo, 0xc2ce8ed0, v16
	v_fma_f32 v27, 0x3fb8aa3b, v16, -v26
	v_rndne_f32_e32 v28, v26
	v_fmamk_f32 v27, v16, 0x32a5705f, v27
	v_sub_f32_e32 v26, v26, v28
	v_add_f32_e32 v26, v26, v27
	v_cvt_i32_f32_e32 v27, v28
	v_exp_f32_e32 v26, v26
	v_ldexp_f32 v26, v26, v27
	v_cndmask_b32_e32 v26, 0, v26, vcc_lo
	v_cmp_nlt_f32_e32 vcc_lo, 0x42b17218, v16
	v_cndmask_b32_e32 v16, 0x7f800000, v26, vcc_lo
	v_add_f32_e32 v28, 1.0, v16
	v_cvt_f64_f32_e32 v[26:27], v28
	v_frexp_exp_i32_f64_e32 v26, v[26:27]
	v_frexp_mant_f32_e32 v27, v28
	v_cmp_gt_f32_e32 vcc_lo, 0x3f2aaaab, v27
	v_add_f32_e32 v27, -1.0, v28
	v_sub_f32_e32 v30, v27, v28
	v_sub_f32_e32 v27, v16, v27
	v_add_f32_e32 v30, 1.0, v30
	v_add_f32_e32 v27, v27, v30
	v_subrev_co_ci_u32_e64 v26, null, 0, v26, vcc_lo
	v_cmp_neq_f32_e32 vcc_lo, 0x7f800000, v16
	v_sub_nc_u32_e32 v29, 0, v26
	v_cvt_f32_i32_e32 v26, v26
	v_ldexp_f32 v28, v28, v29
	v_ldexp_f32 v27, v27, v29
	v_add_f32_e32 v31, 1.0, v28
	v_add_f32_e32 v29, -1.0, v28
	v_add_f32_e32 v30, -1.0, v31
	v_add_f32_e32 v32, 1.0, v29
	v_sub_f32_e32 v30, v28, v30
	v_sub_f32_e32 v28, v28, v32
	v_add_f32_e32 v30, v27, v30
	v_add_f32_e32 v27, v27, v28
	;; [unrolled: 1-line block ×4, first 2 shown]
	v_rcp_f32_e32 v28, v32
	v_sub_f32_e32 v31, v31, v32
	v_sub_f32_e32 v29, v29, v33
	v_add_f32_e32 v30, v30, v31
	v_add_f32_e32 v27, v27, v29
	v_mul_f32_e32 v34, v33, v28
	v_mul_f32_e32 v35, v32, v34
	v_fma_f32 v31, v34, v32, -v35
	v_fmac_f32_e32 v31, v34, v30
	v_add_f32_e32 v36, v35, v31
	v_sub_f32_e32 v37, v33, v36
	v_sub_f32_e32 v29, v36, v35
	;; [unrolled: 1-line block ×5, first 2 shown]
	v_add_f32_e32 v27, v27, v33
	v_add_f32_e32 v27, v29, v27
	;; [unrolled: 1-line block ×3, first 2 shown]
	v_mul_f32_e32 v31, v28, v29
	v_sub_f32_e32 v36, v37, v29
	v_mul_f32_e32 v33, v32, v31
	v_add_f32_e32 v27, v27, v36
	v_fma_f32 v32, v31, v32, -v33
	v_fmac_f32_e32 v32, v31, v30
	v_add_f32_e32 v30, v33, v32
	v_sub_f32_e32 v35, v29, v30
	v_sub_f32_e32 v33, v30, v33
	;; [unrolled: 1-line block ×5, first 2 shown]
	v_add_f32_e32 v27, v27, v29
	v_add_f32_e32 v29, v34, v31
	;; [unrolled: 1-line block ×3, first 2 shown]
	v_sub_f32_e32 v30, v29, v34
	v_add_f32_e32 v27, v35, v27
	v_sub_f32_e32 v30, v31, v30
	v_mul_f32_e32 v27, v28, v27
	v_add_f32_e32 v27, v30, v27
	v_add_f32_e32 v28, v29, v27
	v_mul_f32_e32 v30, v28, v28
	v_fmaak_f32 v31, s1, v30, 0x3ecc95a3
	v_mul_f32_e32 v32, v28, v30
	v_fmaak_f32 v30, v30, v31, 0x3f2aaada
	v_ldexp_f32 v31, v28, 1
	v_sub_f32_e32 v28, v28, v29
	v_mul_f32_e32 v30, v32, v30
	v_mul_f32_e32 v32, 0x3f317218, v26
	v_sub_f32_e32 v27, v27, v28
	v_add_f32_e32 v29, v31, v30
	v_ldexp_f32 v27, v27, 1
	v_sub_f32_e32 v28, v29, v31
	v_fma_f32 v31, 0x3f317218, v26, -v32
	v_sub_f32_e32 v28, v30, v28
	v_fmamk_f32 v26, v26, 0xb102e308, v31
	v_add_f32_e32 v27, v27, v28
	v_add_f32_e32 v28, v32, v26
	v_add_f32_e32 v30, v29, v27
	v_sub_f32_e32 v32, v28, v32
	v_add_f32_e32 v31, v28, v30
	v_sub_f32_e32 v29, v30, v29
	v_sub_f32_e32 v26, v26, v32
	;; [unrolled: 1-line block ×6, first 2 shown]
	v_add_f32_e32 v30, v26, v27
	v_sub_f32_e32 v28, v28, v34
	v_add_f32_e32 v28, v29, v28
	v_sub_f32_e32 v29, v30, v26
	;; [unrolled: 2-line block ×3, first 2 shown]
	v_sub_f32_e32 v27, v27, v29
	v_add_f32_e32 v32, v31, v28
	v_sub_f32_e32 v26, v26, v30
	v_sub_f32_e32 v29, v32, v31
	v_add_f32_e32 v26, v27, v26
	v_sub_f32_e32 v27, v28, v29
	v_add_f32_e32 v26, v26, v27
	v_add_f32_e32 v26, v32, v26
	v_cndmask_b32_e32 v26, 0x7f800000, v26, vcc_lo
	v_cmp_gt_f32_e64 vcc_lo, 0x33800000, |v16|
	v_cndmask_b32_e32 v16, v26, v16, vcc_lo
	v_add_f32_e32 v26, v1, v16
.LBB446_234:
	s_or_b32 exec_lo, exec_lo, s0
	v_bfe_u32 v16, v26, 16, 1
	v_cmp_o_f32_e32 vcc_lo, v26, v26
	v_mov_b32_e32 v1, 0x7fc0
	v_add3_u32 v16, v26, v16, 0x7fff
	v_cndmask_b32_sdwa v36, v1, v16, vcc_lo dst_sel:DWORD dst_unused:UNUSED_PAD src0_sel:DWORD src1_sel:WORD_1
	v_lshlrev_b32_e32 v16, 16, v36
	v_max_f32_e32 v26, v16, v16
	v_cmp_u_f32_e32 vcc_lo, v16, v16
	v_min_f32_e32 v27, v26, v10
	v_max_f32_e32 v10, v26, v10
	v_cndmask_b32_e32 v26, v27, v16, vcc_lo
	v_cndmask_b32_e32 v27, v10, v16, vcc_lo
	v_cndmask_b32_e64 v10, v26, v8, s2
	v_cndmask_b32_e64 v8, v27, v8, s2
	v_cmp_class_f32_e64 s0, v10, 0x1f8
	v_cmp_neq_f32_e32 vcc_lo, v10, v8
	s_or_b32 s1, vcc_lo, s0
	s_and_saveexec_b32 s0, s1
	s_cbranch_execz .LBB446_236
; %bb.235:
	v_sub_f32_e32 v10, v10, v8
	s_mov_b32 s1, 0x3e9b6dac
	v_mul_f32_e32 v16, 0x3fb8aa3b, v10
	v_cmp_ngt_f32_e32 vcc_lo, 0xc2ce8ed0, v10
	v_fma_f32 v26, 0x3fb8aa3b, v10, -v16
	v_rndne_f32_e32 v27, v16
	v_fmamk_f32 v26, v10, 0x32a5705f, v26
	v_sub_f32_e32 v16, v16, v27
	v_add_f32_e32 v16, v16, v26
	v_cvt_i32_f32_e32 v26, v27
	v_exp_f32_e32 v16, v16
	v_ldexp_f32 v16, v16, v26
	v_cndmask_b32_e32 v16, 0, v16, vcc_lo
	v_cmp_nlt_f32_e32 vcc_lo, 0x42b17218, v10
	v_cndmask_b32_e32 v10, 0x7f800000, v16, vcc_lo
	v_add_f32_e32 v16, 1.0, v10
	v_cvt_f64_f32_e32 v[26:27], v16
	v_frexp_exp_i32_f64_e32 v26, v[26:27]
	v_frexp_mant_f32_e32 v27, v16
	v_cmp_gt_f32_e32 vcc_lo, 0x3f2aaaab, v27
	v_add_f32_e32 v27, -1.0, v16
	v_sub_f32_e32 v29, v27, v16
	v_sub_f32_e32 v27, v10, v27
	v_add_f32_e32 v29, 1.0, v29
	v_add_f32_e32 v27, v27, v29
	v_subrev_co_ci_u32_e64 v26, null, 0, v26, vcc_lo
	v_cmp_neq_f32_e32 vcc_lo, 0x7f800000, v10
	v_sub_nc_u32_e32 v28, 0, v26
	v_cvt_f32_i32_e32 v26, v26
	v_ldexp_f32 v16, v16, v28
	v_ldexp_f32 v27, v27, v28
	v_add_f32_e32 v30, 1.0, v16
	v_add_f32_e32 v28, -1.0, v16
	v_add_f32_e32 v29, -1.0, v30
	v_add_f32_e32 v31, 1.0, v28
	v_sub_f32_e32 v29, v16, v29
	v_sub_f32_e32 v16, v16, v31
	v_add_f32_e32 v29, v27, v29
	v_add_f32_e32 v16, v27, v16
	;; [unrolled: 1-line block ×4, first 2 shown]
	v_rcp_f32_e32 v27, v31
	v_sub_f32_e32 v30, v30, v31
	v_sub_f32_e32 v28, v28, v32
	v_add_f32_e32 v29, v29, v30
	v_add_f32_e32 v16, v16, v28
	v_mul_f32_e32 v33, v32, v27
	v_mul_f32_e32 v34, v31, v33
	v_fma_f32 v30, v33, v31, -v34
	v_fmac_f32_e32 v30, v33, v29
	v_add_f32_e32 v35, v34, v30
	v_sub_f32_e32 v37, v32, v35
	v_sub_f32_e32 v28, v35, v34
	;; [unrolled: 1-line block ×5, first 2 shown]
	v_add_f32_e32 v16, v16, v32
	v_add_f32_e32 v16, v28, v16
	;; [unrolled: 1-line block ×3, first 2 shown]
	v_mul_f32_e32 v30, v27, v28
	v_sub_f32_e32 v35, v37, v28
	v_mul_f32_e32 v32, v31, v30
	v_add_f32_e32 v16, v16, v35
	v_fma_f32 v31, v30, v31, -v32
	v_fmac_f32_e32 v31, v30, v29
	v_add_f32_e32 v29, v32, v31
	v_sub_f32_e32 v34, v28, v29
	v_sub_f32_e32 v32, v29, v32
	;; [unrolled: 1-line block ×5, first 2 shown]
	v_add_f32_e32 v16, v16, v28
	v_add_f32_e32 v28, v33, v30
	;; [unrolled: 1-line block ×3, first 2 shown]
	v_sub_f32_e32 v29, v28, v33
	v_add_f32_e32 v16, v34, v16
	v_sub_f32_e32 v29, v30, v29
	v_mul_f32_e32 v16, v27, v16
	v_add_f32_e32 v16, v29, v16
	v_add_f32_e32 v27, v28, v16
	v_mul_f32_e32 v29, v27, v27
	v_fmaak_f32 v30, s1, v29, 0x3ecc95a3
	v_mul_f32_e32 v31, v27, v29
	v_fmaak_f32 v29, v29, v30, 0x3f2aaada
	v_ldexp_f32 v30, v27, 1
	v_sub_f32_e32 v27, v27, v28
	v_mul_f32_e32 v29, v31, v29
	v_mul_f32_e32 v31, 0x3f317218, v26
	v_sub_f32_e32 v16, v16, v27
	v_add_f32_e32 v28, v30, v29
	v_ldexp_f32 v16, v16, 1
	v_sub_f32_e32 v27, v28, v30
	v_fma_f32 v30, 0x3f317218, v26, -v31
	v_sub_f32_e32 v27, v29, v27
	v_fmamk_f32 v26, v26, 0xb102e308, v30
	v_add_f32_e32 v16, v16, v27
	v_add_f32_e32 v27, v31, v26
	;; [unrolled: 1-line block ×3, first 2 shown]
	v_sub_f32_e32 v31, v27, v31
	v_add_f32_e32 v30, v27, v29
	v_sub_f32_e32 v28, v29, v28
	v_sub_f32_e32 v26, v26, v31
	;; [unrolled: 1-line block ×6, first 2 shown]
	v_add_f32_e32 v29, v26, v16
	v_sub_f32_e32 v27, v27, v33
	v_add_f32_e32 v27, v28, v27
	v_sub_f32_e32 v28, v29, v26
	;; [unrolled: 2-line block ×3, first 2 shown]
	v_sub_f32_e32 v16, v16, v28
	v_add_f32_e32 v31, v30, v27
	v_sub_f32_e32 v26, v26, v29
	v_sub_f32_e32 v28, v31, v30
	v_add_f32_e32 v16, v16, v26
	v_sub_f32_e32 v26, v27, v28
	v_add_f32_e32 v16, v16, v26
	v_add_f32_e32 v16, v31, v16
	v_cndmask_b32_e32 v16, 0x7f800000, v16, vcc_lo
	v_cmp_gt_f32_e64 vcc_lo, 0x33800000, |v10|
	v_cndmask_b32_e32 v10, v16, v10, vcc_lo
	v_add_f32_e32 v16, v8, v10
.LBB446_236:
	s_or_b32 exec_lo, exec_lo, s0
	v_bfe_u32 v8, v16, 16, 1
	v_cmp_o_f32_e32 vcc_lo, v16, v16
	v_add3_u32 v8, v16, v8, 0x7fff
	v_cndmask_b32_sdwa v8, v1, v8, vcc_lo dst_sel:DWORD dst_unused:UNUSED_PAD src0_sel:DWORD src1_sel:WORD_1
	v_lshlrev_b32_e32 v10, 16, v8
	v_max_f32_e32 v1, v10, v10
	v_cmp_u_f32_e32 vcc_lo, v10, v10
	v_min_f32_e32 v16, v1, v11
	v_max_f32_e32 v1, v1, v11
	v_cndmask_b32_e32 v11, v16, v10, vcc_lo
	v_cndmask_b32_e32 v1, v1, v10, vcc_lo
	v_cndmask_b32_e64 v11, v11, v2, s3
	v_cndmask_b32_e64 v1, v1, v2, s3
	v_cmp_class_f32_e64 s0, v11, 0x1f8
	v_cmp_neq_f32_e32 vcc_lo, v11, v1
	s_or_b32 s1, vcc_lo, s0
	s_and_saveexec_b32 s0, s1
	s_cbranch_execz .LBB446_238
; %bb.237:
	v_sub_f32_e32 v2, v11, v1
	s_mov_b32 s1, 0x3e9b6dac
	v_mul_f32_e32 v10, 0x3fb8aa3b, v2
	v_cmp_ngt_f32_e32 vcc_lo, 0xc2ce8ed0, v2
	v_fma_f32 v11, 0x3fb8aa3b, v2, -v10
	v_rndne_f32_e32 v16, v10
	v_fmamk_f32 v11, v2, 0x32a5705f, v11
	v_sub_f32_e32 v10, v10, v16
	v_add_f32_e32 v10, v10, v11
	v_cvt_i32_f32_e32 v11, v16
	v_exp_f32_e32 v10, v10
	v_ldexp_f32 v10, v10, v11
	v_cndmask_b32_e32 v10, 0, v10, vcc_lo
	v_cmp_nlt_f32_e32 vcc_lo, 0x42b17218, v2
	v_cndmask_b32_e32 v2, 0x7f800000, v10, vcc_lo
	v_add_f32_e32 v16, 1.0, v2
	v_cvt_f64_f32_e32 v[10:11], v16
	v_frexp_exp_i32_f64_e32 v10, v[10:11]
	v_frexp_mant_f32_e32 v11, v16
	v_cmp_gt_f32_e32 vcc_lo, 0x3f2aaaab, v11
	v_add_f32_e32 v11, -1.0, v16
	v_sub_f32_e32 v27, v11, v16
	v_sub_f32_e32 v11, v2, v11
	v_add_f32_e32 v27, 1.0, v27
	v_add_f32_e32 v11, v11, v27
	v_subrev_co_ci_u32_e64 v10, null, 0, v10, vcc_lo
	v_cmp_neq_f32_e32 vcc_lo, 0x7f800000, v2
	v_sub_nc_u32_e32 v26, 0, v10
	v_cvt_f32_i32_e32 v10, v10
	v_ldexp_f32 v16, v16, v26
	v_ldexp_f32 v11, v11, v26
	v_add_f32_e32 v28, 1.0, v16
	v_add_f32_e32 v26, -1.0, v16
	v_add_f32_e32 v27, -1.0, v28
	v_add_f32_e32 v29, 1.0, v26
	v_sub_f32_e32 v27, v16, v27
	v_sub_f32_e32 v16, v16, v29
	v_add_f32_e32 v27, v11, v27
	v_add_f32_e32 v11, v11, v16
	v_add_f32_e32 v29, v28, v27
	v_add_f32_e32 v30, v26, v11
	v_rcp_f32_e32 v16, v29
	v_sub_f32_e32 v28, v28, v29
	v_sub_f32_e32 v26, v26, v30
	v_add_f32_e32 v27, v27, v28
	v_add_f32_e32 v11, v11, v26
	v_mul_f32_e32 v31, v30, v16
	v_mul_f32_e32 v32, v29, v31
	v_fma_f32 v28, v31, v29, -v32
	v_fmac_f32_e32 v28, v31, v27
	v_add_f32_e32 v33, v32, v28
	v_sub_f32_e32 v34, v30, v33
	v_sub_f32_e32 v26, v33, v32
	;; [unrolled: 1-line block ×5, first 2 shown]
	v_add_f32_e32 v11, v11, v30
	v_add_f32_e32 v11, v26, v11
	;; [unrolled: 1-line block ×3, first 2 shown]
	v_mul_f32_e32 v28, v16, v26
	v_sub_f32_e32 v33, v34, v26
	v_mul_f32_e32 v30, v29, v28
	v_add_f32_e32 v11, v11, v33
	v_fma_f32 v29, v28, v29, -v30
	v_fmac_f32_e32 v29, v28, v27
	v_add_f32_e32 v27, v30, v29
	v_sub_f32_e32 v32, v26, v27
	v_sub_f32_e32 v30, v27, v30
	v_sub_f32_e32 v26, v26, v32
	v_sub_f32_e32 v26, v26, v27
	v_sub_f32_e32 v27, v30, v29
	v_add_f32_e32 v11, v11, v26
	v_add_f32_e32 v26, v31, v28
	;; [unrolled: 1-line block ×3, first 2 shown]
	v_sub_f32_e32 v27, v26, v31
	v_add_f32_e32 v11, v32, v11
	v_sub_f32_e32 v27, v28, v27
	v_mul_f32_e32 v11, v16, v11
	v_add_f32_e32 v11, v27, v11
	v_add_f32_e32 v16, v26, v11
	v_mul_f32_e32 v27, v16, v16
	v_fmaak_f32 v28, s1, v27, 0x3ecc95a3
	v_mul_f32_e32 v29, v16, v27
	v_fmaak_f32 v27, v27, v28, 0x3f2aaada
	v_ldexp_f32 v28, v16, 1
	v_sub_f32_e32 v16, v16, v26
	v_mul_f32_e32 v27, v29, v27
	v_mul_f32_e32 v29, 0x3f317218, v10
	v_sub_f32_e32 v11, v11, v16
	v_add_f32_e32 v26, v28, v27
	v_ldexp_f32 v11, v11, 1
	v_sub_f32_e32 v16, v26, v28
	v_fma_f32 v28, 0x3f317218, v10, -v29
	v_sub_f32_e32 v16, v27, v16
	v_fmamk_f32 v10, v10, 0xb102e308, v28
	v_add_f32_e32 v11, v11, v16
	v_add_f32_e32 v16, v29, v10
	;; [unrolled: 1-line block ×3, first 2 shown]
	v_sub_f32_e32 v29, v16, v29
	v_add_f32_e32 v28, v16, v27
	v_sub_f32_e32 v26, v27, v26
	v_sub_f32_e32 v10, v10, v29
	;; [unrolled: 1-line block ×6, first 2 shown]
	v_add_f32_e32 v27, v10, v11
	v_sub_f32_e32 v16, v16, v31
	v_add_f32_e32 v16, v26, v16
	v_sub_f32_e32 v26, v27, v10
	v_add_f32_e32 v16, v27, v16
	v_sub_f32_e32 v27, v27, v26
	v_sub_f32_e32 v11, v11, v26
	v_add_f32_e32 v29, v28, v16
	v_sub_f32_e32 v10, v10, v27
	v_sub_f32_e32 v26, v29, v28
	v_add_f32_e32 v10, v11, v10
	v_sub_f32_e32 v11, v16, v26
	v_add_f32_e32 v10, v10, v11
	v_add_f32_e32 v10, v29, v10
	v_cndmask_b32_e32 v10, 0x7f800000, v10, vcc_lo
	v_cmp_gt_f32_e64 vcc_lo, 0x33800000, |v2|
	v_cndmask_b32_e32 v2, v10, v2, vcc_lo
	v_add_f32_e32 v10, v1, v2
.LBB446_238:
	s_or_b32 exec_lo, exec_lo, s0
	v_bfe_u32 v2, v10, 16, 1
	v_cmp_o_f32_e32 vcc_lo, v10, v10
	v_mov_b32_e32 v1, 0x7fc0
	v_add3_u32 v2, v10, v2, 0x7fff
	v_cndmask_b32_sdwa v10, v1, v2, vcc_lo dst_sel:DWORD dst_unused:UNUSED_PAD src0_sel:DWORD src1_sel:WORD_1
	v_lshlrev_b32_e32 v11, 16, v10
	v_max_f32_e32 v2, v11, v11
	v_cmp_u_f32_e32 vcc_lo, v11, v11
	v_min_f32_e32 v16, v2, v15
	v_max_f32_e32 v2, v2, v15
	v_cndmask_b32_e32 v15, v16, v11, vcc_lo
	v_cndmask_b32_e32 v2, v2, v11, vcc_lo
	v_cndmask_b32_e64 v15, v15, v9, s4
	v_cndmask_b32_e64 v2, v2, v9, s4
	v_cmp_class_f32_e64 s0, v15, 0x1f8
	v_cmp_neq_f32_e32 vcc_lo, v15, v2
	s_or_b32 s1, vcc_lo, s0
	s_and_saveexec_b32 s0, s1
	s_cbranch_execz .LBB446_240
; %bb.239:
	v_sub_f32_e32 v9, v15, v2
	s_mov_b32 s1, 0x3e9b6dac
	v_mul_f32_e32 v11, 0x3fb8aa3b, v9
	v_cmp_ngt_f32_e32 vcc_lo, 0xc2ce8ed0, v9
	v_fma_f32 v15, 0x3fb8aa3b, v9, -v11
	v_rndne_f32_e32 v16, v11
	v_fmamk_f32 v15, v9, 0x32a5705f, v15
	v_sub_f32_e32 v11, v11, v16
	v_add_f32_e32 v11, v11, v15
	v_cvt_i32_f32_e32 v15, v16
	v_exp_f32_e32 v11, v11
	v_ldexp_f32 v11, v11, v15
	v_cndmask_b32_e32 v11, 0, v11, vcc_lo
	v_cmp_nlt_f32_e32 vcc_lo, 0x42b17218, v9
	v_cndmask_b32_e32 v9, 0x7f800000, v11, vcc_lo
	v_add_f32_e32 v11, 1.0, v9
	v_cvt_f64_f32_e32 v[15:16], v11
	v_frexp_exp_i32_f64_e32 v15, v[15:16]
	v_frexp_mant_f32_e32 v16, v11
	v_cmp_gt_f32_e32 vcc_lo, 0x3f2aaaab, v16
	v_add_f32_e32 v16, -1.0, v11
	v_sub_f32_e32 v27, v16, v11
	v_sub_f32_e32 v16, v9, v16
	v_add_f32_e32 v27, 1.0, v27
	v_add_f32_e32 v16, v16, v27
	v_subrev_co_ci_u32_e64 v15, null, 0, v15, vcc_lo
	v_cmp_neq_f32_e32 vcc_lo, 0x7f800000, v9
	v_sub_nc_u32_e32 v26, 0, v15
	v_cvt_f32_i32_e32 v15, v15
	v_ldexp_f32 v11, v11, v26
	v_ldexp_f32 v16, v16, v26
	v_add_f32_e32 v28, 1.0, v11
	v_add_f32_e32 v26, -1.0, v11
	v_add_f32_e32 v27, -1.0, v28
	v_add_f32_e32 v29, 1.0, v26
	v_sub_f32_e32 v27, v11, v27
	v_sub_f32_e32 v11, v11, v29
	v_add_f32_e32 v27, v16, v27
	v_add_f32_e32 v11, v16, v11
	;; [unrolled: 1-line block ×4, first 2 shown]
	v_rcp_f32_e32 v16, v29
	v_sub_f32_e32 v28, v28, v29
	v_sub_f32_e32 v26, v26, v30
	v_add_f32_e32 v27, v27, v28
	v_add_f32_e32 v11, v11, v26
	v_mul_f32_e32 v31, v30, v16
	v_mul_f32_e32 v32, v29, v31
	v_fma_f32 v28, v31, v29, -v32
	v_fmac_f32_e32 v28, v31, v27
	v_add_f32_e32 v33, v32, v28
	v_sub_f32_e32 v34, v30, v33
	v_sub_f32_e32 v26, v33, v32
	;; [unrolled: 1-line block ×5, first 2 shown]
	v_add_f32_e32 v11, v11, v30
	v_add_f32_e32 v11, v26, v11
	;; [unrolled: 1-line block ×3, first 2 shown]
	v_mul_f32_e32 v28, v16, v26
	v_sub_f32_e32 v33, v34, v26
	v_mul_f32_e32 v30, v29, v28
	v_add_f32_e32 v11, v11, v33
	v_fma_f32 v29, v28, v29, -v30
	v_fmac_f32_e32 v29, v28, v27
	v_add_f32_e32 v27, v30, v29
	v_sub_f32_e32 v32, v26, v27
	v_sub_f32_e32 v30, v27, v30
	;; [unrolled: 1-line block ×5, first 2 shown]
	v_add_f32_e32 v11, v11, v26
	v_add_f32_e32 v26, v31, v28
	;; [unrolled: 1-line block ×3, first 2 shown]
	v_sub_f32_e32 v27, v26, v31
	v_add_f32_e32 v11, v32, v11
	v_sub_f32_e32 v27, v28, v27
	v_mul_f32_e32 v11, v16, v11
	v_add_f32_e32 v11, v27, v11
	v_add_f32_e32 v16, v26, v11
	v_mul_f32_e32 v27, v16, v16
	v_fmaak_f32 v28, s1, v27, 0x3ecc95a3
	v_mul_f32_e32 v29, v16, v27
	v_fmaak_f32 v27, v27, v28, 0x3f2aaada
	v_ldexp_f32 v28, v16, 1
	v_sub_f32_e32 v16, v16, v26
	v_mul_f32_e32 v27, v29, v27
	v_mul_f32_e32 v29, 0x3f317218, v15
	v_sub_f32_e32 v11, v11, v16
	v_add_f32_e32 v26, v28, v27
	v_ldexp_f32 v11, v11, 1
	v_sub_f32_e32 v16, v26, v28
	v_fma_f32 v28, 0x3f317218, v15, -v29
	v_sub_f32_e32 v16, v27, v16
	v_fmamk_f32 v15, v15, 0xb102e308, v28
	v_add_f32_e32 v11, v11, v16
	v_add_f32_e32 v16, v29, v15
	;; [unrolled: 1-line block ×3, first 2 shown]
	v_sub_f32_e32 v29, v16, v29
	v_add_f32_e32 v28, v16, v27
	v_sub_f32_e32 v26, v27, v26
	v_sub_f32_e32 v15, v15, v29
	;; [unrolled: 1-line block ×6, first 2 shown]
	v_add_f32_e32 v27, v15, v11
	v_sub_f32_e32 v16, v16, v31
	v_add_f32_e32 v16, v26, v16
	v_sub_f32_e32 v26, v27, v15
	;; [unrolled: 2-line block ×3, first 2 shown]
	v_sub_f32_e32 v11, v11, v26
	v_add_f32_e32 v29, v28, v16
	v_sub_f32_e32 v15, v15, v27
	v_sub_f32_e32 v26, v29, v28
	v_add_f32_e32 v11, v11, v15
	v_sub_f32_e32 v15, v16, v26
	v_add_f32_e32 v11, v11, v15
	v_add_f32_e32 v11, v29, v11
	v_cndmask_b32_e32 v11, 0x7f800000, v11, vcc_lo
	v_cmp_gt_f32_e64 vcc_lo, 0x33800000, |v9|
	v_cndmask_b32_e32 v9, v11, v9, vcc_lo
	v_add_f32_e32 v11, v2, v9
.LBB446_240:
	s_or_b32 exec_lo, exec_lo, s0
	v_bfe_u32 v2, v11, 16, 1
	v_cmp_o_f32_e32 vcc_lo, v11, v11
	v_add3_u32 v2, v11, v2, 0x7fff
	v_cndmask_b32_sdwa v9, v1, v2, vcc_lo dst_sel:DWORD dst_unused:UNUSED_PAD src0_sel:DWORD src1_sel:WORD_1
	v_lshlrev_b32_e32 v2, 16, v9
	v_max_f32_e32 v1, v2, v2
	v_cmp_u_f32_e32 vcc_lo, v2, v2
	v_min_f32_e32 v11, v1, v17
	v_max_f32_e32 v1, v1, v17
	v_cndmask_b32_e32 v11, v11, v2, vcc_lo
	v_cndmask_b32_e32 v1, v1, v2, vcc_lo
	v_cndmask_b32_e64 v11, v11, v3, s5
	v_cndmask_b32_e64 v1, v1, v3, s5
	v_cmp_class_f32_e64 s0, v11, 0x1f8
	v_cmp_neq_f32_e32 vcc_lo, v11, v1
	s_or_b32 s1, vcc_lo, s0
	s_and_saveexec_b32 s0, s1
	s_cbranch_execz .LBB446_242
; %bb.241:
	v_sub_f32_e32 v2, v11, v1
	s_mov_b32 s1, 0x3e9b6dac
	v_mul_f32_e32 v3, 0x3fb8aa3b, v2
	v_cmp_ngt_f32_e32 vcc_lo, 0xc2ce8ed0, v2
	v_fma_f32 v11, 0x3fb8aa3b, v2, -v3
	v_rndne_f32_e32 v15, v3
	v_fmamk_f32 v11, v2, 0x32a5705f, v11
	v_sub_f32_e32 v3, v3, v15
	v_add_f32_e32 v3, v3, v11
	v_cvt_i32_f32_e32 v11, v15
	v_exp_f32_e32 v3, v3
	v_ldexp_f32 v3, v3, v11
	v_cndmask_b32_e32 v3, 0, v3, vcc_lo
	v_cmp_nlt_f32_e32 vcc_lo, 0x42b17218, v2
	v_cndmask_b32_e32 v11, 0x7f800000, v3, vcc_lo
	v_add_f32_e32 v15, 1.0, v11
	v_cvt_f64_f32_e32 v[2:3], v15
	v_frexp_exp_i32_f64_e32 v2, v[2:3]
	v_frexp_mant_f32_e32 v3, v15
	v_cmp_gt_f32_e32 vcc_lo, 0x3f2aaaab, v3
	v_add_f32_e32 v3, -1.0, v15
	v_sub_f32_e32 v17, v3, v15
	v_sub_f32_e32 v3, v11, v3
	v_add_f32_e32 v17, 1.0, v17
	v_add_f32_e32 v3, v3, v17
	v_subrev_co_ci_u32_e64 v2, null, 0, v2, vcc_lo
	v_cmp_neq_f32_e32 vcc_lo, 0x7f800000, v11
	v_sub_nc_u32_e32 v16, 0, v2
	v_cvt_f32_i32_e32 v2, v2
	v_ldexp_f32 v15, v15, v16
	v_ldexp_f32 v3, v3, v16
	v_add_f32_e32 v26, 1.0, v15
	v_add_f32_e32 v16, -1.0, v15
	v_add_f32_e32 v17, -1.0, v26
	v_add_f32_e32 v27, 1.0, v16
	v_sub_f32_e32 v17, v15, v17
	v_sub_f32_e32 v15, v15, v27
	v_add_f32_e32 v17, v3, v17
	v_add_f32_e32 v3, v3, v15
	;; [unrolled: 1-line block ×4, first 2 shown]
	v_rcp_f32_e32 v15, v27
	v_sub_f32_e32 v26, v26, v27
	v_sub_f32_e32 v16, v16, v28
	v_add_f32_e32 v17, v17, v26
	v_add_f32_e32 v3, v3, v16
	v_mul_f32_e32 v29, v28, v15
	v_mul_f32_e32 v30, v27, v29
	v_fma_f32 v26, v29, v27, -v30
	v_fmac_f32_e32 v26, v29, v17
	v_add_f32_e32 v31, v30, v26
	v_sub_f32_e32 v32, v28, v31
	v_sub_f32_e32 v16, v31, v30
	;; [unrolled: 1-line block ×5, first 2 shown]
	v_add_f32_e32 v3, v3, v28
	v_add_f32_e32 v3, v16, v3
	;; [unrolled: 1-line block ×3, first 2 shown]
	v_mul_f32_e32 v26, v15, v16
	v_sub_f32_e32 v31, v32, v16
	v_mul_f32_e32 v28, v27, v26
	v_add_f32_e32 v3, v3, v31
	v_fma_f32 v27, v26, v27, -v28
	v_fmac_f32_e32 v27, v26, v17
	v_add_f32_e32 v17, v28, v27
	v_sub_f32_e32 v30, v16, v17
	v_sub_f32_e32 v28, v17, v28
	;; [unrolled: 1-line block ×5, first 2 shown]
	v_add_f32_e32 v3, v3, v16
	v_add_f32_e32 v16, v29, v26
	;; [unrolled: 1-line block ×3, first 2 shown]
	v_sub_f32_e32 v17, v16, v29
	v_add_f32_e32 v3, v30, v3
	v_sub_f32_e32 v17, v26, v17
	v_mul_f32_e32 v3, v15, v3
	v_add_f32_e32 v3, v17, v3
	v_add_f32_e32 v15, v16, v3
	v_mul_f32_e32 v17, v15, v15
	v_fmaak_f32 v26, s1, v17, 0x3ecc95a3
	v_mul_f32_e32 v27, v15, v17
	v_fmaak_f32 v17, v17, v26, 0x3f2aaada
	v_ldexp_f32 v26, v15, 1
	v_sub_f32_e32 v15, v15, v16
	v_mul_f32_e32 v17, v27, v17
	v_mul_f32_e32 v27, 0x3f317218, v2
	v_sub_f32_e32 v3, v3, v15
	v_add_f32_e32 v16, v26, v17
	v_ldexp_f32 v3, v3, 1
	v_sub_f32_e32 v15, v16, v26
	v_fma_f32 v26, 0x3f317218, v2, -v27
	v_sub_f32_e32 v15, v17, v15
	v_fmamk_f32 v2, v2, 0xb102e308, v26
	v_add_f32_e32 v3, v3, v15
	v_add_f32_e32 v15, v27, v2
	;; [unrolled: 1-line block ×3, first 2 shown]
	v_sub_f32_e32 v27, v15, v27
	v_add_f32_e32 v26, v15, v17
	v_sub_f32_e32 v16, v17, v16
	v_sub_f32_e32 v2, v2, v27
	;; [unrolled: 1-line block ×6, first 2 shown]
	v_add_f32_e32 v17, v2, v3
	v_sub_f32_e32 v15, v15, v29
	v_add_f32_e32 v15, v16, v15
	v_sub_f32_e32 v16, v17, v2
	;; [unrolled: 2-line block ×3, first 2 shown]
	v_sub_f32_e32 v3, v3, v16
	v_add_f32_e32 v27, v26, v15
	v_sub_f32_e32 v2, v2, v17
	v_sub_f32_e32 v16, v27, v26
	v_add_f32_e32 v2, v3, v2
	v_sub_f32_e32 v3, v15, v16
	v_add_f32_e32 v2, v2, v3
	v_add_f32_e32 v2, v27, v2
	v_cndmask_b32_e32 v2, 0x7f800000, v2, vcc_lo
	v_cmp_gt_f32_e64 vcc_lo, 0x33800000, |v11|
	v_cndmask_b32_e32 v2, v2, v11, vcc_lo
	v_add_f32_e32 v2, v1, v2
.LBB446_242:
	s_or_b32 exec_lo, exec_lo, s0
	v_bfe_u32 v3, v2, 16, 1
	v_cmp_o_f32_e32 vcc_lo, v2, v2
	v_mov_b32_e32 v1, 0x7fc0
	v_add3_u32 v2, v2, v3, 0x7fff
	v_cndmask_b32_sdwa v11, v1, v2, vcc_lo dst_sel:DWORD dst_unused:UNUSED_PAD src0_sel:DWORD src1_sel:WORD_1
	v_lshlrev_b32_e32 v3, 16, v11
	v_max_f32_e32 v2, v3, v3
	v_cmp_u_f32_e32 vcc_lo, v3, v3
	v_min_f32_e32 v15, v2, v19
	v_max_f32_e32 v2, v2, v19
	v_cndmask_b32_e32 v15, v15, v3, vcc_lo
	v_cndmask_b32_e32 v2, v2, v3, vcc_lo
	v_cndmask_b32_e64 v15, v15, v14, s6
	v_cndmask_b32_e64 v2, v2, v14, s6
	v_cmp_class_f32_e64 s0, v15, 0x1f8
	v_cmp_neq_f32_e32 vcc_lo, v15, v2
	s_or_b32 s1, vcc_lo, s0
	s_and_saveexec_b32 s0, s1
	s_cbranch_execz .LBB446_244
; %bb.243:
	v_sub_f32_e32 v3, v15, v2
	s_mov_b32 s1, 0x3e9b6dac
	v_mul_f32_e32 v14, 0x3fb8aa3b, v3
	v_cmp_ngt_f32_e32 vcc_lo, 0xc2ce8ed0, v3
	v_fma_f32 v15, 0x3fb8aa3b, v3, -v14
	v_rndne_f32_e32 v16, v14
	v_fmamk_f32 v15, v3, 0x32a5705f, v15
	v_sub_f32_e32 v14, v14, v16
	v_add_f32_e32 v14, v14, v15
	v_cvt_i32_f32_e32 v15, v16
	v_exp_f32_e32 v14, v14
	v_ldexp_f32 v14, v14, v15
	v_cndmask_b32_e32 v14, 0, v14, vcc_lo
	v_cmp_nlt_f32_e32 vcc_lo, 0x42b17218, v3
	v_cndmask_b32_e32 v3, 0x7f800000, v14, vcc_lo
	v_add_f32_e32 v16, 1.0, v3
	v_cvt_f64_f32_e32 v[14:15], v16
	v_frexp_exp_i32_f64_e32 v14, v[14:15]
	v_frexp_mant_f32_e32 v15, v16
	v_cmp_gt_f32_e32 vcc_lo, 0x3f2aaaab, v15
	v_add_f32_e32 v15, -1.0, v16
	v_sub_f32_e32 v19, v15, v16
	v_sub_f32_e32 v15, v3, v15
	v_add_f32_e32 v19, 1.0, v19
	v_add_f32_e32 v15, v15, v19
	v_subrev_co_ci_u32_e64 v14, null, 0, v14, vcc_lo
	v_cmp_neq_f32_e32 vcc_lo, 0x7f800000, v3
	v_sub_nc_u32_e32 v17, 0, v14
	v_cvt_f32_i32_e32 v14, v14
	v_ldexp_f32 v16, v16, v17
	v_ldexp_f32 v15, v15, v17
	v_add_f32_e32 v26, 1.0, v16
	v_add_f32_e32 v17, -1.0, v16
	v_add_f32_e32 v19, -1.0, v26
	v_add_f32_e32 v27, 1.0, v17
	v_sub_f32_e32 v19, v16, v19
	v_sub_f32_e32 v16, v16, v27
	v_add_f32_e32 v19, v15, v19
	v_add_f32_e32 v15, v15, v16
	;; [unrolled: 1-line block ×4, first 2 shown]
	v_rcp_f32_e32 v16, v27
	v_sub_f32_e32 v26, v26, v27
	v_sub_f32_e32 v17, v17, v28
	v_add_f32_e32 v19, v19, v26
	v_add_f32_e32 v15, v15, v17
	v_mul_f32_e32 v29, v28, v16
	v_mul_f32_e32 v30, v27, v29
	v_fma_f32 v26, v29, v27, -v30
	v_fmac_f32_e32 v26, v29, v19
	v_add_f32_e32 v31, v30, v26
	v_sub_f32_e32 v32, v28, v31
	v_sub_f32_e32 v17, v31, v30
	;; [unrolled: 1-line block ×5, first 2 shown]
	v_add_f32_e32 v15, v15, v28
	v_add_f32_e32 v15, v17, v15
	;; [unrolled: 1-line block ×3, first 2 shown]
	v_mul_f32_e32 v26, v16, v17
	v_sub_f32_e32 v31, v32, v17
	v_mul_f32_e32 v28, v27, v26
	v_add_f32_e32 v15, v15, v31
	v_fma_f32 v27, v26, v27, -v28
	v_fmac_f32_e32 v27, v26, v19
	v_add_f32_e32 v19, v28, v27
	v_sub_f32_e32 v30, v17, v19
	v_sub_f32_e32 v28, v19, v28
	;; [unrolled: 1-line block ×5, first 2 shown]
	v_add_f32_e32 v15, v15, v17
	v_add_f32_e32 v17, v29, v26
	;; [unrolled: 1-line block ×3, first 2 shown]
	v_sub_f32_e32 v19, v17, v29
	v_add_f32_e32 v15, v30, v15
	v_sub_f32_e32 v19, v26, v19
	v_mul_f32_e32 v15, v16, v15
	v_add_f32_e32 v15, v19, v15
	v_add_f32_e32 v16, v17, v15
	v_mul_f32_e32 v19, v16, v16
	v_fmaak_f32 v26, s1, v19, 0x3ecc95a3
	v_mul_f32_e32 v27, v16, v19
	v_fmaak_f32 v19, v19, v26, 0x3f2aaada
	v_ldexp_f32 v26, v16, 1
	v_sub_f32_e32 v16, v16, v17
	v_mul_f32_e32 v19, v27, v19
	v_mul_f32_e32 v27, 0x3f317218, v14
	v_sub_f32_e32 v15, v15, v16
	v_add_f32_e32 v17, v26, v19
	v_ldexp_f32 v15, v15, 1
	v_sub_f32_e32 v16, v17, v26
	v_fma_f32 v26, 0x3f317218, v14, -v27
	v_sub_f32_e32 v16, v19, v16
	v_fmamk_f32 v14, v14, 0xb102e308, v26
	v_add_f32_e32 v15, v15, v16
	v_add_f32_e32 v16, v27, v14
	;; [unrolled: 1-line block ×3, first 2 shown]
	v_sub_f32_e32 v27, v16, v27
	v_add_f32_e32 v26, v16, v19
	v_sub_f32_e32 v17, v19, v17
	v_sub_f32_e32 v14, v14, v27
	;; [unrolled: 1-line block ×6, first 2 shown]
	v_add_f32_e32 v19, v14, v15
	v_sub_f32_e32 v16, v16, v29
	v_add_f32_e32 v16, v17, v16
	v_sub_f32_e32 v17, v19, v14
	;; [unrolled: 2-line block ×3, first 2 shown]
	v_sub_f32_e32 v15, v15, v17
	v_add_f32_e32 v27, v26, v16
	v_sub_f32_e32 v14, v14, v19
	v_sub_f32_e32 v17, v27, v26
	v_add_f32_e32 v14, v15, v14
	v_sub_f32_e32 v15, v16, v17
	v_add_f32_e32 v14, v14, v15
	v_add_f32_e32 v14, v27, v14
	v_cndmask_b32_e32 v14, 0x7f800000, v14, vcc_lo
	v_cmp_gt_f32_e64 vcc_lo, 0x33800000, |v3|
	v_cndmask_b32_e32 v3, v14, v3, vcc_lo
	v_add_f32_e32 v3, v2, v3
.LBB446_244:
	s_or_b32 exec_lo, exec_lo, s0
	v_bfe_u32 v2, v3, 16, 1
	v_cmp_o_f32_e32 vcc_lo, v3, v3
	v_add3_u32 v2, v3, v2, 0x7fff
	v_cndmask_b32_sdwa v14, v1, v2, vcc_lo dst_sel:DWORD dst_unused:UNUSED_PAD src0_sel:DWORD src1_sel:WORD_1
	v_lshlrev_b32_e32 v2, 16, v14
	v_max_f32_e32 v1, v2, v2
	v_cmp_u_f32_e32 vcc_lo, v2, v2
	v_min_f32_e32 v3, v1, v20
	v_max_f32_e32 v1, v1, v20
	v_cndmask_b32_e32 v3, v3, v2, vcc_lo
	v_cndmask_b32_e32 v1, v1, v2, vcc_lo
	v_cndmask_b32_e64 v3, v3, v4, s7
	v_cndmask_b32_e64 v1, v1, v4, s7
	v_cmp_class_f32_e64 s0, v3, 0x1f8
	v_cmp_neq_f32_e32 vcc_lo, v3, v1
	s_or_b32 s1, vcc_lo, s0
	s_and_saveexec_b32 s0, s1
	s_cbranch_execz .LBB446_246
; %bb.245:
	v_sub_f32_e32 v2, v3, v1
	s_mov_b32 s1, 0x3e9b6dac
	v_mul_f32_e32 v3, 0x3fb8aa3b, v2
	v_cmp_ngt_f32_e32 vcc_lo, 0xc2ce8ed0, v2
	v_fma_f32 v4, 0x3fb8aa3b, v2, -v3
	v_rndne_f32_e32 v15, v3
	v_fmamk_f32 v4, v2, 0x32a5705f, v4
	v_sub_f32_e32 v3, v3, v15
	v_add_f32_e32 v3, v3, v4
	v_cvt_i32_f32_e32 v4, v15
	v_exp_f32_e32 v3, v3
	v_ldexp_f32 v3, v3, v4
	v_cndmask_b32_e32 v3, 0, v3, vcc_lo
	v_cmp_nlt_f32_e32 vcc_lo, 0x42b17218, v2
	v_cndmask_b32_e32 v4, 0x7f800000, v3, vcc_lo
	v_add_f32_e32 v15, 1.0, v4
	v_cvt_f64_f32_e32 v[2:3], v15
	v_frexp_exp_i32_f64_e32 v2, v[2:3]
	v_frexp_mant_f32_e32 v3, v15
	v_cmp_gt_f32_e32 vcc_lo, 0x3f2aaaab, v3
	v_add_f32_e32 v3, -1.0, v15
	v_sub_f32_e32 v17, v3, v15
	v_sub_f32_e32 v3, v4, v3
	v_add_f32_e32 v17, 1.0, v17
	v_add_f32_e32 v3, v3, v17
	v_subrev_co_ci_u32_e64 v2, null, 0, v2, vcc_lo
	v_cmp_neq_f32_e32 vcc_lo, 0x7f800000, v4
	v_sub_nc_u32_e32 v16, 0, v2
	v_cvt_f32_i32_e32 v2, v2
	v_ldexp_f32 v15, v15, v16
	v_ldexp_f32 v3, v3, v16
	v_add_f32_e32 v19, 1.0, v15
	v_add_f32_e32 v16, -1.0, v15
	v_add_f32_e32 v17, -1.0, v19
	v_add_f32_e32 v20, 1.0, v16
	v_sub_f32_e32 v17, v15, v17
	v_sub_f32_e32 v15, v15, v20
	v_add_f32_e32 v17, v3, v17
	v_add_f32_e32 v3, v3, v15
	;; [unrolled: 1-line block ×4, first 2 shown]
	v_rcp_f32_e32 v15, v20
	v_sub_f32_e32 v19, v19, v20
	v_sub_f32_e32 v16, v16, v26
	v_add_f32_e32 v17, v17, v19
	v_add_f32_e32 v3, v3, v16
	v_mul_f32_e32 v27, v26, v15
	v_mul_f32_e32 v28, v20, v27
	v_fma_f32 v19, v27, v20, -v28
	v_fmac_f32_e32 v19, v27, v17
	v_add_f32_e32 v29, v28, v19
	v_sub_f32_e32 v30, v26, v29
	v_sub_f32_e32 v16, v29, v28
	;; [unrolled: 1-line block ×5, first 2 shown]
	v_add_f32_e32 v3, v3, v26
	v_add_f32_e32 v3, v16, v3
	v_add_f32_e32 v16, v30, v3
	v_mul_f32_e32 v19, v15, v16
	v_sub_f32_e32 v29, v30, v16
	v_mul_f32_e32 v26, v20, v19
	v_add_f32_e32 v3, v3, v29
	v_fma_f32 v20, v19, v20, -v26
	v_fmac_f32_e32 v20, v19, v17
	v_add_f32_e32 v17, v26, v20
	v_sub_f32_e32 v28, v16, v17
	v_sub_f32_e32 v26, v17, v26
	v_sub_f32_e32 v16, v16, v28
	v_sub_f32_e32 v16, v16, v17
	v_sub_f32_e32 v17, v26, v20
	v_add_f32_e32 v3, v3, v16
	v_add_f32_e32 v16, v27, v19
	;; [unrolled: 1-line block ×3, first 2 shown]
	v_sub_f32_e32 v17, v16, v27
	v_add_f32_e32 v3, v28, v3
	v_sub_f32_e32 v17, v19, v17
	v_mul_f32_e32 v3, v15, v3
	v_add_f32_e32 v3, v17, v3
	v_add_f32_e32 v15, v16, v3
	v_mul_f32_e32 v17, v15, v15
	v_fmaak_f32 v19, s1, v17, 0x3ecc95a3
	v_mul_f32_e32 v20, v15, v17
	v_fmaak_f32 v17, v17, v19, 0x3f2aaada
	v_ldexp_f32 v19, v15, 1
	v_sub_f32_e32 v15, v15, v16
	v_mul_f32_e32 v17, v20, v17
	v_mul_f32_e32 v20, 0x3f317218, v2
	v_sub_f32_e32 v3, v3, v15
	v_add_f32_e32 v16, v19, v17
	v_ldexp_f32 v3, v3, 1
	v_sub_f32_e32 v15, v16, v19
	v_fma_f32 v19, 0x3f317218, v2, -v20
	v_sub_f32_e32 v15, v17, v15
	v_fmamk_f32 v2, v2, 0xb102e308, v19
	v_add_f32_e32 v3, v3, v15
	v_add_f32_e32 v15, v20, v2
	;; [unrolled: 1-line block ×3, first 2 shown]
	v_sub_f32_e32 v20, v15, v20
	v_add_f32_e32 v19, v15, v17
	v_sub_f32_e32 v16, v17, v16
	v_sub_f32_e32 v2, v2, v20
	v_sub_f32_e32 v26, v19, v15
	v_sub_f32_e32 v3, v3, v16
	v_sub_f32_e32 v27, v19, v26
	v_sub_f32_e32 v16, v17, v26
	v_add_f32_e32 v17, v2, v3
	v_sub_f32_e32 v15, v15, v27
	v_add_f32_e32 v15, v16, v15
	v_sub_f32_e32 v16, v17, v2
	;; [unrolled: 2-line block ×3, first 2 shown]
	v_sub_f32_e32 v3, v3, v16
	v_add_f32_e32 v20, v19, v15
	v_sub_f32_e32 v2, v2, v17
	v_sub_f32_e32 v16, v20, v19
	v_add_f32_e32 v2, v3, v2
	v_sub_f32_e32 v3, v15, v16
	v_add_f32_e32 v2, v2, v3
	v_add_f32_e32 v2, v20, v2
	v_cndmask_b32_e32 v2, 0x7f800000, v2, vcc_lo
	v_cmp_gt_f32_e64 vcc_lo, 0x33800000, |v4|
	v_cndmask_b32_e32 v2, v2, v4, vcc_lo
	v_add_f32_e32 v2, v1, v2
.LBB446_246:
	s_or_b32 exec_lo, exec_lo, s0
	v_bfe_u32 v3, v2, 16, 1
	v_cmp_o_f32_e32 vcc_lo, v2, v2
	v_mov_b32_e32 v1, 0x7fc0
	v_add3_u32 v2, v2, v3, 0x7fff
	v_cndmask_b32_sdwa v15, v1, v2, vcc_lo dst_sel:DWORD dst_unused:UNUSED_PAD src0_sel:DWORD src1_sel:WORD_1
	v_lshlrev_b32_e32 v3, 16, v15
	v_max_f32_e32 v2, v3, v3
	v_cmp_u_f32_e32 vcc_lo, v3, v3
	v_min_f32_e32 v4, v2, v22
	v_max_f32_e32 v2, v2, v22
	v_cndmask_b32_e32 v4, v4, v3, vcc_lo
	v_cndmask_b32_e32 v2, v2, v3, vcc_lo
	v_cndmask_b32_e64 v4, v4, v18, s8
	v_cndmask_b32_e64 v2, v2, v18, s8
	v_cmp_class_f32_e64 s0, v4, 0x1f8
	v_cmp_neq_f32_e32 vcc_lo, v4, v2
	s_or_b32 s1, vcc_lo, s0
	s_and_saveexec_b32 s0, s1
	s_cbranch_execz .LBB446_248
; %bb.247:
	v_sub_f32_e32 v3, v4, v2
	s_mov_b32 s1, 0x3e9b6dac
	v_mul_f32_e32 v4, 0x3fb8aa3b, v3
	v_cmp_ngt_f32_e32 vcc_lo, 0xc2ce8ed0, v3
	v_fma_f32 v16, 0x3fb8aa3b, v3, -v4
	v_rndne_f32_e32 v17, v4
	v_fmamk_f32 v16, v3, 0x32a5705f, v16
	v_sub_f32_e32 v4, v4, v17
	v_add_f32_e32 v4, v4, v16
	v_cvt_i32_f32_e32 v16, v17
	v_exp_f32_e32 v4, v4
	v_ldexp_f32 v4, v4, v16
	v_cndmask_b32_e32 v4, 0, v4, vcc_lo
	v_cmp_nlt_f32_e32 vcc_lo, 0x42b17218, v3
	v_cndmask_b32_e32 v16, 0x7f800000, v4, vcc_lo
	v_add_f32_e32 v17, 1.0, v16
	v_cvt_f64_f32_e32 v[3:4], v17
	v_frexp_exp_i32_f64_e32 v3, v[3:4]
	v_frexp_mant_f32_e32 v4, v17
	v_cmp_gt_f32_e32 vcc_lo, 0x3f2aaaab, v4
	v_add_f32_e32 v4, -1.0, v17
	v_sub_f32_e32 v19, v4, v17
	v_sub_f32_e32 v4, v16, v4
	v_add_f32_e32 v19, 1.0, v19
	v_add_f32_e32 v4, v4, v19
	v_subrev_co_ci_u32_e64 v3, null, 0, v3, vcc_lo
	v_cmp_neq_f32_e32 vcc_lo, 0x7f800000, v16
	v_sub_nc_u32_e32 v18, 0, v3
	v_cvt_f32_i32_e32 v3, v3
	v_ldexp_f32 v17, v17, v18
	v_ldexp_f32 v4, v4, v18
	v_add_f32_e32 v20, 1.0, v17
	v_add_f32_e32 v18, -1.0, v17
	v_add_f32_e32 v19, -1.0, v20
	v_add_f32_e32 v22, 1.0, v18
	v_sub_f32_e32 v19, v17, v19
	v_sub_f32_e32 v17, v17, v22
	v_add_f32_e32 v19, v4, v19
	v_add_f32_e32 v4, v4, v17
	;; [unrolled: 1-line block ×4, first 2 shown]
	v_rcp_f32_e32 v17, v22
	v_sub_f32_e32 v20, v20, v22
	v_sub_f32_e32 v18, v18, v26
	v_add_f32_e32 v19, v19, v20
	v_add_f32_e32 v4, v4, v18
	v_mul_f32_e32 v27, v26, v17
	v_mul_f32_e32 v28, v22, v27
	v_fma_f32 v20, v27, v22, -v28
	v_fmac_f32_e32 v20, v27, v19
	v_add_f32_e32 v29, v28, v20
	v_sub_f32_e32 v30, v26, v29
	v_sub_f32_e32 v18, v29, v28
	;; [unrolled: 1-line block ×5, first 2 shown]
	v_add_f32_e32 v4, v4, v26
	v_add_f32_e32 v4, v18, v4
	;; [unrolled: 1-line block ×3, first 2 shown]
	v_mul_f32_e32 v20, v17, v18
	v_sub_f32_e32 v29, v30, v18
	v_mul_f32_e32 v26, v22, v20
	v_add_f32_e32 v4, v4, v29
	v_fma_f32 v22, v20, v22, -v26
	v_fmac_f32_e32 v22, v20, v19
	v_add_f32_e32 v19, v26, v22
	v_sub_f32_e32 v28, v18, v19
	v_sub_f32_e32 v26, v19, v26
	;; [unrolled: 1-line block ×5, first 2 shown]
	v_add_f32_e32 v4, v4, v18
	v_add_f32_e32 v18, v27, v20
	;; [unrolled: 1-line block ×3, first 2 shown]
	v_sub_f32_e32 v19, v18, v27
	v_add_f32_e32 v4, v28, v4
	v_sub_f32_e32 v19, v20, v19
	v_mul_f32_e32 v4, v17, v4
	v_add_f32_e32 v4, v19, v4
	v_add_f32_e32 v17, v18, v4
	v_mul_f32_e32 v19, v17, v17
	v_fmaak_f32 v20, s1, v19, 0x3ecc95a3
	v_mul_f32_e32 v22, v17, v19
	v_fmaak_f32 v19, v19, v20, 0x3f2aaada
	v_ldexp_f32 v20, v17, 1
	v_sub_f32_e32 v17, v17, v18
	v_mul_f32_e32 v19, v22, v19
	v_mul_f32_e32 v22, 0x3f317218, v3
	v_sub_f32_e32 v4, v4, v17
	v_add_f32_e32 v18, v20, v19
	v_ldexp_f32 v4, v4, 1
	v_sub_f32_e32 v17, v18, v20
	v_fma_f32 v20, 0x3f317218, v3, -v22
	v_sub_f32_e32 v17, v19, v17
	v_fmamk_f32 v3, v3, 0xb102e308, v20
	v_add_f32_e32 v4, v4, v17
	v_add_f32_e32 v17, v22, v3
	;; [unrolled: 1-line block ×3, first 2 shown]
	v_sub_f32_e32 v22, v17, v22
	v_add_f32_e32 v20, v17, v19
	v_sub_f32_e32 v18, v19, v18
	v_sub_f32_e32 v3, v3, v22
	;; [unrolled: 1-line block ×6, first 2 shown]
	v_add_f32_e32 v19, v3, v4
	v_sub_f32_e32 v17, v17, v27
	v_add_f32_e32 v17, v18, v17
	v_sub_f32_e32 v18, v19, v3
	;; [unrolled: 2-line block ×3, first 2 shown]
	v_sub_f32_e32 v4, v4, v18
	v_add_f32_e32 v22, v20, v17
	v_sub_f32_e32 v3, v3, v19
	v_sub_f32_e32 v18, v22, v20
	v_add_f32_e32 v3, v4, v3
	v_sub_f32_e32 v4, v17, v18
	v_add_f32_e32 v3, v3, v4
	v_add_f32_e32 v3, v22, v3
	v_cndmask_b32_e32 v3, 0x7f800000, v3, vcc_lo
	v_cmp_gt_f32_e64 vcc_lo, 0x33800000, |v16|
	v_cndmask_b32_e32 v3, v3, v16, vcc_lo
	v_add_f32_e32 v3, v2, v3
.LBB446_248:
	s_or_b32 exec_lo, exec_lo, s0
	v_bfe_u32 v2, v3, 16, 1
	v_cmp_o_f32_e32 vcc_lo, v3, v3
	v_add3_u32 v2, v3, v2, 0x7fff
	v_cndmask_b32_sdwa v16, v1, v2, vcc_lo dst_sel:DWORD dst_unused:UNUSED_PAD src0_sel:DWORD src1_sel:WORD_1
	v_lshlrev_b32_e32 v2, 16, v16
	v_max_f32_e32 v1, v2, v2
	v_cmp_u_f32_e32 vcc_lo, v2, v2
	v_min_f32_e32 v3, v1, v23
	v_max_f32_e32 v1, v1, v23
	v_cndmask_b32_e32 v3, v3, v2, vcc_lo
	v_cndmask_b32_e32 v1, v1, v2, vcc_lo
	v_cndmask_b32_e64 v3, v3, v5, s9
	v_cndmask_b32_e64 v1, v1, v5, s9
	v_cmp_class_f32_e64 s0, v3, 0x1f8
	v_cmp_neq_f32_e32 vcc_lo, v3, v1
	s_or_b32 s1, vcc_lo, s0
	s_and_saveexec_b32 s0, s1
	s_cbranch_execz .LBB446_250
; %bb.249:
	v_sub_f32_e32 v2, v3, v1
	s_mov_b32 s1, 0x3e9b6dac
	v_mul_f32_e32 v3, 0x3fb8aa3b, v2
	v_cmp_ngt_f32_e32 vcc_lo, 0xc2ce8ed0, v2
	v_fma_f32 v4, 0x3fb8aa3b, v2, -v3
	v_rndne_f32_e32 v5, v3
	v_fmamk_f32 v4, v2, 0x32a5705f, v4
	v_sub_f32_e32 v3, v3, v5
	v_add_f32_e32 v3, v3, v4
	v_cvt_i32_f32_e32 v4, v5
	v_exp_f32_e32 v3, v3
	v_ldexp_f32 v3, v3, v4
	v_cndmask_b32_e32 v3, 0, v3, vcc_lo
	v_cmp_nlt_f32_e32 vcc_lo, 0x42b17218, v2
	v_cndmask_b32_e32 v4, 0x7f800000, v3, vcc_lo
	v_add_f32_e32 v5, 1.0, v4
	v_cvt_f64_f32_e32 v[2:3], v5
	v_frexp_exp_i32_f64_e32 v2, v[2:3]
	v_frexp_mant_f32_e32 v3, v5
	v_cmp_gt_f32_e32 vcc_lo, 0x3f2aaaab, v3
	v_add_f32_e32 v3, -1.0, v5
	v_sub_f32_e32 v18, v3, v5
	v_sub_f32_e32 v3, v4, v3
	v_add_f32_e32 v18, 1.0, v18
	v_add_f32_e32 v3, v3, v18
	v_subrev_co_ci_u32_e64 v2, null, 0, v2, vcc_lo
	v_cmp_neq_f32_e32 vcc_lo, 0x7f800000, v4
	v_sub_nc_u32_e32 v17, 0, v2
	v_cvt_f32_i32_e32 v2, v2
	v_ldexp_f32 v5, v5, v17
	v_ldexp_f32 v3, v3, v17
	v_add_f32_e32 v19, 1.0, v5
	v_add_f32_e32 v17, -1.0, v5
	v_add_f32_e32 v18, -1.0, v19
	v_add_f32_e32 v20, 1.0, v17
	v_sub_f32_e32 v18, v5, v18
	v_sub_f32_e32 v5, v5, v20
	v_add_f32_e32 v18, v3, v18
	v_add_f32_e32 v3, v3, v5
	;; [unrolled: 1-line block ×4, first 2 shown]
	v_rcp_f32_e32 v5, v20
	v_sub_f32_e32 v19, v19, v20
	v_sub_f32_e32 v17, v17, v22
	v_add_f32_e32 v18, v18, v19
	v_add_f32_e32 v3, v3, v17
	v_mul_f32_e32 v23, v22, v5
	v_mul_f32_e32 v26, v20, v23
	v_fma_f32 v19, v23, v20, -v26
	v_fmac_f32_e32 v19, v23, v18
	v_add_f32_e32 v27, v26, v19
	v_sub_f32_e32 v28, v22, v27
	v_sub_f32_e32 v17, v27, v26
	;; [unrolled: 1-line block ×5, first 2 shown]
	v_add_f32_e32 v3, v3, v22
	v_add_f32_e32 v3, v17, v3
	;; [unrolled: 1-line block ×3, first 2 shown]
	v_mul_f32_e32 v19, v5, v17
	v_sub_f32_e32 v27, v28, v17
	v_mul_f32_e32 v22, v20, v19
	v_add_f32_e32 v3, v3, v27
	v_fma_f32 v20, v19, v20, -v22
	v_fmac_f32_e32 v20, v19, v18
	v_add_f32_e32 v18, v22, v20
	v_sub_f32_e32 v26, v17, v18
	v_sub_f32_e32 v22, v18, v22
	;; [unrolled: 1-line block ×5, first 2 shown]
	v_add_f32_e32 v3, v3, v17
	v_add_f32_e32 v17, v23, v19
	;; [unrolled: 1-line block ×3, first 2 shown]
	v_sub_f32_e32 v18, v17, v23
	v_add_f32_e32 v3, v26, v3
	v_sub_f32_e32 v18, v19, v18
	v_mul_f32_e32 v3, v5, v3
	v_add_f32_e32 v3, v18, v3
	v_add_f32_e32 v5, v17, v3
	v_mul_f32_e32 v18, v5, v5
	v_fmaak_f32 v19, s1, v18, 0x3ecc95a3
	v_mul_f32_e32 v20, v5, v18
	v_fmaak_f32 v18, v18, v19, 0x3f2aaada
	v_ldexp_f32 v19, v5, 1
	v_sub_f32_e32 v5, v5, v17
	v_mul_f32_e32 v18, v20, v18
	v_mul_f32_e32 v20, 0x3f317218, v2
	v_sub_f32_e32 v3, v3, v5
	v_add_f32_e32 v17, v19, v18
	v_ldexp_f32 v3, v3, 1
	v_sub_f32_e32 v5, v17, v19
	v_fma_f32 v19, 0x3f317218, v2, -v20
	v_sub_f32_e32 v5, v18, v5
	v_fmamk_f32 v2, v2, 0xb102e308, v19
	v_add_f32_e32 v3, v3, v5
	v_add_f32_e32 v5, v20, v2
	;; [unrolled: 1-line block ×3, first 2 shown]
	v_sub_f32_e32 v20, v5, v20
	v_add_f32_e32 v19, v5, v18
	v_sub_f32_e32 v17, v18, v17
	v_sub_f32_e32 v2, v2, v20
	;; [unrolled: 1-line block ×6, first 2 shown]
	v_add_f32_e32 v18, v2, v3
	v_sub_f32_e32 v5, v5, v23
	v_add_f32_e32 v5, v17, v5
	v_sub_f32_e32 v17, v18, v2
	;; [unrolled: 2-line block ×3, first 2 shown]
	v_sub_f32_e32 v3, v3, v17
	v_add_f32_e32 v20, v19, v5
	v_sub_f32_e32 v2, v2, v18
	v_sub_f32_e32 v17, v20, v19
	v_add_f32_e32 v2, v3, v2
	v_sub_f32_e32 v3, v5, v17
	v_add_f32_e32 v2, v2, v3
	v_add_f32_e32 v2, v20, v2
	v_cndmask_b32_e32 v2, 0x7f800000, v2, vcc_lo
	v_cmp_gt_f32_e64 vcc_lo, 0x33800000, |v4|
	v_cndmask_b32_e32 v2, v2, v4, vcc_lo
	v_add_f32_e32 v2, v1, v2
.LBB446_250:
	s_or_b32 exec_lo, exec_lo, s0
	v_bfe_u32 v3, v2, 16, 1
	v_cmp_o_f32_e32 vcc_lo, v2, v2
	v_mov_b32_e32 v1, 0x7fc0
	v_add3_u32 v2, v2, v3, 0x7fff
	v_cndmask_b32_sdwa v17, v1, v2, vcc_lo dst_sel:DWORD dst_unused:UNUSED_PAD src0_sel:DWORD src1_sel:WORD_1
	v_lshlrev_b32_e32 v3, 16, v17
	v_max_f32_e32 v2, v3, v3
	v_cmp_u_f32_e32 vcc_lo, v3, v3
	v_min_f32_e32 v4, v2, v24
	v_max_f32_e32 v2, v2, v24
	v_cndmask_b32_e32 v4, v4, v3, vcc_lo
	v_cndmask_b32_e32 v2, v2, v3, vcc_lo
	v_cndmask_b32_e64 v4, v4, v21, s10
	v_cndmask_b32_e64 v2, v2, v21, s10
	v_cmp_class_f32_e64 s0, v4, 0x1f8
	v_cmp_neq_f32_e32 vcc_lo, v4, v2
	s_or_b32 s1, vcc_lo, s0
	s_and_saveexec_b32 s0, s1
	s_cbranch_execz .LBB446_252
; %bb.251:
	v_sub_f32_e32 v3, v4, v2
	s_mov_b32 s1, 0x3e9b6dac
	v_mul_f32_e32 v4, 0x3fb8aa3b, v3
	v_cmp_ngt_f32_e32 vcc_lo, 0xc2ce8ed0, v3
	v_fma_f32 v5, 0x3fb8aa3b, v3, -v4
	v_rndne_f32_e32 v18, v4
	v_fmamk_f32 v5, v3, 0x32a5705f, v5
	v_sub_f32_e32 v4, v4, v18
	v_add_f32_e32 v4, v4, v5
	v_cvt_i32_f32_e32 v5, v18
	v_exp_f32_e32 v4, v4
	v_ldexp_f32 v4, v4, v5
	v_cndmask_b32_e32 v4, 0, v4, vcc_lo
	v_cmp_nlt_f32_e32 vcc_lo, 0x42b17218, v3
	v_cndmask_b32_e32 v5, 0x7f800000, v4, vcc_lo
	v_add_f32_e32 v18, 1.0, v5
	v_cvt_f64_f32_e32 v[3:4], v18
	v_frexp_exp_i32_f64_e32 v3, v[3:4]
	v_frexp_mant_f32_e32 v4, v18
	v_cmp_gt_f32_e32 vcc_lo, 0x3f2aaaab, v4
	v_add_f32_e32 v4, -1.0, v18
	v_sub_f32_e32 v20, v4, v18
	v_sub_f32_e32 v4, v5, v4
	v_add_f32_e32 v20, 1.0, v20
	v_add_f32_e32 v4, v4, v20
	v_subrev_co_ci_u32_e64 v3, null, 0, v3, vcc_lo
	v_cmp_neq_f32_e32 vcc_lo, 0x7f800000, v5
	v_sub_nc_u32_e32 v19, 0, v3
	v_cvt_f32_i32_e32 v3, v3
	v_ldexp_f32 v18, v18, v19
	v_ldexp_f32 v4, v4, v19
	v_add_f32_e32 v21, 1.0, v18
	v_add_f32_e32 v19, -1.0, v18
	v_add_f32_e32 v20, -1.0, v21
	v_add_f32_e32 v22, 1.0, v19
	v_sub_f32_e32 v20, v18, v20
	v_sub_f32_e32 v18, v18, v22
	v_add_f32_e32 v20, v4, v20
	v_add_f32_e32 v4, v4, v18
	;; [unrolled: 1-line block ×4, first 2 shown]
	v_rcp_f32_e32 v18, v22
	v_sub_f32_e32 v21, v21, v22
	v_sub_f32_e32 v19, v19, v23
	v_add_f32_e32 v20, v20, v21
	v_add_f32_e32 v4, v4, v19
	v_mul_f32_e32 v24, v23, v18
	v_mul_f32_e32 v26, v22, v24
	v_fma_f32 v21, v24, v22, -v26
	v_fmac_f32_e32 v21, v24, v20
	v_add_f32_e32 v27, v26, v21
	v_sub_f32_e32 v28, v23, v27
	v_sub_f32_e32 v19, v27, v26
	;; [unrolled: 1-line block ×5, first 2 shown]
	v_add_f32_e32 v4, v4, v23
	v_add_f32_e32 v4, v19, v4
	;; [unrolled: 1-line block ×3, first 2 shown]
	v_mul_f32_e32 v21, v18, v19
	v_sub_f32_e32 v27, v28, v19
	v_mul_f32_e32 v23, v22, v21
	v_add_f32_e32 v4, v4, v27
	v_fma_f32 v22, v21, v22, -v23
	v_fmac_f32_e32 v22, v21, v20
	v_add_f32_e32 v20, v23, v22
	v_sub_f32_e32 v26, v19, v20
	v_sub_f32_e32 v23, v20, v23
	;; [unrolled: 1-line block ×5, first 2 shown]
	v_add_f32_e32 v4, v4, v19
	v_add_f32_e32 v19, v24, v21
	;; [unrolled: 1-line block ×3, first 2 shown]
	v_sub_f32_e32 v20, v19, v24
	v_add_f32_e32 v4, v26, v4
	v_sub_f32_e32 v20, v21, v20
	v_mul_f32_e32 v4, v18, v4
	v_add_f32_e32 v4, v20, v4
	v_add_f32_e32 v18, v19, v4
	v_mul_f32_e32 v20, v18, v18
	v_fmaak_f32 v21, s1, v20, 0x3ecc95a3
	v_mul_f32_e32 v22, v18, v20
	v_fmaak_f32 v20, v20, v21, 0x3f2aaada
	v_ldexp_f32 v21, v18, 1
	v_sub_f32_e32 v18, v18, v19
	v_mul_f32_e32 v20, v22, v20
	v_mul_f32_e32 v22, 0x3f317218, v3
	v_sub_f32_e32 v4, v4, v18
	v_add_f32_e32 v19, v21, v20
	v_ldexp_f32 v4, v4, 1
	v_sub_f32_e32 v18, v19, v21
	v_fma_f32 v21, 0x3f317218, v3, -v22
	v_sub_f32_e32 v18, v20, v18
	v_fmamk_f32 v3, v3, 0xb102e308, v21
	v_add_f32_e32 v4, v4, v18
	v_add_f32_e32 v18, v22, v3
	;; [unrolled: 1-line block ×3, first 2 shown]
	v_sub_f32_e32 v22, v18, v22
	v_add_f32_e32 v21, v18, v20
	v_sub_f32_e32 v19, v20, v19
	v_sub_f32_e32 v3, v3, v22
	;; [unrolled: 1-line block ×6, first 2 shown]
	v_add_f32_e32 v20, v3, v4
	v_sub_f32_e32 v18, v18, v24
	v_add_f32_e32 v18, v19, v18
	v_sub_f32_e32 v19, v20, v3
	;; [unrolled: 2-line block ×3, first 2 shown]
	v_sub_f32_e32 v4, v4, v19
	v_add_f32_e32 v22, v21, v18
	v_sub_f32_e32 v3, v3, v20
	v_sub_f32_e32 v19, v22, v21
	v_add_f32_e32 v3, v4, v3
	v_sub_f32_e32 v4, v18, v19
	v_add_f32_e32 v3, v3, v4
	v_add_f32_e32 v3, v22, v3
	v_cndmask_b32_e32 v3, 0x7f800000, v3, vcc_lo
	v_cmp_gt_f32_e64 vcc_lo, 0x33800000, |v5|
	v_cndmask_b32_e32 v3, v3, v5, vcc_lo
	v_add_f32_e32 v3, v2, v3
.LBB446_252:
	s_or_b32 exec_lo, exec_lo, s0
	v_bfe_u32 v2, v3, 16, 1
	v_cmp_o_f32_e32 vcc_lo, v3, v3
	v_add3_u32 v2, v3, v2, 0x7fff
	v_cndmask_b32_sdwa v18, v1, v2, vcc_lo dst_sel:DWORD dst_unused:UNUSED_PAD src0_sel:DWORD src1_sel:WORD_1
	v_lshlrev_b32_e32 v2, 16, v18
	v_max_f32_e32 v1, v2, v2
	v_cmp_u_f32_e32 vcc_lo, v2, v2
	v_min_f32_e32 v3, v1, v25
	v_max_f32_e32 v1, v1, v25
	v_cndmask_b32_e32 v3, v3, v2, vcc_lo
	v_cndmask_b32_e32 v1, v1, v2, vcc_lo
	v_cndmask_b32_e64 v3, v3, v6, s11
	v_cndmask_b32_e64 v1, v1, v6, s11
	v_cmp_class_f32_e64 s0, v3, 0x1f8
	v_cmp_neq_f32_e32 vcc_lo, v3, v1
	s_or_b32 s1, vcc_lo, s0
	s_and_saveexec_b32 s0, s1
	s_cbranch_execz .LBB446_254
; %bb.253:
	v_sub_f32_e32 v2, v3, v1
	s_mov_b32 s1, 0x3e9b6dac
	v_mul_f32_e32 v3, 0x3fb8aa3b, v2
	v_cmp_ngt_f32_e32 vcc_lo, 0xc2ce8ed0, v2
	v_fma_f32 v4, 0x3fb8aa3b, v2, -v3
	v_rndne_f32_e32 v5, v3
	v_fmamk_f32 v4, v2, 0x32a5705f, v4
	v_sub_f32_e32 v3, v3, v5
	v_add_f32_e32 v3, v3, v4
	v_cvt_i32_f32_e32 v4, v5
	v_exp_f32_e32 v3, v3
	v_ldexp_f32 v3, v3, v4
	v_cndmask_b32_e32 v3, 0, v3, vcc_lo
	v_cmp_nlt_f32_e32 vcc_lo, 0x42b17218, v2
	v_cndmask_b32_e32 v4, 0x7f800000, v3, vcc_lo
	v_add_f32_e32 v5, 1.0, v4
	v_cvt_f64_f32_e32 v[2:3], v5
	v_frexp_exp_i32_f64_e32 v2, v[2:3]
	v_frexp_mant_f32_e32 v3, v5
	v_cmp_gt_f32_e32 vcc_lo, 0x3f2aaaab, v3
	v_add_f32_e32 v3, -1.0, v5
	v_sub_f32_e32 v19, v3, v5
	v_sub_f32_e32 v3, v4, v3
	v_add_f32_e32 v19, 1.0, v19
	v_add_f32_e32 v3, v3, v19
	v_subrev_co_ci_u32_e64 v2, null, 0, v2, vcc_lo
	v_cmp_neq_f32_e32 vcc_lo, 0x7f800000, v4
	v_sub_nc_u32_e32 v6, 0, v2
	v_cvt_f32_i32_e32 v2, v2
	v_ldexp_f32 v5, v5, v6
	v_ldexp_f32 v3, v3, v6
	v_add_f32_e32 v20, 1.0, v5
	v_add_f32_e32 v6, -1.0, v5
	v_add_f32_e32 v19, -1.0, v20
	v_add_f32_e32 v21, 1.0, v6
	v_sub_f32_e32 v19, v5, v19
	v_sub_f32_e32 v5, v5, v21
	v_add_f32_e32 v19, v3, v19
	v_add_f32_e32 v3, v3, v5
	;; [unrolled: 1-line block ×4, first 2 shown]
	v_rcp_f32_e32 v5, v21
	v_sub_f32_e32 v20, v20, v21
	v_sub_f32_e32 v6, v6, v22
	v_add_f32_e32 v19, v19, v20
	v_add_f32_e32 v3, v3, v6
	v_mul_f32_e32 v23, v22, v5
	v_mul_f32_e32 v24, v21, v23
	v_fma_f32 v20, v23, v21, -v24
	v_fmac_f32_e32 v20, v23, v19
	v_add_f32_e32 v25, v24, v20
	v_sub_f32_e32 v26, v22, v25
	v_sub_f32_e32 v6, v25, v24
	;; [unrolled: 1-line block ×5, first 2 shown]
	v_add_f32_e32 v3, v3, v22
	v_add_f32_e32 v3, v6, v3
	;; [unrolled: 1-line block ×3, first 2 shown]
	v_mul_f32_e32 v20, v5, v6
	v_sub_f32_e32 v25, v26, v6
	v_mul_f32_e32 v22, v21, v20
	v_add_f32_e32 v3, v3, v25
	v_fma_f32 v21, v20, v21, -v22
	v_fmac_f32_e32 v21, v20, v19
	v_add_f32_e32 v19, v22, v21
	v_sub_f32_e32 v24, v6, v19
	v_sub_f32_e32 v22, v19, v22
	;; [unrolled: 1-line block ×5, first 2 shown]
	v_add_f32_e32 v3, v3, v6
	v_add_f32_e32 v6, v23, v20
	;; [unrolled: 1-line block ×3, first 2 shown]
	v_sub_f32_e32 v19, v6, v23
	v_add_f32_e32 v3, v24, v3
	v_sub_f32_e32 v19, v20, v19
	v_mul_f32_e32 v3, v5, v3
	v_add_f32_e32 v3, v19, v3
	v_add_f32_e32 v5, v6, v3
	v_mul_f32_e32 v19, v5, v5
	v_fmaak_f32 v20, s1, v19, 0x3ecc95a3
	v_mul_f32_e32 v21, v5, v19
	v_fmaak_f32 v19, v19, v20, 0x3f2aaada
	v_ldexp_f32 v20, v5, 1
	v_sub_f32_e32 v5, v5, v6
	v_mul_f32_e32 v19, v21, v19
	v_mul_f32_e32 v21, 0x3f317218, v2
	v_sub_f32_e32 v3, v3, v5
	v_add_f32_e32 v6, v20, v19
	v_ldexp_f32 v3, v3, 1
	v_sub_f32_e32 v5, v6, v20
	v_fma_f32 v20, 0x3f317218, v2, -v21
	v_sub_f32_e32 v5, v19, v5
	v_fmamk_f32 v2, v2, 0xb102e308, v20
	v_add_f32_e32 v3, v3, v5
	v_add_f32_e32 v5, v21, v2
	;; [unrolled: 1-line block ×3, first 2 shown]
	v_sub_f32_e32 v21, v5, v21
	v_add_f32_e32 v20, v5, v19
	v_sub_f32_e32 v6, v19, v6
	v_sub_f32_e32 v2, v2, v21
	;; [unrolled: 1-line block ×6, first 2 shown]
	v_add_f32_e32 v19, v2, v3
	v_sub_f32_e32 v5, v5, v23
	v_add_f32_e32 v5, v6, v5
	v_sub_f32_e32 v6, v19, v2
	;; [unrolled: 2-line block ×3, first 2 shown]
	v_sub_f32_e32 v3, v3, v6
	v_add_f32_e32 v21, v20, v5
	v_sub_f32_e32 v2, v2, v19
	v_sub_f32_e32 v6, v21, v20
	v_add_f32_e32 v2, v3, v2
	v_sub_f32_e32 v3, v5, v6
	v_add_f32_e32 v2, v2, v3
	v_add_f32_e32 v2, v21, v2
	v_cndmask_b32_e32 v2, 0x7f800000, v2, vcc_lo
	v_cmp_gt_f32_e64 vcc_lo, 0x33800000, |v4|
	v_cndmask_b32_e32 v2, v2, v4, vcc_lo
	v_add_f32_e32 v2, v1, v2
.LBB446_254:
	s_or_b32 exec_lo, exec_lo, s0
	v_bfe_u32 v1, v2, 16, 1
	v_cmp_o_f32_e32 vcc_lo, v2, v2
	v_mov_b32_e32 v3, 0x7fc0
	s_mov_b32 s0, exec_lo
	v_add3_u32 v1, v2, v1, 0x7fff
	v_cndmask_b32_sdwa v19, v3, v1, vcc_lo dst_sel:DWORD dst_unused:UNUSED_PAD src0_sel:DWORD src1_sel:WORD_1
	v_cmpx_eq_u32_e32 63, v0
	s_cbranch_execz .LBB446_256
; %bb.255:
	v_mov_b32_e32 v1, 0x20000
	v_mov_b32_e32 v2, 0
	v_or_b32_sdwa v1, v19, v1 dst_sel:DWORD dst_unused:UNUSED_PAD src0_sel:WORD_0 src1_sel:DWORD
	global_store_dword v2, v1, s[34:35] offset:128
.LBB446_256:
	s_or_b32 exec_lo, exec_lo, s0
.LBB446_257:
	s_add_u32 s0, s20, s18
	v_perm_b32 v2, v15, v14, 0x5040100
	v_perm_b32 v1, v11, v9, 0x5040100
	;; [unrolled: 1-line block ×6, first 2 shown]
	s_addc_u32 s1, s21, s19
	s_add_u32 s0, s0, s22
	s_addc_u32 s1, s1, s23
	s_and_b32 vcc_lo, exec_lo, s37
	s_mov_b32 s2, -1
	s_waitcnt lgkmcnt(0)
	s_waitcnt_vscnt null, 0x0
	s_barrier
	buffer_gl0_inv
	s_cbranch_vccz .LBB446_259
; %bb.258:
	ds_write2_b64 v13, v[5:6], v[1:2] offset1:1
	ds_write_b64 v13, v[3:4] offset:16
	s_waitcnt lgkmcnt(0)
	s_barrier
	buffer_gl0_inv
	ds_read_u16 v7, v12
	ds_read_u16 v8, v12 offset:128
	ds_read_u16 v9, v12 offset:256
	;; [unrolled: 1-line block ×11, first 2 shown]
	s_mov_b32 s2, 0
	s_waitcnt lgkmcnt(11)
	global_store_short v12, v7, s[0:1]
	s_waitcnt lgkmcnt(10)
	global_store_short v12, v8, s[0:1] offset:128
	s_waitcnt lgkmcnt(9)
	global_store_short v12, v9, s[0:1] offset:256
	;; [unrolled: 2-line block ×11, first 2 shown]
.LBB446_259:
	s_andn2_b32 vcc_lo, exec_lo, s2
	s_cbranch_vccnz .LBB446_327
; %bb.260:
	ds_write2_b64 v13, v[5:6], v[1:2] offset1:1
	ds_write_b64 v13, v[3:4] offset:16
	s_waitcnt lgkmcnt(0)
	s_waitcnt_vscnt null, 0x0
	s_barrier
	buffer_gl0_inv
	ds_read_u16 v5, v12
	ds_read_u16 v4, v12 offset:128
	ds_read_u16 v6, v12 offset:256
	;; [unrolled: 1-line block ×11, first 2 shown]
	v_add_co_u32 v2, s0, s0, v12
	v_mov_b32_e32 v1, 0
	v_add_co_ci_u32_e64 v3, null, s1, 0, s0
	s_mov_b32 s0, exec_lo
	v_cmpx_gt_u32_e64 s33, v0
	s_cbranch_execz .LBB446_262
; %bb.261:
	s_waitcnt lgkmcnt(11)
	global_store_short v[2:3], v5, off
.LBB446_262:
	s_or_b32 exec_lo, exec_lo, s0
	v_or_b32_e32 v12, 64, v0
	s_mov_b32 s0, exec_lo
	v_cmpx_gt_u32_e64 s33, v12
	s_cbranch_execz .LBB446_264
; %bb.263:
	s_waitcnt lgkmcnt(10)
	global_store_short v[2:3], v4, off offset:128
.LBB446_264:
	s_or_b32 exec_lo, exec_lo, s0
	v_or_b32_e32 v12, 0x80, v0
	s_mov_b32 s0, exec_lo
	v_cmpx_gt_u32_e64 s33, v12
	s_cbranch_execz .LBB446_266
; %bb.265:
	s_waitcnt lgkmcnt(9)
	global_store_short v[2:3], v6, off offset:256
.LBB446_266:
	;; [unrolled: 9-line block ×11, first 2 shown]
	s_or_b32 exec_lo, exec_lo, s0
	v_cmp_lt_u64_e64 s0, s[30:31], 2
	s_and_b32 vcc_lo, exec_lo, s0
	s_cbranch_vccnz .LBB446_327
; %bb.285:
	s_add_u32 s0, s33, -1
	s_addc_u32 s1, s36, -1
	s_mul_hi_u32 s5, s0, 0xaaaaaaab
	s_mul_i32 s4, s1, 0xaaaaaaab
	s_mul_hi_u32 s6, s1, 0xaaaaaaab
	s_mul_i32 s3, s0, 0xaaaaaaaa
	s_add_u32 s4, s4, s5
	s_mul_hi_u32 s2, s0, 0xaaaaaaaa
	s_addc_u32 s5, s6, 0
	s_add_u32 s3, s3, s4
	s_addc_u32 s2, s2, 0
	s_mul_i32 s4, s1, 0xaaaaaaaa
	s_add_u32 s2, s5, s2
	s_addc_u32 s3, 0, 0
	s_mul_hi_u32 s5, s1, 0xaaaaaaaa
	s_add_u32 s2, s4, s2
	s_addc_u32 s3, s5, s3
	s_lshr_b64 s[2:3], s[2:3], 3
	v_cmp_eq_u64_e32 vcc_lo, s[2:3], v[0:1]
	s_and_saveexec_b32 s2, vcc_lo
	s_cbranch_execz .LBB446_327
; %bb.286:
	v_mul_u32_u24_e32 v1, 12, v0
	v_mul_hi_u32_u24_e32 v2, 12, v0
	v_sub_co_u32 v0, vcc_lo, s0, v1
	v_sub_co_ci_u32_e64 v1, null, s1, v2, vcc_lo
	s_mov_b32 s0, exec_lo
	v_cmpx_lt_i64_e32 5, v[0:1]
	s_xor_b32 s0, exec_lo, s0
	s_cbranch_execz .LBB446_308
; %bb.287:
	s_mov_b32 s1, exec_lo
	v_cmpx_lt_i64_e32 8, v[0:1]
	s_xor_b32 s1, exec_lo, s1
	s_cbranch_execz .LBB446_297
; %bb.288:
	s_mov_b32 s2, exec_lo
	v_cmpx_lt_i64_e32 9, v[0:1]
	s_xor_b32 s2, exec_lo, s2
	s_cbranch_execz .LBB446_294
; %bb.289:
	s_mov_b32 s3, exec_lo
	v_cmpx_lt_i64_e32 10, v[0:1]
	s_xor_b32 s3, exec_lo, s3
	s_cbranch_execz .LBB446_291
; %bb.290:
	v_mov_b32_e32 v0, 0
                                        ; implicit-def: $vgpr14
	s_waitcnt lgkmcnt(0)
	global_store_short v0, v16, s[26:27]
.LBB446_291:
	s_andn2_saveexec_b32 s3, s3
	s_cbranch_execz .LBB446_293
; %bb.292:
	v_mov_b32_e32 v0, 0
	s_waitcnt lgkmcnt(1)
	global_store_short v0, v14, s[26:27]
.LBB446_293:
	s_or_b32 exec_lo, exec_lo, s3
                                        ; implicit-def: $vgpr15
.LBB446_294:
	s_andn2_saveexec_b32 s2, s2
	s_cbranch_execz .LBB446_296
; %bb.295:
	v_mov_b32_e32 v0, 0
	s_waitcnt lgkmcnt(2)
	global_store_short v0, v15, s[26:27]
.LBB446_296:
	s_or_b32 exec_lo, exec_lo, s2
                                        ; implicit-def: $vgpr11
                                        ; implicit-def: $vgpr0_vgpr1
                                        ; implicit-def: $vgpr9
                                        ; implicit-def: $vgpr13
.LBB446_297:
	s_andn2_saveexec_b32 s1, s1
	s_cbranch_execz .LBB446_307
; %bb.298:
	s_mov_b32 s2, exec_lo
	v_cmpx_lt_i64_e32 6, v[0:1]
	s_xor_b32 s2, exec_lo, s2
	s_cbranch_execz .LBB446_304
; %bb.299:
	s_mov_b32 s3, exec_lo
	v_cmpx_lt_i64_e32 7, v[0:1]
	s_xor_b32 s3, exec_lo, s3
	s_cbranch_execz .LBB446_301
; %bb.300:
	v_mov_b32_e32 v0, 0
                                        ; implicit-def: $vgpr9
	s_waitcnt lgkmcnt(3)
	global_store_short v0, v13, s[26:27]
.LBB446_301:
	s_andn2_saveexec_b32 s3, s3
	s_cbranch_execz .LBB446_303
; %bb.302:
	v_mov_b32_e32 v0, 0
	s_waitcnt lgkmcnt(4)
	global_store_short v0, v9, s[26:27]
.LBB446_303:
	s_or_b32 exec_lo, exec_lo, s3
                                        ; implicit-def: $vgpr11
.LBB446_304:
	s_andn2_saveexec_b32 s2, s2
	s_cbranch_execz .LBB446_306
; %bb.305:
	v_mov_b32_e32 v0, 0
	s_waitcnt lgkmcnt(5)
	global_store_short v0, v11, s[26:27]
.LBB446_306:
	s_or_b32 exec_lo, exec_lo, s2
.LBB446_307:
	s_or_b32 exec_lo, exec_lo, s1
                                        ; implicit-def: $vgpr0_vgpr1
                                        ; implicit-def: $vgpr8
                                        ; implicit-def: $vgpr6
                                        ; implicit-def: $vgpr4
                                        ; implicit-def: $vgpr5
                                        ; implicit-def: $vgpr7
                                        ; implicit-def: $vgpr10
.LBB446_308:
	s_andn2_saveexec_b32 s0, s0
	s_cbranch_execz .LBB446_327
; %bb.309:
	s_mov_b32 s0, exec_lo
	v_cmpx_lt_i64_e32 2, v[0:1]
	s_xor_b32 s0, exec_lo, s0
	s_cbranch_execz .LBB446_319
; %bb.310:
	s_mov_b32 s1, exec_lo
	v_cmpx_lt_i64_e32 3, v[0:1]
	s_xor_b32 s1, exec_lo, s1
	;; [unrolled: 5-line block ×3, first 2 shown]
	s_cbranch_execz .LBB446_313
; %bb.312:
	v_mov_b32_e32 v0, 0
                                        ; implicit-def: $vgpr7
	s_waitcnt lgkmcnt(6)
	global_store_short v0, v10, s[26:27]
.LBB446_313:
	s_andn2_saveexec_b32 s2, s2
	s_cbranch_execz .LBB446_315
; %bb.314:
	v_mov_b32_e32 v0, 0
	s_waitcnt lgkmcnt(7)
	global_store_short v0, v7, s[26:27]
.LBB446_315:
	s_or_b32 exec_lo, exec_lo, s2
                                        ; implicit-def: $vgpr8
.LBB446_316:
	s_andn2_saveexec_b32 s1, s1
	s_cbranch_execz .LBB446_318
; %bb.317:
	v_mov_b32_e32 v0, 0
	s_waitcnt lgkmcnt(8)
	global_store_short v0, v8, s[26:27]
.LBB446_318:
	s_or_b32 exec_lo, exec_lo, s1
                                        ; implicit-def: $vgpr0_vgpr1
                                        ; implicit-def: $vgpr6
                                        ; implicit-def: $vgpr4
                                        ; implicit-def: $vgpr5
.LBB446_319:
	s_andn2_saveexec_b32 s0, s0
	s_cbranch_execz .LBB446_327
; %bb.320:
	s_mov_b32 s0, exec_lo
	v_cmpx_lt_i64_e32 1, v[0:1]
	s_xor_b32 s0, exec_lo, s0
	s_cbranch_execz .LBB446_322
; %bb.321:
	v_mov_b32_e32 v0, 0
                                        ; implicit-def: $vgpr4
                                        ; implicit-def: $vgpr5
	s_waitcnt lgkmcnt(9)
	global_store_short v0, v6, s[26:27]
                                        ; implicit-def: $vgpr0_vgpr1
.LBB446_322:
	s_andn2_saveexec_b32 s0, s0
	s_cbranch_execz .LBB446_327
; %bb.323:
	s_mov_b32 s0, exec_lo
	v_cmpx_ne_u64_e32 1, v[0:1]
	s_xor_b32 s0, exec_lo, s0
	s_cbranch_execz .LBB446_325
; %bb.324:
	v_mov_b32_e32 v0, 0
                                        ; implicit-def: $vgpr4
	s_waitcnt lgkmcnt(11)
	global_store_short v0, v5, s[26:27]
.LBB446_325:
	s_andn2_saveexec_b32 s0, s0
	s_cbranch_execz .LBB446_327
; %bb.326:
	v_mov_b32_e32 v0, 0
	s_waitcnt lgkmcnt(10)
	global_store_short v0, v4, s[26:27]
.LBB446_327:
	s_endpgm
	.section	.rodata,"a",@progbits
	.p2align	6, 0x0
	.amdhsa_kernel _ZN7rocprim17ROCPRIM_400000_NS6detail17trampoline_kernelINS0_14default_configENS1_20scan_config_selectorIN3c108BFloat16EEEZZNS1_9scan_implILNS1_25lookback_scan_determinismE0ELb0ELb0ES3_PKS6_PS6_S6_ZZZN2at6native31launch_logcumsumexp_cuda_kernelERKNSD_10TensorBaseESH_lENKUlvE_clEvENKUlvE4_clEvEUlS6_S6_E_S6_EEDaPvRmT3_T4_T5_mT6_P12ihipStream_tbENKUlT_T0_E_clISt17integral_constantIbLb0EESY_EEDaST_SU_EUlST_E_NS1_11comp_targetILNS1_3genE8ELNS1_11target_archE1030ELNS1_3gpuE2ELNS1_3repE0EEENS1_30default_config_static_selectorELNS0_4arch9wavefront6targetE0EEEvT1_
		.amdhsa_group_segment_fixed_size 1536
		.amdhsa_private_segment_fixed_size 0
		.amdhsa_kernarg_size 96
		.amdhsa_user_sgpr_count 6
		.amdhsa_user_sgpr_private_segment_buffer 1
		.amdhsa_user_sgpr_dispatch_ptr 0
		.amdhsa_user_sgpr_queue_ptr 0
		.amdhsa_user_sgpr_kernarg_segment_ptr 1
		.amdhsa_user_sgpr_dispatch_id 0
		.amdhsa_user_sgpr_flat_scratch_init 0
		.amdhsa_user_sgpr_private_segment_size 0
		.amdhsa_wavefront_size32 1
		.amdhsa_uses_dynamic_stack 0
		.amdhsa_system_sgpr_private_segment_wavefront_offset 0
		.amdhsa_system_sgpr_workgroup_id_x 1
		.amdhsa_system_sgpr_workgroup_id_y 0
		.amdhsa_system_sgpr_workgroup_id_z 0
		.amdhsa_system_sgpr_workgroup_info 0
		.amdhsa_system_vgpr_workitem_id 0
		.amdhsa_next_free_vgpr 67
		.amdhsa_next_free_sgpr 38
		.amdhsa_reserve_vcc 1
		.amdhsa_reserve_flat_scratch 0
		.amdhsa_float_round_mode_32 0
		.amdhsa_float_round_mode_16_64 0
		.amdhsa_float_denorm_mode_32 3
		.amdhsa_float_denorm_mode_16_64 3
		.amdhsa_dx10_clamp 1
		.amdhsa_ieee_mode 1
		.amdhsa_fp16_overflow 0
		.amdhsa_workgroup_processor_mode 1
		.amdhsa_memory_ordered 1
		.amdhsa_forward_progress 1
		.amdhsa_shared_vgpr_count 0
		.amdhsa_exception_fp_ieee_invalid_op 0
		.amdhsa_exception_fp_denorm_src 0
		.amdhsa_exception_fp_ieee_div_zero 0
		.amdhsa_exception_fp_ieee_overflow 0
		.amdhsa_exception_fp_ieee_underflow 0
		.amdhsa_exception_fp_ieee_inexact 0
		.amdhsa_exception_int_div_zero 0
	.end_amdhsa_kernel
	.section	.text._ZN7rocprim17ROCPRIM_400000_NS6detail17trampoline_kernelINS0_14default_configENS1_20scan_config_selectorIN3c108BFloat16EEEZZNS1_9scan_implILNS1_25lookback_scan_determinismE0ELb0ELb0ES3_PKS6_PS6_S6_ZZZN2at6native31launch_logcumsumexp_cuda_kernelERKNSD_10TensorBaseESH_lENKUlvE_clEvENKUlvE4_clEvEUlS6_S6_E_S6_EEDaPvRmT3_T4_T5_mT6_P12ihipStream_tbENKUlT_T0_E_clISt17integral_constantIbLb0EESY_EEDaST_SU_EUlST_E_NS1_11comp_targetILNS1_3genE8ELNS1_11target_archE1030ELNS1_3gpuE2ELNS1_3repE0EEENS1_30default_config_static_selectorELNS0_4arch9wavefront6targetE0EEEvT1_,"axG",@progbits,_ZN7rocprim17ROCPRIM_400000_NS6detail17trampoline_kernelINS0_14default_configENS1_20scan_config_selectorIN3c108BFloat16EEEZZNS1_9scan_implILNS1_25lookback_scan_determinismE0ELb0ELb0ES3_PKS6_PS6_S6_ZZZN2at6native31launch_logcumsumexp_cuda_kernelERKNSD_10TensorBaseESH_lENKUlvE_clEvENKUlvE4_clEvEUlS6_S6_E_S6_EEDaPvRmT3_T4_T5_mT6_P12ihipStream_tbENKUlT_T0_E_clISt17integral_constantIbLb0EESY_EEDaST_SU_EUlST_E_NS1_11comp_targetILNS1_3genE8ELNS1_11target_archE1030ELNS1_3gpuE2ELNS1_3repE0EEENS1_30default_config_static_selectorELNS0_4arch9wavefront6targetE0EEEvT1_,comdat
.Lfunc_end446:
	.size	_ZN7rocprim17ROCPRIM_400000_NS6detail17trampoline_kernelINS0_14default_configENS1_20scan_config_selectorIN3c108BFloat16EEEZZNS1_9scan_implILNS1_25lookback_scan_determinismE0ELb0ELb0ES3_PKS6_PS6_S6_ZZZN2at6native31launch_logcumsumexp_cuda_kernelERKNSD_10TensorBaseESH_lENKUlvE_clEvENKUlvE4_clEvEUlS6_S6_E_S6_EEDaPvRmT3_T4_T5_mT6_P12ihipStream_tbENKUlT_T0_E_clISt17integral_constantIbLb0EESY_EEDaST_SU_EUlST_E_NS1_11comp_targetILNS1_3genE8ELNS1_11target_archE1030ELNS1_3gpuE2ELNS1_3repE0EEENS1_30default_config_static_selectorELNS0_4arch9wavefront6targetE0EEEvT1_, .Lfunc_end446-_ZN7rocprim17ROCPRIM_400000_NS6detail17trampoline_kernelINS0_14default_configENS1_20scan_config_selectorIN3c108BFloat16EEEZZNS1_9scan_implILNS1_25lookback_scan_determinismE0ELb0ELb0ES3_PKS6_PS6_S6_ZZZN2at6native31launch_logcumsumexp_cuda_kernelERKNSD_10TensorBaseESH_lENKUlvE_clEvENKUlvE4_clEvEUlS6_S6_E_S6_EEDaPvRmT3_T4_T5_mT6_P12ihipStream_tbENKUlT_T0_E_clISt17integral_constantIbLb0EESY_EEDaST_SU_EUlST_E_NS1_11comp_targetILNS1_3genE8ELNS1_11target_archE1030ELNS1_3gpuE2ELNS1_3repE0EEENS1_30default_config_static_selectorELNS0_4arch9wavefront6targetE0EEEvT1_
                                        ; -- End function
	.set _ZN7rocprim17ROCPRIM_400000_NS6detail17trampoline_kernelINS0_14default_configENS1_20scan_config_selectorIN3c108BFloat16EEEZZNS1_9scan_implILNS1_25lookback_scan_determinismE0ELb0ELb0ES3_PKS6_PS6_S6_ZZZN2at6native31launch_logcumsumexp_cuda_kernelERKNSD_10TensorBaseESH_lENKUlvE_clEvENKUlvE4_clEvEUlS6_S6_E_S6_EEDaPvRmT3_T4_T5_mT6_P12ihipStream_tbENKUlT_T0_E_clISt17integral_constantIbLb0EESY_EEDaST_SU_EUlST_E_NS1_11comp_targetILNS1_3genE8ELNS1_11target_archE1030ELNS1_3gpuE2ELNS1_3repE0EEENS1_30default_config_static_selectorELNS0_4arch9wavefront6targetE0EEEvT1_.num_vgpr, 67
	.set _ZN7rocprim17ROCPRIM_400000_NS6detail17trampoline_kernelINS0_14default_configENS1_20scan_config_selectorIN3c108BFloat16EEEZZNS1_9scan_implILNS1_25lookback_scan_determinismE0ELb0ELb0ES3_PKS6_PS6_S6_ZZZN2at6native31launch_logcumsumexp_cuda_kernelERKNSD_10TensorBaseESH_lENKUlvE_clEvENKUlvE4_clEvEUlS6_S6_E_S6_EEDaPvRmT3_T4_T5_mT6_P12ihipStream_tbENKUlT_T0_E_clISt17integral_constantIbLb0EESY_EEDaST_SU_EUlST_E_NS1_11comp_targetILNS1_3genE8ELNS1_11target_archE1030ELNS1_3gpuE2ELNS1_3repE0EEENS1_30default_config_static_selectorELNS0_4arch9wavefront6targetE0EEEvT1_.num_agpr, 0
	.set _ZN7rocprim17ROCPRIM_400000_NS6detail17trampoline_kernelINS0_14default_configENS1_20scan_config_selectorIN3c108BFloat16EEEZZNS1_9scan_implILNS1_25lookback_scan_determinismE0ELb0ELb0ES3_PKS6_PS6_S6_ZZZN2at6native31launch_logcumsumexp_cuda_kernelERKNSD_10TensorBaseESH_lENKUlvE_clEvENKUlvE4_clEvEUlS6_S6_E_S6_EEDaPvRmT3_T4_T5_mT6_P12ihipStream_tbENKUlT_T0_E_clISt17integral_constantIbLb0EESY_EEDaST_SU_EUlST_E_NS1_11comp_targetILNS1_3genE8ELNS1_11target_archE1030ELNS1_3gpuE2ELNS1_3repE0EEENS1_30default_config_static_selectorELNS0_4arch9wavefront6targetE0EEEvT1_.numbered_sgpr, 38
	.set _ZN7rocprim17ROCPRIM_400000_NS6detail17trampoline_kernelINS0_14default_configENS1_20scan_config_selectorIN3c108BFloat16EEEZZNS1_9scan_implILNS1_25lookback_scan_determinismE0ELb0ELb0ES3_PKS6_PS6_S6_ZZZN2at6native31launch_logcumsumexp_cuda_kernelERKNSD_10TensorBaseESH_lENKUlvE_clEvENKUlvE4_clEvEUlS6_S6_E_S6_EEDaPvRmT3_T4_T5_mT6_P12ihipStream_tbENKUlT_T0_E_clISt17integral_constantIbLb0EESY_EEDaST_SU_EUlST_E_NS1_11comp_targetILNS1_3genE8ELNS1_11target_archE1030ELNS1_3gpuE2ELNS1_3repE0EEENS1_30default_config_static_selectorELNS0_4arch9wavefront6targetE0EEEvT1_.num_named_barrier, 0
	.set _ZN7rocprim17ROCPRIM_400000_NS6detail17trampoline_kernelINS0_14default_configENS1_20scan_config_selectorIN3c108BFloat16EEEZZNS1_9scan_implILNS1_25lookback_scan_determinismE0ELb0ELb0ES3_PKS6_PS6_S6_ZZZN2at6native31launch_logcumsumexp_cuda_kernelERKNSD_10TensorBaseESH_lENKUlvE_clEvENKUlvE4_clEvEUlS6_S6_E_S6_EEDaPvRmT3_T4_T5_mT6_P12ihipStream_tbENKUlT_T0_E_clISt17integral_constantIbLb0EESY_EEDaST_SU_EUlST_E_NS1_11comp_targetILNS1_3genE8ELNS1_11target_archE1030ELNS1_3gpuE2ELNS1_3repE0EEENS1_30default_config_static_selectorELNS0_4arch9wavefront6targetE0EEEvT1_.private_seg_size, 0
	.set _ZN7rocprim17ROCPRIM_400000_NS6detail17trampoline_kernelINS0_14default_configENS1_20scan_config_selectorIN3c108BFloat16EEEZZNS1_9scan_implILNS1_25lookback_scan_determinismE0ELb0ELb0ES3_PKS6_PS6_S6_ZZZN2at6native31launch_logcumsumexp_cuda_kernelERKNSD_10TensorBaseESH_lENKUlvE_clEvENKUlvE4_clEvEUlS6_S6_E_S6_EEDaPvRmT3_T4_T5_mT6_P12ihipStream_tbENKUlT_T0_E_clISt17integral_constantIbLb0EESY_EEDaST_SU_EUlST_E_NS1_11comp_targetILNS1_3genE8ELNS1_11target_archE1030ELNS1_3gpuE2ELNS1_3repE0EEENS1_30default_config_static_selectorELNS0_4arch9wavefront6targetE0EEEvT1_.uses_vcc, 1
	.set _ZN7rocprim17ROCPRIM_400000_NS6detail17trampoline_kernelINS0_14default_configENS1_20scan_config_selectorIN3c108BFloat16EEEZZNS1_9scan_implILNS1_25lookback_scan_determinismE0ELb0ELb0ES3_PKS6_PS6_S6_ZZZN2at6native31launch_logcumsumexp_cuda_kernelERKNSD_10TensorBaseESH_lENKUlvE_clEvENKUlvE4_clEvEUlS6_S6_E_S6_EEDaPvRmT3_T4_T5_mT6_P12ihipStream_tbENKUlT_T0_E_clISt17integral_constantIbLb0EESY_EEDaST_SU_EUlST_E_NS1_11comp_targetILNS1_3genE8ELNS1_11target_archE1030ELNS1_3gpuE2ELNS1_3repE0EEENS1_30default_config_static_selectorELNS0_4arch9wavefront6targetE0EEEvT1_.uses_flat_scratch, 0
	.set _ZN7rocprim17ROCPRIM_400000_NS6detail17trampoline_kernelINS0_14default_configENS1_20scan_config_selectorIN3c108BFloat16EEEZZNS1_9scan_implILNS1_25lookback_scan_determinismE0ELb0ELb0ES3_PKS6_PS6_S6_ZZZN2at6native31launch_logcumsumexp_cuda_kernelERKNSD_10TensorBaseESH_lENKUlvE_clEvENKUlvE4_clEvEUlS6_S6_E_S6_EEDaPvRmT3_T4_T5_mT6_P12ihipStream_tbENKUlT_T0_E_clISt17integral_constantIbLb0EESY_EEDaST_SU_EUlST_E_NS1_11comp_targetILNS1_3genE8ELNS1_11target_archE1030ELNS1_3gpuE2ELNS1_3repE0EEENS1_30default_config_static_selectorELNS0_4arch9wavefront6targetE0EEEvT1_.has_dyn_sized_stack, 0
	.set _ZN7rocprim17ROCPRIM_400000_NS6detail17trampoline_kernelINS0_14default_configENS1_20scan_config_selectorIN3c108BFloat16EEEZZNS1_9scan_implILNS1_25lookback_scan_determinismE0ELb0ELb0ES3_PKS6_PS6_S6_ZZZN2at6native31launch_logcumsumexp_cuda_kernelERKNSD_10TensorBaseESH_lENKUlvE_clEvENKUlvE4_clEvEUlS6_S6_E_S6_EEDaPvRmT3_T4_T5_mT6_P12ihipStream_tbENKUlT_T0_E_clISt17integral_constantIbLb0EESY_EEDaST_SU_EUlST_E_NS1_11comp_targetILNS1_3genE8ELNS1_11target_archE1030ELNS1_3gpuE2ELNS1_3repE0EEENS1_30default_config_static_selectorELNS0_4arch9wavefront6targetE0EEEvT1_.has_recursion, 0
	.set _ZN7rocprim17ROCPRIM_400000_NS6detail17trampoline_kernelINS0_14default_configENS1_20scan_config_selectorIN3c108BFloat16EEEZZNS1_9scan_implILNS1_25lookback_scan_determinismE0ELb0ELb0ES3_PKS6_PS6_S6_ZZZN2at6native31launch_logcumsumexp_cuda_kernelERKNSD_10TensorBaseESH_lENKUlvE_clEvENKUlvE4_clEvEUlS6_S6_E_S6_EEDaPvRmT3_T4_T5_mT6_P12ihipStream_tbENKUlT_T0_E_clISt17integral_constantIbLb0EESY_EEDaST_SU_EUlST_E_NS1_11comp_targetILNS1_3genE8ELNS1_11target_archE1030ELNS1_3gpuE2ELNS1_3repE0EEENS1_30default_config_static_selectorELNS0_4arch9wavefront6targetE0EEEvT1_.has_indirect_call, 0
	.section	.AMDGPU.csdata,"",@progbits
; Kernel info:
; codeLenInByte = 59844
; TotalNumSgprs: 40
; NumVgprs: 67
; ScratchSize: 0
; MemoryBound: 0
; FloatMode: 240
; IeeeMode: 1
; LDSByteSize: 1536 bytes/workgroup (compile time only)
; SGPRBlocks: 0
; VGPRBlocks: 8
; NumSGPRsForWavesPerEU: 40
; NumVGPRsForWavesPerEU: 67
; Occupancy: 12
; WaveLimiterHint : 1
; COMPUTE_PGM_RSRC2:SCRATCH_EN: 0
; COMPUTE_PGM_RSRC2:USER_SGPR: 6
; COMPUTE_PGM_RSRC2:TRAP_HANDLER: 0
; COMPUTE_PGM_RSRC2:TGID_X_EN: 1
; COMPUTE_PGM_RSRC2:TGID_Y_EN: 0
; COMPUTE_PGM_RSRC2:TGID_Z_EN: 0
; COMPUTE_PGM_RSRC2:TIDIG_COMP_CNT: 0
	.section	.text._ZN7rocprim17ROCPRIM_400000_NS6detail17trampoline_kernelINS0_14default_configENS1_25transform_config_selectorIN3c108BFloat16ELb1EEEZNS1_14transform_implILb1ES3_S7_PS6_S9_NS0_8identityIS6_EEEE10hipError_tT2_T3_mT4_P12ihipStream_tbEUlT_E_NS1_11comp_targetILNS1_3genE0ELNS1_11target_archE4294967295ELNS1_3gpuE0ELNS1_3repE0EEENS1_30default_config_static_selectorELNS0_4arch9wavefront6targetE0EEEvT1_,"axG",@progbits,_ZN7rocprim17ROCPRIM_400000_NS6detail17trampoline_kernelINS0_14default_configENS1_25transform_config_selectorIN3c108BFloat16ELb1EEEZNS1_14transform_implILb1ES3_S7_PS6_S9_NS0_8identityIS6_EEEE10hipError_tT2_T3_mT4_P12ihipStream_tbEUlT_E_NS1_11comp_targetILNS1_3genE0ELNS1_11target_archE4294967295ELNS1_3gpuE0ELNS1_3repE0EEENS1_30default_config_static_selectorELNS0_4arch9wavefront6targetE0EEEvT1_,comdat
	.protected	_ZN7rocprim17ROCPRIM_400000_NS6detail17trampoline_kernelINS0_14default_configENS1_25transform_config_selectorIN3c108BFloat16ELb1EEEZNS1_14transform_implILb1ES3_S7_PS6_S9_NS0_8identityIS6_EEEE10hipError_tT2_T3_mT4_P12ihipStream_tbEUlT_E_NS1_11comp_targetILNS1_3genE0ELNS1_11target_archE4294967295ELNS1_3gpuE0ELNS1_3repE0EEENS1_30default_config_static_selectorELNS0_4arch9wavefront6targetE0EEEvT1_ ; -- Begin function _ZN7rocprim17ROCPRIM_400000_NS6detail17trampoline_kernelINS0_14default_configENS1_25transform_config_selectorIN3c108BFloat16ELb1EEEZNS1_14transform_implILb1ES3_S7_PS6_S9_NS0_8identityIS6_EEEE10hipError_tT2_T3_mT4_P12ihipStream_tbEUlT_E_NS1_11comp_targetILNS1_3genE0ELNS1_11target_archE4294967295ELNS1_3gpuE0ELNS1_3repE0EEENS1_30default_config_static_selectorELNS0_4arch9wavefront6targetE0EEEvT1_
	.globl	_ZN7rocprim17ROCPRIM_400000_NS6detail17trampoline_kernelINS0_14default_configENS1_25transform_config_selectorIN3c108BFloat16ELb1EEEZNS1_14transform_implILb1ES3_S7_PS6_S9_NS0_8identityIS6_EEEE10hipError_tT2_T3_mT4_P12ihipStream_tbEUlT_E_NS1_11comp_targetILNS1_3genE0ELNS1_11target_archE4294967295ELNS1_3gpuE0ELNS1_3repE0EEENS1_30default_config_static_selectorELNS0_4arch9wavefront6targetE0EEEvT1_
	.p2align	8
	.type	_ZN7rocprim17ROCPRIM_400000_NS6detail17trampoline_kernelINS0_14default_configENS1_25transform_config_selectorIN3c108BFloat16ELb1EEEZNS1_14transform_implILb1ES3_S7_PS6_S9_NS0_8identityIS6_EEEE10hipError_tT2_T3_mT4_P12ihipStream_tbEUlT_E_NS1_11comp_targetILNS1_3genE0ELNS1_11target_archE4294967295ELNS1_3gpuE0ELNS1_3repE0EEENS1_30default_config_static_selectorELNS0_4arch9wavefront6targetE0EEEvT1_,@function
_ZN7rocprim17ROCPRIM_400000_NS6detail17trampoline_kernelINS0_14default_configENS1_25transform_config_selectorIN3c108BFloat16ELb1EEEZNS1_14transform_implILb1ES3_S7_PS6_S9_NS0_8identityIS6_EEEE10hipError_tT2_T3_mT4_P12ihipStream_tbEUlT_E_NS1_11comp_targetILNS1_3genE0ELNS1_11target_archE4294967295ELNS1_3gpuE0ELNS1_3repE0EEENS1_30default_config_static_selectorELNS0_4arch9wavefront6targetE0EEEvT1_: ; @_ZN7rocprim17ROCPRIM_400000_NS6detail17trampoline_kernelINS0_14default_configENS1_25transform_config_selectorIN3c108BFloat16ELb1EEEZNS1_14transform_implILb1ES3_S7_PS6_S9_NS0_8identityIS6_EEEE10hipError_tT2_T3_mT4_P12ihipStream_tbEUlT_E_NS1_11comp_targetILNS1_3genE0ELNS1_11target_archE4294967295ELNS1_3gpuE0ELNS1_3repE0EEENS1_30default_config_static_selectorELNS0_4arch9wavefront6targetE0EEEvT1_
; %bb.0:
	.section	.rodata,"a",@progbits
	.p2align	6, 0x0
	.amdhsa_kernel _ZN7rocprim17ROCPRIM_400000_NS6detail17trampoline_kernelINS0_14default_configENS1_25transform_config_selectorIN3c108BFloat16ELb1EEEZNS1_14transform_implILb1ES3_S7_PS6_S9_NS0_8identityIS6_EEEE10hipError_tT2_T3_mT4_P12ihipStream_tbEUlT_E_NS1_11comp_targetILNS1_3genE0ELNS1_11target_archE4294967295ELNS1_3gpuE0ELNS1_3repE0EEENS1_30default_config_static_selectorELNS0_4arch9wavefront6targetE0EEEvT1_
		.amdhsa_group_segment_fixed_size 0
		.amdhsa_private_segment_fixed_size 0
		.amdhsa_kernarg_size 40
		.amdhsa_user_sgpr_count 6
		.amdhsa_user_sgpr_private_segment_buffer 1
		.amdhsa_user_sgpr_dispatch_ptr 0
		.amdhsa_user_sgpr_queue_ptr 0
		.amdhsa_user_sgpr_kernarg_segment_ptr 1
		.amdhsa_user_sgpr_dispatch_id 0
		.amdhsa_user_sgpr_flat_scratch_init 0
		.amdhsa_user_sgpr_private_segment_size 0
		.amdhsa_wavefront_size32 1
		.amdhsa_uses_dynamic_stack 0
		.amdhsa_system_sgpr_private_segment_wavefront_offset 0
		.amdhsa_system_sgpr_workgroup_id_x 1
		.amdhsa_system_sgpr_workgroup_id_y 0
		.amdhsa_system_sgpr_workgroup_id_z 0
		.amdhsa_system_sgpr_workgroup_info 0
		.amdhsa_system_vgpr_workitem_id 0
		.amdhsa_next_free_vgpr 1
		.amdhsa_next_free_sgpr 1
		.amdhsa_reserve_vcc 0
		.amdhsa_reserve_flat_scratch 0
		.amdhsa_float_round_mode_32 0
		.amdhsa_float_round_mode_16_64 0
		.amdhsa_float_denorm_mode_32 3
		.amdhsa_float_denorm_mode_16_64 3
		.amdhsa_dx10_clamp 1
		.amdhsa_ieee_mode 1
		.amdhsa_fp16_overflow 0
		.amdhsa_workgroup_processor_mode 1
		.amdhsa_memory_ordered 1
		.amdhsa_forward_progress 1
		.amdhsa_shared_vgpr_count 0
		.amdhsa_exception_fp_ieee_invalid_op 0
		.amdhsa_exception_fp_denorm_src 0
		.amdhsa_exception_fp_ieee_div_zero 0
		.amdhsa_exception_fp_ieee_overflow 0
		.amdhsa_exception_fp_ieee_underflow 0
		.amdhsa_exception_fp_ieee_inexact 0
		.amdhsa_exception_int_div_zero 0
	.end_amdhsa_kernel
	.section	.text._ZN7rocprim17ROCPRIM_400000_NS6detail17trampoline_kernelINS0_14default_configENS1_25transform_config_selectorIN3c108BFloat16ELb1EEEZNS1_14transform_implILb1ES3_S7_PS6_S9_NS0_8identityIS6_EEEE10hipError_tT2_T3_mT4_P12ihipStream_tbEUlT_E_NS1_11comp_targetILNS1_3genE0ELNS1_11target_archE4294967295ELNS1_3gpuE0ELNS1_3repE0EEENS1_30default_config_static_selectorELNS0_4arch9wavefront6targetE0EEEvT1_,"axG",@progbits,_ZN7rocprim17ROCPRIM_400000_NS6detail17trampoline_kernelINS0_14default_configENS1_25transform_config_selectorIN3c108BFloat16ELb1EEEZNS1_14transform_implILb1ES3_S7_PS6_S9_NS0_8identityIS6_EEEE10hipError_tT2_T3_mT4_P12ihipStream_tbEUlT_E_NS1_11comp_targetILNS1_3genE0ELNS1_11target_archE4294967295ELNS1_3gpuE0ELNS1_3repE0EEENS1_30default_config_static_selectorELNS0_4arch9wavefront6targetE0EEEvT1_,comdat
.Lfunc_end447:
	.size	_ZN7rocprim17ROCPRIM_400000_NS6detail17trampoline_kernelINS0_14default_configENS1_25transform_config_selectorIN3c108BFloat16ELb1EEEZNS1_14transform_implILb1ES3_S7_PS6_S9_NS0_8identityIS6_EEEE10hipError_tT2_T3_mT4_P12ihipStream_tbEUlT_E_NS1_11comp_targetILNS1_3genE0ELNS1_11target_archE4294967295ELNS1_3gpuE0ELNS1_3repE0EEENS1_30default_config_static_selectorELNS0_4arch9wavefront6targetE0EEEvT1_, .Lfunc_end447-_ZN7rocprim17ROCPRIM_400000_NS6detail17trampoline_kernelINS0_14default_configENS1_25transform_config_selectorIN3c108BFloat16ELb1EEEZNS1_14transform_implILb1ES3_S7_PS6_S9_NS0_8identityIS6_EEEE10hipError_tT2_T3_mT4_P12ihipStream_tbEUlT_E_NS1_11comp_targetILNS1_3genE0ELNS1_11target_archE4294967295ELNS1_3gpuE0ELNS1_3repE0EEENS1_30default_config_static_selectorELNS0_4arch9wavefront6targetE0EEEvT1_
                                        ; -- End function
	.set _ZN7rocprim17ROCPRIM_400000_NS6detail17trampoline_kernelINS0_14default_configENS1_25transform_config_selectorIN3c108BFloat16ELb1EEEZNS1_14transform_implILb1ES3_S7_PS6_S9_NS0_8identityIS6_EEEE10hipError_tT2_T3_mT4_P12ihipStream_tbEUlT_E_NS1_11comp_targetILNS1_3genE0ELNS1_11target_archE4294967295ELNS1_3gpuE0ELNS1_3repE0EEENS1_30default_config_static_selectorELNS0_4arch9wavefront6targetE0EEEvT1_.num_vgpr, 0
	.set _ZN7rocprim17ROCPRIM_400000_NS6detail17trampoline_kernelINS0_14default_configENS1_25transform_config_selectorIN3c108BFloat16ELb1EEEZNS1_14transform_implILb1ES3_S7_PS6_S9_NS0_8identityIS6_EEEE10hipError_tT2_T3_mT4_P12ihipStream_tbEUlT_E_NS1_11comp_targetILNS1_3genE0ELNS1_11target_archE4294967295ELNS1_3gpuE0ELNS1_3repE0EEENS1_30default_config_static_selectorELNS0_4arch9wavefront6targetE0EEEvT1_.num_agpr, 0
	.set _ZN7rocprim17ROCPRIM_400000_NS6detail17trampoline_kernelINS0_14default_configENS1_25transform_config_selectorIN3c108BFloat16ELb1EEEZNS1_14transform_implILb1ES3_S7_PS6_S9_NS0_8identityIS6_EEEE10hipError_tT2_T3_mT4_P12ihipStream_tbEUlT_E_NS1_11comp_targetILNS1_3genE0ELNS1_11target_archE4294967295ELNS1_3gpuE0ELNS1_3repE0EEENS1_30default_config_static_selectorELNS0_4arch9wavefront6targetE0EEEvT1_.numbered_sgpr, 0
	.set _ZN7rocprim17ROCPRIM_400000_NS6detail17trampoline_kernelINS0_14default_configENS1_25transform_config_selectorIN3c108BFloat16ELb1EEEZNS1_14transform_implILb1ES3_S7_PS6_S9_NS0_8identityIS6_EEEE10hipError_tT2_T3_mT4_P12ihipStream_tbEUlT_E_NS1_11comp_targetILNS1_3genE0ELNS1_11target_archE4294967295ELNS1_3gpuE0ELNS1_3repE0EEENS1_30default_config_static_selectorELNS0_4arch9wavefront6targetE0EEEvT1_.num_named_barrier, 0
	.set _ZN7rocprim17ROCPRIM_400000_NS6detail17trampoline_kernelINS0_14default_configENS1_25transform_config_selectorIN3c108BFloat16ELb1EEEZNS1_14transform_implILb1ES3_S7_PS6_S9_NS0_8identityIS6_EEEE10hipError_tT2_T3_mT4_P12ihipStream_tbEUlT_E_NS1_11comp_targetILNS1_3genE0ELNS1_11target_archE4294967295ELNS1_3gpuE0ELNS1_3repE0EEENS1_30default_config_static_selectorELNS0_4arch9wavefront6targetE0EEEvT1_.private_seg_size, 0
	.set _ZN7rocprim17ROCPRIM_400000_NS6detail17trampoline_kernelINS0_14default_configENS1_25transform_config_selectorIN3c108BFloat16ELb1EEEZNS1_14transform_implILb1ES3_S7_PS6_S9_NS0_8identityIS6_EEEE10hipError_tT2_T3_mT4_P12ihipStream_tbEUlT_E_NS1_11comp_targetILNS1_3genE0ELNS1_11target_archE4294967295ELNS1_3gpuE0ELNS1_3repE0EEENS1_30default_config_static_selectorELNS0_4arch9wavefront6targetE0EEEvT1_.uses_vcc, 0
	.set _ZN7rocprim17ROCPRIM_400000_NS6detail17trampoline_kernelINS0_14default_configENS1_25transform_config_selectorIN3c108BFloat16ELb1EEEZNS1_14transform_implILb1ES3_S7_PS6_S9_NS0_8identityIS6_EEEE10hipError_tT2_T3_mT4_P12ihipStream_tbEUlT_E_NS1_11comp_targetILNS1_3genE0ELNS1_11target_archE4294967295ELNS1_3gpuE0ELNS1_3repE0EEENS1_30default_config_static_selectorELNS0_4arch9wavefront6targetE0EEEvT1_.uses_flat_scratch, 0
	.set _ZN7rocprim17ROCPRIM_400000_NS6detail17trampoline_kernelINS0_14default_configENS1_25transform_config_selectorIN3c108BFloat16ELb1EEEZNS1_14transform_implILb1ES3_S7_PS6_S9_NS0_8identityIS6_EEEE10hipError_tT2_T3_mT4_P12ihipStream_tbEUlT_E_NS1_11comp_targetILNS1_3genE0ELNS1_11target_archE4294967295ELNS1_3gpuE0ELNS1_3repE0EEENS1_30default_config_static_selectorELNS0_4arch9wavefront6targetE0EEEvT1_.has_dyn_sized_stack, 0
	.set _ZN7rocprim17ROCPRIM_400000_NS6detail17trampoline_kernelINS0_14default_configENS1_25transform_config_selectorIN3c108BFloat16ELb1EEEZNS1_14transform_implILb1ES3_S7_PS6_S9_NS0_8identityIS6_EEEE10hipError_tT2_T3_mT4_P12ihipStream_tbEUlT_E_NS1_11comp_targetILNS1_3genE0ELNS1_11target_archE4294967295ELNS1_3gpuE0ELNS1_3repE0EEENS1_30default_config_static_selectorELNS0_4arch9wavefront6targetE0EEEvT1_.has_recursion, 0
	.set _ZN7rocprim17ROCPRIM_400000_NS6detail17trampoline_kernelINS0_14default_configENS1_25transform_config_selectorIN3c108BFloat16ELb1EEEZNS1_14transform_implILb1ES3_S7_PS6_S9_NS0_8identityIS6_EEEE10hipError_tT2_T3_mT4_P12ihipStream_tbEUlT_E_NS1_11comp_targetILNS1_3genE0ELNS1_11target_archE4294967295ELNS1_3gpuE0ELNS1_3repE0EEENS1_30default_config_static_selectorELNS0_4arch9wavefront6targetE0EEEvT1_.has_indirect_call, 0
	.section	.AMDGPU.csdata,"",@progbits
; Kernel info:
; codeLenInByte = 0
; TotalNumSgprs: 0
; NumVgprs: 0
; ScratchSize: 0
; MemoryBound: 0
; FloatMode: 240
; IeeeMode: 1
; LDSByteSize: 0 bytes/workgroup (compile time only)
; SGPRBlocks: 0
; VGPRBlocks: 0
; NumSGPRsForWavesPerEU: 1
; NumVGPRsForWavesPerEU: 1
; Occupancy: 16
; WaveLimiterHint : 0
; COMPUTE_PGM_RSRC2:SCRATCH_EN: 0
; COMPUTE_PGM_RSRC2:USER_SGPR: 6
; COMPUTE_PGM_RSRC2:TRAP_HANDLER: 0
; COMPUTE_PGM_RSRC2:TGID_X_EN: 1
; COMPUTE_PGM_RSRC2:TGID_Y_EN: 0
; COMPUTE_PGM_RSRC2:TGID_Z_EN: 0
; COMPUTE_PGM_RSRC2:TIDIG_COMP_CNT: 0
	.section	.text._ZN7rocprim17ROCPRIM_400000_NS6detail17trampoline_kernelINS0_14default_configENS1_25transform_config_selectorIN3c108BFloat16ELb1EEEZNS1_14transform_implILb1ES3_S7_PS6_S9_NS0_8identityIS6_EEEE10hipError_tT2_T3_mT4_P12ihipStream_tbEUlT_E_NS1_11comp_targetILNS1_3genE10ELNS1_11target_archE1201ELNS1_3gpuE5ELNS1_3repE0EEENS1_30default_config_static_selectorELNS0_4arch9wavefront6targetE0EEEvT1_,"axG",@progbits,_ZN7rocprim17ROCPRIM_400000_NS6detail17trampoline_kernelINS0_14default_configENS1_25transform_config_selectorIN3c108BFloat16ELb1EEEZNS1_14transform_implILb1ES3_S7_PS6_S9_NS0_8identityIS6_EEEE10hipError_tT2_T3_mT4_P12ihipStream_tbEUlT_E_NS1_11comp_targetILNS1_3genE10ELNS1_11target_archE1201ELNS1_3gpuE5ELNS1_3repE0EEENS1_30default_config_static_selectorELNS0_4arch9wavefront6targetE0EEEvT1_,comdat
	.protected	_ZN7rocprim17ROCPRIM_400000_NS6detail17trampoline_kernelINS0_14default_configENS1_25transform_config_selectorIN3c108BFloat16ELb1EEEZNS1_14transform_implILb1ES3_S7_PS6_S9_NS0_8identityIS6_EEEE10hipError_tT2_T3_mT4_P12ihipStream_tbEUlT_E_NS1_11comp_targetILNS1_3genE10ELNS1_11target_archE1201ELNS1_3gpuE5ELNS1_3repE0EEENS1_30default_config_static_selectorELNS0_4arch9wavefront6targetE0EEEvT1_ ; -- Begin function _ZN7rocprim17ROCPRIM_400000_NS6detail17trampoline_kernelINS0_14default_configENS1_25transform_config_selectorIN3c108BFloat16ELb1EEEZNS1_14transform_implILb1ES3_S7_PS6_S9_NS0_8identityIS6_EEEE10hipError_tT2_T3_mT4_P12ihipStream_tbEUlT_E_NS1_11comp_targetILNS1_3genE10ELNS1_11target_archE1201ELNS1_3gpuE5ELNS1_3repE0EEENS1_30default_config_static_selectorELNS0_4arch9wavefront6targetE0EEEvT1_
	.globl	_ZN7rocprim17ROCPRIM_400000_NS6detail17trampoline_kernelINS0_14default_configENS1_25transform_config_selectorIN3c108BFloat16ELb1EEEZNS1_14transform_implILb1ES3_S7_PS6_S9_NS0_8identityIS6_EEEE10hipError_tT2_T3_mT4_P12ihipStream_tbEUlT_E_NS1_11comp_targetILNS1_3genE10ELNS1_11target_archE1201ELNS1_3gpuE5ELNS1_3repE0EEENS1_30default_config_static_selectorELNS0_4arch9wavefront6targetE0EEEvT1_
	.p2align	8
	.type	_ZN7rocprim17ROCPRIM_400000_NS6detail17trampoline_kernelINS0_14default_configENS1_25transform_config_selectorIN3c108BFloat16ELb1EEEZNS1_14transform_implILb1ES3_S7_PS6_S9_NS0_8identityIS6_EEEE10hipError_tT2_T3_mT4_P12ihipStream_tbEUlT_E_NS1_11comp_targetILNS1_3genE10ELNS1_11target_archE1201ELNS1_3gpuE5ELNS1_3repE0EEENS1_30default_config_static_selectorELNS0_4arch9wavefront6targetE0EEEvT1_,@function
_ZN7rocprim17ROCPRIM_400000_NS6detail17trampoline_kernelINS0_14default_configENS1_25transform_config_selectorIN3c108BFloat16ELb1EEEZNS1_14transform_implILb1ES3_S7_PS6_S9_NS0_8identityIS6_EEEE10hipError_tT2_T3_mT4_P12ihipStream_tbEUlT_E_NS1_11comp_targetILNS1_3genE10ELNS1_11target_archE1201ELNS1_3gpuE5ELNS1_3repE0EEENS1_30default_config_static_selectorELNS0_4arch9wavefront6targetE0EEEvT1_: ; @_ZN7rocprim17ROCPRIM_400000_NS6detail17trampoline_kernelINS0_14default_configENS1_25transform_config_selectorIN3c108BFloat16ELb1EEEZNS1_14transform_implILb1ES3_S7_PS6_S9_NS0_8identityIS6_EEEE10hipError_tT2_T3_mT4_P12ihipStream_tbEUlT_E_NS1_11comp_targetILNS1_3genE10ELNS1_11target_archE1201ELNS1_3gpuE5ELNS1_3repE0EEENS1_30default_config_static_selectorELNS0_4arch9wavefront6targetE0EEEvT1_
; %bb.0:
	.section	.rodata,"a",@progbits
	.p2align	6, 0x0
	.amdhsa_kernel _ZN7rocprim17ROCPRIM_400000_NS6detail17trampoline_kernelINS0_14default_configENS1_25transform_config_selectorIN3c108BFloat16ELb1EEEZNS1_14transform_implILb1ES3_S7_PS6_S9_NS0_8identityIS6_EEEE10hipError_tT2_T3_mT4_P12ihipStream_tbEUlT_E_NS1_11comp_targetILNS1_3genE10ELNS1_11target_archE1201ELNS1_3gpuE5ELNS1_3repE0EEENS1_30default_config_static_selectorELNS0_4arch9wavefront6targetE0EEEvT1_
		.amdhsa_group_segment_fixed_size 0
		.amdhsa_private_segment_fixed_size 0
		.amdhsa_kernarg_size 40
		.amdhsa_user_sgpr_count 6
		.amdhsa_user_sgpr_private_segment_buffer 1
		.amdhsa_user_sgpr_dispatch_ptr 0
		.amdhsa_user_sgpr_queue_ptr 0
		.amdhsa_user_sgpr_kernarg_segment_ptr 1
		.amdhsa_user_sgpr_dispatch_id 0
		.amdhsa_user_sgpr_flat_scratch_init 0
		.amdhsa_user_sgpr_private_segment_size 0
		.amdhsa_wavefront_size32 1
		.amdhsa_uses_dynamic_stack 0
		.amdhsa_system_sgpr_private_segment_wavefront_offset 0
		.amdhsa_system_sgpr_workgroup_id_x 1
		.amdhsa_system_sgpr_workgroup_id_y 0
		.amdhsa_system_sgpr_workgroup_id_z 0
		.amdhsa_system_sgpr_workgroup_info 0
		.amdhsa_system_vgpr_workitem_id 0
		.amdhsa_next_free_vgpr 1
		.amdhsa_next_free_sgpr 1
		.amdhsa_reserve_vcc 0
		.amdhsa_reserve_flat_scratch 0
		.amdhsa_float_round_mode_32 0
		.amdhsa_float_round_mode_16_64 0
		.amdhsa_float_denorm_mode_32 3
		.amdhsa_float_denorm_mode_16_64 3
		.amdhsa_dx10_clamp 1
		.amdhsa_ieee_mode 1
		.amdhsa_fp16_overflow 0
		.amdhsa_workgroup_processor_mode 1
		.amdhsa_memory_ordered 1
		.amdhsa_forward_progress 1
		.amdhsa_shared_vgpr_count 0
		.amdhsa_exception_fp_ieee_invalid_op 0
		.amdhsa_exception_fp_denorm_src 0
		.amdhsa_exception_fp_ieee_div_zero 0
		.amdhsa_exception_fp_ieee_overflow 0
		.amdhsa_exception_fp_ieee_underflow 0
		.amdhsa_exception_fp_ieee_inexact 0
		.amdhsa_exception_int_div_zero 0
	.end_amdhsa_kernel
	.section	.text._ZN7rocprim17ROCPRIM_400000_NS6detail17trampoline_kernelINS0_14default_configENS1_25transform_config_selectorIN3c108BFloat16ELb1EEEZNS1_14transform_implILb1ES3_S7_PS6_S9_NS0_8identityIS6_EEEE10hipError_tT2_T3_mT4_P12ihipStream_tbEUlT_E_NS1_11comp_targetILNS1_3genE10ELNS1_11target_archE1201ELNS1_3gpuE5ELNS1_3repE0EEENS1_30default_config_static_selectorELNS0_4arch9wavefront6targetE0EEEvT1_,"axG",@progbits,_ZN7rocprim17ROCPRIM_400000_NS6detail17trampoline_kernelINS0_14default_configENS1_25transform_config_selectorIN3c108BFloat16ELb1EEEZNS1_14transform_implILb1ES3_S7_PS6_S9_NS0_8identityIS6_EEEE10hipError_tT2_T3_mT4_P12ihipStream_tbEUlT_E_NS1_11comp_targetILNS1_3genE10ELNS1_11target_archE1201ELNS1_3gpuE5ELNS1_3repE0EEENS1_30default_config_static_selectorELNS0_4arch9wavefront6targetE0EEEvT1_,comdat
.Lfunc_end448:
	.size	_ZN7rocprim17ROCPRIM_400000_NS6detail17trampoline_kernelINS0_14default_configENS1_25transform_config_selectorIN3c108BFloat16ELb1EEEZNS1_14transform_implILb1ES3_S7_PS6_S9_NS0_8identityIS6_EEEE10hipError_tT2_T3_mT4_P12ihipStream_tbEUlT_E_NS1_11comp_targetILNS1_3genE10ELNS1_11target_archE1201ELNS1_3gpuE5ELNS1_3repE0EEENS1_30default_config_static_selectorELNS0_4arch9wavefront6targetE0EEEvT1_, .Lfunc_end448-_ZN7rocprim17ROCPRIM_400000_NS6detail17trampoline_kernelINS0_14default_configENS1_25transform_config_selectorIN3c108BFloat16ELb1EEEZNS1_14transform_implILb1ES3_S7_PS6_S9_NS0_8identityIS6_EEEE10hipError_tT2_T3_mT4_P12ihipStream_tbEUlT_E_NS1_11comp_targetILNS1_3genE10ELNS1_11target_archE1201ELNS1_3gpuE5ELNS1_3repE0EEENS1_30default_config_static_selectorELNS0_4arch9wavefront6targetE0EEEvT1_
                                        ; -- End function
	.set _ZN7rocprim17ROCPRIM_400000_NS6detail17trampoline_kernelINS0_14default_configENS1_25transform_config_selectorIN3c108BFloat16ELb1EEEZNS1_14transform_implILb1ES3_S7_PS6_S9_NS0_8identityIS6_EEEE10hipError_tT2_T3_mT4_P12ihipStream_tbEUlT_E_NS1_11comp_targetILNS1_3genE10ELNS1_11target_archE1201ELNS1_3gpuE5ELNS1_3repE0EEENS1_30default_config_static_selectorELNS0_4arch9wavefront6targetE0EEEvT1_.num_vgpr, 0
	.set _ZN7rocprim17ROCPRIM_400000_NS6detail17trampoline_kernelINS0_14default_configENS1_25transform_config_selectorIN3c108BFloat16ELb1EEEZNS1_14transform_implILb1ES3_S7_PS6_S9_NS0_8identityIS6_EEEE10hipError_tT2_T3_mT4_P12ihipStream_tbEUlT_E_NS1_11comp_targetILNS1_3genE10ELNS1_11target_archE1201ELNS1_3gpuE5ELNS1_3repE0EEENS1_30default_config_static_selectorELNS0_4arch9wavefront6targetE0EEEvT1_.num_agpr, 0
	.set _ZN7rocprim17ROCPRIM_400000_NS6detail17trampoline_kernelINS0_14default_configENS1_25transform_config_selectorIN3c108BFloat16ELb1EEEZNS1_14transform_implILb1ES3_S7_PS6_S9_NS0_8identityIS6_EEEE10hipError_tT2_T3_mT4_P12ihipStream_tbEUlT_E_NS1_11comp_targetILNS1_3genE10ELNS1_11target_archE1201ELNS1_3gpuE5ELNS1_3repE0EEENS1_30default_config_static_selectorELNS0_4arch9wavefront6targetE0EEEvT1_.numbered_sgpr, 0
	.set _ZN7rocprim17ROCPRIM_400000_NS6detail17trampoline_kernelINS0_14default_configENS1_25transform_config_selectorIN3c108BFloat16ELb1EEEZNS1_14transform_implILb1ES3_S7_PS6_S9_NS0_8identityIS6_EEEE10hipError_tT2_T3_mT4_P12ihipStream_tbEUlT_E_NS1_11comp_targetILNS1_3genE10ELNS1_11target_archE1201ELNS1_3gpuE5ELNS1_3repE0EEENS1_30default_config_static_selectorELNS0_4arch9wavefront6targetE0EEEvT1_.num_named_barrier, 0
	.set _ZN7rocprim17ROCPRIM_400000_NS6detail17trampoline_kernelINS0_14default_configENS1_25transform_config_selectorIN3c108BFloat16ELb1EEEZNS1_14transform_implILb1ES3_S7_PS6_S9_NS0_8identityIS6_EEEE10hipError_tT2_T3_mT4_P12ihipStream_tbEUlT_E_NS1_11comp_targetILNS1_3genE10ELNS1_11target_archE1201ELNS1_3gpuE5ELNS1_3repE0EEENS1_30default_config_static_selectorELNS0_4arch9wavefront6targetE0EEEvT1_.private_seg_size, 0
	.set _ZN7rocprim17ROCPRIM_400000_NS6detail17trampoline_kernelINS0_14default_configENS1_25transform_config_selectorIN3c108BFloat16ELb1EEEZNS1_14transform_implILb1ES3_S7_PS6_S9_NS0_8identityIS6_EEEE10hipError_tT2_T3_mT4_P12ihipStream_tbEUlT_E_NS1_11comp_targetILNS1_3genE10ELNS1_11target_archE1201ELNS1_3gpuE5ELNS1_3repE0EEENS1_30default_config_static_selectorELNS0_4arch9wavefront6targetE0EEEvT1_.uses_vcc, 0
	.set _ZN7rocprim17ROCPRIM_400000_NS6detail17trampoline_kernelINS0_14default_configENS1_25transform_config_selectorIN3c108BFloat16ELb1EEEZNS1_14transform_implILb1ES3_S7_PS6_S9_NS0_8identityIS6_EEEE10hipError_tT2_T3_mT4_P12ihipStream_tbEUlT_E_NS1_11comp_targetILNS1_3genE10ELNS1_11target_archE1201ELNS1_3gpuE5ELNS1_3repE0EEENS1_30default_config_static_selectorELNS0_4arch9wavefront6targetE0EEEvT1_.uses_flat_scratch, 0
	.set _ZN7rocprim17ROCPRIM_400000_NS6detail17trampoline_kernelINS0_14default_configENS1_25transform_config_selectorIN3c108BFloat16ELb1EEEZNS1_14transform_implILb1ES3_S7_PS6_S9_NS0_8identityIS6_EEEE10hipError_tT2_T3_mT4_P12ihipStream_tbEUlT_E_NS1_11comp_targetILNS1_3genE10ELNS1_11target_archE1201ELNS1_3gpuE5ELNS1_3repE0EEENS1_30default_config_static_selectorELNS0_4arch9wavefront6targetE0EEEvT1_.has_dyn_sized_stack, 0
	.set _ZN7rocprim17ROCPRIM_400000_NS6detail17trampoline_kernelINS0_14default_configENS1_25transform_config_selectorIN3c108BFloat16ELb1EEEZNS1_14transform_implILb1ES3_S7_PS6_S9_NS0_8identityIS6_EEEE10hipError_tT2_T3_mT4_P12ihipStream_tbEUlT_E_NS1_11comp_targetILNS1_3genE10ELNS1_11target_archE1201ELNS1_3gpuE5ELNS1_3repE0EEENS1_30default_config_static_selectorELNS0_4arch9wavefront6targetE0EEEvT1_.has_recursion, 0
	.set _ZN7rocprim17ROCPRIM_400000_NS6detail17trampoline_kernelINS0_14default_configENS1_25transform_config_selectorIN3c108BFloat16ELb1EEEZNS1_14transform_implILb1ES3_S7_PS6_S9_NS0_8identityIS6_EEEE10hipError_tT2_T3_mT4_P12ihipStream_tbEUlT_E_NS1_11comp_targetILNS1_3genE10ELNS1_11target_archE1201ELNS1_3gpuE5ELNS1_3repE0EEENS1_30default_config_static_selectorELNS0_4arch9wavefront6targetE0EEEvT1_.has_indirect_call, 0
	.section	.AMDGPU.csdata,"",@progbits
; Kernel info:
; codeLenInByte = 0
; TotalNumSgprs: 0
; NumVgprs: 0
; ScratchSize: 0
; MemoryBound: 0
; FloatMode: 240
; IeeeMode: 1
; LDSByteSize: 0 bytes/workgroup (compile time only)
; SGPRBlocks: 0
; VGPRBlocks: 0
; NumSGPRsForWavesPerEU: 1
; NumVGPRsForWavesPerEU: 1
; Occupancy: 16
; WaveLimiterHint : 0
; COMPUTE_PGM_RSRC2:SCRATCH_EN: 0
; COMPUTE_PGM_RSRC2:USER_SGPR: 6
; COMPUTE_PGM_RSRC2:TRAP_HANDLER: 0
; COMPUTE_PGM_RSRC2:TGID_X_EN: 1
; COMPUTE_PGM_RSRC2:TGID_Y_EN: 0
; COMPUTE_PGM_RSRC2:TGID_Z_EN: 0
; COMPUTE_PGM_RSRC2:TIDIG_COMP_CNT: 0
	.section	.text._ZN7rocprim17ROCPRIM_400000_NS6detail17trampoline_kernelINS0_14default_configENS1_25transform_config_selectorIN3c108BFloat16ELb1EEEZNS1_14transform_implILb1ES3_S7_PS6_S9_NS0_8identityIS6_EEEE10hipError_tT2_T3_mT4_P12ihipStream_tbEUlT_E_NS1_11comp_targetILNS1_3genE5ELNS1_11target_archE942ELNS1_3gpuE9ELNS1_3repE0EEENS1_30default_config_static_selectorELNS0_4arch9wavefront6targetE0EEEvT1_,"axG",@progbits,_ZN7rocprim17ROCPRIM_400000_NS6detail17trampoline_kernelINS0_14default_configENS1_25transform_config_selectorIN3c108BFloat16ELb1EEEZNS1_14transform_implILb1ES3_S7_PS6_S9_NS0_8identityIS6_EEEE10hipError_tT2_T3_mT4_P12ihipStream_tbEUlT_E_NS1_11comp_targetILNS1_3genE5ELNS1_11target_archE942ELNS1_3gpuE9ELNS1_3repE0EEENS1_30default_config_static_selectorELNS0_4arch9wavefront6targetE0EEEvT1_,comdat
	.protected	_ZN7rocprim17ROCPRIM_400000_NS6detail17trampoline_kernelINS0_14default_configENS1_25transform_config_selectorIN3c108BFloat16ELb1EEEZNS1_14transform_implILb1ES3_S7_PS6_S9_NS0_8identityIS6_EEEE10hipError_tT2_T3_mT4_P12ihipStream_tbEUlT_E_NS1_11comp_targetILNS1_3genE5ELNS1_11target_archE942ELNS1_3gpuE9ELNS1_3repE0EEENS1_30default_config_static_selectorELNS0_4arch9wavefront6targetE0EEEvT1_ ; -- Begin function _ZN7rocprim17ROCPRIM_400000_NS6detail17trampoline_kernelINS0_14default_configENS1_25transform_config_selectorIN3c108BFloat16ELb1EEEZNS1_14transform_implILb1ES3_S7_PS6_S9_NS0_8identityIS6_EEEE10hipError_tT2_T3_mT4_P12ihipStream_tbEUlT_E_NS1_11comp_targetILNS1_3genE5ELNS1_11target_archE942ELNS1_3gpuE9ELNS1_3repE0EEENS1_30default_config_static_selectorELNS0_4arch9wavefront6targetE0EEEvT1_
	.globl	_ZN7rocprim17ROCPRIM_400000_NS6detail17trampoline_kernelINS0_14default_configENS1_25transform_config_selectorIN3c108BFloat16ELb1EEEZNS1_14transform_implILb1ES3_S7_PS6_S9_NS0_8identityIS6_EEEE10hipError_tT2_T3_mT4_P12ihipStream_tbEUlT_E_NS1_11comp_targetILNS1_3genE5ELNS1_11target_archE942ELNS1_3gpuE9ELNS1_3repE0EEENS1_30default_config_static_selectorELNS0_4arch9wavefront6targetE0EEEvT1_
	.p2align	8
	.type	_ZN7rocprim17ROCPRIM_400000_NS6detail17trampoline_kernelINS0_14default_configENS1_25transform_config_selectorIN3c108BFloat16ELb1EEEZNS1_14transform_implILb1ES3_S7_PS6_S9_NS0_8identityIS6_EEEE10hipError_tT2_T3_mT4_P12ihipStream_tbEUlT_E_NS1_11comp_targetILNS1_3genE5ELNS1_11target_archE942ELNS1_3gpuE9ELNS1_3repE0EEENS1_30default_config_static_selectorELNS0_4arch9wavefront6targetE0EEEvT1_,@function
_ZN7rocprim17ROCPRIM_400000_NS6detail17trampoline_kernelINS0_14default_configENS1_25transform_config_selectorIN3c108BFloat16ELb1EEEZNS1_14transform_implILb1ES3_S7_PS6_S9_NS0_8identityIS6_EEEE10hipError_tT2_T3_mT4_P12ihipStream_tbEUlT_E_NS1_11comp_targetILNS1_3genE5ELNS1_11target_archE942ELNS1_3gpuE9ELNS1_3repE0EEENS1_30default_config_static_selectorELNS0_4arch9wavefront6targetE0EEEvT1_: ; @_ZN7rocprim17ROCPRIM_400000_NS6detail17trampoline_kernelINS0_14default_configENS1_25transform_config_selectorIN3c108BFloat16ELb1EEEZNS1_14transform_implILb1ES3_S7_PS6_S9_NS0_8identityIS6_EEEE10hipError_tT2_T3_mT4_P12ihipStream_tbEUlT_E_NS1_11comp_targetILNS1_3genE5ELNS1_11target_archE942ELNS1_3gpuE9ELNS1_3repE0EEENS1_30default_config_static_selectorELNS0_4arch9wavefront6targetE0EEEvT1_
; %bb.0:
	.section	.rodata,"a",@progbits
	.p2align	6, 0x0
	.amdhsa_kernel _ZN7rocprim17ROCPRIM_400000_NS6detail17trampoline_kernelINS0_14default_configENS1_25transform_config_selectorIN3c108BFloat16ELb1EEEZNS1_14transform_implILb1ES3_S7_PS6_S9_NS0_8identityIS6_EEEE10hipError_tT2_T3_mT4_P12ihipStream_tbEUlT_E_NS1_11comp_targetILNS1_3genE5ELNS1_11target_archE942ELNS1_3gpuE9ELNS1_3repE0EEENS1_30default_config_static_selectorELNS0_4arch9wavefront6targetE0EEEvT1_
		.amdhsa_group_segment_fixed_size 0
		.amdhsa_private_segment_fixed_size 0
		.amdhsa_kernarg_size 40
		.amdhsa_user_sgpr_count 6
		.amdhsa_user_sgpr_private_segment_buffer 1
		.amdhsa_user_sgpr_dispatch_ptr 0
		.amdhsa_user_sgpr_queue_ptr 0
		.amdhsa_user_sgpr_kernarg_segment_ptr 1
		.amdhsa_user_sgpr_dispatch_id 0
		.amdhsa_user_sgpr_flat_scratch_init 0
		.amdhsa_user_sgpr_private_segment_size 0
		.amdhsa_wavefront_size32 1
		.amdhsa_uses_dynamic_stack 0
		.amdhsa_system_sgpr_private_segment_wavefront_offset 0
		.amdhsa_system_sgpr_workgroup_id_x 1
		.amdhsa_system_sgpr_workgroup_id_y 0
		.amdhsa_system_sgpr_workgroup_id_z 0
		.amdhsa_system_sgpr_workgroup_info 0
		.amdhsa_system_vgpr_workitem_id 0
		.amdhsa_next_free_vgpr 1
		.amdhsa_next_free_sgpr 1
		.amdhsa_reserve_vcc 0
		.amdhsa_reserve_flat_scratch 0
		.amdhsa_float_round_mode_32 0
		.amdhsa_float_round_mode_16_64 0
		.amdhsa_float_denorm_mode_32 3
		.amdhsa_float_denorm_mode_16_64 3
		.amdhsa_dx10_clamp 1
		.amdhsa_ieee_mode 1
		.amdhsa_fp16_overflow 0
		.amdhsa_workgroup_processor_mode 1
		.amdhsa_memory_ordered 1
		.amdhsa_forward_progress 1
		.amdhsa_shared_vgpr_count 0
		.amdhsa_exception_fp_ieee_invalid_op 0
		.amdhsa_exception_fp_denorm_src 0
		.amdhsa_exception_fp_ieee_div_zero 0
		.amdhsa_exception_fp_ieee_overflow 0
		.amdhsa_exception_fp_ieee_underflow 0
		.amdhsa_exception_fp_ieee_inexact 0
		.amdhsa_exception_int_div_zero 0
	.end_amdhsa_kernel
	.section	.text._ZN7rocprim17ROCPRIM_400000_NS6detail17trampoline_kernelINS0_14default_configENS1_25transform_config_selectorIN3c108BFloat16ELb1EEEZNS1_14transform_implILb1ES3_S7_PS6_S9_NS0_8identityIS6_EEEE10hipError_tT2_T3_mT4_P12ihipStream_tbEUlT_E_NS1_11comp_targetILNS1_3genE5ELNS1_11target_archE942ELNS1_3gpuE9ELNS1_3repE0EEENS1_30default_config_static_selectorELNS0_4arch9wavefront6targetE0EEEvT1_,"axG",@progbits,_ZN7rocprim17ROCPRIM_400000_NS6detail17trampoline_kernelINS0_14default_configENS1_25transform_config_selectorIN3c108BFloat16ELb1EEEZNS1_14transform_implILb1ES3_S7_PS6_S9_NS0_8identityIS6_EEEE10hipError_tT2_T3_mT4_P12ihipStream_tbEUlT_E_NS1_11comp_targetILNS1_3genE5ELNS1_11target_archE942ELNS1_3gpuE9ELNS1_3repE0EEENS1_30default_config_static_selectorELNS0_4arch9wavefront6targetE0EEEvT1_,comdat
.Lfunc_end449:
	.size	_ZN7rocprim17ROCPRIM_400000_NS6detail17trampoline_kernelINS0_14default_configENS1_25transform_config_selectorIN3c108BFloat16ELb1EEEZNS1_14transform_implILb1ES3_S7_PS6_S9_NS0_8identityIS6_EEEE10hipError_tT2_T3_mT4_P12ihipStream_tbEUlT_E_NS1_11comp_targetILNS1_3genE5ELNS1_11target_archE942ELNS1_3gpuE9ELNS1_3repE0EEENS1_30default_config_static_selectorELNS0_4arch9wavefront6targetE0EEEvT1_, .Lfunc_end449-_ZN7rocprim17ROCPRIM_400000_NS6detail17trampoline_kernelINS0_14default_configENS1_25transform_config_selectorIN3c108BFloat16ELb1EEEZNS1_14transform_implILb1ES3_S7_PS6_S9_NS0_8identityIS6_EEEE10hipError_tT2_T3_mT4_P12ihipStream_tbEUlT_E_NS1_11comp_targetILNS1_3genE5ELNS1_11target_archE942ELNS1_3gpuE9ELNS1_3repE0EEENS1_30default_config_static_selectorELNS0_4arch9wavefront6targetE0EEEvT1_
                                        ; -- End function
	.set _ZN7rocprim17ROCPRIM_400000_NS6detail17trampoline_kernelINS0_14default_configENS1_25transform_config_selectorIN3c108BFloat16ELb1EEEZNS1_14transform_implILb1ES3_S7_PS6_S9_NS0_8identityIS6_EEEE10hipError_tT2_T3_mT4_P12ihipStream_tbEUlT_E_NS1_11comp_targetILNS1_3genE5ELNS1_11target_archE942ELNS1_3gpuE9ELNS1_3repE0EEENS1_30default_config_static_selectorELNS0_4arch9wavefront6targetE0EEEvT1_.num_vgpr, 0
	.set _ZN7rocprim17ROCPRIM_400000_NS6detail17trampoline_kernelINS0_14default_configENS1_25transform_config_selectorIN3c108BFloat16ELb1EEEZNS1_14transform_implILb1ES3_S7_PS6_S9_NS0_8identityIS6_EEEE10hipError_tT2_T3_mT4_P12ihipStream_tbEUlT_E_NS1_11comp_targetILNS1_3genE5ELNS1_11target_archE942ELNS1_3gpuE9ELNS1_3repE0EEENS1_30default_config_static_selectorELNS0_4arch9wavefront6targetE0EEEvT1_.num_agpr, 0
	.set _ZN7rocprim17ROCPRIM_400000_NS6detail17trampoline_kernelINS0_14default_configENS1_25transform_config_selectorIN3c108BFloat16ELb1EEEZNS1_14transform_implILb1ES3_S7_PS6_S9_NS0_8identityIS6_EEEE10hipError_tT2_T3_mT4_P12ihipStream_tbEUlT_E_NS1_11comp_targetILNS1_3genE5ELNS1_11target_archE942ELNS1_3gpuE9ELNS1_3repE0EEENS1_30default_config_static_selectorELNS0_4arch9wavefront6targetE0EEEvT1_.numbered_sgpr, 0
	.set _ZN7rocprim17ROCPRIM_400000_NS6detail17trampoline_kernelINS0_14default_configENS1_25transform_config_selectorIN3c108BFloat16ELb1EEEZNS1_14transform_implILb1ES3_S7_PS6_S9_NS0_8identityIS6_EEEE10hipError_tT2_T3_mT4_P12ihipStream_tbEUlT_E_NS1_11comp_targetILNS1_3genE5ELNS1_11target_archE942ELNS1_3gpuE9ELNS1_3repE0EEENS1_30default_config_static_selectorELNS0_4arch9wavefront6targetE0EEEvT1_.num_named_barrier, 0
	.set _ZN7rocprim17ROCPRIM_400000_NS6detail17trampoline_kernelINS0_14default_configENS1_25transform_config_selectorIN3c108BFloat16ELb1EEEZNS1_14transform_implILb1ES3_S7_PS6_S9_NS0_8identityIS6_EEEE10hipError_tT2_T3_mT4_P12ihipStream_tbEUlT_E_NS1_11comp_targetILNS1_3genE5ELNS1_11target_archE942ELNS1_3gpuE9ELNS1_3repE0EEENS1_30default_config_static_selectorELNS0_4arch9wavefront6targetE0EEEvT1_.private_seg_size, 0
	.set _ZN7rocprim17ROCPRIM_400000_NS6detail17trampoline_kernelINS0_14default_configENS1_25transform_config_selectorIN3c108BFloat16ELb1EEEZNS1_14transform_implILb1ES3_S7_PS6_S9_NS0_8identityIS6_EEEE10hipError_tT2_T3_mT4_P12ihipStream_tbEUlT_E_NS1_11comp_targetILNS1_3genE5ELNS1_11target_archE942ELNS1_3gpuE9ELNS1_3repE0EEENS1_30default_config_static_selectorELNS0_4arch9wavefront6targetE0EEEvT1_.uses_vcc, 0
	.set _ZN7rocprim17ROCPRIM_400000_NS6detail17trampoline_kernelINS0_14default_configENS1_25transform_config_selectorIN3c108BFloat16ELb1EEEZNS1_14transform_implILb1ES3_S7_PS6_S9_NS0_8identityIS6_EEEE10hipError_tT2_T3_mT4_P12ihipStream_tbEUlT_E_NS1_11comp_targetILNS1_3genE5ELNS1_11target_archE942ELNS1_3gpuE9ELNS1_3repE0EEENS1_30default_config_static_selectorELNS0_4arch9wavefront6targetE0EEEvT1_.uses_flat_scratch, 0
	.set _ZN7rocprim17ROCPRIM_400000_NS6detail17trampoline_kernelINS0_14default_configENS1_25transform_config_selectorIN3c108BFloat16ELb1EEEZNS1_14transform_implILb1ES3_S7_PS6_S9_NS0_8identityIS6_EEEE10hipError_tT2_T3_mT4_P12ihipStream_tbEUlT_E_NS1_11comp_targetILNS1_3genE5ELNS1_11target_archE942ELNS1_3gpuE9ELNS1_3repE0EEENS1_30default_config_static_selectorELNS0_4arch9wavefront6targetE0EEEvT1_.has_dyn_sized_stack, 0
	.set _ZN7rocprim17ROCPRIM_400000_NS6detail17trampoline_kernelINS0_14default_configENS1_25transform_config_selectorIN3c108BFloat16ELb1EEEZNS1_14transform_implILb1ES3_S7_PS6_S9_NS0_8identityIS6_EEEE10hipError_tT2_T3_mT4_P12ihipStream_tbEUlT_E_NS1_11comp_targetILNS1_3genE5ELNS1_11target_archE942ELNS1_3gpuE9ELNS1_3repE0EEENS1_30default_config_static_selectorELNS0_4arch9wavefront6targetE0EEEvT1_.has_recursion, 0
	.set _ZN7rocprim17ROCPRIM_400000_NS6detail17trampoline_kernelINS0_14default_configENS1_25transform_config_selectorIN3c108BFloat16ELb1EEEZNS1_14transform_implILb1ES3_S7_PS6_S9_NS0_8identityIS6_EEEE10hipError_tT2_T3_mT4_P12ihipStream_tbEUlT_E_NS1_11comp_targetILNS1_3genE5ELNS1_11target_archE942ELNS1_3gpuE9ELNS1_3repE0EEENS1_30default_config_static_selectorELNS0_4arch9wavefront6targetE0EEEvT1_.has_indirect_call, 0
	.section	.AMDGPU.csdata,"",@progbits
; Kernel info:
; codeLenInByte = 0
; TotalNumSgprs: 0
; NumVgprs: 0
; ScratchSize: 0
; MemoryBound: 0
; FloatMode: 240
; IeeeMode: 1
; LDSByteSize: 0 bytes/workgroup (compile time only)
; SGPRBlocks: 0
; VGPRBlocks: 0
; NumSGPRsForWavesPerEU: 1
; NumVGPRsForWavesPerEU: 1
; Occupancy: 16
; WaveLimiterHint : 0
; COMPUTE_PGM_RSRC2:SCRATCH_EN: 0
; COMPUTE_PGM_RSRC2:USER_SGPR: 6
; COMPUTE_PGM_RSRC2:TRAP_HANDLER: 0
; COMPUTE_PGM_RSRC2:TGID_X_EN: 1
; COMPUTE_PGM_RSRC2:TGID_Y_EN: 0
; COMPUTE_PGM_RSRC2:TGID_Z_EN: 0
; COMPUTE_PGM_RSRC2:TIDIG_COMP_CNT: 0
	.section	.text._ZN7rocprim17ROCPRIM_400000_NS6detail17trampoline_kernelINS0_14default_configENS1_25transform_config_selectorIN3c108BFloat16ELb1EEEZNS1_14transform_implILb1ES3_S7_PS6_S9_NS0_8identityIS6_EEEE10hipError_tT2_T3_mT4_P12ihipStream_tbEUlT_E_NS1_11comp_targetILNS1_3genE4ELNS1_11target_archE910ELNS1_3gpuE8ELNS1_3repE0EEENS1_30default_config_static_selectorELNS0_4arch9wavefront6targetE0EEEvT1_,"axG",@progbits,_ZN7rocprim17ROCPRIM_400000_NS6detail17trampoline_kernelINS0_14default_configENS1_25transform_config_selectorIN3c108BFloat16ELb1EEEZNS1_14transform_implILb1ES3_S7_PS6_S9_NS0_8identityIS6_EEEE10hipError_tT2_T3_mT4_P12ihipStream_tbEUlT_E_NS1_11comp_targetILNS1_3genE4ELNS1_11target_archE910ELNS1_3gpuE8ELNS1_3repE0EEENS1_30default_config_static_selectorELNS0_4arch9wavefront6targetE0EEEvT1_,comdat
	.protected	_ZN7rocprim17ROCPRIM_400000_NS6detail17trampoline_kernelINS0_14default_configENS1_25transform_config_selectorIN3c108BFloat16ELb1EEEZNS1_14transform_implILb1ES3_S7_PS6_S9_NS0_8identityIS6_EEEE10hipError_tT2_T3_mT4_P12ihipStream_tbEUlT_E_NS1_11comp_targetILNS1_3genE4ELNS1_11target_archE910ELNS1_3gpuE8ELNS1_3repE0EEENS1_30default_config_static_selectorELNS0_4arch9wavefront6targetE0EEEvT1_ ; -- Begin function _ZN7rocprim17ROCPRIM_400000_NS6detail17trampoline_kernelINS0_14default_configENS1_25transform_config_selectorIN3c108BFloat16ELb1EEEZNS1_14transform_implILb1ES3_S7_PS6_S9_NS0_8identityIS6_EEEE10hipError_tT2_T3_mT4_P12ihipStream_tbEUlT_E_NS1_11comp_targetILNS1_3genE4ELNS1_11target_archE910ELNS1_3gpuE8ELNS1_3repE0EEENS1_30default_config_static_selectorELNS0_4arch9wavefront6targetE0EEEvT1_
	.globl	_ZN7rocprim17ROCPRIM_400000_NS6detail17trampoline_kernelINS0_14default_configENS1_25transform_config_selectorIN3c108BFloat16ELb1EEEZNS1_14transform_implILb1ES3_S7_PS6_S9_NS0_8identityIS6_EEEE10hipError_tT2_T3_mT4_P12ihipStream_tbEUlT_E_NS1_11comp_targetILNS1_3genE4ELNS1_11target_archE910ELNS1_3gpuE8ELNS1_3repE0EEENS1_30default_config_static_selectorELNS0_4arch9wavefront6targetE0EEEvT1_
	.p2align	8
	.type	_ZN7rocprim17ROCPRIM_400000_NS6detail17trampoline_kernelINS0_14default_configENS1_25transform_config_selectorIN3c108BFloat16ELb1EEEZNS1_14transform_implILb1ES3_S7_PS6_S9_NS0_8identityIS6_EEEE10hipError_tT2_T3_mT4_P12ihipStream_tbEUlT_E_NS1_11comp_targetILNS1_3genE4ELNS1_11target_archE910ELNS1_3gpuE8ELNS1_3repE0EEENS1_30default_config_static_selectorELNS0_4arch9wavefront6targetE0EEEvT1_,@function
_ZN7rocprim17ROCPRIM_400000_NS6detail17trampoline_kernelINS0_14default_configENS1_25transform_config_selectorIN3c108BFloat16ELb1EEEZNS1_14transform_implILb1ES3_S7_PS6_S9_NS0_8identityIS6_EEEE10hipError_tT2_T3_mT4_P12ihipStream_tbEUlT_E_NS1_11comp_targetILNS1_3genE4ELNS1_11target_archE910ELNS1_3gpuE8ELNS1_3repE0EEENS1_30default_config_static_selectorELNS0_4arch9wavefront6targetE0EEEvT1_: ; @_ZN7rocprim17ROCPRIM_400000_NS6detail17trampoline_kernelINS0_14default_configENS1_25transform_config_selectorIN3c108BFloat16ELb1EEEZNS1_14transform_implILb1ES3_S7_PS6_S9_NS0_8identityIS6_EEEE10hipError_tT2_T3_mT4_P12ihipStream_tbEUlT_E_NS1_11comp_targetILNS1_3genE4ELNS1_11target_archE910ELNS1_3gpuE8ELNS1_3repE0EEENS1_30default_config_static_selectorELNS0_4arch9wavefront6targetE0EEEvT1_
; %bb.0:
	.section	.rodata,"a",@progbits
	.p2align	6, 0x0
	.amdhsa_kernel _ZN7rocprim17ROCPRIM_400000_NS6detail17trampoline_kernelINS0_14default_configENS1_25transform_config_selectorIN3c108BFloat16ELb1EEEZNS1_14transform_implILb1ES3_S7_PS6_S9_NS0_8identityIS6_EEEE10hipError_tT2_T3_mT4_P12ihipStream_tbEUlT_E_NS1_11comp_targetILNS1_3genE4ELNS1_11target_archE910ELNS1_3gpuE8ELNS1_3repE0EEENS1_30default_config_static_selectorELNS0_4arch9wavefront6targetE0EEEvT1_
		.amdhsa_group_segment_fixed_size 0
		.amdhsa_private_segment_fixed_size 0
		.amdhsa_kernarg_size 40
		.amdhsa_user_sgpr_count 6
		.amdhsa_user_sgpr_private_segment_buffer 1
		.amdhsa_user_sgpr_dispatch_ptr 0
		.amdhsa_user_sgpr_queue_ptr 0
		.amdhsa_user_sgpr_kernarg_segment_ptr 1
		.amdhsa_user_sgpr_dispatch_id 0
		.amdhsa_user_sgpr_flat_scratch_init 0
		.amdhsa_user_sgpr_private_segment_size 0
		.amdhsa_wavefront_size32 1
		.amdhsa_uses_dynamic_stack 0
		.amdhsa_system_sgpr_private_segment_wavefront_offset 0
		.amdhsa_system_sgpr_workgroup_id_x 1
		.amdhsa_system_sgpr_workgroup_id_y 0
		.amdhsa_system_sgpr_workgroup_id_z 0
		.amdhsa_system_sgpr_workgroup_info 0
		.amdhsa_system_vgpr_workitem_id 0
		.amdhsa_next_free_vgpr 1
		.amdhsa_next_free_sgpr 1
		.amdhsa_reserve_vcc 0
		.amdhsa_reserve_flat_scratch 0
		.amdhsa_float_round_mode_32 0
		.amdhsa_float_round_mode_16_64 0
		.amdhsa_float_denorm_mode_32 3
		.amdhsa_float_denorm_mode_16_64 3
		.amdhsa_dx10_clamp 1
		.amdhsa_ieee_mode 1
		.amdhsa_fp16_overflow 0
		.amdhsa_workgroup_processor_mode 1
		.amdhsa_memory_ordered 1
		.amdhsa_forward_progress 1
		.amdhsa_shared_vgpr_count 0
		.amdhsa_exception_fp_ieee_invalid_op 0
		.amdhsa_exception_fp_denorm_src 0
		.amdhsa_exception_fp_ieee_div_zero 0
		.amdhsa_exception_fp_ieee_overflow 0
		.amdhsa_exception_fp_ieee_underflow 0
		.amdhsa_exception_fp_ieee_inexact 0
		.amdhsa_exception_int_div_zero 0
	.end_amdhsa_kernel
	.section	.text._ZN7rocprim17ROCPRIM_400000_NS6detail17trampoline_kernelINS0_14default_configENS1_25transform_config_selectorIN3c108BFloat16ELb1EEEZNS1_14transform_implILb1ES3_S7_PS6_S9_NS0_8identityIS6_EEEE10hipError_tT2_T3_mT4_P12ihipStream_tbEUlT_E_NS1_11comp_targetILNS1_3genE4ELNS1_11target_archE910ELNS1_3gpuE8ELNS1_3repE0EEENS1_30default_config_static_selectorELNS0_4arch9wavefront6targetE0EEEvT1_,"axG",@progbits,_ZN7rocprim17ROCPRIM_400000_NS6detail17trampoline_kernelINS0_14default_configENS1_25transform_config_selectorIN3c108BFloat16ELb1EEEZNS1_14transform_implILb1ES3_S7_PS6_S9_NS0_8identityIS6_EEEE10hipError_tT2_T3_mT4_P12ihipStream_tbEUlT_E_NS1_11comp_targetILNS1_3genE4ELNS1_11target_archE910ELNS1_3gpuE8ELNS1_3repE0EEENS1_30default_config_static_selectorELNS0_4arch9wavefront6targetE0EEEvT1_,comdat
.Lfunc_end450:
	.size	_ZN7rocprim17ROCPRIM_400000_NS6detail17trampoline_kernelINS0_14default_configENS1_25transform_config_selectorIN3c108BFloat16ELb1EEEZNS1_14transform_implILb1ES3_S7_PS6_S9_NS0_8identityIS6_EEEE10hipError_tT2_T3_mT4_P12ihipStream_tbEUlT_E_NS1_11comp_targetILNS1_3genE4ELNS1_11target_archE910ELNS1_3gpuE8ELNS1_3repE0EEENS1_30default_config_static_selectorELNS0_4arch9wavefront6targetE0EEEvT1_, .Lfunc_end450-_ZN7rocprim17ROCPRIM_400000_NS6detail17trampoline_kernelINS0_14default_configENS1_25transform_config_selectorIN3c108BFloat16ELb1EEEZNS1_14transform_implILb1ES3_S7_PS6_S9_NS0_8identityIS6_EEEE10hipError_tT2_T3_mT4_P12ihipStream_tbEUlT_E_NS1_11comp_targetILNS1_3genE4ELNS1_11target_archE910ELNS1_3gpuE8ELNS1_3repE0EEENS1_30default_config_static_selectorELNS0_4arch9wavefront6targetE0EEEvT1_
                                        ; -- End function
	.set _ZN7rocprim17ROCPRIM_400000_NS6detail17trampoline_kernelINS0_14default_configENS1_25transform_config_selectorIN3c108BFloat16ELb1EEEZNS1_14transform_implILb1ES3_S7_PS6_S9_NS0_8identityIS6_EEEE10hipError_tT2_T3_mT4_P12ihipStream_tbEUlT_E_NS1_11comp_targetILNS1_3genE4ELNS1_11target_archE910ELNS1_3gpuE8ELNS1_3repE0EEENS1_30default_config_static_selectorELNS0_4arch9wavefront6targetE0EEEvT1_.num_vgpr, 0
	.set _ZN7rocprim17ROCPRIM_400000_NS6detail17trampoline_kernelINS0_14default_configENS1_25transform_config_selectorIN3c108BFloat16ELb1EEEZNS1_14transform_implILb1ES3_S7_PS6_S9_NS0_8identityIS6_EEEE10hipError_tT2_T3_mT4_P12ihipStream_tbEUlT_E_NS1_11comp_targetILNS1_3genE4ELNS1_11target_archE910ELNS1_3gpuE8ELNS1_3repE0EEENS1_30default_config_static_selectorELNS0_4arch9wavefront6targetE0EEEvT1_.num_agpr, 0
	.set _ZN7rocprim17ROCPRIM_400000_NS6detail17trampoline_kernelINS0_14default_configENS1_25transform_config_selectorIN3c108BFloat16ELb1EEEZNS1_14transform_implILb1ES3_S7_PS6_S9_NS0_8identityIS6_EEEE10hipError_tT2_T3_mT4_P12ihipStream_tbEUlT_E_NS1_11comp_targetILNS1_3genE4ELNS1_11target_archE910ELNS1_3gpuE8ELNS1_3repE0EEENS1_30default_config_static_selectorELNS0_4arch9wavefront6targetE0EEEvT1_.numbered_sgpr, 0
	.set _ZN7rocprim17ROCPRIM_400000_NS6detail17trampoline_kernelINS0_14default_configENS1_25transform_config_selectorIN3c108BFloat16ELb1EEEZNS1_14transform_implILb1ES3_S7_PS6_S9_NS0_8identityIS6_EEEE10hipError_tT2_T3_mT4_P12ihipStream_tbEUlT_E_NS1_11comp_targetILNS1_3genE4ELNS1_11target_archE910ELNS1_3gpuE8ELNS1_3repE0EEENS1_30default_config_static_selectorELNS0_4arch9wavefront6targetE0EEEvT1_.num_named_barrier, 0
	.set _ZN7rocprim17ROCPRIM_400000_NS6detail17trampoline_kernelINS0_14default_configENS1_25transform_config_selectorIN3c108BFloat16ELb1EEEZNS1_14transform_implILb1ES3_S7_PS6_S9_NS0_8identityIS6_EEEE10hipError_tT2_T3_mT4_P12ihipStream_tbEUlT_E_NS1_11comp_targetILNS1_3genE4ELNS1_11target_archE910ELNS1_3gpuE8ELNS1_3repE0EEENS1_30default_config_static_selectorELNS0_4arch9wavefront6targetE0EEEvT1_.private_seg_size, 0
	.set _ZN7rocprim17ROCPRIM_400000_NS6detail17trampoline_kernelINS0_14default_configENS1_25transform_config_selectorIN3c108BFloat16ELb1EEEZNS1_14transform_implILb1ES3_S7_PS6_S9_NS0_8identityIS6_EEEE10hipError_tT2_T3_mT4_P12ihipStream_tbEUlT_E_NS1_11comp_targetILNS1_3genE4ELNS1_11target_archE910ELNS1_3gpuE8ELNS1_3repE0EEENS1_30default_config_static_selectorELNS0_4arch9wavefront6targetE0EEEvT1_.uses_vcc, 0
	.set _ZN7rocprim17ROCPRIM_400000_NS6detail17trampoline_kernelINS0_14default_configENS1_25transform_config_selectorIN3c108BFloat16ELb1EEEZNS1_14transform_implILb1ES3_S7_PS6_S9_NS0_8identityIS6_EEEE10hipError_tT2_T3_mT4_P12ihipStream_tbEUlT_E_NS1_11comp_targetILNS1_3genE4ELNS1_11target_archE910ELNS1_3gpuE8ELNS1_3repE0EEENS1_30default_config_static_selectorELNS0_4arch9wavefront6targetE0EEEvT1_.uses_flat_scratch, 0
	.set _ZN7rocprim17ROCPRIM_400000_NS6detail17trampoline_kernelINS0_14default_configENS1_25transform_config_selectorIN3c108BFloat16ELb1EEEZNS1_14transform_implILb1ES3_S7_PS6_S9_NS0_8identityIS6_EEEE10hipError_tT2_T3_mT4_P12ihipStream_tbEUlT_E_NS1_11comp_targetILNS1_3genE4ELNS1_11target_archE910ELNS1_3gpuE8ELNS1_3repE0EEENS1_30default_config_static_selectorELNS0_4arch9wavefront6targetE0EEEvT1_.has_dyn_sized_stack, 0
	.set _ZN7rocprim17ROCPRIM_400000_NS6detail17trampoline_kernelINS0_14default_configENS1_25transform_config_selectorIN3c108BFloat16ELb1EEEZNS1_14transform_implILb1ES3_S7_PS6_S9_NS0_8identityIS6_EEEE10hipError_tT2_T3_mT4_P12ihipStream_tbEUlT_E_NS1_11comp_targetILNS1_3genE4ELNS1_11target_archE910ELNS1_3gpuE8ELNS1_3repE0EEENS1_30default_config_static_selectorELNS0_4arch9wavefront6targetE0EEEvT1_.has_recursion, 0
	.set _ZN7rocprim17ROCPRIM_400000_NS6detail17trampoline_kernelINS0_14default_configENS1_25transform_config_selectorIN3c108BFloat16ELb1EEEZNS1_14transform_implILb1ES3_S7_PS6_S9_NS0_8identityIS6_EEEE10hipError_tT2_T3_mT4_P12ihipStream_tbEUlT_E_NS1_11comp_targetILNS1_3genE4ELNS1_11target_archE910ELNS1_3gpuE8ELNS1_3repE0EEENS1_30default_config_static_selectorELNS0_4arch9wavefront6targetE0EEEvT1_.has_indirect_call, 0
	.section	.AMDGPU.csdata,"",@progbits
; Kernel info:
; codeLenInByte = 0
; TotalNumSgprs: 0
; NumVgprs: 0
; ScratchSize: 0
; MemoryBound: 0
; FloatMode: 240
; IeeeMode: 1
; LDSByteSize: 0 bytes/workgroup (compile time only)
; SGPRBlocks: 0
; VGPRBlocks: 0
; NumSGPRsForWavesPerEU: 1
; NumVGPRsForWavesPerEU: 1
; Occupancy: 16
; WaveLimiterHint : 0
; COMPUTE_PGM_RSRC2:SCRATCH_EN: 0
; COMPUTE_PGM_RSRC2:USER_SGPR: 6
; COMPUTE_PGM_RSRC2:TRAP_HANDLER: 0
; COMPUTE_PGM_RSRC2:TGID_X_EN: 1
; COMPUTE_PGM_RSRC2:TGID_Y_EN: 0
; COMPUTE_PGM_RSRC2:TGID_Z_EN: 0
; COMPUTE_PGM_RSRC2:TIDIG_COMP_CNT: 0
	.section	.text._ZN7rocprim17ROCPRIM_400000_NS6detail17trampoline_kernelINS0_14default_configENS1_25transform_config_selectorIN3c108BFloat16ELb1EEEZNS1_14transform_implILb1ES3_S7_PS6_S9_NS0_8identityIS6_EEEE10hipError_tT2_T3_mT4_P12ihipStream_tbEUlT_E_NS1_11comp_targetILNS1_3genE3ELNS1_11target_archE908ELNS1_3gpuE7ELNS1_3repE0EEENS1_30default_config_static_selectorELNS0_4arch9wavefront6targetE0EEEvT1_,"axG",@progbits,_ZN7rocprim17ROCPRIM_400000_NS6detail17trampoline_kernelINS0_14default_configENS1_25transform_config_selectorIN3c108BFloat16ELb1EEEZNS1_14transform_implILb1ES3_S7_PS6_S9_NS0_8identityIS6_EEEE10hipError_tT2_T3_mT4_P12ihipStream_tbEUlT_E_NS1_11comp_targetILNS1_3genE3ELNS1_11target_archE908ELNS1_3gpuE7ELNS1_3repE0EEENS1_30default_config_static_selectorELNS0_4arch9wavefront6targetE0EEEvT1_,comdat
	.protected	_ZN7rocprim17ROCPRIM_400000_NS6detail17trampoline_kernelINS0_14default_configENS1_25transform_config_selectorIN3c108BFloat16ELb1EEEZNS1_14transform_implILb1ES3_S7_PS6_S9_NS0_8identityIS6_EEEE10hipError_tT2_T3_mT4_P12ihipStream_tbEUlT_E_NS1_11comp_targetILNS1_3genE3ELNS1_11target_archE908ELNS1_3gpuE7ELNS1_3repE0EEENS1_30default_config_static_selectorELNS0_4arch9wavefront6targetE0EEEvT1_ ; -- Begin function _ZN7rocprim17ROCPRIM_400000_NS6detail17trampoline_kernelINS0_14default_configENS1_25transform_config_selectorIN3c108BFloat16ELb1EEEZNS1_14transform_implILb1ES3_S7_PS6_S9_NS0_8identityIS6_EEEE10hipError_tT2_T3_mT4_P12ihipStream_tbEUlT_E_NS1_11comp_targetILNS1_3genE3ELNS1_11target_archE908ELNS1_3gpuE7ELNS1_3repE0EEENS1_30default_config_static_selectorELNS0_4arch9wavefront6targetE0EEEvT1_
	.globl	_ZN7rocprim17ROCPRIM_400000_NS6detail17trampoline_kernelINS0_14default_configENS1_25transform_config_selectorIN3c108BFloat16ELb1EEEZNS1_14transform_implILb1ES3_S7_PS6_S9_NS0_8identityIS6_EEEE10hipError_tT2_T3_mT4_P12ihipStream_tbEUlT_E_NS1_11comp_targetILNS1_3genE3ELNS1_11target_archE908ELNS1_3gpuE7ELNS1_3repE0EEENS1_30default_config_static_selectorELNS0_4arch9wavefront6targetE0EEEvT1_
	.p2align	8
	.type	_ZN7rocprim17ROCPRIM_400000_NS6detail17trampoline_kernelINS0_14default_configENS1_25transform_config_selectorIN3c108BFloat16ELb1EEEZNS1_14transform_implILb1ES3_S7_PS6_S9_NS0_8identityIS6_EEEE10hipError_tT2_T3_mT4_P12ihipStream_tbEUlT_E_NS1_11comp_targetILNS1_3genE3ELNS1_11target_archE908ELNS1_3gpuE7ELNS1_3repE0EEENS1_30default_config_static_selectorELNS0_4arch9wavefront6targetE0EEEvT1_,@function
_ZN7rocprim17ROCPRIM_400000_NS6detail17trampoline_kernelINS0_14default_configENS1_25transform_config_selectorIN3c108BFloat16ELb1EEEZNS1_14transform_implILb1ES3_S7_PS6_S9_NS0_8identityIS6_EEEE10hipError_tT2_T3_mT4_P12ihipStream_tbEUlT_E_NS1_11comp_targetILNS1_3genE3ELNS1_11target_archE908ELNS1_3gpuE7ELNS1_3repE0EEENS1_30default_config_static_selectorELNS0_4arch9wavefront6targetE0EEEvT1_: ; @_ZN7rocprim17ROCPRIM_400000_NS6detail17trampoline_kernelINS0_14default_configENS1_25transform_config_selectorIN3c108BFloat16ELb1EEEZNS1_14transform_implILb1ES3_S7_PS6_S9_NS0_8identityIS6_EEEE10hipError_tT2_T3_mT4_P12ihipStream_tbEUlT_E_NS1_11comp_targetILNS1_3genE3ELNS1_11target_archE908ELNS1_3gpuE7ELNS1_3repE0EEENS1_30default_config_static_selectorELNS0_4arch9wavefront6targetE0EEEvT1_
; %bb.0:
	.section	.rodata,"a",@progbits
	.p2align	6, 0x0
	.amdhsa_kernel _ZN7rocprim17ROCPRIM_400000_NS6detail17trampoline_kernelINS0_14default_configENS1_25transform_config_selectorIN3c108BFloat16ELb1EEEZNS1_14transform_implILb1ES3_S7_PS6_S9_NS0_8identityIS6_EEEE10hipError_tT2_T3_mT4_P12ihipStream_tbEUlT_E_NS1_11comp_targetILNS1_3genE3ELNS1_11target_archE908ELNS1_3gpuE7ELNS1_3repE0EEENS1_30default_config_static_selectorELNS0_4arch9wavefront6targetE0EEEvT1_
		.amdhsa_group_segment_fixed_size 0
		.amdhsa_private_segment_fixed_size 0
		.amdhsa_kernarg_size 40
		.amdhsa_user_sgpr_count 6
		.amdhsa_user_sgpr_private_segment_buffer 1
		.amdhsa_user_sgpr_dispatch_ptr 0
		.amdhsa_user_sgpr_queue_ptr 0
		.amdhsa_user_sgpr_kernarg_segment_ptr 1
		.amdhsa_user_sgpr_dispatch_id 0
		.amdhsa_user_sgpr_flat_scratch_init 0
		.amdhsa_user_sgpr_private_segment_size 0
		.amdhsa_wavefront_size32 1
		.amdhsa_uses_dynamic_stack 0
		.amdhsa_system_sgpr_private_segment_wavefront_offset 0
		.amdhsa_system_sgpr_workgroup_id_x 1
		.amdhsa_system_sgpr_workgroup_id_y 0
		.amdhsa_system_sgpr_workgroup_id_z 0
		.amdhsa_system_sgpr_workgroup_info 0
		.amdhsa_system_vgpr_workitem_id 0
		.amdhsa_next_free_vgpr 1
		.amdhsa_next_free_sgpr 1
		.amdhsa_reserve_vcc 0
		.amdhsa_reserve_flat_scratch 0
		.amdhsa_float_round_mode_32 0
		.amdhsa_float_round_mode_16_64 0
		.amdhsa_float_denorm_mode_32 3
		.amdhsa_float_denorm_mode_16_64 3
		.amdhsa_dx10_clamp 1
		.amdhsa_ieee_mode 1
		.amdhsa_fp16_overflow 0
		.amdhsa_workgroup_processor_mode 1
		.amdhsa_memory_ordered 1
		.amdhsa_forward_progress 1
		.amdhsa_shared_vgpr_count 0
		.amdhsa_exception_fp_ieee_invalid_op 0
		.amdhsa_exception_fp_denorm_src 0
		.amdhsa_exception_fp_ieee_div_zero 0
		.amdhsa_exception_fp_ieee_overflow 0
		.amdhsa_exception_fp_ieee_underflow 0
		.amdhsa_exception_fp_ieee_inexact 0
		.amdhsa_exception_int_div_zero 0
	.end_amdhsa_kernel
	.section	.text._ZN7rocprim17ROCPRIM_400000_NS6detail17trampoline_kernelINS0_14default_configENS1_25transform_config_selectorIN3c108BFloat16ELb1EEEZNS1_14transform_implILb1ES3_S7_PS6_S9_NS0_8identityIS6_EEEE10hipError_tT2_T3_mT4_P12ihipStream_tbEUlT_E_NS1_11comp_targetILNS1_3genE3ELNS1_11target_archE908ELNS1_3gpuE7ELNS1_3repE0EEENS1_30default_config_static_selectorELNS0_4arch9wavefront6targetE0EEEvT1_,"axG",@progbits,_ZN7rocprim17ROCPRIM_400000_NS6detail17trampoline_kernelINS0_14default_configENS1_25transform_config_selectorIN3c108BFloat16ELb1EEEZNS1_14transform_implILb1ES3_S7_PS6_S9_NS0_8identityIS6_EEEE10hipError_tT2_T3_mT4_P12ihipStream_tbEUlT_E_NS1_11comp_targetILNS1_3genE3ELNS1_11target_archE908ELNS1_3gpuE7ELNS1_3repE0EEENS1_30default_config_static_selectorELNS0_4arch9wavefront6targetE0EEEvT1_,comdat
.Lfunc_end451:
	.size	_ZN7rocprim17ROCPRIM_400000_NS6detail17trampoline_kernelINS0_14default_configENS1_25transform_config_selectorIN3c108BFloat16ELb1EEEZNS1_14transform_implILb1ES3_S7_PS6_S9_NS0_8identityIS6_EEEE10hipError_tT2_T3_mT4_P12ihipStream_tbEUlT_E_NS1_11comp_targetILNS1_3genE3ELNS1_11target_archE908ELNS1_3gpuE7ELNS1_3repE0EEENS1_30default_config_static_selectorELNS0_4arch9wavefront6targetE0EEEvT1_, .Lfunc_end451-_ZN7rocprim17ROCPRIM_400000_NS6detail17trampoline_kernelINS0_14default_configENS1_25transform_config_selectorIN3c108BFloat16ELb1EEEZNS1_14transform_implILb1ES3_S7_PS6_S9_NS0_8identityIS6_EEEE10hipError_tT2_T3_mT4_P12ihipStream_tbEUlT_E_NS1_11comp_targetILNS1_3genE3ELNS1_11target_archE908ELNS1_3gpuE7ELNS1_3repE0EEENS1_30default_config_static_selectorELNS0_4arch9wavefront6targetE0EEEvT1_
                                        ; -- End function
	.set _ZN7rocprim17ROCPRIM_400000_NS6detail17trampoline_kernelINS0_14default_configENS1_25transform_config_selectorIN3c108BFloat16ELb1EEEZNS1_14transform_implILb1ES3_S7_PS6_S9_NS0_8identityIS6_EEEE10hipError_tT2_T3_mT4_P12ihipStream_tbEUlT_E_NS1_11comp_targetILNS1_3genE3ELNS1_11target_archE908ELNS1_3gpuE7ELNS1_3repE0EEENS1_30default_config_static_selectorELNS0_4arch9wavefront6targetE0EEEvT1_.num_vgpr, 0
	.set _ZN7rocprim17ROCPRIM_400000_NS6detail17trampoline_kernelINS0_14default_configENS1_25transform_config_selectorIN3c108BFloat16ELb1EEEZNS1_14transform_implILb1ES3_S7_PS6_S9_NS0_8identityIS6_EEEE10hipError_tT2_T3_mT4_P12ihipStream_tbEUlT_E_NS1_11comp_targetILNS1_3genE3ELNS1_11target_archE908ELNS1_3gpuE7ELNS1_3repE0EEENS1_30default_config_static_selectorELNS0_4arch9wavefront6targetE0EEEvT1_.num_agpr, 0
	.set _ZN7rocprim17ROCPRIM_400000_NS6detail17trampoline_kernelINS0_14default_configENS1_25transform_config_selectorIN3c108BFloat16ELb1EEEZNS1_14transform_implILb1ES3_S7_PS6_S9_NS0_8identityIS6_EEEE10hipError_tT2_T3_mT4_P12ihipStream_tbEUlT_E_NS1_11comp_targetILNS1_3genE3ELNS1_11target_archE908ELNS1_3gpuE7ELNS1_3repE0EEENS1_30default_config_static_selectorELNS0_4arch9wavefront6targetE0EEEvT1_.numbered_sgpr, 0
	.set _ZN7rocprim17ROCPRIM_400000_NS6detail17trampoline_kernelINS0_14default_configENS1_25transform_config_selectorIN3c108BFloat16ELb1EEEZNS1_14transform_implILb1ES3_S7_PS6_S9_NS0_8identityIS6_EEEE10hipError_tT2_T3_mT4_P12ihipStream_tbEUlT_E_NS1_11comp_targetILNS1_3genE3ELNS1_11target_archE908ELNS1_3gpuE7ELNS1_3repE0EEENS1_30default_config_static_selectorELNS0_4arch9wavefront6targetE0EEEvT1_.num_named_barrier, 0
	.set _ZN7rocprim17ROCPRIM_400000_NS6detail17trampoline_kernelINS0_14default_configENS1_25transform_config_selectorIN3c108BFloat16ELb1EEEZNS1_14transform_implILb1ES3_S7_PS6_S9_NS0_8identityIS6_EEEE10hipError_tT2_T3_mT4_P12ihipStream_tbEUlT_E_NS1_11comp_targetILNS1_3genE3ELNS1_11target_archE908ELNS1_3gpuE7ELNS1_3repE0EEENS1_30default_config_static_selectorELNS0_4arch9wavefront6targetE0EEEvT1_.private_seg_size, 0
	.set _ZN7rocprim17ROCPRIM_400000_NS6detail17trampoline_kernelINS0_14default_configENS1_25transform_config_selectorIN3c108BFloat16ELb1EEEZNS1_14transform_implILb1ES3_S7_PS6_S9_NS0_8identityIS6_EEEE10hipError_tT2_T3_mT4_P12ihipStream_tbEUlT_E_NS1_11comp_targetILNS1_3genE3ELNS1_11target_archE908ELNS1_3gpuE7ELNS1_3repE0EEENS1_30default_config_static_selectorELNS0_4arch9wavefront6targetE0EEEvT1_.uses_vcc, 0
	.set _ZN7rocprim17ROCPRIM_400000_NS6detail17trampoline_kernelINS0_14default_configENS1_25transform_config_selectorIN3c108BFloat16ELb1EEEZNS1_14transform_implILb1ES3_S7_PS6_S9_NS0_8identityIS6_EEEE10hipError_tT2_T3_mT4_P12ihipStream_tbEUlT_E_NS1_11comp_targetILNS1_3genE3ELNS1_11target_archE908ELNS1_3gpuE7ELNS1_3repE0EEENS1_30default_config_static_selectorELNS0_4arch9wavefront6targetE0EEEvT1_.uses_flat_scratch, 0
	.set _ZN7rocprim17ROCPRIM_400000_NS6detail17trampoline_kernelINS0_14default_configENS1_25transform_config_selectorIN3c108BFloat16ELb1EEEZNS1_14transform_implILb1ES3_S7_PS6_S9_NS0_8identityIS6_EEEE10hipError_tT2_T3_mT4_P12ihipStream_tbEUlT_E_NS1_11comp_targetILNS1_3genE3ELNS1_11target_archE908ELNS1_3gpuE7ELNS1_3repE0EEENS1_30default_config_static_selectorELNS0_4arch9wavefront6targetE0EEEvT1_.has_dyn_sized_stack, 0
	.set _ZN7rocprim17ROCPRIM_400000_NS6detail17trampoline_kernelINS0_14default_configENS1_25transform_config_selectorIN3c108BFloat16ELb1EEEZNS1_14transform_implILb1ES3_S7_PS6_S9_NS0_8identityIS6_EEEE10hipError_tT2_T3_mT4_P12ihipStream_tbEUlT_E_NS1_11comp_targetILNS1_3genE3ELNS1_11target_archE908ELNS1_3gpuE7ELNS1_3repE0EEENS1_30default_config_static_selectorELNS0_4arch9wavefront6targetE0EEEvT1_.has_recursion, 0
	.set _ZN7rocprim17ROCPRIM_400000_NS6detail17trampoline_kernelINS0_14default_configENS1_25transform_config_selectorIN3c108BFloat16ELb1EEEZNS1_14transform_implILb1ES3_S7_PS6_S9_NS0_8identityIS6_EEEE10hipError_tT2_T3_mT4_P12ihipStream_tbEUlT_E_NS1_11comp_targetILNS1_3genE3ELNS1_11target_archE908ELNS1_3gpuE7ELNS1_3repE0EEENS1_30default_config_static_selectorELNS0_4arch9wavefront6targetE0EEEvT1_.has_indirect_call, 0
	.section	.AMDGPU.csdata,"",@progbits
; Kernel info:
; codeLenInByte = 0
; TotalNumSgprs: 0
; NumVgprs: 0
; ScratchSize: 0
; MemoryBound: 0
; FloatMode: 240
; IeeeMode: 1
; LDSByteSize: 0 bytes/workgroup (compile time only)
; SGPRBlocks: 0
; VGPRBlocks: 0
; NumSGPRsForWavesPerEU: 1
; NumVGPRsForWavesPerEU: 1
; Occupancy: 16
; WaveLimiterHint : 0
; COMPUTE_PGM_RSRC2:SCRATCH_EN: 0
; COMPUTE_PGM_RSRC2:USER_SGPR: 6
; COMPUTE_PGM_RSRC2:TRAP_HANDLER: 0
; COMPUTE_PGM_RSRC2:TGID_X_EN: 1
; COMPUTE_PGM_RSRC2:TGID_Y_EN: 0
; COMPUTE_PGM_RSRC2:TGID_Z_EN: 0
; COMPUTE_PGM_RSRC2:TIDIG_COMP_CNT: 0
	.section	.text._ZN7rocprim17ROCPRIM_400000_NS6detail17trampoline_kernelINS0_14default_configENS1_25transform_config_selectorIN3c108BFloat16ELb1EEEZNS1_14transform_implILb1ES3_S7_PS6_S9_NS0_8identityIS6_EEEE10hipError_tT2_T3_mT4_P12ihipStream_tbEUlT_E_NS1_11comp_targetILNS1_3genE2ELNS1_11target_archE906ELNS1_3gpuE6ELNS1_3repE0EEENS1_30default_config_static_selectorELNS0_4arch9wavefront6targetE0EEEvT1_,"axG",@progbits,_ZN7rocprim17ROCPRIM_400000_NS6detail17trampoline_kernelINS0_14default_configENS1_25transform_config_selectorIN3c108BFloat16ELb1EEEZNS1_14transform_implILb1ES3_S7_PS6_S9_NS0_8identityIS6_EEEE10hipError_tT2_T3_mT4_P12ihipStream_tbEUlT_E_NS1_11comp_targetILNS1_3genE2ELNS1_11target_archE906ELNS1_3gpuE6ELNS1_3repE0EEENS1_30default_config_static_selectorELNS0_4arch9wavefront6targetE0EEEvT1_,comdat
	.protected	_ZN7rocprim17ROCPRIM_400000_NS6detail17trampoline_kernelINS0_14default_configENS1_25transform_config_selectorIN3c108BFloat16ELb1EEEZNS1_14transform_implILb1ES3_S7_PS6_S9_NS0_8identityIS6_EEEE10hipError_tT2_T3_mT4_P12ihipStream_tbEUlT_E_NS1_11comp_targetILNS1_3genE2ELNS1_11target_archE906ELNS1_3gpuE6ELNS1_3repE0EEENS1_30default_config_static_selectorELNS0_4arch9wavefront6targetE0EEEvT1_ ; -- Begin function _ZN7rocprim17ROCPRIM_400000_NS6detail17trampoline_kernelINS0_14default_configENS1_25transform_config_selectorIN3c108BFloat16ELb1EEEZNS1_14transform_implILb1ES3_S7_PS6_S9_NS0_8identityIS6_EEEE10hipError_tT2_T3_mT4_P12ihipStream_tbEUlT_E_NS1_11comp_targetILNS1_3genE2ELNS1_11target_archE906ELNS1_3gpuE6ELNS1_3repE0EEENS1_30default_config_static_selectorELNS0_4arch9wavefront6targetE0EEEvT1_
	.globl	_ZN7rocprim17ROCPRIM_400000_NS6detail17trampoline_kernelINS0_14default_configENS1_25transform_config_selectorIN3c108BFloat16ELb1EEEZNS1_14transform_implILb1ES3_S7_PS6_S9_NS0_8identityIS6_EEEE10hipError_tT2_T3_mT4_P12ihipStream_tbEUlT_E_NS1_11comp_targetILNS1_3genE2ELNS1_11target_archE906ELNS1_3gpuE6ELNS1_3repE0EEENS1_30default_config_static_selectorELNS0_4arch9wavefront6targetE0EEEvT1_
	.p2align	8
	.type	_ZN7rocprim17ROCPRIM_400000_NS6detail17trampoline_kernelINS0_14default_configENS1_25transform_config_selectorIN3c108BFloat16ELb1EEEZNS1_14transform_implILb1ES3_S7_PS6_S9_NS0_8identityIS6_EEEE10hipError_tT2_T3_mT4_P12ihipStream_tbEUlT_E_NS1_11comp_targetILNS1_3genE2ELNS1_11target_archE906ELNS1_3gpuE6ELNS1_3repE0EEENS1_30default_config_static_selectorELNS0_4arch9wavefront6targetE0EEEvT1_,@function
_ZN7rocprim17ROCPRIM_400000_NS6detail17trampoline_kernelINS0_14default_configENS1_25transform_config_selectorIN3c108BFloat16ELb1EEEZNS1_14transform_implILb1ES3_S7_PS6_S9_NS0_8identityIS6_EEEE10hipError_tT2_T3_mT4_P12ihipStream_tbEUlT_E_NS1_11comp_targetILNS1_3genE2ELNS1_11target_archE906ELNS1_3gpuE6ELNS1_3repE0EEENS1_30default_config_static_selectorELNS0_4arch9wavefront6targetE0EEEvT1_: ; @_ZN7rocprim17ROCPRIM_400000_NS6detail17trampoline_kernelINS0_14default_configENS1_25transform_config_selectorIN3c108BFloat16ELb1EEEZNS1_14transform_implILb1ES3_S7_PS6_S9_NS0_8identityIS6_EEEE10hipError_tT2_T3_mT4_P12ihipStream_tbEUlT_E_NS1_11comp_targetILNS1_3genE2ELNS1_11target_archE906ELNS1_3gpuE6ELNS1_3repE0EEENS1_30default_config_static_selectorELNS0_4arch9wavefront6targetE0EEEvT1_
; %bb.0:
	.section	.rodata,"a",@progbits
	.p2align	6, 0x0
	.amdhsa_kernel _ZN7rocprim17ROCPRIM_400000_NS6detail17trampoline_kernelINS0_14default_configENS1_25transform_config_selectorIN3c108BFloat16ELb1EEEZNS1_14transform_implILb1ES3_S7_PS6_S9_NS0_8identityIS6_EEEE10hipError_tT2_T3_mT4_P12ihipStream_tbEUlT_E_NS1_11comp_targetILNS1_3genE2ELNS1_11target_archE906ELNS1_3gpuE6ELNS1_3repE0EEENS1_30default_config_static_selectorELNS0_4arch9wavefront6targetE0EEEvT1_
		.amdhsa_group_segment_fixed_size 0
		.amdhsa_private_segment_fixed_size 0
		.amdhsa_kernarg_size 40
		.amdhsa_user_sgpr_count 6
		.amdhsa_user_sgpr_private_segment_buffer 1
		.amdhsa_user_sgpr_dispatch_ptr 0
		.amdhsa_user_sgpr_queue_ptr 0
		.amdhsa_user_sgpr_kernarg_segment_ptr 1
		.amdhsa_user_sgpr_dispatch_id 0
		.amdhsa_user_sgpr_flat_scratch_init 0
		.amdhsa_user_sgpr_private_segment_size 0
		.amdhsa_wavefront_size32 1
		.amdhsa_uses_dynamic_stack 0
		.amdhsa_system_sgpr_private_segment_wavefront_offset 0
		.amdhsa_system_sgpr_workgroup_id_x 1
		.amdhsa_system_sgpr_workgroup_id_y 0
		.amdhsa_system_sgpr_workgroup_id_z 0
		.amdhsa_system_sgpr_workgroup_info 0
		.amdhsa_system_vgpr_workitem_id 0
		.amdhsa_next_free_vgpr 1
		.amdhsa_next_free_sgpr 1
		.amdhsa_reserve_vcc 0
		.amdhsa_reserve_flat_scratch 0
		.amdhsa_float_round_mode_32 0
		.amdhsa_float_round_mode_16_64 0
		.amdhsa_float_denorm_mode_32 3
		.amdhsa_float_denorm_mode_16_64 3
		.amdhsa_dx10_clamp 1
		.amdhsa_ieee_mode 1
		.amdhsa_fp16_overflow 0
		.amdhsa_workgroup_processor_mode 1
		.amdhsa_memory_ordered 1
		.amdhsa_forward_progress 1
		.amdhsa_shared_vgpr_count 0
		.amdhsa_exception_fp_ieee_invalid_op 0
		.amdhsa_exception_fp_denorm_src 0
		.amdhsa_exception_fp_ieee_div_zero 0
		.amdhsa_exception_fp_ieee_overflow 0
		.amdhsa_exception_fp_ieee_underflow 0
		.amdhsa_exception_fp_ieee_inexact 0
		.amdhsa_exception_int_div_zero 0
	.end_amdhsa_kernel
	.section	.text._ZN7rocprim17ROCPRIM_400000_NS6detail17trampoline_kernelINS0_14default_configENS1_25transform_config_selectorIN3c108BFloat16ELb1EEEZNS1_14transform_implILb1ES3_S7_PS6_S9_NS0_8identityIS6_EEEE10hipError_tT2_T3_mT4_P12ihipStream_tbEUlT_E_NS1_11comp_targetILNS1_3genE2ELNS1_11target_archE906ELNS1_3gpuE6ELNS1_3repE0EEENS1_30default_config_static_selectorELNS0_4arch9wavefront6targetE0EEEvT1_,"axG",@progbits,_ZN7rocprim17ROCPRIM_400000_NS6detail17trampoline_kernelINS0_14default_configENS1_25transform_config_selectorIN3c108BFloat16ELb1EEEZNS1_14transform_implILb1ES3_S7_PS6_S9_NS0_8identityIS6_EEEE10hipError_tT2_T3_mT4_P12ihipStream_tbEUlT_E_NS1_11comp_targetILNS1_3genE2ELNS1_11target_archE906ELNS1_3gpuE6ELNS1_3repE0EEENS1_30default_config_static_selectorELNS0_4arch9wavefront6targetE0EEEvT1_,comdat
.Lfunc_end452:
	.size	_ZN7rocprim17ROCPRIM_400000_NS6detail17trampoline_kernelINS0_14default_configENS1_25transform_config_selectorIN3c108BFloat16ELb1EEEZNS1_14transform_implILb1ES3_S7_PS6_S9_NS0_8identityIS6_EEEE10hipError_tT2_T3_mT4_P12ihipStream_tbEUlT_E_NS1_11comp_targetILNS1_3genE2ELNS1_11target_archE906ELNS1_3gpuE6ELNS1_3repE0EEENS1_30default_config_static_selectorELNS0_4arch9wavefront6targetE0EEEvT1_, .Lfunc_end452-_ZN7rocprim17ROCPRIM_400000_NS6detail17trampoline_kernelINS0_14default_configENS1_25transform_config_selectorIN3c108BFloat16ELb1EEEZNS1_14transform_implILb1ES3_S7_PS6_S9_NS0_8identityIS6_EEEE10hipError_tT2_T3_mT4_P12ihipStream_tbEUlT_E_NS1_11comp_targetILNS1_3genE2ELNS1_11target_archE906ELNS1_3gpuE6ELNS1_3repE0EEENS1_30default_config_static_selectorELNS0_4arch9wavefront6targetE0EEEvT1_
                                        ; -- End function
	.set _ZN7rocprim17ROCPRIM_400000_NS6detail17trampoline_kernelINS0_14default_configENS1_25transform_config_selectorIN3c108BFloat16ELb1EEEZNS1_14transform_implILb1ES3_S7_PS6_S9_NS0_8identityIS6_EEEE10hipError_tT2_T3_mT4_P12ihipStream_tbEUlT_E_NS1_11comp_targetILNS1_3genE2ELNS1_11target_archE906ELNS1_3gpuE6ELNS1_3repE0EEENS1_30default_config_static_selectorELNS0_4arch9wavefront6targetE0EEEvT1_.num_vgpr, 0
	.set _ZN7rocprim17ROCPRIM_400000_NS6detail17trampoline_kernelINS0_14default_configENS1_25transform_config_selectorIN3c108BFloat16ELb1EEEZNS1_14transform_implILb1ES3_S7_PS6_S9_NS0_8identityIS6_EEEE10hipError_tT2_T3_mT4_P12ihipStream_tbEUlT_E_NS1_11comp_targetILNS1_3genE2ELNS1_11target_archE906ELNS1_3gpuE6ELNS1_3repE0EEENS1_30default_config_static_selectorELNS0_4arch9wavefront6targetE0EEEvT1_.num_agpr, 0
	.set _ZN7rocprim17ROCPRIM_400000_NS6detail17trampoline_kernelINS0_14default_configENS1_25transform_config_selectorIN3c108BFloat16ELb1EEEZNS1_14transform_implILb1ES3_S7_PS6_S9_NS0_8identityIS6_EEEE10hipError_tT2_T3_mT4_P12ihipStream_tbEUlT_E_NS1_11comp_targetILNS1_3genE2ELNS1_11target_archE906ELNS1_3gpuE6ELNS1_3repE0EEENS1_30default_config_static_selectorELNS0_4arch9wavefront6targetE0EEEvT1_.numbered_sgpr, 0
	.set _ZN7rocprim17ROCPRIM_400000_NS6detail17trampoline_kernelINS0_14default_configENS1_25transform_config_selectorIN3c108BFloat16ELb1EEEZNS1_14transform_implILb1ES3_S7_PS6_S9_NS0_8identityIS6_EEEE10hipError_tT2_T3_mT4_P12ihipStream_tbEUlT_E_NS1_11comp_targetILNS1_3genE2ELNS1_11target_archE906ELNS1_3gpuE6ELNS1_3repE0EEENS1_30default_config_static_selectorELNS0_4arch9wavefront6targetE0EEEvT1_.num_named_barrier, 0
	.set _ZN7rocprim17ROCPRIM_400000_NS6detail17trampoline_kernelINS0_14default_configENS1_25transform_config_selectorIN3c108BFloat16ELb1EEEZNS1_14transform_implILb1ES3_S7_PS6_S9_NS0_8identityIS6_EEEE10hipError_tT2_T3_mT4_P12ihipStream_tbEUlT_E_NS1_11comp_targetILNS1_3genE2ELNS1_11target_archE906ELNS1_3gpuE6ELNS1_3repE0EEENS1_30default_config_static_selectorELNS0_4arch9wavefront6targetE0EEEvT1_.private_seg_size, 0
	.set _ZN7rocprim17ROCPRIM_400000_NS6detail17trampoline_kernelINS0_14default_configENS1_25transform_config_selectorIN3c108BFloat16ELb1EEEZNS1_14transform_implILb1ES3_S7_PS6_S9_NS0_8identityIS6_EEEE10hipError_tT2_T3_mT4_P12ihipStream_tbEUlT_E_NS1_11comp_targetILNS1_3genE2ELNS1_11target_archE906ELNS1_3gpuE6ELNS1_3repE0EEENS1_30default_config_static_selectorELNS0_4arch9wavefront6targetE0EEEvT1_.uses_vcc, 0
	.set _ZN7rocprim17ROCPRIM_400000_NS6detail17trampoline_kernelINS0_14default_configENS1_25transform_config_selectorIN3c108BFloat16ELb1EEEZNS1_14transform_implILb1ES3_S7_PS6_S9_NS0_8identityIS6_EEEE10hipError_tT2_T3_mT4_P12ihipStream_tbEUlT_E_NS1_11comp_targetILNS1_3genE2ELNS1_11target_archE906ELNS1_3gpuE6ELNS1_3repE0EEENS1_30default_config_static_selectorELNS0_4arch9wavefront6targetE0EEEvT1_.uses_flat_scratch, 0
	.set _ZN7rocprim17ROCPRIM_400000_NS6detail17trampoline_kernelINS0_14default_configENS1_25transform_config_selectorIN3c108BFloat16ELb1EEEZNS1_14transform_implILb1ES3_S7_PS6_S9_NS0_8identityIS6_EEEE10hipError_tT2_T3_mT4_P12ihipStream_tbEUlT_E_NS1_11comp_targetILNS1_3genE2ELNS1_11target_archE906ELNS1_3gpuE6ELNS1_3repE0EEENS1_30default_config_static_selectorELNS0_4arch9wavefront6targetE0EEEvT1_.has_dyn_sized_stack, 0
	.set _ZN7rocprim17ROCPRIM_400000_NS6detail17trampoline_kernelINS0_14default_configENS1_25transform_config_selectorIN3c108BFloat16ELb1EEEZNS1_14transform_implILb1ES3_S7_PS6_S9_NS0_8identityIS6_EEEE10hipError_tT2_T3_mT4_P12ihipStream_tbEUlT_E_NS1_11comp_targetILNS1_3genE2ELNS1_11target_archE906ELNS1_3gpuE6ELNS1_3repE0EEENS1_30default_config_static_selectorELNS0_4arch9wavefront6targetE0EEEvT1_.has_recursion, 0
	.set _ZN7rocprim17ROCPRIM_400000_NS6detail17trampoline_kernelINS0_14default_configENS1_25transform_config_selectorIN3c108BFloat16ELb1EEEZNS1_14transform_implILb1ES3_S7_PS6_S9_NS0_8identityIS6_EEEE10hipError_tT2_T3_mT4_P12ihipStream_tbEUlT_E_NS1_11comp_targetILNS1_3genE2ELNS1_11target_archE906ELNS1_3gpuE6ELNS1_3repE0EEENS1_30default_config_static_selectorELNS0_4arch9wavefront6targetE0EEEvT1_.has_indirect_call, 0
	.section	.AMDGPU.csdata,"",@progbits
; Kernel info:
; codeLenInByte = 0
; TotalNumSgprs: 0
; NumVgprs: 0
; ScratchSize: 0
; MemoryBound: 0
; FloatMode: 240
; IeeeMode: 1
; LDSByteSize: 0 bytes/workgroup (compile time only)
; SGPRBlocks: 0
; VGPRBlocks: 0
; NumSGPRsForWavesPerEU: 1
; NumVGPRsForWavesPerEU: 1
; Occupancy: 16
; WaveLimiterHint : 0
; COMPUTE_PGM_RSRC2:SCRATCH_EN: 0
; COMPUTE_PGM_RSRC2:USER_SGPR: 6
; COMPUTE_PGM_RSRC2:TRAP_HANDLER: 0
; COMPUTE_PGM_RSRC2:TGID_X_EN: 1
; COMPUTE_PGM_RSRC2:TGID_Y_EN: 0
; COMPUTE_PGM_RSRC2:TGID_Z_EN: 0
; COMPUTE_PGM_RSRC2:TIDIG_COMP_CNT: 0
	.section	.text._ZN7rocprim17ROCPRIM_400000_NS6detail17trampoline_kernelINS0_14default_configENS1_25transform_config_selectorIN3c108BFloat16ELb1EEEZNS1_14transform_implILb1ES3_S7_PS6_S9_NS0_8identityIS6_EEEE10hipError_tT2_T3_mT4_P12ihipStream_tbEUlT_E_NS1_11comp_targetILNS1_3genE9ELNS1_11target_archE1100ELNS1_3gpuE3ELNS1_3repE0EEENS1_30default_config_static_selectorELNS0_4arch9wavefront6targetE0EEEvT1_,"axG",@progbits,_ZN7rocprim17ROCPRIM_400000_NS6detail17trampoline_kernelINS0_14default_configENS1_25transform_config_selectorIN3c108BFloat16ELb1EEEZNS1_14transform_implILb1ES3_S7_PS6_S9_NS0_8identityIS6_EEEE10hipError_tT2_T3_mT4_P12ihipStream_tbEUlT_E_NS1_11comp_targetILNS1_3genE9ELNS1_11target_archE1100ELNS1_3gpuE3ELNS1_3repE0EEENS1_30default_config_static_selectorELNS0_4arch9wavefront6targetE0EEEvT1_,comdat
	.protected	_ZN7rocprim17ROCPRIM_400000_NS6detail17trampoline_kernelINS0_14default_configENS1_25transform_config_selectorIN3c108BFloat16ELb1EEEZNS1_14transform_implILb1ES3_S7_PS6_S9_NS0_8identityIS6_EEEE10hipError_tT2_T3_mT4_P12ihipStream_tbEUlT_E_NS1_11comp_targetILNS1_3genE9ELNS1_11target_archE1100ELNS1_3gpuE3ELNS1_3repE0EEENS1_30default_config_static_selectorELNS0_4arch9wavefront6targetE0EEEvT1_ ; -- Begin function _ZN7rocprim17ROCPRIM_400000_NS6detail17trampoline_kernelINS0_14default_configENS1_25transform_config_selectorIN3c108BFloat16ELb1EEEZNS1_14transform_implILb1ES3_S7_PS6_S9_NS0_8identityIS6_EEEE10hipError_tT2_T3_mT4_P12ihipStream_tbEUlT_E_NS1_11comp_targetILNS1_3genE9ELNS1_11target_archE1100ELNS1_3gpuE3ELNS1_3repE0EEENS1_30default_config_static_selectorELNS0_4arch9wavefront6targetE0EEEvT1_
	.globl	_ZN7rocprim17ROCPRIM_400000_NS6detail17trampoline_kernelINS0_14default_configENS1_25transform_config_selectorIN3c108BFloat16ELb1EEEZNS1_14transform_implILb1ES3_S7_PS6_S9_NS0_8identityIS6_EEEE10hipError_tT2_T3_mT4_P12ihipStream_tbEUlT_E_NS1_11comp_targetILNS1_3genE9ELNS1_11target_archE1100ELNS1_3gpuE3ELNS1_3repE0EEENS1_30default_config_static_selectorELNS0_4arch9wavefront6targetE0EEEvT1_
	.p2align	8
	.type	_ZN7rocprim17ROCPRIM_400000_NS6detail17trampoline_kernelINS0_14default_configENS1_25transform_config_selectorIN3c108BFloat16ELb1EEEZNS1_14transform_implILb1ES3_S7_PS6_S9_NS0_8identityIS6_EEEE10hipError_tT2_T3_mT4_P12ihipStream_tbEUlT_E_NS1_11comp_targetILNS1_3genE9ELNS1_11target_archE1100ELNS1_3gpuE3ELNS1_3repE0EEENS1_30default_config_static_selectorELNS0_4arch9wavefront6targetE0EEEvT1_,@function
_ZN7rocprim17ROCPRIM_400000_NS6detail17trampoline_kernelINS0_14default_configENS1_25transform_config_selectorIN3c108BFloat16ELb1EEEZNS1_14transform_implILb1ES3_S7_PS6_S9_NS0_8identityIS6_EEEE10hipError_tT2_T3_mT4_P12ihipStream_tbEUlT_E_NS1_11comp_targetILNS1_3genE9ELNS1_11target_archE1100ELNS1_3gpuE3ELNS1_3repE0EEENS1_30default_config_static_selectorELNS0_4arch9wavefront6targetE0EEEvT1_: ; @_ZN7rocprim17ROCPRIM_400000_NS6detail17trampoline_kernelINS0_14default_configENS1_25transform_config_selectorIN3c108BFloat16ELb1EEEZNS1_14transform_implILb1ES3_S7_PS6_S9_NS0_8identityIS6_EEEE10hipError_tT2_T3_mT4_P12ihipStream_tbEUlT_E_NS1_11comp_targetILNS1_3genE9ELNS1_11target_archE1100ELNS1_3gpuE3ELNS1_3repE0EEENS1_30default_config_static_selectorELNS0_4arch9wavefront6targetE0EEEvT1_
; %bb.0:
	.section	.rodata,"a",@progbits
	.p2align	6, 0x0
	.amdhsa_kernel _ZN7rocprim17ROCPRIM_400000_NS6detail17trampoline_kernelINS0_14default_configENS1_25transform_config_selectorIN3c108BFloat16ELb1EEEZNS1_14transform_implILb1ES3_S7_PS6_S9_NS0_8identityIS6_EEEE10hipError_tT2_T3_mT4_P12ihipStream_tbEUlT_E_NS1_11comp_targetILNS1_3genE9ELNS1_11target_archE1100ELNS1_3gpuE3ELNS1_3repE0EEENS1_30default_config_static_selectorELNS0_4arch9wavefront6targetE0EEEvT1_
		.amdhsa_group_segment_fixed_size 0
		.amdhsa_private_segment_fixed_size 0
		.amdhsa_kernarg_size 40
		.amdhsa_user_sgpr_count 6
		.amdhsa_user_sgpr_private_segment_buffer 1
		.amdhsa_user_sgpr_dispatch_ptr 0
		.amdhsa_user_sgpr_queue_ptr 0
		.amdhsa_user_sgpr_kernarg_segment_ptr 1
		.amdhsa_user_sgpr_dispatch_id 0
		.amdhsa_user_sgpr_flat_scratch_init 0
		.amdhsa_user_sgpr_private_segment_size 0
		.amdhsa_wavefront_size32 1
		.amdhsa_uses_dynamic_stack 0
		.amdhsa_system_sgpr_private_segment_wavefront_offset 0
		.amdhsa_system_sgpr_workgroup_id_x 1
		.amdhsa_system_sgpr_workgroup_id_y 0
		.amdhsa_system_sgpr_workgroup_id_z 0
		.amdhsa_system_sgpr_workgroup_info 0
		.amdhsa_system_vgpr_workitem_id 0
		.amdhsa_next_free_vgpr 1
		.amdhsa_next_free_sgpr 1
		.amdhsa_reserve_vcc 0
		.amdhsa_reserve_flat_scratch 0
		.amdhsa_float_round_mode_32 0
		.amdhsa_float_round_mode_16_64 0
		.amdhsa_float_denorm_mode_32 3
		.amdhsa_float_denorm_mode_16_64 3
		.amdhsa_dx10_clamp 1
		.amdhsa_ieee_mode 1
		.amdhsa_fp16_overflow 0
		.amdhsa_workgroup_processor_mode 1
		.amdhsa_memory_ordered 1
		.amdhsa_forward_progress 1
		.amdhsa_shared_vgpr_count 0
		.amdhsa_exception_fp_ieee_invalid_op 0
		.amdhsa_exception_fp_denorm_src 0
		.amdhsa_exception_fp_ieee_div_zero 0
		.amdhsa_exception_fp_ieee_overflow 0
		.amdhsa_exception_fp_ieee_underflow 0
		.amdhsa_exception_fp_ieee_inexact 0
		.amdhsa_exception_int_div_zero 0
	.end_amdhsa_kernel
	.section	.text._ZN7rocprim17ROCPRIM_400000_NS6detail17trampoline_kernelINS0_14default_configENS1_25transform_config_selectorIN3c108BFloat16ELb1EEEZNS1_14transform_implILb1ES3_S7_PS6_S9_NS0_8identityIS6_EEEE10hipError_tT2_T3_mT4_P12ihipStream_tbEUlT_E_NS1_11comp_targetILNS1_3genE9ELNS1_11target_archE1100ELNS1_3gpuE3ELNS1_3repE0EEENS1_30default_config_static_selectorELNS0_4arch9wavefront6targetE0EEEvT1_,"axG",@progbits,_ZN7rocprim17ROCPRIM_400000_NS6detail17trampoline_kernelINS0_14default_configENS1_25transform_config_selectorIN3c108BFloat16ELb1EEEZNS1_14transform_implILb1ES3_S7_PS6_S9_NS0_8identityIS6_EEEE10hipError_tT2_T3_mT4_P12ihipStream_tbEUlT_E_NS1_11comp_targetILNS1_3genE9ELNS1_11target_archE1100ELNS1_3gpuE3ELNS1_3repE0EEENS1_30default_config_static_selectorELNS0_4arch9wavefront6targetE0EEEvT1_,comdat
.Lfunc_end453:
	.size	_ZN7rocprim17ROCPRIM_400000_NS6detail17trampoline_kernelINS0_14default_configENS1_25transform_config_selectorIN3c108BFloat16ELb1EEEZNS1_14transform_implILb1ES3_S7_PS6_S9_NS0_8identityIS6_EEEE10hipError_tT2_T3_mT4_P12ihipStream_tbEUlT_E_NS1_11comp_targetILNS1_3genE9ELNS1_11target_archE1100ELNS1_3gpuE3ELNS1_3repE0EEENS1_30default_config_static_selectorELNS0_4arch9wavefront6targetE0EEEvT1_, .Lfunc_end453-_ZN7rocprim17ROCPRIM_400000_NS6detail17trampoline_kernelINS0_14default_configENS1_25transform_config_selectorIN3c108BFloat16ELb1EEEZNS1_14transform_implILb1ES3_S7_PS6_S9_NS0_8identityIS6_EEEE10hipError_tT2_T3_mT4_P12ihipStream_tbEUlT_E_NS1_11comp_targetILNS1_3genE9ELNS1_11target_archE1100ELNS1_3gpuE3ELNS1_3repE0EEENS1_30default_config_static_selectorELNS0_4arch9wavefront6targetE0EEEvT1_
                                        ; -- End function
	.set _ZN7rocprim17ROCPRIM_400000_NS6detail17trampoline_kernelINS0_14default_configENS1_25transform_config_selectorIN3c108BFloat16ELb1EEEZNS1_14transform_implILb1ES3_S7_PS6_S9_NS0_8identityIS6_EEEE10hipError_tT2_T3_mT4_P12ihipStream_tbEUlT_E_NS1_11comp_targetILNS1_3genE9ELNS1_11target_archE1100ELNS1_3gpuE3ELNS1_3repE0EEENS1_30default_config_static_selectorELNS0_4arch9wavefront6targetE0EEEvT1_.num_vgpr, 0
	.set _ZN7rocprim17ROCPRIM_400000_NS6detail17trampoline_kernelINS0_14default_configENS1_25transform_config_selectorIN3c108BFloat16ELb1EEEZNS1_14transform_implILb1ES3_S7_PS6_S9_NS0_8identityIS6_EEEE10hipError_tT2_T3_mT4_P12ihipStream_tbEUlT_E_NS1_11comp_targetILNS1_3genE9ELNS1_11target_archE1100ELNS1_3gpuE3ELNS1_3repE0EEENS1_30default_config_static_selectorELNS0_4arch9wavefront6targetE0EEEvT1_.num_agpr, 0
	.set _ZN7rocprim17ROCPRIM_400000_NS6detail17trampoline_kernelINS0_14default_configENS1_25transform_config_selectorIN3c108BFloat16ELb1EEEZNS1_14transform_implILb1ES3_S7_PS6_S9_NS0_8identityIS6_EEEE10hipError_tT2_T3_mT4_P12ihipStream_tbEUlT_E_NS1_11comp_targetILNS1_3genE9ELNS1_11target_archE1100ELNS1_3gpuE3ELNS1_3repE0EEENS1_30default_config_static_selectorELNS0_4arch9wavefront6targetE0EEEvT1_.numbered_sgpr, 0
	.set _ZN7rocprim17ROCPRIM_400000_NS6detail17trampoline_kernelINS0_14default_configENS1_25transform_config_selectorIN3c108BFloat16ELb1EEEZNS1_14transform_implILb1ES3_S7_PS6_S9_NS0_8identityIS6_EEEE10hipError_tT2_T3_mT4_P12ihipStream_tbEUlT_E_NS1_11comp_targetILNS1_3genE9ELNS1_11target_archE1100ELNS1_3gpuE3ELNS1_3repE0EEENS1_30default_config_static_selectorELNS0_4arch9wavefront6targetE0EEEvT1_.num_named_barrier, 0
	.set _ZN7rocprim17ROCPRIM_400000_NS6detail17trampoline_kernelINS0_14default_configENS1_25transform_config_selectorIN3c108BFloat16ELb1EEEZNS1_14transform_implILb1ES3_S7_PS6_S9_NS0_8identityIS6_EEEE10hipError_tT2_T3_mT4_P12ihipStream_tbEUlT_E_NS1_11comp_targetILNS1_3genE9ELNS1_11target_archE1100ELNS1_3gpuE3ELNS1_3repE0EEENS1_30default_config_static_selectorELNS0_4arch9wavefront6targetE0EEEvT1_.private_seg_size, 0
	.set _ZN7rocprim17ROCPRIM_400000_NS6detail17trampoline_kernelINS0_14default_configENS1_25transform_config_selectorIN3c108BFloat16ELb1EEEZNS1_14transform_implILb1ES3_S7_PS6_S9_NS0_8identityIS6_EEEE10hipError_tT2_T3_mT4_P12ihipStream_tbEUlT_E_NS1_11comp_targetILNS1_3genE9ELNS1_11target_archE1100ELNS1_3gpuE3ELNS1_3repE0EEENS1_30default_config_static_selectorELNS0_4arch9wavefront6targetE0EEEvT1_.uses_vcc, 0
	.set _ZN7rocprim17ROCPRIM_400000_NS6detail17trampoline_kernelINS0_14default_configENS1_25transform_config_selectorIN3c108BFloat16ELb1EEEZNS1_14transform_implILb1ES3_S7_PS6_S9_NS0_8identityIS6_EEEE10hipError_tT2_T3_mT4_P12ihipStream_tbEUlT_E_NS1_11comp_targetILNS1_3genE9ELNS1_11target_archE1100ELNS1_3gpuE3ELNS1_3repE0EEENS1_30default_config_static_selectorELNS0_4arch9wavefront6targetE0EEEvT1_.uses_flat_scratch, 0
	.set _ZN7rocprim17ROCPRIM_400000_NS6detail17trampoline_kernelINS0_14default_configENS1_25transform_config_selectorIN3c108BFloat16ELb1EEEZNS1_14transform_implILb1ES3_S7_PS6_S9_NS0_8identityIS6_EEEE10hipError_tT2_T3_mT4_P12ihipStream_tbEUlT_E_NS1_11comp_targetILNS1_3genE9ELNS1_11target_archE1100ELNS1_3gpuE3ELNS1_3repE0EEENS1_30default_config_static_selectorELNS0_4arch9wavefront6targetE0EEEvT1_.has_dyn_sized_stack, 0
	.set _ZN7rocprim17ROCPRIM_400000_NS6detail17trampoline_kernelINS0_14default_configENS1_25transform_config_selectorIN3c108BFloat16ELb1EEEZNS1_14transform_implILb1ES3_S7_PS6_S9_NS0_8identityIS6_EEEE10hipError_tT2_T3_mT4_P12ihipStream_tbEUlT_E_NS1_11comp_targetILNS1_3genE9ELNS1_11target_archE1100ELNS1_3gpuE3ELNS1_3repE0EEENS1_30default_config_static_selectorELNS0_4arch9wavefront6targetE0EEEvT1_.has_recursion, 0
	.set _ZN7rocprim17ROCPRIM_400000_NS6detail17trampoline_kernelINS0_14default_configENS1_25transform_config_selectorIN3c108BFloat16ELb1EEEZNS1_14transform_implILb1ES3_S7_PS6_S9_NS0_8identityIS6_EEEE10hipError_tT2_T3_mT4_P12ihipStream_tbEUlT_E_NS1_11comp_targetILNS1_3genE9ELNS1_11target_archE1100ELNS1_3gpuE3ELNS1_3repE0EEENS1_30default_config_static_selectorELNS0_4arch9wavefront6targetE0EEEvT1_.has_indirect_call, 0
	.section	.AMDGPU.csdata,"",@progbits
; Kernel info:
; codeLenInByte = 0
; TotalNumSgprs: 0
; NumVgprs: 0
; ScratchSize: 0
; MemoryBound: 0
; FloatMode: 240
; IeeeMode: 1
; LDSByteSize: 0 bytes/workgroup (compile time only)
; SGPRBlocks: 0
; VGPRBlocks: 0
; NumSGPRsForWavesPerEU: 1
; NumVGPRsForWavesPerEU: 1
; Occupancy: 16
; WaveLimiterHint : 0
; COMPUTE_PGM_RSRC2:SCRATCH_EN: 0
; COMPUTE_PGM_RSRC2:USER_SGPR: 6
; COMPUTE_PGM_RSRC2:TRAP_HANDLER: 0
; COMPUTE_PGM_RSRC2:TGID_X_EN: 1
; COMPUTE_PGM_RSRC2:TGID_Y_EN: 0
; COMPUTE_PGM_RSRC2:TGID_Z_EN: 0
; COMPUTE_PGM_RSRC2:TIDIG_COMP_CNT: 0
	.section	.text._ZN7rocprim17ROCPRIM_400000_NS6detail17trampoline_kernelINS0_14default_configENS1_25transform_config_selectorIN3c108BFloat16ELb1EEEZNS1_14transform_implILb1ES3_S7_PS6_S9_NS0_8identityIS6_EEEE10hipError_tT2_T3_mT4_P12ihipStream_tbEUlT_E_NS1_11comp_targetILNS1_3genE8ELNS1_11target_archE1030ELNS1_3gpuE2ELNS1_3repE0EEENS1_30default_config_static_selectorELNS0_4arch9wavefront6targetE0EEEvT1_,"axG",@progbits,_ZN7rocprim17ROCPRIM_400000_NS6detail17trampoline_kernelINS0_14default_configENS1_25transform_config_selectorIN3c108BFloat16ELb1EEEZNS1_14transform_implILb1ES3_S7_PS6_S9_NS0_8identityIS6_EEEE10hipError_tT2_T3_mT4_P12ihipStream_tbEUlT_E_NS1_11comp_targetILNS1_3genE8ELNS1_11target_archE1030ELNS1_3gpuE2ELNS1_3repE0EEENS1_30default_config_static_selectorELNS0_4arch9wavefront6targetE0EEEvT1_,comdat
	.protected	_ZN7rocprim17ROCPRIM_400000_NS6detail17trampoline_kernelINS0_14default_configENS1_25transform_config_selectorIN3c108BFloat16ELb1EEEZNS1_14transform_implILb1ES3_S7_PS6_S9_NS0_8identityIS6_EEEE10hipError_tT2_T3_mT4_P12ihipStream_tbEUlT_E_NS1_11comp_targetILNS1_3genE8ELNS1_11target_archE1030ELNS1_3gpuE2ELNS1_3repE0EEENS1_30default_config_static_selectorELNS0_4arch9wavefront6targetE0EEEvT1_ ; -- Begin function _ZN7rocprim17ROCPRIM_400000_NS6detail17trampoline_kernelINS0_14default_configENS1_25transform_config_selectorIN3c108BFloat16ELb1EEEZNS1_14transform_implILb1ES3_S7_PS6_S9_NS0_8identityIS6_EEEE10hipError_tT2_T3_mT4_P12ihipStream_tbEUlT_E_NS1_11comp_targetILNS1_3genE8ELNS1_11target_archE1030ELNS1_3gpuE2ELNS1_3repE0EEENS1_30default_config_static_selectorELNS0_4arch9wavefront6targetE0EEEvT1_
	.globl	_ZN7rocprim17ROCPRIM_400000_NS6detail17trampoline_kernelINS0_14default_configENS1_25transform_config_selectorIN3c108BFloat16ELb1EEEZNS1_14transform_implILb1ES3_S7_PS6_S9_NS0_8identityIS6_EEEE10hipError_tT2_T3_mT4_P12ihipStream_tbEUlT_E_NS1_11comp_targetILNS1_3genE8ELNS1_11target_archE1030ELNS1_3gpuE2ELNS1_3repE0EEENS1_30default_config_static_selectorELNS0_4arch9wavefront6targetE0EEEvT1_
	.p2align	8
	.type	_ZN7rocprim17ROCPRIM_400000_NS6detail17trampoline_kernelINS0_14default_configENS1_25transform_config_selectorIN3c108BFloat16ELb1EEEZNS1_14transform_implILb1ES3_S7_PS6_S9_NS0_8identityIS6_EEEE10hipError_tT2_T3_mT4_P12ihipStream_tbEUlT_E_NS1_11comp_targetILNS1_3genE8ELNS1_11target_archE1030ELNS1_3gpuE2ELNS1_3repE0EEENS1_30default_config_static_selectorELNS0_4arch9wavefront6targetE0EEEvT1_,@function
_ZN7rocprim17ROCPRIM_400000_NS6detail17trampoline_kernelINS0_14default_configENS1_25transform_config_selectorIN3c108BFloat16ELb1EEEZNS1_14transform_implILb1ES3_S7_PS6_S9_NS0_8identityIS6_EEEE10hipError_tT2_T3_mT4_P12ihipStream_tbEUlT_E_NS1_11comp_targetILNS1_3genE8ELNS1_11target_archE1030ELNS1_3gpuE2ELNS1_3repE0EEENS1_30default_config_static_selectorELNS0_4arch9wavefront6targetE0EEEvT1_: ; @_ZN7rocprim17ROCPRIM_400000_NS6detail17trampoline_kernelINS0_14default_configENS1_25transform_config_selectorIN3c108BFloat16ELb1EEEZNS1_14transform_implILb1ES3_S7_PS6_S9_NS0_8identityIS6_EEEE10hipError_tT2_T3_mT4_P12ihipStream_tbEUlT_E_NS1_11comp_targetILNS1_3genE8ELNS1_11target_archE1030ELNS1_3gpuE2ELNS1_3repE0EEENS1_30default_config_static_selectorELNS0_4arch9wavefront6targetE0EEEvT1_
; %bb.0:
	s_clause 0x1
	s_load_dword s0, s[4:5], 0x28
	s_load_dword s1, s[4:5], 0x10
	s_waitcnt lgkmcnt(0)
	s_add_i32 s2, s0, -1
	s_lshl_b32 s0, s6, 10
	s_cmp_lg_u32 s6, s2
	s_cselect_b32 s2, -1, 0
	s_sub_i32 s1, s1, s0
	v_cmp_gt_u32_e32 vcc_lo, s1, v0
	s_or_b32 s1, vcc_lo, s2
	s_and_saveexec_b32 s2, s1
	s_cbranch_execz .LBB454_2
; %bb.1:
	s_clause 0x1
	s_load_dwordx4 s[8:11], s[4:5], 0x0
	s_load_dwordx2 s[2:3], s[4:5], 0x18
	s_mov_b32 s1, 0
	v_lshlrev_b32_e32 v0, 1, v0
	s_waitcnt lgkmcnt(0)
	s_lshl_b64 s[4:5], s[10:11], 1
	s_add_u32 s6, s8, s4
	s_addc_u32 s7, s9, s5
	s_lshl_b64 s[0:1], s[0:1], 1
	s_add_u32 s6, s6, s0
	s_addc_u32 s7, s7, s1
	s_add_u32 s2, s2, s4
	global_load_ushort v1, v0, s[6:7]
	s_addc_u32 s3, s3, s5
	s_add_u32 s0, s2, s0
	s_addc_u32 s1, s3, s1
	s_waitcnt vmcnt(0)
	global_store_short v0, v1, s[0:1]
.LBB454_2:
	s_endpgm
	.section	.rodata,"a",@progbits
	.p2align	6, 0x0
	.amdhsa_kernel _ZN7rocprim17ROCPRIM_400000_NS6detail17trampoline_kernelINS0_14default_configENS1_25transform_config_selectorIN3c108BFloat16ELb1EEEZNS1_14transform_implILb1ES3_S7_PS6_S9_NS0_8identityIS6_EEEE10hipError_tT2_T3_mT4_P12ihipStream_tbEUlT_E_NS1_11comp_targetILNS1_3genE8ELNS1_11target_archE1030ELNS1_3gpuE2ELNS1_3repE0EEENS1_30default_config_static_selectorELNS0_4arch9wavefront6targetE0EEEvT1_
		.amdhsa_group_segment_fixed_size 0
		.amdhsa_private_segment_fixed_size 0
		.amdhsa_kernarg_size 296
		.amdhsa_user_sgpr_count 6
		.amdhsa_user_sgpr_private_segment_buffer 1
		.amdhsa_user_sgpr_dispatch_ptr 0
		.amdhsa_user_sgpr_queue_ptr 0
		.amdhsa_user_sgpr_kernarg_segment_ptr 1
		.amdhsa_user_sgpr_dispatch_id 0
		.amdhsa_user_sgpr_flat_scratch_init 0
		.amdhsa_user_sgpr_private_segment_size 0
		.amdhsa_wavefront_size32 1
		.amdhsa_uses_dynamic_stack 0
		.amdhsa_system_sgpr_private_segment_wavefront_offset 0
		.amdhsa_system_sgpr_workgroup_id_x 1
		.amdhsa_system_sgpr_workgroup_id_y 0
		.amdhsa_system_sgpr_workgroup_id_z 0
		.amdhsa_system_sgpr_workgroup_info 0
		.amdhsa_system_vgpr_workitem_id 0
		.amdhsa_next_free_vgpr 2
		.amdhsa_next_free_sgpr 12
		.amdhsa_reserve_vcc 1
		.amdhsa_reserve_flat_scratch 0
		.amdhsa_float_round_mode_32 0
		.amdhsa_float_round_mode_16_64 0
		.amdhsa_float_denorm_mode_32 3
		.amdhsa_float_denorm_mode_16_64 3
		.amdhsa_dx10_clamp 1
		.amdhsa_ieee_mode 1
		.amdhsa_fp16_overflow 0
		.amdhsa_workgroup_processor_mode 1
		.amdhsa_memory_ordered 1
		.amdhsa_forward_progress 1
		.amdhsa_shared_vgpr_count 0
		.amdhsa_exception_fp_ieee_invalid_op 0
		.amdhsa_exception_fp_denorm_src 0
		.amdhsa_exception_fp_ieee_div_zero 0
		.amdhsa_exception_fp_ieee_overflow 0
		.amdhsa_exception_fp_ieee_underflow 0
		.amdhsa_exception_fp_ieee_inexact 0
		.amdhsa_exception_int_div_zero 0
	.end_amdhsa_kernel
	.section	.text._ZN7rocprim17ROCPRIM_400000_NS6detail17trampoline_kernelINS0_14default_configENS1_25transform_config_selectorIN3c108BFloat16ELb1EEEZNS1_14transform_implILb1ES3_S7_PS6_S9_NS0_8identityIS6_EEEE10hipError_tT2_T3_mT4_P12ihipStream_tbEUlT_E_NS1_11comp_targetILNS1_3genE8ELNS1_11target_archE1030ELNS1_3gpuE2ELNS1_3repE0EEENS1_30default_config_static_selectorELNS0_4arch9wavefront6targetE0EEEvT1_,"axG",@progbits,_ZN7rocprim17ROCPRIM_400000_NS6detail17trampoline_kernelINS0_14default_configENS1_25transform_config_selectorIN3c108BFloat16ELb1EEEZNS1_14transform_implILb1ES3_S7_PS6_S9_NS0_8identityIS6_EEEE10hipError_tT2_T3_mT4_P12ihipStream_tbEUlT_E_NS1_11comp_targetILNS1_3genE8ELNS1_11target_archE1030ELNS1_3gpuE2ELNS1_3repE0EEENS1_30default_config_static_selectorELNS0_4arch9wavefront6targetE0EEEvT1_,comdat
.Lfunc_end454:
	.size	_ZN7rocprim17ROCPRIM_400000_NS6detail17trampoline_kernelINS0_14default_configENS1_25transform_config_selectorIN3c108BFloat16ELb1EEEZNS1_14transform_implILb1ES3_S7_PS6_S9_NS0_8identityIS6_EEEE10hipError_tT2_T3_mT4_P12ihipStream_tbEUlT_E_NS1_11comp_targetILNS1_3genE8ELNS1_11target_archE1030ELNS1_3gpuE2ELNS1_3repE0EEENS1_30default_config_static_selectorELNS0_4arch9wavefront6targetE0EEEvT1_, .Lfunc_end454-_ZN7rocprim17ROCPRIM_400000_NS6detail17trampoline_kernelINS0_14default_configENS1_25transform_config_selectorIN3c108BFloat16ELb1EEEZNS1_14transform_implILb1ES3_S7_PS6_S9_NS0_8identityIS6_EEEE10hipError_tT2_T3_mT4_P12ihipStream_tbEUlT_E_NS1_11comp_targetILNS1_3genE8ELNS1_11target_archE1030ELNS1_3gpuE2ELNS1_3repE0EEENS1_30default_config_static_selectorELNS0_4arch9wavefront6targetE0EEEvT1_
                                        ; -- End function
	.set _ZN7rocprim17ROCPRIM_400000_NS6detail17trampoline_kernelINS0_14default_configENS1_25transform_config_selectorIN3c108BFloat16ELb1EEEZNS1_14transform_implILb1ES3_S7_PS6_S9_NS0_8identityIS6_EEEE10hipError_tT2_T3_mT4_P12ihipStream_tbEUlT_E_NS1_11comp_targetILNS1_3genE8ELNS1_11target_archE1030ELNS1_3gpuE2ELNS1_3repE0EEENS1_30default_config_static_selectorELNS0_4arch9wavefront6targetE0EEEvT1_.num_vgpr, 2
	.set _ZN7rocprim17ROCPRIM_400000_NS6detail17trampoline_kernelINS0_14default_configENS1_25transform_config_selectorIN3c108BFloat16ELb1EEEZNS1_14transform_implILb1ES3_S7_PS6_S9_NS0_8identityIS6_EEEE10hipError_tT2_T3_mT4_P12ihipStream_tbEUlT_E_NS1_11comp_targetILNS1_3genE8ELNS1_11target_archE1030ELNS1_3gpuE2ELNS1_3repE0EEENS1_30default_config_static_selectorELNS0_4arch9wavefront6targetE0EEEvT1_.num_agpr, 0
	.set _ZN7rocprim17ROCPRIM_400000_NS6detail17trampoline_kernelINS0_14default_configENS1_25transform_config_selectorIN3c108BFloat16ELb1EEEZNS1_14transform_implILb1ES3_S7_PS6_S9_NS0_8identityIS6_EEEE10hipError_tT2_T3_mT4_P12ihipStream_tbEUlT_E_NS1_11comp_targetILNS1_3genE8ELNS1_11target_archE1030ELNS1_3gpuE2ELNS1_3repE0EEENS1_30default_config_static_selectorELNS0_4arch9wavefront6targetE0EEEvT1_.numbered_sgpr, 12
	.set _ZN7rocprim17ROCPRIM_400000_NS6detail17trampoline_kernelINS0_14default_configENS1_25transform_config_selectorIN3c108BFloat16ELb1EEEZNS1_14transform_implILb1ES3_S7_PS6_S9_NS0_8identityIS6_EEEE10hipError_tT2_T3_mT4_P12ihipStream_tbEUlT_E_NS1_11comp_targetILNS1_3genE8ELNS1_11target_archE1030ELNS1_3gpuE2ELNS1_3repE0EEENS1_30default_config_static_selectorELNS0_4arch9wavefront6targetE0EEEvT1_.num_named_barrier, 0
	.set _ZN7rocprim17ROCPRIM_400000_NS6detail17trampoline_kernelINS0_14default_configENS1_25transform_config_selectorIN3c108BFloat16ELb1EEEZNS1_14transform_implILb1ES3_S7_PS6_S9_NS0_8identityIS6_EEEE10hipError_tT2_T3_mT4_P12ihipStream_tbEUlT_E_NS1_11comp_targetILNS1_3genE8ELNS1_11target_archE1030ELNS1_3gpuE2ELNS1_3repE0EEENS1_30default_config_static_selectorELNS0_4arch9wavefront6targetE0EEEvT1_.private_seg_size, 0
	.set _ZN7rocprim17ROCPRIM_400000_NS6detail17trampoline_kernelINS0_14default_configENS1_25transform_config_selectorIN3c108BFloat16ELb1EEEZNS1_14transform_implILb1ES3_S7_PS6_S9_NS0_8identityIS6_EEEE10hipError_tT2_T3_mT4_P12ihipStream_tbEUlT_E_NS1_11comp_targetILNS1_3genE8ELNS1_11target_archE1030ELNS1_3gpuE2ELNS1_3repE0EEENS1_30default_config_static_selectorELNS0_4arch9wavefront6targetE0EEEvT1_.uses_vcc, 1
	.set _ZN7rocprim17ROCPRIM_400000_NS6detail17trampoline_kernelINS0_14default_configENS1_25transform_config_selectorIN3c108BFloat16ELb1EEEZNS1_14transform_implILb1ES3_S7_PS6_S9_NS0_8identityIS6_EEEE10hipError_tT2_T3_mT4_P12ihipStream_tbEUlT_E_NS1_11comp_targetILNS1_3genE8ELNS1_11target_archE1030ELNS1_3gpuE2ELNS1_3repE0EEENS1_30default_config_static_selectorELNS0_4arch9wavefront6targetE0EEEvT1_.uses_flat_scratch, 0
	.set _ZN7rocprim17ROCPRIM_400000_NS6detail17trampoline_kernelINS0_14default_configENS1_25transform_config_selectorIN3c108BFloat16ELb1EEEZNS1_14transform_implILb1ES3_S7_PS6_S9_NS0_8identityIS6_EEEE10hipError_tT2_T3_mT4_P12ihipStream_tbEUlT_E_NS1_11comp_targetILNS1_3genE8ELNS1_11target_archE1030ELNS1_3gpuE2ELNS1_3repE0EEENS1_30default_config_static_selectorELNS0_4arch9wavefront6targetE0EEEvT1_.has_dyn_sized_stack, 0
	.set _ZN7rocprim17ROCPRIM_400000_NS6detail17trampoline_kernelINS0_14default_configENS1_25transform_config_selectorIN3c108BFloat16ELb1EEEZNS1_14transform_implILb1ES3_S7_PS6_S9_NS0_8identityIS6_EEEE10hipError_tT2_T3_mT4_P12ihipStream_tbEUlT_E_NS1_11comp_targetILNS1_3genE8ELNS1_11target_archE1030ELNS1_3gpuE2ELNS1_3repE0EEENS1_30default_config_static_selectorELNS0_4arch9wavefront6targetE0EEEvT1_.has_recursion, 0
	.set _ZN7rocprim17ROCPRIM_400000_NS6detail17trampoline_kernelINS0_14default_configENS1_25transform_config_selectorIN3c108BFloat16ELb1EEEZNS1_14transform_implILb1ES3_S7_PS6_S9_NS0_8identityIS6_EEEE10hipError_tT2_T3_mT4_P12ihipStream_tbEUlT_E_NS1_11comp_targetILNS1_3genE8ELNS1_11target_archE1030ELNS1_3gpuE2ELNS1_3repE0EEENS1_30default_config_static_selectorELNS0_4arch9wavefront6targetE0EEEvT1_.has_indirect_call, 0
	.section	.AMDGPU.csdata,"",@progbits
; Kernel info:
; codeLenInByte = 156
; TotalNumSgprs: 14
; NumVgprs: 2
; ScratchSize: 0
; MemoryBound: 0
; FloatMode: 240
; IeeeMode: 1
; LDSByteSize: 0 bytes/workgroup (compile time only)
; SGPRBlocks: 0
; VGPRBlocks: 0
; NumSGPRsForWavesPerEU: 14
; NumVGPRsForWavesPerEU: 2
; Occupancy: 16
; WaveLimiterHint : 0
; COMPUTE_PGM_RSRC2:SCRATCH_EN: 0
; COMPUTE_PGM_RSRC2:USER_SGPR: 6
; COMPUTE_PGM_RSRC2:TRAP_HANDLER: 0
; COMPUTE_PGM_RSRC2:TGID_X_EN: 1
; COMPUTE_PGM_RSRC2:TGID_Y_EN: 0
; COMPUTE_PGM_RSRC2:TGID_Z_EN: 0
; COMPUTE_PGM_RSRC2:TIDIG_COMP_CNT: 0
	.section	.text._ZN7rocprim17ROCPRIM_400000_NS6detail17trampoline_kernelINS0_14default_configENS1_20scan_config_selectorIN3c108BFloat16EEEZZNS1_9scan_implILNS1_25lookback_scan_determinismE0ELb0ELb0ES3_PKS6_PS6_S6_ZZZN2at6native31launch_logcumsumexp_cuda_kernelERKNSD_10TensorBaseESH_lENKUlvE_clEvENKUlvE4_clEvEUlS6_S6_E_S6_EEDaPvRmT3_T4_T5_mT6_P12ihipStream_tbENKUlT_T0_E_clISt17integral_constantIbLb0EESY_EEDaST_SU_EUlST_E0_NS1_11comp_targetILNS1_3genE0ELNS1_11target_archE4294967295ELNS1_3gpuE0ELNS1_3repE0EEENS1_30default_config_static_selectorELNS0_4arch9wavefront6targetE0EEEvT1_,"axG",@progbits,_ZN7rocprim17ROCPRIM_400000_NS6detail17trampoline_kernelINS0_14default_configENS1_20scan_config_selectorIN3c108BFloat16EEEZZNS1_9scan_implILNS1_25lookback_scan_determinismE0ELb0ELb0ES3_PKS6_PS6_S6_ZZZN2at6native31launch_logcumsumexp_cuda_kernelERKNSD_10TensorBaseESH_lENKUlvE_clEvENKUlvE4_clEvEUlS6_S6_E_S6_EEDaPvRmT3_T4_T5_mT6_P12ihipStream_tbENKUlT_T0_E_clISt17integral_constantIbLb0EESY_EEDaST_SU_EUlST_E0_NS1_11comp_targetILNS1_3genE0ELNS1_11target_archE4294967295ELNS1_3gpuE0ELNS1_3repE0EEENS1_30default_config_static_selectorELNS0_4arch9wavefront6targetE0EEEvT1_,comdat
	.globl	_ZN7rocprim17ROCPRIM_400000_NS6detail17trampoline_kernelINS0_14default_configENS1_20scan_config_selectorIN3c108BFloat16EEEZZNS1_9scan_implILNS1_25lookback_scan_determinismE0ELb0ELb0ES3_PKS6_PS6_S6_ZZZN2at6native31launch_logcumsumexp_cuda_kernelERKNSD_10TensorBaseESH_lENKUlvE_clEvENKUlvE4_clEvEUlS6_S6_E_S6_EEDaPvRmT3_T4_T5_mT6_P12ihipStream_tbENKUlT_T0_E_clISt17integral_constantIbLb0EESY_EEDaST_SU_EUlST_E0_NS1_11comp_targetILNS1_3genE0ELNS1_11target_archE4294967295ELNS1_3gpuE0ELNS1_3repE0EEENS1_30default_config_static_selectorELNS0_4arch9wavefront6targetE0EEEvT1_ ; -- Begin function _ZN7rocprim17ROCPRIM_400000_NS6detail17trampoline_kernelINS0_14default_configENS1_20scan_config_selectorIN3c108BFloat16EEEZZNS1_9scan_implILNS1_25lookback_scan_determinismE0ELb0ELb0ES3_PKS6_PS6_S6_ZZZN2at6native31launch_logcumsumexp_cuda_kernelERKNSD_10TensorBaseESH_lENKUlvE_clEvENKUlvE4_clEvEUlS6_S6_E_S6_EEDaPvRmT3_T4_T5_mT6_P12ihipStream_tbENKUlT_T0_E_clISt17integral_constantIbLb0EESY_EEDaST_SU_EUlST_E0_NS1_11comp_targetILNS1_3genE0ELNS1_11target_archE4294967295ELNS1_3gpuE0ELNS1_3repE0EEENS1_30default_config_static_selectorELNS0_4arch9wavefront6targetE0EEEvT1_
	.p2align	8
	.type	_ZN7rocprim17ROCPRIM_400000_NS6detail17trampoline_kernelINS0_14default_configENS1_20scan_config_selectorIN3c108BFloat16EEEZZNS1_9scan_implILNS1_25lookback_scan_determinismE0ELb0ELb0ES3_PKS6_PS6_S6_ZZZN2at6native31launch_logcumsumexp_cuda_kernelERKNSD_10TensorBaseESH_lENKUlvE_clEvENKUlvE4_clEvEUlS6_S6_E_S6_EEDaPvRmT3_T4_T5_mT6_P12ihipStream_tbENKUlT_T0_E_clISt17integral_constantIbLb0EESY_EEDaST_SU_EUlST_E0_NS1_11comp_targetILNS1_3genE0ELNS1_11target_archE4294967295ELNS1_3gpuE0ELNS1_3repE0EEENS1_30default_config_static_selectorELNS0_4arch9wavefront6targetE0EEEvT1_,@function
_ZN7rocprim17ROCPRIM_400000_NS6detail17trampoline_kernelINS0_14default_configENS1_20scan_config_selectorIN3c108BFloat16EEEZZNS1_9scan_implILNS1_25lookback_scan_determinismE0ELb0ELb0ES3_PKS6_PS6_S6_ZZZN2at6native31launch_logcumsumexp_cuda_kernelERKNSD_10TensorBaseESH_lENKUlvE_clEvENKUlvE4_clEvEUlS6_S6_E_S6_EEDaPvRmT3_T4_T5_mT6_P12ihipStream_tbENKUlT_T0_E_clISt17integral_constantIbLb0EESY_EEDaST_SU_EUlST_E0_NS1_11comp_targetILNS1_3genE0ELNS1_11target_archE4294967295ELNS1_3gpuE0ELNS1_3repE0EEENS1_30default_config_static_selectorELNS0_4arch9wavefront6targetE0EEEvT1_: ; @_ZN7rocprim17ROCPRIM_400000_NS6detail17trampoline_kernelINS0_14default_configENS1_20scan_config_selectorIN3c108BFloat16EEEZZNS1_9scan_implILNS1_25lookback_scan_determinismE0ELb0ELb0ES3_PKS6_PS6_S6_ZZZN2at6native31launch_logcumsumexp_cuda_kernelERKNSD_10TensorBaseESH_lENKUlvE_clEvENKUlvE4_clEvEUlS6_S6_E_S6_EEDaPvRmT3_T4_T5_mT6_P12ihipStream_tbENKUlT_T0_E_clISt17integral_constantIbLb0EESY_EEDaST_SU_EUlST_E0_NS1_11comp_targetILNS1_3genE0ELNS1_11target_archE4294967295ELNS1_3gpuE0ELNS1_3repE0EEENS1_30default_config_static_selectorELNS0_4arch9wavefront6targetE0EEEvT1_
; %bb.0:
	.section	.rodata,"a",@progbits
	.p2align	6, 0x0
	.amdhsa_kernel _ZN7rocprim17ROCPRIM_400000_NS6detail17trampoline_kernelINS0_14default_configENS1_20scan_config_selectorIN3c108BFloat16EEEZZNS1_9scan_implILNS1_25lookback_scan_determinismE0ELb0ELb0ES3_PKS6_PS6_S6_ZZZN2at6native31launch_logcumsumexp_cuda_kernelERKNSD_10TensorBaseESH_lENKUlvE_clEvENKUlvE4_clEvEUlS6_S6_E_S6_EEDaPvRmT3_T4_T5_mT6_P12ihipStream_tbENKUlT_T0_E_clISt17integral_constantIbLb0EESY_EEDaST_SU_EUlST_E0_NS1_11comp_targetILNS1_3genE0ELNS1_11target_archE4294967295ELNS1_3gpuE0ELNS1_3repE0EEENS1_30default_config_static_selectorELNS0_4arch9wavefront6targetE0EEEvT1_
		.amdhsa_group_segment_fixed_size 0
		.amdhsa_private_segment_fixed_size 0
		.amdhsa_kernarg_size 32
		.amdhsa_user_sgpr_count 6
		.amdhsa_user_sgpr_private_segment_buffer 1
		.amdhsa_user_sgpr_dispatch_ptr 0
		.amdhsa_user_sgpr_queue_ptr 0
		.amdhsa_user_sgpr_kernarg_segment_ptr 1
		.amdhsa_user_sgpr_dispatch_id 0
		.amdhsa_user_sgpr_flat_scratch_init 0
		.amdhsa_user_sgpr_private_segment_size 0
		.amdhsa_wavefront_size32 1
		.amdhsa_uses_dynamic_stack 0
		.amdhsa_system_sgpr_private_segment_wavefront_offset 0
		.amdhsa_system_sgpr_workgroup_id_x 1
		.amdhsa_system_sgpr_workgroup_id_y 0
		.amdhsa_system_sgpr_workgroup_id_z 0
		.amdhsa_system_sgpr_workgroup_info 0
		.amdhsa_system_vgpr_workitem_id 0
		.amdhsa_next_free_vgpr 1
		.amdhsa_next_free_sgpr 1
		.amdhsa_reserve_vcc 0
		.amdhsa_reserve_flat_scratch 0
		.amdhsa_float_round_mode_32 0
		.amdhsa_float_round_mode_16_64 0
		.amdhsa_float_denorm_mode_32 3
		.amdhsa_float_denorm_mode_16_64 3
		.amdhsa_dx10_clamp 1
		.amdhsa_ieee_mode 1
		.amdhsa_fp16_overflow 0
		.amdhsa_workgroup_processor_mode 1
		.amdhsa_memory_ordered 1
		.amdhsa_forward_progress 1
		.amdhsa_shared_vgpr_count 0
		.amdhsa_exception_fp_ieee_invalid_op 0
		.amdhsa_exception_fp_denorm_src 0
		.amdhsa_exception_fp_ieee_div_zero 0
		.amdhsa_exception_fp_ieee_overflow 0
		.amdhsa_exception_fp_ieee_underflow 0
		.amdhsa_exception_fp_ieee_inexact 0
		.amdhsa_exception_int_div_zero 0
	.end_amdhsa_kernel
	.section	.text._ZN7rocprim17ROCPRIM_400000_NS6detail17trampoline_kernelINS0_14default_configENS1_20scan_config_selectorIN3c108BFloat16EEEZZNS1_9scan_implILNS1_25lookback_scan_determinismE0ELb0ELb0ES3_PKS6_PS6_S6_ZZZN2at6native31launch_logcumsumexp_cuda_kernelERKNSD_10TensorBaseESH_lENKUlvE_clEvENKUlvE4_clEvEUlS6_S6_E_S6_EEDaPvRmT3_T4_T5_mT6_P12ihipStream_tbENKUlT_T0_E_clISt17integral_constantIbLb0EESY_EEDaST_SU_EUlST_E0_NS1_11comp_targetILNS1_3genE0ELNS1_11target_archE4294967295ELNS1_3gpuE0ELNS1_3repE0EEENS1_30default_config_static_selectorELNS0_4arch9wavefront6targetE0EEEvT1_,"axG",@progbits,_ZN7rocprim17ROCPRIM_400000_NS6detail17trampoline_kernelINS0_14default_configENS1_20scan_config_selectorIN3c108BFloat16EEEZZNS1_9scan_implILNS1_25lookback_scan_determinismE0ELb0ELb0ES3_PKS6_PS6_S6_ZZZN2at6native31launch_logcumsumexp_cuda_kernelERKNSD_10TensorBaseESH_lENKUlvE_clEvENKUlvE4_clEvEUlS6_S6_E_S6_EEDaPvRmT3_T4_T5_mT6_P12ihipStream_tbENKUlT_T0_E_clISt17integral_constantIbLb0EESY_EEDaST_SU_EUlST_E0_NS1_11comp_targetILNS1_3genE0ELNS1_11target_archE4294967295ELNS1_3gpuE0ELNS1_3repE0EEENS1_30default_config_static_selectorELNS0_4arch9wavefront6targetE0EEEvT1_,comdat
.Lfunc_end455:
	.size	_ZN7rocprim17ROCPRIM_400000_NS6detail17trampoline_kernelINS0_14default_configENS1_20scan_config_selectorIN3c108BFloat16EEEZZNS1_9scan_implILNS1_25lookback_scan_determinismE0ELb0ELb0ES3_PKS6_PS6_S6_ZZZN2at6native31launch_logcumsumexp_cuda_kernelERKNSD_10TensorBaseESH_lENKUlvE_clEvENKUlvE4_clEvEUlS6_S6_E_S6_EEDaPvRmT3_T4_T5_mT6_P12ihipStream_tbENKUlT_T0_E_clISt17integral_constantIbLb0EESY_EEDaST_SU_EUlST_E0_NS1_11comp_targetILNS1_3genE0ELNS1_11target_archE4294967295ELNS1_3gpuE0ELNS1_3repE0EEENS1_30default_config_static_selectorELNS0_4arch9wavefront6targetE0EEEvT1_, .Lfunc_end455-_ZN7rocprim17ROCPRIM_400000_NS6detail17trampoline_kernelINS0_14default_configENS1_20scan_config_selectorIN3c108BFloat16EEEZZNS1_9scan_implILNS1_25lookback_scan_determinismE0ELb0ELb0ES3_PKS6_PS6_S6_ZZZN2at6native31launch_logcumsumexp_cuda_kernelERKNSD_10TensorBaseESH_lENKUlvE_clEvENKUlvE4_clEvEUlS6_S6_E_S6_EEDaPvRmT3_T4_T5_mT6_P12ihipStream_tbENKUlT_T0_E_clISt17integral_constantIbLb0EESY_EEDaST_SU_EUlST_E0_NS1_11comp_targetILNS1_3genE0ELNS1_11target_archE4294967295ELNS1_3gpuE0ELNS1_3repE0EEENS1_30default_config_static_selectorELNS0_4arch9wavefront6targetE0EEEvT1_
                                        ; -- End function
	.set _ZN7rocprim17ROCPRIM_400000_NS6detail17trampoline_kernelINS0_14default_configENS1_20scan_config_selectorIN3c108BFloat16EEEZZNS1_9scan_implILNS1_25lookback_scan_determinismE0ELb0ELb0ES3_PKS6_PS6_S6_ZZZN2at6native31launch_logcumsumexp_cuda_kernelERKNSD_10TensorBaseESH_lENKUlvE_clEvENKUlvE4_clEvEUlS6_S6_E_S6_EEDaPvRmT3_T4_T5_mT6_P12ihipStream_tbENKUlT_T0_E_clISt17integral_constantIbLb0EESY_EEDaST_SU_EUlST_E0_NS1_11comp_targetILNS1_3genE0ELNS1_11target_archE4294967295ELNS1_3gpuE0ELNS1_3repE0EEENS1_30default_config_static_selectorELNS0_4arch9wavefront6targetE0EEEvT1_.num_vgpr, 0
	.set _ZN7rocprim17ROCPRIM_400000_NS6detail17trampoline_kernelINS0_14default_configENS1_20scan_config_selectorIN3c108BFloat16EEEZZNS1_9scan_implILNS1_25lookback_scan_determinismE0ELb0ELb0ES3_PKS6_PS6_S6_ZZZN2at6native31launch_logcumsumexp_cuda_kernelERKNSD_10TensorBaseESH_lENKUlvE_clEvENKUlvE4_clEvEUlS6_S6_E_S6_EEDaPvRmT3_T4_T5_mT6_P12ihipStream_tbENKUlT_T0_E_clISt17integral_constantIbLb0EESY_EEDaST_SU_EUlST_E0_NS1_11comp_targetILNS1_3genE0ELNS1_11target_archE4294967295ELNS1_3gpuE0ELNS1_3repE0EEENS1_30default_config_static_selectorELNS0_4arch9wavefront6targetE0EEEvT1_.num_agpr, 0
	.set _ZN7rocprim17ROCPRIM_400000_NS6detail17trampoline_kernelINS0_14default_configENS1_20scan_config_selectorIN3c108BFloat16EEEZZNS1_9scan_implILNS1_25lookback_scan_determinismE0ELb0ELb0ES3_PKS6_PS6_S6_ZZZN2at6native31launch_logcumsumexp_cuda_kernelERKNSD_10TensorBaseESH_lENKUlvE_clEvENKUlvE4_clEvEUlS6_S6_E_S6_EEDaPvRmT3_T4_T5_mT6_P12ihipStream_tbENKUlT_T0_E_clISt17integral_constantIbLb0EESY_EEDaST_SU_EUlST_E0_NS1_11comp_targetILNS1_3genE0ELNS1_11target_archE4294967295ELNS1_3gpuE0ELNS1_3repE0EEENS1_30default_config_static_selectorELNS0_4arch9wavefront6targetE0EEEvT1_.numbered_sgpr, 0
	.set _ZN7rocprim17ROCPRIM_400000_NS6detail17trampoline_kernelINS0_14default_configENS1_20scan_config_selectorIN3c108BFloat16EEEZZNS1_9scan_implILNS1_25lookback_scan_determinismE0ELb0ELb0ES3_PKS6_PS6_S6_ZZZN2at6native31launch_logcumsumexp_cuda_kernelERKNSD_10TensorBaseESH_lENKUlvE_clEvENKUlvE4_clEvEUlS6_S6_E_S6_EEDaPvRmT3_T4_T5_mT6_P12ihipStream_tbENKUlT_T0_E_clISt17integral_constantIbLb0EESY_EEDaST_SU_EUlST_E0_NS1_11comp_targetILNS1_3genE0ELNS1_11target_archE4294967295ELNS1_3gpuE0ELNS1_3repE0EEENS1_30default_config_static_selectorELNS0_4arch9wavefront6targetE0EEEvT1_.num_named_barrier, 0
	.set _ZN7rocprim17ROCPRIM_400000_NS6detail17trampoline_kernelINS0_14default_configENS1_20scan_config_selectorIN3c108BFloat16EEEZZNS1_9scan_implILNS1_25lookback_scan_determinismE0ELb0ELb0ES3_PKS6_PS6_S6_ZZZN2at6native31launch_logcumsumexp_cuda_kernelERKNSD_10TensorBaseESH_lENKUlvE_clEvENKUlvE4_clEvEUlS6_S6_E_S6_EEDaPvRmT3_T4_T5_mT6_P12ihipStream_tbENKUlT_T0_E_clISt17integral_constantIbLb0EESY_EEDaST_SU_EUlST_E0_NS1_11comp_targetILNS1_3genE0ELNS1_11target_archE4294967295ELNS1_3gpuE0ELNS1_3repE0EEENS1_30default_config_static_selectorELNS0_4arch9wavefront6targetE0EEEvT1_.private_seg_size, 0
	.set _ZN7rocprim17ROCPRIM_400000_NS6detail17trampoline_kernelINS0_14default_configENS1_20scan_config_selectorIN3c108BFloat16EEEZZNS1_9scan_implILNS1_25lookback_scan_determinismE0ELb0ELb0ES3_PKS6_PS6_S6_ZZZN2at6native31launch_logcumsumexp_cuda_kernelERKNSD_10TensorBaseESH_lENKUlvE_clEvENKUlvE4_clEvEUlS6_S6_E_S6_EEDaPvRmT3_T4_T5_mT6_P12ihipStream_tbENKUlT_T0_E_clISt17integral_constantIbLb0EESY_EEDaST_SU_EUlST_E0_NS1_11comp_targetILNS1_3genE0ELNS1_11target_archE4294967295ELNS1_3gpuE0ELNS1_3repE0EEENS1_30default_config_static_selectorELNS0_4arch9wavefront6targetE0EEEvT1_.uses_vcc, 0
	.set _ZN7rocprim17ROCPRIM_400000_NS6detail17trampoline_kernelINS0_14default_configENS1_20scan_config_selectorIN3c108BFloat16EEEZZNS1_9scan_implILNS1_25lookback_scan_determinismE0ELb0ELb0ES3_PKS6_PS6_S6_ZZZN2at6native31launch_logcumsumexp_cuda_kernelERKNSD_10TensorBaseESH_lENKUlvE_clEvENKUlvE4_clEvEUlS6_S6_E_S6_EEDaPvRmT3_T4_T5_mT6_P12ihipStream_tbENKUlT_T0_E_clISt17integral_constantIbLb0EESY_EEDaST_SU_EUlST_E0_NS1_11comp_targetILNS1_3genE0ELNS1_11target_archE4294967295ELNS1_3gpuE0ELNS1_3repE0EEENS1_30default_config_static_selectorELNS0_4arch9wavefront6targetE0EEEvT1_.uses_flat_scratch, 0
	.set _ZN7rocprim17ROCPRIM_400000_NS6detail17trampoline_kernelINS0_14default_configENS1_20scan_config_selectorIN3c108BFloat16EEEZZNS1_9scan_implILNS1_25lookback_scan_determinismE0ELb0ELb0ES3_PKS6_PS6_S6_ZZZN2at6native31launch_logcumsumexp_cuda_kernelERKNSD_10TensorBaseESH_lENKUlvE_clEvENKUlvE4_clEvEUlS6_S6_E_S6_EEDaPvRmT3_T4_T5_mT6_P12ihipStream_tbENKUlT_T0_E_clISt17integral_constantIbLb0EESY_EEDaST_SU_EUlST_E0_NS1_11comp_targetILNS1_3genE0ELNS1_11target_archE4294967295ELNS1_3gpuE0ELNS1_3repE0EEENS1_30default_config_static_selectorELNS0_4arch9wavefront6targetE0EEEvT1_.has_dyn_sized_stack, 0
	.set _ZN7rocprim17ROCPRIM_400000_NS6detail17trampoline_kernelINS0_14default_configENS1_20scan_config_selectorIN3c108BFloat16EEEZZNS1_9scan_implILNS1_25lookback_scan_determinismE0ELb0ELb0ES3_PKS6_PS6_S6_ZZZN2at6native31launch_logcumsumexp_cuda_kernelERKNSD_10TensorBaseESH_lENKUlvE_clEvENKUlvE4_clEvEUlS6_S6_E_S6_EEDaPvRmT3_T4_T5_mT6_P12ihipStream_tbENKUlT_T0_E_clISt17integral_constantIbLb0EESY_EEDaST_SU_EUlST_E0_NS1_11comp_targetILNS1_3genE0ELNS1_11target_archE4294967295ELNS1_3gpuE0ELNS1_3repE0EEENS1_30default_config_static_selectorELNS0_4arch9wavefront6targetE0EEEvT1_.has_recursion, 0
	.set _ZN7rocprim17ROCPRIM_400000_NS6detail17trampoline_kernelINS0_14default_configENS1_20scan_config_selectorIN3c108BFloat16EEEZZNS1_9scan_implILNS1_25lookback_scan_determinismE0ELb0ELb0ES3_PKS6_PS6_S6_ZZZN2at6native31launch_logcumsumexp_cuda_kernelERKNSD_10TensorBaseESH_lENKUlvE_clEvENKUlvE4_clEvEUlS6_S6_E_S6_EEDaPvRmT3_T4_T5_mT6_P12ihipStream_tbENKUlT_T0_E_clISt17integral_constantIbLb0EESY_EEDaST_SU_EUlST_E0_NS1_11comp_targetILNS1_3genE0ELNS1_11target_archE4294967295ELNS1_3gpuE0ELNS1_3repE0EEENS1_30default_config_static_selectorELNS0_4arch9wavefront6targetE0EEEvT1_.has_indirect_call, 0
	.section	.AMDGPU.csdata,"",@progbits
; Kernel info:
; codeLenInByte = 0
; TotalNumSgprs: 0
; NumVgprs: 0
; ScratchSize: 0
; MemoryBound: 0
; FloatMode: 240
; IeeeMode: 1
; LDSByteSize: 0 bytes/workgroup (compile time only)
; SGPRBlocks: 0
; VGPRBlocks: 0
; NumSGPRsForWavesPerEU: 1
; NumVGPRsForWavesPerEU: 1
; Occupancy: 16
; WaveLimiterHint : 0
; COMPUTE_PGM_RSRC2:SCRATCH_EN: 0
; COMPUTE_PGM_RSRC2:USER_SGPR: 6
; COMPUTE_PGM_RSRC2:TRAP_HANDLER: 0
; COMPUTE_PGM_RSRC2:TGID_X_EN: 1
; COMPUTE_PGM_RSRC2:TGID_Y_EN: 0
; COMPUTE_PGM_RSRC2:TGID_Z_EN: 0
; COMPUTE_PGM_RSRC2:TIDIG_COMP_CNT: 0
	.section	.text._ZN7rocprim17ROCPRIM_400000_NS6detail17trampoline_kernelINS0_14default_configENS1_20scan_config_selectorIN3c108BFloat16EEEZZNS1_9scan_implILNS1_25lookback_scan_determinismE0ELb0ELb0ES3_PKS6_PS6_S6_ZZZN2at6native31launch_logcumsumexp_cuda_kernelERKNSD_10TensorBaseESH_lENKUlvE_clEvENKUlvE4_clEvEUlS6_S6_E_S6_EEDaPvRmT3_T4_T5_mT6_P12ihipStream_tbENKUlT_T0_E_clISt17integral_constantIbLb0EESY_EEDaST_SU_EUlST_E0_NS1_11comp_targetILNS1_3genE5ELNS1_11target_archE942ELNS1_3gpuE9ELNS1_3repE0EEENS1_30default_config_static_selectorELNS0_4arch9wavefront6targetE0EEEvT1_,"axG",@progbits,_ZN7rocprim17ROCPRIM_400000_NS6detail17trampoline_kernelINS0_14default_configENS1_20scan_config_selectorIN3c108BFloat16EEEZZNS1_9scan_implILNS1_25lookback_scan_determinismE0ELb0ELb0ES3_PKS6_PS6_S6_ZZZN2at6native31launch_logcumsumexp_cuda_kernelERKNSD_10TensorBaseESH_lENKUlvE_clEvENKUlvE4_clEvEUlS6_S6_E_S6_EEDaPvRmT3_T4_T5_mT6_P12ihipStream_tbENKUlT_T0_E_clISt17integral_constantIbLb0EESY_EEDaST_SU_EUlST_E0_NS1_11comp_targetILNS1_3genE5ELNS1_11target_archE942ELNS1_3gpuE9ELNS1_3repE0EEENS1_30default_config_static_selectorELNS0_4arch9wavefront6targetE0EEEvT1_,comdat
	.globl	_ZN7rocprim17ROCPRIM_400000_NS6detail17trampoline_kernelINS0_14default_configENS1_20scan_config_selectorIN3c108BFloat16EEEZZNS1_9scan_implILNS1_25lookback_scan_determinismE0ELb0ELb0ES3_PKS6_PS6_S6_ZZZN2at6native31launch_logcumsumexp_cuda_kernelERKNSD_10TensorBaseESH_lENKUlvE_clEvENKUlvE4_clEvEUlS6_S6_E_S6_EEDaPvRmT3_T4_T5_mT6_P12ihipStream_tbENKUlT_T0_E_clISt17integral_constantIbLb0EESY_EEDaST_SU_EUlST_E0_NS1_11comp_targetILNS1_3genE5ELNS1_11target_archE942ELNS1_3gpuE9ELNS1_3repE0EEENS1_30default_config_static_selectorELNS0_4arch9wavefront6targetE0EEEvT1_ ; -- Begin function _ZN7rocprim17ROCPRIM_400000_NS6detail17trampoline_kernelINS0_14default_configENS1_20scan_config_selectorIN3c108BFloat16EEEZZNS1_9scan_implILNS1_25lookback_scan_determinismE0ELb0ELb0ES3_PKS6_PS6_S6_ZZZN2at6native31launch_logcumsumexp_cuda_kernelERKNSD_10TensorBaseESH_lENKUlvE_clEvENKUlvE4_clEvEUlS6_S6_E_S6_EEDaPvRmT3_T4_T5_mT6_P12ihipStream_tbENKUlT_T0_E_clISt17integral_constantIbLb0EESY_EEDaST_SU_EUlST_E0_NS1_11comp_targetILNS1_3genE5ELNS1_11target_archE942ELNS1_3gpuE9ELNS1_3repE0EEENS1_30default_config_static_selectorELNS0_4arch9wavefront6targetE0EEEvT1_
	.p2align	8
	.type	_ZN7rocprim17ROCPRIM_400000_NS6detail17trampoline_kernelINS0_14default_configENS1_20scan_config_selectorIN3c108BFloat16EEEZZNS1_9scan_implILNS1_25lookback_scan_determinismE0ELb0ELb0ES3_PKS6_PS6_S6_ZZZN2at6native31launch_logcumsumexp_cuda_kernelERKNSD_10TensorBaseESH_lENKUlvE_clEvENKUlvE4_clEvEUlS6_S6_E_S6_EEDaPvRmT3_T4_T5_mT6_P12ihipStream_tbENKUlT_T0_E_clISt17integral_constantIbLb0EESY_EEDaST_SU_EUlST_E0_NS1_11comp_targetILNS1_3genE5ELNS1_11target_archE942ELNS1_3gpuE9ELNS1_3repE0EEENS1_30default_config_static_selectorELNS0_4arch9wavefront6targetE0EEEvT1_,@function
_ZN7rocprim17ROCPRIM_400000_NS6detail17trampoline_kernelINS0_14default_configENS1_20scan_config_selectorIN3c108BFloat16EEEZZNS1_9scan_implILNS1_25lookback_scan_determinismE0ELb0ELb0ES3_PKS6_PS6_S6_ZZZN2at6native31launch_logcumsumexp_cuda_kernelERKNSD_10TensorBaseESH_lENKUlvE_clEvENKUlvE4_clEvEUlS6_S6_E_S6_EEDaPvRmT3_T4_T5_mT6_P12ihipStream_tbENKUlT_T0_E_clISt17integral_constantIbLb0EESY_EEDaST_SU_EUlST_E0_NS1_11comp_targetILNS1_3genE5ELNS1_11target_archE942ELNS1_3gpuE9ELNS1_3repE0EEENS1_30default_config_static_selectorELNS0_4arch9wavefront6targetE0EEEvT1_: ; @_ZN7rocprim17ROCPRIM_400000_NS6detail17trampoline_kernelINS0_14default_configENS1_20scan_config_selectorIN3c108BFloat16EEEZZNS1_9scan_implILNS1_25lookback_scan_determinismE0ELb0ELb0ES3_PKS6_PS6_S6_ZZZN2at6native31launch_logcumsumexp_cuda_kernelERKNSD_10TensorBaseESH_lENKUlvE_clEvENKUlvE4_clEvEUlS6_S6_E_S6_EEDaPvRmT3_T4_T5_mT6_P12ihipStream_tbENKUlT_T0_E_clISt17integral_constantIbLb0EESY_EEDaST_SU_EUlST_E0_NS1_11comp_targetILNS1_3genE5ELNS1_11target_archE942ELNS1_3gpuE9ELNS1_3repE0EEENS1_30default_config_static_selectorELNS0_4arch9wavefront6targetE0EEEvT1_
; %bb.0:
	.section	.rodata,"a",@progbits
	.p2align	6, 0x0
	.amdhsa_kernel _ZN7rocprim17ROCPRIM_400000_NS6detail17trampoline_kernelINS0_14default_configENS1_20scan_config_selectorIN3c108BFloat16EEEZZNS1_9scan_implILNS1_25lookback_scan_determinismE0ELb0ELb0ES3_PKS6_PS6_S6_ZZZN2at6native31launch_logcumsumexp_cuda_kernelERKNSD_10TensorBaseESH_lENKUlvE_clEvENKUlvE4_clEvEUlS6_S6_E_S6_EEDaPvRmT3_T4_T5_mT6_P12ihipStream_tbENKUlT_T0_E_clISt17integral_constantIbLb0EESY_EEDaST_SU_EUlST_E0_NS1_11comp_targetILNS1_3genE5ELNS1_11target_archE942ELNS1_3gpuE9ELNS1_3repE0EEENS1_30default_config_static_selectorELNS0_4arch9wavefront6targetE0EEEvT1_
		.amdhsa_group_segment_fixed_size 0
		.amdhsa_private_segment_fixed_size 0
		.amdhsa_kernarg_size 32
		.amdhsa_user_sgpr_count 6
		.amdhsa_user_sgpr_private_segment_buffer 1
		.amdhsa_user_sgpr_dispatch_ptr 0
		.amdhsa_user_sgpr_queue_ptr 0
		.amdhsa_user_sgpr_kernarg_segment_ptr 1
		.amdhsa_user_sgpr_dispatch_id 0
		.amdhsa_user_sgpr_flat_scratch_init 0
		.amdhsa_user_sgpr_private_segment_size 0
		.amdhsa_wavefront_size32 1
		.amdhsa_uses_dynamic_stack 0
		.amdhsa_system_sgpr_private_segment_wavefront_offset 0
		.amdhsa_system_sgpr_workgroup_id_x 1
		.amdhsa_system_sgpr_workgroup_id_y 0
		.amdhsa_system_sgpr_workgroup_id_z 0
		.amdhsa_system_sgpr_workgroup_info 0
		.amdhsa_system_vgpr_workitem_id 0
		.amdhsa_next_free_vgpr 1
		.amdhsa_next_free_sgpr 1
		.amdhsa_reserve_vcc 0
		.amdhsa_reserve_flat_scratch 0
		.amdhsa_float_round_mode_32 0
		.amdhsa_float_round_mode_16_64 0
		.amdhsa_float_denorm_mode_32 3
		.amdhsa_float_denorm_mode_16_64 3
		.amdhsa_dx10_clamp 1
		.amdhsa_ieee_mode 1
		.amdhsa_fp16_overflow 0
		.amdhsa_workgroup_processor_mode 1
		.amdhsa_memory_ordered 1
		.amdhsa_forward_progress 1
		.amdhsa_shared_vgpr_count 0
		.amdhsa_exception_fp_ieee_invalid_op 0
		.amdhsa_exception_fp_denorm_src 0
		.amdhsa_exception_fp_ieee_div_zero 0
		.amdhsa_exception_fp_ieee_overflow 0
		.amdhsa_exception_fp_ieee_underflow 0
		.amdhsa_exception_fp_ieee_inexact 0
		.amdhsa_exception_int_div_zero 0
	.end_amdhsa_kernel
	.section	.text._ZN7rocprim17ROCPRIM_400000_NS6detail17trampoline_kernelINS0_14default_configENS1_20scan_config_selectorIN3c108BFloat16EEEZZNS1_9scan_implILNS1_25lookback_scan_determinismE0ELb0ELb0ES3_PKS6_PS6_S6_ZZZN2at6native31launch_logcumsumexp_cuda_kernelERKNSD_10TensorBaseESH_lENKUlvE_clEvENKUlvE4_clEvEUlS6_S6_E_S6_EEDaPvRmT3_T4_T5_mT6_P12ihipStream_tbENKUlT_T0_E_clISt17integral_constantIbLb0EESY_EEDaST_SU_EUlST_E0_NS1_11comp_targetILNS1_3genE5ELNS1_11target_archE942ELNS1_3gpuE9ELNS1_3repE0EEENS1_30default_config_static_selectorELNS0_4arch9wavefront6targetE0EEEvT1_,"axG",@progbits,_ZN7rocprim17ROCPRIM_400000_NS6detail17trampoline_kernelINS0_14default_configENS1_20scan_config_selectorIN3c108BFloat16EEEZZNS1_9scan_implILNS1_25lookback_scan_determinismE0ELb0ELb0ES3_PKS6_PS6_S6_ZZZN2at6native31launch_logcumsumexp_cuda_kernelERKNSD_10TensorBaseESH_lENKUlvE_clEvENKUlvE4_clEvEUlS6_S6_E_S6_EEDaPvRmT3_T4_T5_mT6_P12ihipStream_tbENKUlT_T0_E_clISt17integral_constantIbLb0EESY_EEDaST_SU_EUlST_E0_NS1_11comp_targetILNS1_3genE5ELNS1_11target_archE942ELNS1_3gpuE9ELNS1_3repE0EEENS1_30default_config_static_selectorELNS0_4arch9wavefront6targetE0EEEvT1_,comdat
.Lfunc_end456:
	.size	_ZN7rocprim17ROCPRIM_400000_NS6detail17trampoline_kernelINS0_14default_configENS1_20scan_config_selectorIN3c108BFloat16EEEZZNS1_9scan_implILNS1_25lookback_scan_determinismE0ELb0ELb0ES3_PKS6_PS6_S6_ZZZN2at6native31launch_logcumsumexp_cuda_kernelERKNSD_10TensorBaseESH_lENKUlvE_clEvENKUlvE4_clEvEUlS6_S6_E_S6_EEDaPvRmT3_T4_T5_mT6_P12ihipStream_tbENKUlT_T0_E_clISt17integral_constantIbLb0EESY_EEDaST_SU_EUlST_E0_NS1_11comp_targetILNS1_3genE5ELNS1_11target_archE942ELNS1_3gpuE9ELNS1_3repE0EEENS1_30default_config_static_selectorELNS0_4arch9wavefront6targetE0EEEvT1_, .Lfunc_end456-_ZN7rocprim17ROCPRIM_400000_NS6detail17trampoline_kernelINS0_14default_configENS1_20scan_config_selectorIN3c108BFloat16EEEZZNS1_9scan_implILNS1_25lookback_scan_determinismE0ELb0ELb0ES3_PKS6_PS6_S6_ZZZN2at6native31launch_logcumsumexp_cuda_kernelERKNSD_10TensorBaseESH_lENKUlvE_clEvENKUlvE4_clEvEUlS6_S6_E_S6_EEDaPvRmT3_T4_T5_mT6_P12ihipStream_tbENKUlT_T0_E_clISt17integral_constantIbLb0EESY_EEDaST_SU_EUlST_E0_NS1_11comp_targetILNS1_3genE5ELNS1_11target_archE942ELNS1_3gpuE9ELNS1_3repE0EEENS1_30default_config_static_selectorELNS0_4arch9wavefront6targetE0EEEvT1_
                                        ; -- End function
	.set _ZN7rocprim17ROCPRIM_400000_NS6detail17trampoline_kernelINS0_14default_configENS1_20scan_config_selectorIN3c108BFloat16EEEZZNS1_9scan_implILNS1_25lookback_scan_determinismE0ELb0ELb0ES3_PKS6_PS6_S6_ZZZN2at6native31launch_logcumsumexp_cuda_kernelERKNSD_10TensorBaseESH_lENKUlvE_clEvENKUlvE4_clEvEUlS6_S6_E_S6_EEDaPvRmT3_T4_T5_mT6_P12ihipStream_tbENKUlT_T0_E_clISt17integral_constantIbLb0EESY_EEDaST_SU_EUlST_E0_NS1_11comp_targetILNS1_3genE5ELNS1_11target_archE942ELNS1_3gpuE9ELNS1_3repE0EEENS1_30default_config_static_selectorELNS0_4arch9wavefront6targetE0EEEvT1_.num_vgpr, 0
	.set _ZN7rocprim17ROCPRIM_400000_NS6detail17trampoline_kernelINS0_14default_configENS1_20scan_config_selectorIN3c108BFloat16EEEZZNS1_9scan_implILNS1_25lookback_scan_determinismE0ELb0ELb0ES3_PKS6_PS6_S6_ZZZN2at6native31launch_logcumsumexp_cuda_kernelERKNSD_10TensorBaseESH_lENKUlvE_clEvENKUlvE4_clEvEUlS6_S6_E_S6_EEDaPvRmT3_T4_T5_mT6_P12ihipStream_tbENKUlT_T0_E_clISt17integral_constantIbLb0EESY_EEDaST_SU_EUlST_E0_NS1_11comp_targetILNS1_3genE5ELNS1_11target_archE942ELNS1_3gpuE9ELNS1_3repE0EEENS1_30default_config_static_selectorELNS0_4arch9wavefront6targetE0EEEvT1_.num_agpr, 0
	.set _ZN7rocprim17ROCPRIM_400000_NS6detail17trampoline_kernelINS0_14default_configENS1_20scan_config_selectorIN3c108BFloat16EEEZZNS1_9scan_implILNS1_25lookback_scan_determinismE0ELb0ELb0ES3_PKS6_PS6_S6_ZZZN2at6native31launch_logcumsumexp_cuda_kernelERKNSD_10TensorBaseESH_lENKUlvE_clEvENKUlvE4_clEvEUlS6_S6_E_S6_EEDaPvRmT3_T4_T5_mT6_P12ihipStream_tbENKUlT_T0_E_clISt17integral_constantIbLb0EESY_EEDaST_SU_EUlST_E0_NS1_11comp_targetILNS1_3genE5ELNS1_11target_archE942ELNS1_3gpuE9ELNS1_3repE0EEENS1_30default_config_static_selectorELNS0_4arch9wavefront6targetE0EEEvT1_.numbered_sgpr, 0
	.set _ZN7rocprim17ROCPRIM_400000_NS6detail17trampoline_kernelINS0_14default_configENS1_20scan_config_selectorIN3c108BFloat16EEEZZNS1_9scan_implILNS1_25lookback_scan_determinismE0ELb0ELb0ES3_PKS6_PS6_S6_ZZZN2at6native31launch_logcumsumexp_cuda_kernelERKNSD_10TensorBaseESH_lENKUlvE_clEvENKUlvE4_clEvEUlS6_S6_E_S6_EEDaPvRmT3_T4_T5_mT6_P12ihipStream_tbENKUlT_T0_E_clISt17integral_constantIbLb0EESY_EEDaST_SU_EUlST_E0_NS1_11comp_targetILNS1_3genE5ELNS1_11target_archE942ELNS1_3gpuE9ELNS1_3repE0EEENS1_30default_config_static_selectorELNS0_4arch9wavefront6targetE0EEEvT1_.num_named_barrier, 0
	.set _ZN7rocprim17ROCPRIM_400000_NS6detail17trampoline_kernelINS0_14default_configENS1_20scan_config_selectorIN3c108BFloat16EEEZZNS1_9scan_implILNS1_25lookback_scan_determinismE0ELb0ELb0ES3_PKS6_PS6_S6_ZZZN2at6native31launch_logcumsumexp_cuda_kernelERKNSD_10TensorBaseESH_lENKUlvE_clEvENKUlvE4_clEvEUlS6_S6_E_S6_EEDaPvRmT3_T4_T5_mT6_P12ihipStream_tbENKUlT_T0_E_clISt17integral_constantIbLb0EESY_EEDaST_SU_EUlST_E0_NS1_11comp_targetILNS1_3genE5ELNS1_11target_archE942ELNS1_3gpuE9ELNS1_3repE0EEENS1_30default_config_static_selectorELNS0_4arch9wavefront6targetE0EEEvT1_.private_seg_size, 0
	.set _ZN7rocprim17ROCPRIM_400000_NS6detail17trampoline_kernelINS0_14default_configENS1_20scan_config_selectorIN3c108BFloat16EEEZZNS1_9scan_implILNS1_25lookback_scan_determinismE0ELb0ELb0ES3_PKS6_PS6_S6_ZZZN2at6native31launch_logcumsumexp_cuda_kernelERKNSD_10TensorBaseESH_lENKUlvE_clEvENKUlvE4_clEvEUlS6_S6_E_S6_EEDaPvRmT3_T4_T5_mT6_P12ihipStream_tbENKUlT_T0_E_clISt17integral_constantIbLb0EESY_EEDaST_SU_EUlST_E0_NS1_11comp_targetILNS1_3genE5ELNS1_11target_archE942ELNS1_3gpuE9ELNS1_3repE0EEENS1_30default_config_static_selectorELNS0_4arch9wavefront6targetE0EEEvT1_.uses_vcc, 0
	.set _ZN7rocprim17ROCPRIM_400000_NS6detail17trampoline_kernelINS0_14default_configENS1_20scan_config_selectorIN3c108BFloat16EEEZZNS1_9scan_implILNS1_25lookback_scan_determinismE0ELb0ELb0ES3_PKS6_PS6_S6_ZZZN2at6native31launch_logcumsumexp_cuda_kernelERKNSD_10TensorBaseESH_lENKUlvE_clEvENKUlvE4_clEvEUlS6_S6_E_S6_EEDaPvRmT3_T4_T5_mT6_P12ihipStream_tbENKUlT_T0_E_clISt17integral_constantIbLb0EESY_EEDaST_SU_EUlST_E0_NS1_11comp_targetILNS1_3genE5ELNS1_11target_archE942ELNS1_3gpuE9ELNS1_3repE0EEENS1_30default_config_static_selectorELNS0_4arch9wavefront6targetE0EEEvT1_.uses_flat_scratch, 0
	.set _ZN7rocprim17ROCPRIM_400000_NS6detail17trampoline_kernelINS0_14default_configENS1_20scan_config_selectorIN3c108BFloat16EEEZZNS1_9scan_implILNS1_25lookback_scan_determinismE0ELb0ELb0ES3_PKS6_PS6_S6_ZZZN2at6native31launch_logcumsumexp_cuda_kernelERKNSD_10TensorBaseESH_lENKUlvE_clEvENKUlvE4_clEvEUlS6_S6_E_S6_EEDaPvRmT3_T4_T5_mT6_P12ihipStream_tbENKUlT_T0_E_clISt17integral_constantIbLb0EESY_EEDaST_SU_EUlST_E0_NS1_11comp_targetILNS1_3genE5ELNS1_11target_archE942ELNS1_3gpuE9ELNS1_3repE0EEENS1_30default_config_static_selectorELNS0_4arch9wavefront6targetE0EEEvT1_.has_dyn_sized_stack, 0
	.set _ZN7rocprim17ROCPRIM_400000_NS6detail17trampoline_kernelINS0_14default_configENS1_20scan_config_selectorIN3c108BFloat16EEEZZNS1_9scan_implILNS1_25lookback_scan_determinismE0ELb0ELb0ES3_PKS6_PS6_S6_ZZZN2at6native31launch_logcumsumexp_cuda_kernelERKNSD_10TensorBaseESH_lENKUlvE_clEvENKUlvE4_clEvEUlS6_S6_E_S6_EEDaPvRmT3_T4_T5_mT6_P12ihipStream_tbENKUlT_T0_E_clISt17integral_constantIbLb0EESY_EEDaST_SU_EUlST_E0_NS1_11comp_targetILNS1_3genE5ELNS1_11target_archE942ELNS1_3gpuE9ELNS1_3repE0EEENS1_30default_config_static_selectorELNS0_4arch9wavefront6targetE0EEEvT1_.has_recursion, 0
	.set _ZN7rocprim17ROCPRIM_400000_NS6detail17trampoline_kernelINS0_14default_configENS1_20scan_config_selectorIN3c108BFloat16EEEZZNS1_9scan_implILNS1_25lookback_scan_determinismE0ELb0ELb0ES3_PKS6_PS6_S6_ZZZN2at6native31launch_logcumsumexp_cuda_kernelERKNSD_10TensorBaseESH_lENKUlvE_clEvENKUlvE4_clEvEUlS6_S6_E_S6_EEDaPvRmT3_T4_T5_mT6_P12ihipStream_tbENKUlT_T0_E_clISt17integral_constantIbLb0EESY_EEDaST_SU_EUlST_E0_NS1_11comp_targetILNS1_3genE5ELNS1_11target_archE942ELNS1_3gpuE9ELNS1_3repE0EEENS1_30default_config_static_selectorELNS0_4arch9wavefront6targetE0EEEvT1_.has_indirect_call, 0
	.section	.AMDGPU.csdata,"",@progbits
; Kernel info:
; codeLenInByte = 0
; TotalNumSgprs: 0
; NumVgprs: 0
; ScratchSize: 0
; MemoryBound: 0
; FloatMode: 240
; IeeeMode: 1
; LDSByteSize: 0 bytes/workgroup (compile time only)
; SGPRBlocks: 0
; VGPRBlocks: 0
; NumSGPRsForWavesPerEU: 1
; NumVGPRsForWavesPerEU: 1
; Occupancy: 16
; WaveLimiterHint : 0
; COMPUTE_PGM_RSRC2:SCRATCH_EN: 0
; COMPUTE_PGM_RSRC2:USER_SGPR: 6
; COMPUTE_PGM_RSRC2:TRAP_HANDLER: 0
; COMPUTE_PGM_RSRC2:TGID_X_EN: 1
; COMPUTE_PGM_RSRC2:TGID_Y_EN: 0
; COMPUTE_PGM_RSRC2:TGID_Z_EN: 0
; COMPUTE_PGM_RSRC2:TIDIG_COMP_CNT: 0
	.section	.text._ZN7rocprim17ROCPRIM_400000_NS6detail17trampoline_kernelINS0_14default_configENS1_20scan_config_selectorIN3c108BFloat16EEEZZNS1_9scan_implILNS1_25lookback_scan_determinismE0ELb0ELb0ES3_PKS6_PS6_S6_ZZZN2at6native31launch_logcumsumexp_cuda_kernelERKNSD_10TensorBaseESH_lENKUlvE_clEvENKUlvE4_clEvEUlS6_S6_E_S6_EEDaPvRmT3_T4_T5_mT6_P12ihipStream_tbENKUlT_T0_E_clISt17integral_constantIbLb0EESY_EEDaST_SU_EUlST_E0_NS1_11comp_targetILNS1_3genE4ELNS1_11target_archE910ELNS1_3gpuE8ELNS1_3repE0EEENS1_30default_config_static_selectorELNS0_4arch9wavefront6targetE0EEEvT1_,"axG",@progbits,_ZN7rocprim17ROCPRIM_400000_NS6detail17trampoline_kernelINS0_14default_configENS1_20scan_config_selectorIN3c108BFloat16EEEZZNS1_9scan_implILNS1_25lookback_scan_determinismE0ELb0ELb0ES3_PKS6_PS6_S6_ZZZN2at6native31launch_logcumsumexp_cuda_kernelERKNSD_10TensorBaseESH_lENKUlvE_clEvENKUlvE4_clEvEUlS6_S6_E_S6_EEDaPvRmT3_T4_T5_mT6_P12ihipStream_tbENKUlT_T0_E_clISt17integral_constantIbLb0EESY_EEDaST_SU_EUlST_E0_NS1_11comp_targetILNS1_3genE4ELNS1_11target_archE910ELNS1_3gpuE8ELNS1_3repE0EEENS1_30default_config_static_selectorELNS0_4arch9wavefront6targetE0EEEvT1_,comdat
	.globl	_ZN7rocprim17ROCPRIM_400000_NS6detail17trampoline_kernelINS0_14default_configENS1_20scan_config_selectorIN3c108BFloat16EEEZZNS1_9scan_implILNS1_25lookback_scan_determinismE0ELb0ELb0ES3_PKS6_PS6_S6_ZZZN2at6native31launch_logcumsumexp_cuda_kernelERKNSD_10TensorBaseESH_lENKUlvE_clEvENKUlvE4_clEvEUlS6_S6_E_S6_EEDaPvRmT3_T4_T5_mT6_P12ihipStream_tbENKUlT_T0_E_clISt17integral_constantIbLb0EESY_EEDaST_SU_EUlST_E0_NS1_11comp_targetILNS1_3genE4ELNS1_11target_archE910ELNS1_3gpuE8ELNS1_3repE0EEENS1_30default_config_static_selectorELNS0_4arch9wavefront6targetE0EEEvT1_ ; -- Begin function _ZN7rocprim17ROCPRIM_400000_NS6detail17trampoline_kernelINS0_14default_configENS1_20scan_config_selectorIN3c108BFloat16EEEZZNS1_9scan_implILNS1_25lookback_scan_determinismE0ELb0ELb0ES3_PKS6_PS6_S6_ZZZN2at6native31launch_logcumsumexp_cuda_kernelERKNSD_10TensorBaseESH_lENKUlvE_clEvENKUlvE4_clEvEUlS6_S6_E_S6_EEDaPvRmT3_T4_T5_mT6_P12ihipStream_tbENKUlT_T0_E_clISt17integral_constantIbLb0EESY_EEDaST_SU_EUlST_E0_NS1_11comp_targetILNS1_3genE4ELNS1_11target_archE910ELNS1_3gpuE8ELNS1_3repE0EEENS1_30default_config_static_selectorELNS0_4arch9wavefront6targetE0EEEvT1_
	.p2align	8
	.type	_ZN7rocprim17ROCPRIM_400000_NS6detail17trampoline_kernelINS0_14default_configENS1_20scan_config_selectorIN3c108BFloat16EEEZZNS1_9scan_implILNS1_25lookback_scan_determinismE0ELb0ELb0ES3_PKS6_PS6_S6_ZZZN2at6native31launch_logcumsumexp_cuda_kernelERKNSD_10TensorBaseESH_lENKUlvE_clEvENKUlvE4_clEvEUlS6_S6_E_S6_EEDaPvRmT3_T4_T5_mT6_P12ihipStream_tbENKUlT_T0_E_clISt17integral_constantIbLb0EESY_EEDaST_SU_EUlST_E0_NS1_11comp_targetILNS1_3genE4ELNS1_11target_archE910ELNS1_3gpuE8ELNS1_3repE0EEENS1_30default_config_static_selectorELNS0_4arch9wavefront6targetE0EEEvT1_,@function
_ZN7rocprim17ROCPRIM_400000_NS6detail17trampoline_kernelINS0_14default_configENS1_20scan_config_selectorIN3c108BFloat16EEEZZNS1_9scan_implILNS1_25lookback_scan_determinismE0ELb0ELb0ES3_PKS6_PS6_S6_ZZZN2at6native31launch_logcumsumexp_cuda_kernelERKNSD_10TensorBaseESH_lENKUlvE_clEvENKUlvE4_clEvEUlS6_S6_E_S6_EEDaPvRmT3_T4_T5_mT6_P12ihipStream_tbENKUlT_T0_E_clISt17integral_constantIbLb0EESY_EEDaST_SU_EUlST_E0_NS1_11comp_targetILNS1_3genE4ELNS1_11target_archE910ELNS1_3gpuE8ELNS1_3repE0EEENS1_30default_config_static_selectorELNS0_4arch9wavefront6targetE0EEEvT1_: ; @_ZN7rocprim17ROCPRIM_400000_NS6detail17trampoline_kernelINS0_14default_configENS1_20scan_config_selectorIN3c108BFloat16EEEZZNS1_9scan_implILNS1_25lookback_scan_determinismE0ELb0ELb0ES3_PKS6_PS6_S6_ZZZN2at6native31launch_logcumsumexp_cuda_kernelERKNSD_10TensorBaseESH_lENKUlvE_clEvENKUlvE4_clEvEUlS6_S6_E_S6_EEDaPvRmT3_T4_T5_mT6_P12ihipStream_tbENKUlT_T0_E_clISt17integral_constantIbLb0EESY_EEDaST_SU_EUlST_E0_NS1_11comp_targetILNS1_3genE4ELNS1_11target_archE910ELNS1_3gpuE8ELNS1_3repE0EEENS1_30default_config_static_selectorELNS0_4arch9wavefront6targetE0EEEvT1_
; %bb.0:
	.section	.rodata,"a",@progbits
	.p2align	6, 0x0
	.amdhsa_kernel _ZN7rocprim17ROCPRIM_400000_NS6detail17trampoline_kernelINS0_14default_configENS1_20scan_config_selectorIN3c108BFloat16EEEZZNS1_9scan_implILNS1_25lookback_scan_determinismE0ELb0ELb0ES3_PKS6_PS6_S6_ZZZN2at6native31launch_logcumsumexp_cuda_kernelERKNSD_10TensorBaseESH_lENKUlvE_clEvENKUlvE4_clEvEUlS6_S6_E_S6_EEDaPvRmT3_T4_T5_mT6_P12ihipStream_tbENKUlT_T0_E_clISt17integral_constantIbLb0EESY_EEDaST_SU_EUlST_E0_NS1_11comp_targetILNS1_3genE4ELNS1_11target_archE910ELNS1_3gpuE8ELNS1_3repE0EEENS1_30default_config_static_selectorELNS0_4arch9wavefront6targetE0EEEvT1_
		.amdhsa_group_segment_fixed_size 0
		.amdhsa_private_segment_fixed_size 0
		.amdhsa_kernarg_size 32
		.amdhsa_user_sgpr_count 6
		.amdhsa_user_sgpr_private_segment_buffer 1
		.amdhsa_user_sgpr_dispatch_ptr 0
		.amdhsa_user_sgpr_queue_ptr 0
		.amdhsa_user_sgpr_kernarg_segment_ptr 1
		.amdhsa_user_sgpr_dispatch_id 0
		.amdhsa_user_sgpr_flat_scratch_init 0
		.amdhsa_user_sgpr_private_segment_size 0
		.amdhsa_wavefront_size32 1
		.amdhsa_uses_dynamic_stack 0
		.amdhsa_system_sgpr_private_segment_wavefront_offset 0
		.amdhsa_system_sgpr_workgroup_id_x 1
		.amdhsa_system_sgpr_workgroup_id_y 0
		.amdhsa_system_sgpr_workgroup_id_z 0
		.amdhsa_system_sgpr_workgroup_info 0
		.amdhsa_system_vgpr_workitem_id 0
		.amdhsa_next_free_vgpr 1
		.amdhsa_next_free_sgpr 1
		.amdhsa_reserve_vcc 0
		.amdhsa_reserve_flat_scratch 0
		.amdhsa_float_round_mode_32 0
		.amdhsa_float_round_mode_16_64 0
		.amdhsa_float_denorm_mode_32 3
		.amdhsa_float_denorm_mode_16_64 3
		.amdhsa_dx10_clamp 1
		.amdhsa_ieee_mode 1
		.amdhsa_fp16_overflow 0
		.amdhsa_workgroup_processor_mode 1
		.amdhsa_memory_ordered 1
		.amdhsa_forward_progress 1
		.amdhsa_shared_vgpr_count 0
		.amdhsa_exception_fp_ieee_invalid_op 0
		.amdhsa_exception_fp_denorm_src 0
		.amdhsa_exception_fp_ieee_div_zero 0
		.amdhsa_exception_fp_ieee_overflow 0
		.amdhsa_exception_fp_ieee_underflow 0
		.amdhsa_exception_fp_ieee_inexact 0
		.amdhsa_exception_int_div_zero 0
	.end_amdhsa_kernel
	.section	.text._ZN7rocprim17ROCPRIM_400000_NS6detail17trampoline_kernelINS0_14default_configENS1_20scan_config_selectorIN3c108BFloat16EEEZZNS1_9scan_implILNS1_25lookback_scan_determinismE0ELb0ELb0ES3_PKS6_PS6_S6_ZZZN2at6native31launch_logcumsumexp_cuda_kernelERKNSD_10TensorBaseESH_lENKUlvE_clEvENKUlvE4_clEvEUlS6_S6_E_S6_EEDaPvRmT3_T4_T5_mT6_P12ihipStream_tbENKUlT_T0_E_clISt17integral_constantIbLb0EESY_EEDaST_SU_EUlST_E0_NS1_11comp_targetILNS1_3genE4ELNS1_11target_archE910ELNS1_3gpuE8ELNS1_3repE0EEENS1_30default_config_static_selectorELNS0_4arch9wavefront6targetE0EEEvT1_,"axG",@progbits,_ZN7rocprim17ROCPRIM_400000_NS6detail17trampoline_kernelINS0_14default_configENS1_20scan_config_selectorIN3c108BFloat16EEEZZNS1_9scan_implILNS1_25lookback_scan_determinismE0ELb0ELb0ES3_PKS6_PS6_S6_ZZZN2at6native31launch_logcumsumexp_cuda_kernelERKNSD_10TensorBaseESH_lENKUlvE_clEvENKUlvE4_clEvEUlS6_S6_E_S6_EEDaPvRmT3_T4_T5_mT6_P12ihipStream_tbENKUlT_T0_E_clISt17integral_constantIbLb0EESY_EEDaST_SU_EUlST_E0_NS1_11comp_targetILNS1_3genE4ELNS1_11target_archE910ELNS1_3gpuE8ELNS1_3repE0EEENS1_30default_config_static_selectorELNS0_4arch9wavefront6targetE0EEEvT1_,comdat
.Lfunc_end457:
	.size	_ZN7rocprim17ROCPRIM_400000_NS6detail17trampoline_kernelINS0_14default_configENS1_20scan_config_selectorIN3c108BFloat16EEEZZNS1_9scan_implILNS1_25lookback_scan_determinismE0ELb0ELb0ES3_PKS6_PS6_S6_ZZZN2at6native31launch_logcumsumexp_cuda_kernelERKNSD_10TensorBaseESH_lENKUlvE_clEvENKUlvE4_clEvEUlS6_S6_E_S6_EEDaPvRmT3_T4_T5_mT6_P12ihipStream_tbENKUlT_T0_E_clISt17integral_constantIbLb0EESY_EEDaST_SU_EUlST_E0_NS1_11comp_targetILNS1_3genE4ELNS1_11target_archE910ELNS1_3gpuE8ELNS1_3repE0EEENS1_30default_config_static_selectorELNS0_4arch9wavefront6targetE0EEEvT1_, .Lfunc_end457-_ZN7rocprim17ROCPRIM_400000_NS6detail17trampoline_kernelINS0_14default_configENS1_20scan_config_selectorIN3c108BFloat16EEEZZNS1_9scan_implILNS1_25lookback_scan_determinismE0ELb0ELb0ES3_PKS6_PS6_S6_ZZZN2at6native31launch_logcumsumexp_cuda_kernelERKNSD_10TensorBaseESH_lENKUlvE_clEvENKUlvE4_clEvEUlS6_S6_E_S6_EEDaPvRmT3_T4_T5_mT6_P12ihipStream_tbENKUlT_T0_E_clISt17integral_constantIbLb0EESY_EEDaST_SU_EUlST_E0_NS1_11comp_targetILNS1_3genE4ELNS1_11target_archE910ELNS1_3gpuE8ELNS1_3repE0EEENS1_30default_config_static_selectorELNS0_4arch9wavefront6targetE0EEEvT1_
                                        ; -- End function
	.set _ZN7rocprim17ROCPRIM_400000_NS6detail17trampoline_kernelINS0_14default_configENS1_20scan_config_selectorIN3c108BFloat16EEEZZNS1_9scan_implILNS1_25lookback_scan_determinismE0ELb0ELb0ES3_PKS6_PS6_S6_ZZZN2at6native31launch_logcumsumexp_cuda_kernelERKNSD_10TensorBaseESH_lENKUlvE_clEvENKUlvE4_clEvEUlS6_S6_E_S6_EEDaPvRmT3_T4_T5_mT6_P12ihipStream_tbENKUlT_T0_E_clISt17integral_constantIbLb0EESY_EEDaST_SU_EUlST_E0_NS1_11comp_targetILNS1_3genE4ELNS1_11target_archE910ELNS1_3gpuE8ELNS1_3repE0EEENS1_30default_config_static_selectorELNS0_4arch9wavefront6targetE0EEEvT1_.num_vgpr, 0
	.set _ZN7rocprim17ROCPRIM_400000_NS6detail17trampoline_kernelINS0_14default_configENS1_20scan_config_selectorIN3c108BFloat16EEEZZNS1_9scan_implILNS1_25lookback_scan_determinismE0ELb0ELb0ES3_PKS6_PS6_S6_ZZZN2at6native31launch_logcumsumexp_cuda_kernelERKNSD_10TensorBaseESH_lENKUlvE_clEvENKUlvE4_clEvEUlS6_S6_E_S6_EEDaPvRmT3_T4_T5_mT6_P12ihipStream_tbENKUlT_T0_E_clISt17integral_constantIbLb0EESY_EEDaST_SU_EUlST_E0_NS1_11comp_targetILNS1_3genE4ELNS1_11target_archE910ELNS1_3gpuE8ELNS1_3repE0EEENS1_30default_config_static_selectorELNS0_4arch9wavefront6targetE0EEEvT1_.num_agpr, 0
	.set _ZN7rocprim17ROCPRIM_400000_NS6detail17trampoline_kernelINS0_14default_configENS1_20scan_config_selectorIN3c108BFloat16EEEZZNS1_9scan_implILNS1_25lookback_scan_determinismE0ELb0ELb0ES3_PKS6_PS6_S6_ZZZN2at6native31launch_logcumsumexp_cuda_kernelERKNSD_10TensorBaseESH_lENKUlvE_clEvENKUlvE4_clEvEUlS6_S6_E_S6_EEDaPvRmT3_T4_T5_mT6_P12ihipStream_tbENKUlT_T0_E_clISt17integral_constantIbLb0EESY_EEDaST_SU_EUlST_E0_NS1_11comp_targetILNS1_3genE4ELNS1_11target_archE910ELNS1_3gpuE8ELNS1_3repE0EEENS1_30default_config_static_selectorELNS0_4arch9wavefront6targetE0EEEvT1_.numbered_sgpr, 0
	.set _ZN7rocprim17ROCPRIM_400000_NS6detail17trampoline_kernelINS0_14default_configENS1_20scan_config_selectorIN3c108BFloat16EEEZZNS1_9scan_implILNS1_25lookback_scan_determinismE0ELb0ELb0ES3_PKS6_PS6_S6_ZZZN2at6native31launch_logcumsumexp_cuda_kernelERKNSD_10TensorBaseESH_lENKUlvE_clEvENKUlvE4_clEvEUlS6_S6_E_S6_EEDaPvRmT3_T4_T5_mT6_P12ihipStream_tbENKUlT_T0_E_clISt17integral_constantIbLb0EESY_EEDaST_SU_EUlST_E0_NS1_11comp_targetILNS1_3genE4ELNS1_11target_archE910ELNS1_3gpuE8ELNS1_3repE0EEENS1_30default_config_static_selectorELNS0_4arch9wavefront6targetE0EEEvT1_.num_named_barrier, 0
	.set _ZN7rocprim17ROCPRIM_400000_NS6detail17trampoline_kernelINS0_14default_configENS1_20scan_config_selectorIN3c108BFloat16EEEZZNS1_9scan_implILNS1_25lookback_scan_determinismE0ELb0ELb0ES3_PKS6_PS6_S6_ZZZN2at6native31launch_logcumsumexp_cuda_kernelERKNSD_10TensorBaseESH_lENKUlvE_clEvENKUlvE4_clEvEUlS6_S6_E_S6_EEDaPvRmT3_T4_T5_mT6_P12ihipStream_tbENKUlT_T0_E_clISt17integral_constantIbLb0EESY_EEDaST_SU_EUlST_E0_NS1_11comp_targetILNS1_3genE4ELNS1_11target_archE910ELNS1_3gpuE8ELNS1_3repE0EEENS1_30default_config_static_selectorELNS0_4arch9wavefront6targetE0EEEvT1_.private_seg_size, 0
	.set _ZN7rocprim17ROCPRIM_400000_NS6detail17trampoline_kernelINS0_14default_configENS1_20scan_config_selectorIN3c108BFloat16EEEZZNS1_9scan_implILNS1_25lookback_scan_determinismE0ELb0ELb0ES3_PKS6_PS6_S6_ZZZN2at6native31launch_logcumsumexp_cuda_kernelERKNSD_10TensorBaseESH_lENKUlvE_clEvENKUlvE4_clEvEUlS6_S6_E_S6_EEDaPvRmT3_T4_T5_mT6_P12ihipStream_tbENKUlT_T0_E_clISt17integral_constantIbLb0EESY_EEDaST_SU_EUlST_E0_NS1_11comp_targetILNS1_3genE4ELNS1_11target_archE910ELNS1_3gpuE8ELNS1_3repE0EEENS1_30default_config_static_selectorELNS0_4arch9wavefront6targetE0EEEvT1_.uses_vcc, 0
	.set _ZN7rocprim17ROCPRIM_400000_NS6detail17trampoline_kernelINS0_14default_configENS1_20scan_config_selectorIN3c108BFloat16EEEZZNS1_9scan_implILNS1_25lookback_scan_determinismE0ELb0ELb0ES3_PKS6_PS6_S6_ZZZN2at6native31launch_logcumsumexp_cuda_kernelERKNSD_10TensorBaseESH_lENKUlvE_clEvENKUlvE4_clEvEUlS6_S6_E_S6_EEDaPvRmT3_T4_T5_mT6_P12ihipStream_tbENKUlT_T0_E_clISt17integral_constantIbLb0EESY_EEDaST_SU_EUlST_E0_NS1_11comp_targetILNS1_3genE4ELNS1_11target_archE910ELNS1_3gpuE8ELNS1_3repE0EEENS1_30default_config_static_selectorELNS0_4arch9wavefront6targetE0EEEvT1_.uses_flat_scratch, 0
	.set _ZN7rocprim17ROCPRIM_400000_NS6detail17trampoline_kernelINS0_14default_configENS1_20scan_config_selectorIN3c108BFloat16EEEZZNS1_9scan_implILNS1_25lookback_scan_determinismE0ELb0ELb0ES3_PKS6_PS6_S6_ZZZN2at6native31launch_logcumsumexp_cuda_kernelERKNSD_10TensorBaseESH_lENKUlvE_clEvENKUlvE4_clEvEUlS6_S6_E_S6_EEDaPvRmT3_T4_T5_mT6_P12ihipStream_tbENKUlT_T0_E_clISt17integral_constantIbLb0EESY_EEDaST_SU_EUlST_E0_NS1_11comp_targetILNS1_3genE4ELNS1_11target_archE910ELNS1_3gpuE8ELNS1_3repE0EEENS1_30default_config_static_selectorELNS0_4arch9wavefront6targetE0EEEvT1_.has_dyn_sized_stack, 0
	.set _ZN7rocprim17ROCPRIM_400000_NS6detail17trampoline_kernelINS0_14default_configENS1_20scan_config_selectorIN3c108BFloat16EEEZZNS1_9scan_implILNS1_25lookback_scan_determinismE0ELb0ELb0ES3_PKS6_PS6_S6_ZZZN2at6native31launch_logcumsumexp_cuda_kernelERKNSD_10TensorBaseESH_lENKUlvE_clEvENKUlvE4_clEvEUlS6_S6_E_S6_EEDaPvRmT3_T4_T5_mT6_P12ihipStream_tbENKUlT_T0_E_clISt17integral_constantIbLb0EESY_EEDaST_SU_EUlST_E0_NS1_11comp_targetILNS1_3genE4ELNS1_11target_archE910ELNS1_3gpuE8ELNS1_3repE0EEENS1_30default_config_static_selectorELNS0_4arch9wavefront6targetE0EEEvT1_.has_recursion, 0
	.set _ZN7rocprim17ROCPRIM_400000_NS6detail17trampoline_kernelINS0_14default_configENS1_20scan_config_selectorIN3c108BFloat16EEEZZNS1_9scan_implILNS1_25lookback_scan_determinismE0ELb0ELb0ES3_PKS6_PS6_S6_ZZZN2at6native31launch_logcumsumexp_cuda_kernelERKNSD_10TensorBaseESH_lENKUlvE_clEvENKUlvE4_clEvEUlS6_S6_E_S6_EEDaPvRmT3_T4_T5_mT6_P12ihipStream_tbENKUlT_T0_E_clISt17integral_constantIbLb0EESY_EEDaST_SU_EUlST_E0_NS1_11comp_targetILNS1_3genE4ELNS1_11target_archE910ELNS1_3gpuE8ELNS1_3repE0EEENS1_30default_config_static_selectorELNS0_4arch9wavefront6targetE0EEEvT1_.has_indirect_call, 0
	.section	.AMDGPU.csdata,"",@progbits
; Kernel info:
; codeLenInByte = 0
; TotalNumSgprs: 0
; NumVgprs: 0
; ScratchSize: 0
; MemoryBound: 0
; FloatMode: 240
; IeeeMode: 1
; LDSByteSize: 0 bytes/workgroup (compile time only)
; SGPRBlocks: 0
; VGPRBlocks: 0
; NumSGPRsForWavesPerEU: 1
; NumVGPRsForWavesPerEU: 1
; Occupancy: 16
; WaveLimiterHint : 0
; COMPUTE_PGM_RSRC2:SCRATCH_EN: 0
; COMPUTE_PGM_RSRC2:USER_SGPR: 6
; COMPUTE_PGM_RSRC2:TRAP_HANDLER: 0
; COMPUTE_PGM_RSRC2:TGID_X_EN: 1
; COMPUTE_PGM_RSRC2:TGID_Y_EN: 0
; COMPUTE_PGM_RSRC2:TGID_Z_EN: 0
; COMPUTE_PGM_RSRC2:TIDIG_COMP_CNT: 0
	.section	.text._ZN7rocprim17ROCPRIM_400000_NS6detail17trampoline_kernelINS0_14default_configENS1_20scan_config_selectorIN3c108BFloat16EEEZZNS1_9scan_implILNS1_25lookback_scan_determinismE0ELb0ELb0ES3_PKS6_PS6_S6_ZZZN2at6native31launch_logcumsumexp_cuda_kernelERKNSD_10TensorBaseESH_lENKUlvE_clEvENKUlvE4_clEvEUlS6_S6_E_S6_EEDaPvRmT3_T4_T5_mT6_P12ihipStream_tbENKUlT_T0_E_clISt17integral_constantIbLb0EESY_EEDaST_SU_EUlST_E0_NS1_11comp_targetILNS1_3genE3ELNS1_11target_archE908ELNS1_3gpuE7ELNS1_3repE0EEENS1_30default_config_static_selectorELNS0_4arch9wavefront6targetE0EEEvT1_,"axG",@progbits,_ZN7rocprim17ROCPRIM_400000_NS6detail17trampoline_kernelINS0_14default_configENS1_20scan_config_selectorIN3c108BFloat16EEEZZNS1_9scan_implILNS1_25lookback_scan_determinismE0ELb0ELb0ES3_PKS6_PS6_S6_ZZZN2at6native31launch_logcumsumexp_cuda_kernelERKNSD_10TensorBaseESH_lENKUlvE_clEvENKUlvE4_clEvEUlS6_S6_E_S6_EEDaPvRmT3_T4_T5_mT6_P12ihipStream_tbENKUlT_T0_E_clISt17integral_constantIbLb0EESY_EEDaST_SU_EUlST_E0_NS1_11comp_targetILNS1_3genE3ELNS1_11target_archE908ELNS1_3gpuE7ELNS1_3repE0EEENS1_30default_config_static_selectorELNS0_4arch9wavefront6targetE0EEEvT1_,comdat
	.globl	_ZN7rocprim17ROCPRIM_400000_NS6detail17trampoline_kernelINS0_14default_configENS1_20scan_config_selectorIN3c108BFloat16EEEZZNS1_9scan_implILNS1_25lookback_scan_determinismE0ELb0ELb0ES3_PKS6_PS6_S6_ZZZN2at6native31launch_logcumsumexp_cuda_kernelERKNSD_10TensorBaseESH_lENKUlvE_clEvENKUlvE4_clEvEUlS6_S6_E_S6_EEDaPvRmT3_T4_T5_mT6_P12ihipStream_tbENKUlT_T0_E_clISt17integral_constantIbLb0EESY_EEDaST_SU_EUlST_E0_NS1_11comp_targetILNS1_3genE3ELNS1_11target_archE908ELNS1_3gpuE7ELNS1_3repE0EEENS1_30default_config_static_selectorELNS0_4arch9wavefront6targetE0EEEvT1_ ; -- Begin function _ZN7rocprim17ROCPRIM_400000_NS6detail17trampoline_kernelINS0_14default_configENS1_20scan_config_selectorIN3c108BFloat16EEEZZNS1_9scan_implILNS1_25lookback_scan_determinismE0ELb0ELb0ES3_PKS6_PS6_S6_ZZZN2at6native31launch_logcumsumexp_cuda_kernelERKNSD_10TensorBaseESH_lENKUlvE_clEvENKUlvE4_clEvEUlS6_S6_E_S6_EEDaPvRmT3_T4_T5_mT6_P12ihipStream_tbENKUlT_T0_E_clISt17integral_constantIbLb0EESY_EEDaST_SU_EUlST_E0_NS1_11comp_targetILNS1_3genE3ELNS1_11target_archE908ELNS1_3gpuE7ELNS1_3repE0EEENS1_30default_config_static_selectorELNS0_4arch9wavefront6targetE0EEEvT1_
	.p2align	8
	.type	_ZN7rocprim17ROCPRIM_400000_NS6detail17trampoline_kernelINS0_14default_configENS1_20scan_config_selectorIN3c108BFloat16EEEZZNS1_9scan_implILNS1_25lookback_scan_determinismE0ELb0ELb0ES3_PKS6_PS6_S6_ZZZN2at6native31launch_logcumsumexp_cuda_kernelERKNSD_10TensorBaseESH_lENKUlvE_clEvENKUlvE4_clEvEUlS6_S6_E_S6_EEDaPvRmT3_T4_T5_mT6_P12ihipStream_tbENKUlT_T0_E_clISt17integral_constantIbLb0EESY_EEDaST_SU_EUlST_E0_NS1_11comp_targetILNS1_3genE3ELNS1_11target_archE908ELNS1_3gpuE7ELNS1_3repE0EEENS1_30default_config_static_selectorELNS0_4arch9wavefront6targetE0EEEvT1_,@function
_ZN7rocprim17ROCPRIM_400000_NS6detail17trampoline_kernelINS0_14default_configENS1_20scan_config_selectorIN3c108BFloat16EEEZZNS1_9scan_implILNS1_25lookback_scan_determinismE0ELb0ELb0ES3_PKS6_PS6_S6_ZZZN2at6native31launch_logcumsumexp_cuda_kernelERKNSD_10TensorBaseESH_lENKUlvE_clEvENKUlvE4_clEvEUlS6_S6_E_S6_EEDaPvRmT3_T4_T5_mT6_P12ihipStream_tbENKUlT_T0_E_clISt17integral_constantIbLb0EESY_EEDaST_SU_EUlST_E0_NS1_11comp_targetILNS1_3genE3ELNS1_11target_archE908ELNS1_3gpuE7ELNS1_3repE0EEENS1_30default_config_static_selectorELNS0_4arch9wavefront6targetE0EEEvT1_: ; @_ZN7rocprim17ROCPRIM_400000_NS6detail17trampoline_kernelINS0_14default_configENS1_20scan_config_selectorIN3c108BFloat16EEEZZNS1_9scan_implILNS1_25lookback_scan_determinismE0ELb0ELb0ES3_PKS6_PS6_S6_ZZZN2at6native31launch_logcumsumexp_cuda_kernelERKNSD_10TensorBaseESH_lENKUlvE_clEvENKUlvE4_clEvEUlS6_S6_E_S6_EEDaPvRmT3_T4_T5_mT6_P12ihipStream_tbENKUlT_T0_E_clISt17integral_constantIbLb0EESY_EEDaST_SU_EUlST_E0_NS1_11comp_targetILNS1_3genE3ELNS1_11target_archE908ELNS1_3gpuE7ELNS1_3repE0EEENS1_30default_config_static_selectorELNS0_4arch9wavefront6targetE0EEEvT1_
; %bb.0:
	.section	.rodata,"a",@progbits
	.p2align	6, 0x0
	.amdhsa_kernel _ZN7rocprim17ROCPRIM_400000_NS6detail17trampoline_kernelINS0_14default_configENS1_20scan_config_selectorIN3c108BFloat16EEEZZNS1_9scan_implILNS1_25lookback_scan_determinismE0ELb0ELb0ES3_PKS6_PS6_S6_ZZZN2at6native31launch_logcumsumexp_cuda_kernelERKNSD_10TensorBaseESH_lENKUlvE_clEvENKUlvE4_clEvEUlS6_S6_E_S6_EEDaPvRmT3_T4_T5_mT6_P12ihipStream_tbENKUlT_T0_E_clISt17integral_constantIbLb0EESY_EEDaST_SU_EUlST_E0_NS1_11comp_targetILNS1_3genE3ELNS1_11target_archE908ELNS1_3gpuE7ELNS1_3repE0EEENS1_30default_config_static_selectorELNS0_4arch9wavefront6targetE0EEEvT1_
		.amdhsa_group_segment_fixed_size 0
		.amdhsa_private_segment_fixed_size 0
		.amdhsa_kernarg_size 32
		.amdhsa_user_sgpr_count 6
		.amdhsa_user_sgpr_private_segment_buffer 1
		.amdhsa_user_sgpr_dispatch_ptr 0
		.amdhsa_user_sgpr_queue_ptr 0
		.amdhsa_user_sgpr_kernarg_segment_ptr 1
		.amdhsa_user_sgpr_dispatch_id 0
		.amdhsa_user_sgpr_flat_scratch_init 0
		.amdhsa_user_sgpr_private_segment_size 0
		.amdhsa_wavefront_size32 1
		.amdhsa_uses_dynamic_stack 0
		.amdhsa_system_sgpr_private_segment_wavefront_offset 0
		.amdhsa_system_sgpr_workgroup_id_x 1
		.amdhsa_system_sgpr_workgroup_id_y 0
		.amdhsa_system_sgpr_workgroup_id_z 0
		.amdhsa_system_sgpr_workgroup_info 0
		.amdhsa_system_vgpr_workitem_id 0
		.amdhsa_next_free_vgpr 1
		.amdhsa_next_free_sgpr 1
		.amdhsa_reserve_vcc 0
		.amdhsa_reserve_flat_scratch 0
		.amdhsa_float_round_mode_32 0
		.amdhsa_float_round_mode_16_64 0
		.amdhsa_float_denorm_mode_32 3
		.amdhsa_float_denorm_mode_16_64 3
		.amdhsa_dx10_clamp 1
		.amdhsa_ieee_mode 1
		.amdhsa_fp16_overflow 0
		.amdhsa_workgroup_processor_mode 1
		.amdhsa_memory_ordered 1
		.amdhsa_forward_progress 1
		.amdhsa_shared_vgpr_count 0
		.amdhsa_exception_fp_ieee_invalid_op 0
		.amdhsa_exception_fp_denorm_src 0
		.amdhsa_exception_fp_ieee_div_zero 0
		.amdhsa_exception_fp_ieee_overflow 0
		.amdhsa_exception_fp_ieee_underflow 0
		.amdhsa_exception_fp_ieee_inexact 0
		.amdhsa_exception_int_div_zero 0
	.end_amdhsa_kernel
	.section	.text._ZN7rocprim17ROCPRIM_400000_NS6detail17trampoline_kernelINS0_14default_configENS1_20scan_config_selectorIN3c108BFloat16EEEZZNS1_9scan_implILNS1_25lookback_scan_determinismE0ELb0ELb0ES3_PKS6_PS6_S6_ZZZN2at6native31launch_logcumsumexp_cuda_kernelERKNSD_10TensorBaseESH_lENKUlvE_clEvENKUlvE4_clEvEUlS6_S6_E_S6_EEDaPvRmT3_T4_T5_mT6_P12ihipStream_tbENKUlT_T0_E_clISt17integral_constantIbLb0EESY_EEDaST_SU_EUlST_E0_NS1_11comp_targetILNS1_3genE3ELNS1_11target_archE908ELNS1_3gpuE7ELNS1_3repE0EEENS1_30default_config_static_selectorELNS0_4arch9wavefront6targetE0EEEvT1_,"axG",@progbits,_ZN7rocprim17ROCPRIM_400000_NS6detail17trampoline_kernelINS0_14default_configENS1_20scan_config_selectorIN3c108BFloat16EEEZZNS1_9scan_implILNS1_25lookback_scan_determinismE0ELb0ELb0ES3_PKS6_PS6_S6_ZZZN2at6native31launch_logcumsumexp_cuda_kernelERKNSD_10TensorBaseESH_lENKUlvE_clEvENKUlvE4_clEvEUlS6_S6_E_S6_EEDaPvRmT3_T4_T5_mT6_P12ihipStream_tbENKUlT_T0_E_clISt17integral_constantIbLb0EESY_EEDaST_SU_EUlST_E0_NS1_11comp_targetILNS1_3genE3ELNS1_11target_archE908ELNS1_3gpuE7ELNS1_3repE0EEENS1_30default_config_static_selectorELNS0_4arch9wavefront6targetE0EEEvT1_,comdat
.Lfunc_end458:
	.size	_ZN7rocprim17ROCPRIM_400000_NS6detail17trampoline_kernelINS0_14default_configENS1_20scan_config_selectorIN3c108BFloat16EEEZZNS1_9scan_implILNS1_25lookback_scan_determinismE0ELb0ELb0ES3_PKS6_PS6_S6_ZZZN2at6native31launch_logcumsumexp_cuda_kernelERKNSD_10TensorBaseESH_lENKUlvE_clEvENKUlvE4_clEvEUlS6_S6_E_S6_EEDaPvRmT3_T4_T5_mT6_P12ihipStream_tbENKUlT_T0_E_clISt17integral_constantIbLb0EESY_EEDaST_SU_EUlST_E0_NS1_11comp_targetILNS1_3genE3ELNS1_11target_archE908ELNS1_3gpuE7ELNS1_3repE0EEENS1_30default_config_static_selectorELNS0_4arch9wavefront6targetE0EEEvT1_, .Lfunc_end458-_ZN7rocprim17ROCPRIM_400000_NS6detail17trampoline_kernelINS0_14default_configENS1_20scan_config_selectorIN3c108BFloat16EEEZZNS1_9scan_implILNS1_25lookback_scan_determinismE0ELb0ELb0ES3_PKS6_PS6_S6_ZZZN2at6native31launch_logcumsumexp_cuda_kernelERKNSD_10TensorBaseESH_lENKUlvE_clEvENKUlvE4_clEvEUlS6_S6_E_S6_EEDaPvRmT3_T4_T5_mT6_P12ihipStream_tbENKUlT_T0_E_clISt17integral_constantIbLb0EESY_EEDaST_SU_EUlST_E0_NS1_11comp_targetILNS1_3genE3ELNS1_11target_archE908ELNS1_3gpuE7ELNS1_3repE0EEENS1_30default_config_static_selectorELNS0_4arch9wavefront6targetE0EEEvT1_
                                        ; -- End function
	.set _ZN7rocprim17ROCPRIM_400000_NS6detail17trampoline_kernelINS0_14default_configENS1_20scan_config_selectorIN3c108BFloat16EEEZZNS1_9scan_implILNS1_25lookback_scan_determinismE0ELb0ELb0ES3_PKS6_PS6_S6_ZZZN2at6native31launch_logcumsumexp_cuda_kernelERKNSD_10TensorBaseESH_lENKUlvE_clEvENKUlvE4_clEvEUlS6_S6_E_S6_EEDaPvRmT3_T4_T5_mT6_P12ihipStream_tbENKUlT_T0_E_clISt17integral_constantIbLb0EESY_EEDaST_SU_EUlST_E0_NS1_11comp_targetILNS1_3genE3ELNS1_11target_archE908ELNS1_3gpuE7ELNS1_3repE0EEENS1_30default_config_static_selectorELNS0_4arch9wavefront6targetE0EEEvT1_.num_vgpr, 0
	.set _ZN7rocprim17ROCPRIM_400000_NS6detail17trampoline_kernelINS0_14default_configENS1_20scan_config_selectorIN3c108BFloat16EEEZZNS1_9scan_implILNS1_25lookback_scan_determinismE0ELb0ELb0ES3_PKS6_PS6_S6_ZZZN2at6native31launch_logcumsumexp_cuda_kernelERKNSD_10TensorBaseESH_lENKUlvE_clEvENKUlvE4_clEvEUlS6_S6_E_S6_EEDaPvRmT3_T4_T5_mT6_P12ihipStream_tbENKUlT_T0_E_clISt17integral_constantIbLb0EESY_EEDaST_SU_EUlST_E0_NS1_11comp_targetILNS1_3genE3ELNS1_11target_archE908ELNS1_3gpuE7ELNS1_3repE0EEENS1_30default_config_static_selectorELNS0_4arch9wavefront6targetE0EEEvT1_.num_agpr, 0
	.set _ZN7rocprim17ROCPRIM_400000_NS6detail17trampoline_kernelINS0_14default_configENS1_20scan_config_selectorIN3c108BFloat16EEEZZNS1_9scan_implILNS1_25lookback_scan_determinismE0ELb0ELb0ES3_PKS6_PS6_S6_ZZZN2at6native31launch_logcumsumexp_cuda_kernelERKNSD_10TensorBaseESH_lENKUlvE_clEvENKUlvE4_clEvEUlS6_S6_E_S6_EEDaPvRmT3_T4_T5_mT6_P12ihipStream_tbENKUlT_T0_E_clISt17integral_constantIbLb0EESY_EEDaST_SU_EUlST_E0_NS1_11comp_targetILNS1_3genE3ELNS1_11target_archE908ELNS1_3gpuE7ELNS1_3repE0EEENS1_30default_config_static_selectorELNS0_4arch9wavefront6targetE0EEEvT1_.numbered_sgpr, 0
	.set _ZN7rocprim17ROCPRIM_400000_NS6detail17trampoline_kernelINS0_14default_configENS1_20scan_config_selectorIN3c108BFloat16EEEZZNS1_9scan_implILNS1_25lookback_scan_determinismE0ELb0ELb0ES3_PKS6_PS6_S6_ZZZN2at6native31launch_logcumsumexp_cuda_kernelERKNSD_10TensorBaseESH_lENKUlvE_clEvENKUlvE4_clEvEUlS6_S6_E_S6_EEDaPvRmT3_T4_T5_mT6_P12ihipStream_tbENKUlT_T0_E_clISt17integral_constantIbLb0EESY_EEDaST_SU_EUlST_E0_NS1_11comp_targetILNS1_3genE3ELNS1_11target_archE908ELNS1_3gpuE7ELNS1_3repE0EEENS1_30default_config_static_selectorELNS0_4arch9wavefront6targetE0EEEvT1_.num_named_barrier, 0
	.set _ZN7rocprim17ROCPRIM_400000_NS6detail17trampoline_kernelINS0_14default_configENS1_20scan_config_selectorIN3c108BFloat16EEEZZNS1_9scan_implILNS1_25lookback_scan_determinismE0ELb0ELb0ES3_PKS6_PS6_S6_ZZZN2at6native31launch_logcumsumexp_cuda_kernelERKNSD_10TensorBaseESH_lENKUlvE_clEvENKUlvE4_clEvEUlS6_S6_E_S6_EEDaPvRmT3_T4_T5_mT6_P12ihipStream_tbENKUlT_T0_E_clISt17integral_constantIbLb0EESY_EEDaST_SU_EUlST_E0_NS1_11comp_targetILNS1_3genE3ELNS1_11target_archE908ELNS1_3gpuE7ELNS1_3repE0EEENS1_30default_config_static_selectorELNS0_4arch9wavefront6targetE0EEEvT1_.private_seg_size, 0
	.set _ZN7rocprim17ROCPRIM_400000_NS6detail17trampoline_kernelINS0_14default_configENS1_20scan_config_selectorIN3c108BFloat16EEEZZNS1_9scan_implILNS1_25lookback_scan_determinismE0ELb0ELb0ES3_PKS6_PS6_S6_ZZZN2at6native31launch_logcumsumexp_cuda_kernelERKNSD_10TensorBaseESH_lENKUlvE_clEvENKUlvE4_clEvEUlS6_S6_E_S6_EEDaPvRmT3_T4_T5_mT6_P12ihipStream_tbENKUlT_T0_E_clISt17integral_constantIbLb0EESY_EEDaST_SU_EUlST_E0_NS1_11comp_targetILNS1_3genE3ELNS1_11target_archE908ELNS1_3gpuE7ELNS1_3repE0EEENS1_30default_config_static_selectorELNS0_4arch9wavefront6targetE0EEEvT1_.uses_vcc, 0
	.set _ZN7rocprim17ROCPRIM_400000_NS6detail17trampoline_kernelINS0_14default_configENS1_20scan_config_selectorIN3c108BFloat16EEEZZNS1_9scan_implILNS1_25lookback_scan_determinismE0ELb0ELb0ES3_PKS6_PS6_S6_ZZZN2at6native31launch_logcumsumexp_cuda_kernelERKNSD_10TensorBaseESH_lENKUlvE_clEvENKUlvE4_clEvEUlS6_S6_E_S6_EEDaPvRmT3_T4_T5_mT6_P12ihipStream_tbENKUlT_T0_E_clISt17integral_constantIbLb0EESY_EEDaST_SU_EUlST_E0_NS1_11comp_targetILNS1_3genE3ELNS1_11target_archE908ELNS1_3gpuE7ELNS1_3repE0EEENS1_30default_config_static_selectorELNS0_4arch9wavefront6targetE0EEEvT1_.uses_flat_scratch, 0
	.set _ZN7rocprim17ROCPRIM_400000_NS6detail17trampoline_kernelINS0_14default_configENS1_20scan_config_selectorIN3c108BFloat16EEEZZNS1_9scan_implILNS1_25lookback_scan_determinismE0ELb0ELb0ES3_PKS6_PS6_S6_ZZZN2at6native31launch_logcumsumexp_cuda_kernelERKNSD_10TensorBaseESH_lENKUlvE_clEvENKUlvE4_clEvEUlS6_S6_E_S6_EEDaPvRmT3_T4_T5_mT6_P12ihipStream_tbENKUlT_T0_E_clISt17integral_constantIbLb0EESY_EEDaST_SU_EUlST_E0_NS1_11comp_targetILNS1_3genE3ELNS1_11target_archE908ELNS1_3gpuE7ELNS1_3repE0EEENS1_30default_config_static_selectorELNS0_4arch9wavefront6targetE0EEEvT1_.has_dyn_sized_stack, 0
	.set _ZN7rocprim17ROCPRIM_400000_NS6detail17trampoline_kernelINS0_14default_configENS1_20scan_config_selectorIN3c108BFloat16EEEZZNS1_9scan_implILNS1_25lookback_scan_determinismE0ELb0ELb0ES3_PKS6_PS6_S6_ZZZN2at6native31launch_logcumsumexp_cuda_kernelERKNSD_10TensorBaseESH_lENKUlvE_clEvENKUlvE4_clEvEUlS6_S6_E_S6_EEDaPvRmT3_T4_T5_mT6_P12ihipStream_tbENKUlT_T0_E_clISt17integral_constantIbLb0EESY_EEDaST_SU_EUlST_E0_NS1_11comp_targetILNS1_3genE3ELNS1_11target_archE908ELNS1_3gpuE7ELNS1_3repE0EEENS1_30default_config_static_selectorELNS0_4arch9wavefront6targetE0EEEvT1_.has_recursion, 0
	.set _ZN7rocprim17ROCPRIM_400000_NS6detail17trampoline_kernelINS0_14default_configENS1_20scan_config_selectorIN3c108BFloat16EEEZZNS1_9scan_implILNS1_25lookback_scan_determinismE0ELb0ELb0ES3_PKS6_PS6_S6_ZZZN2at6native31launch_logcumsumexp_cuda_kernelERKNSD_10TensorBaseESH_lENKUlvE_clEvENKUlvE4_clEvEUlS6_S6_E_S6_EEDaPvRmT3_T4_T5_mT6_P12ihipStream_tbENKUlT_T0_E_clISt17integral_constantIbLb0EESY_EEDaST_SU_EUlST_E0_NS1_11comp_targetILNS1_3genE3ELNS1_11target_archE908ELNS1_3gpuE7ELNS1_3repE0EEENS1_30default_config_static_selectorELNS0_4arch9wavefront6targetE0EEEvT1_.has_indirect_call, 0
	.section	.AMDGPU.csdata,"",@progbits
; Kernel info:
; codeLenInByte = 0
; TotalNumSgprs: 0
; NumVgprs: 0
; ScratchSize: 0
; MemoryBound: 0
; FloatMode: 240
; IeeeMode: 1
; LDSByteSize: 0 bytes/workgroup (compile time only)
; SGPRBlocks: 0
; VGPRBlocks: 0
; NumSGPRsForWavesPerEU: 1
; NumVGPRsForWavesPerEU: 1
; Occupancy: 16
; WaveLimiterHint : 0
; COMPUTE_PGM_RSRC2:SCRATCH_EN: 0
; COMPUTE_PGM_RSRC2:USER_SGPR: 6
; COMPUTE_PGM_RSRC2:TRAP_HANDLER: 0
; COMPUTE_PGM_RSRC2:TGID_X_EN: 1
; COMPUTE_PGM_RSRC2:TGID_Y_EN: 0
; COMPUTE_PGM_RSRC2:TGID_Z_EN: 0
; COMPUTE_PGM_RSRC2:TIDIG_COMP_CNT: 0
	.section	.text._ZN7rocprim17ROCPRIM_400000_NS6detail17trampoline_kernelINS0_14default_configENS1_20scan_config_selectorIN3c108BFloat16EEEZZNS1_9scan_implILNS1_25lookback_scan_determinismE0ELb0ELb0ES3_PKS6_PS6_S6_ZZZN2at6native31launch_logcumsumexp_cuda_kernelERKNSD_10TensorBaseESH_lENKUlvE_clEvENKUlvE4_clEvEUlS6_S6_E_S6_EEDaPvRmT3_T4_T5_mT6_P12ihipStream_tbENKUlT_T0_E_clISt17integral_constantIbLb0EESY_EEDaST_SU_EUlST_E0_NS1_11comp_targetILNS1_3genE2ELNS1_11target_archE906ELNS1_3gpuE6ELNS1_3repE0EEENS1_30default_config_static_selectorELNS0_4arch9wavefront6targetE0EEEvT1_,"axG",@progbits,_ZN7rocprim17ROCPRIM_400000_NS6detail17trampoline_kernelINS0_14default_configENS1_20scan_config_selectorIN3c108BFloat16EEEZZNS1_9scan_implILNS1_25lookback_scan_determinismE0ELb0ELb0ES3_PKS6_PS6_S6_ZZZN2at6native31launch_logcumsumexp_cuda_kernelERKNSD_10TensorBaseESH_lENKUlvE_clEvENKUlvE4_clEvEUlS6_S6_E_S6_EEDaPvRmT3_T4_T5_mT6_P12ihipStream_tbENKUlT_T0_E_clISt17integral_constantIbLb0EESY_EEDaST_SU_EUlST_E0_NS1_11comp_targetILNS1_3genE2ELNS1_11target_archE906ELNS1_3gpuE6ELNS1_3repE0EEENS1_30default_config_static_selectorELNS0_4arch9wavefront6targetE0EEEvT1_,comdat
	.globl	_ZN7rocprim17ROCPRIM_400000_NS6detail17trampoline_kernelINS0_14default_configENS1_20scan_config_selectorIN3c108BFloat16EEEZZNS1_9scan_implILNS1_25lookback_scan_determinismE0ELb0ELb0ES3_PKS6_PS6_S6_ZZZN2at6native31launch_logcumsumexp_cuda_kernelERKNSD_10TensorBaseESH_lENKUlvE_clEvENKUlvE4_clEvEUlS6_S6_E_S6_EEDaPvRmT3_T4_T5_mT6_P12ihipStream_tbENKUlT_T0_E_clISt17integral_constantIbLb0EESY_EEDaST_SU_EUlST_E0_NS1_11comp_targetILNS1_3genE2ELNS1_11target_archE906ELNS1_3gpuE6ELNS1_3repE0EEENS1_30default_config_static_selectorELNS0_4arch9wavefront6targetE0EEEvT1_ ; -- Begin function _ZN7rocprim17ROCPRIM_400000_NS6detail17trampoline_kernelINS0_14default_configENS1_20scan_config_selectorIN3c108BFloat16EEEZZNS1_9scan_implILNS1_25lookback_scan_determinismE0ELb0ELb0ES3_PKS6_PS6_S6_ZZZN2at6native31launch_logcumsumexp_cuda_kernelERKNSD_10TensorBaseESH_lENKUlvE_clEvENKUlvE4_clEvEUlS6_S6_E_S6_EEDaPvRmT3_T4_T5_mT6_P12ihipStream_tbENKUlT_T0_E_clISt17integral_constantIbLb0EESY_EEDaST_SU_EUlST_E0_NS1_11comp_targetILNS1_3genE2ELNS1_11target_archE906ELNS1_3gpuE6ELNS1_3repE0EEENS1_30default_config_static_selectorELNS0_4arch9wavefront6targetE0EEEvT1_
	.p2align	8
	.type	_ZN7rocprim17ROCPRIM_400000_NS6detail17trampoline_kernelINS0_14default_configENS1_20scan_config_selectorIN3c108BFloat16EEEZZNS1_9scan_implILNS1_25lookback_scan_determinismE0ELb0ELb0ES3_PKS6_PS6_S6_ZZZN2at6native31launch_logcumsumexp_cuda_kernelERKNSD_10TensorBaseESH_lENKUlvE_clEvENKUlvE4_clEvEUlS6_S6_E_S6_EEDaPvRmT3_T4_T5_mT6_P12ihipStream_tbENKUlT_T0_E_clISt17integral_constantIbLb0EESY_EEDaST_SU_EUlST_E0_NS1_11comp_targetILNS1_3genE2ELNS1_11target_archE906ELNS1_3gpuE6ELNS1_3repE0EEENS1_30default_config_static_selectorELNS0_4arch9wavefront6targetE0EEEvT1_,@function
_ZN7rocprim17ROCPRIM_400000_NS6detail17trampoline_kernelINS0_14default_configENS1_20scan_config_selectorIN3c108BFloat16EEEZZNS1_9scan_implILNS1_25lookback_scan_determinismE0ELb0ELb0ES3_PKS6_PS6_S6_ZZZN2at6native31launch_logcumsumexp_cuda_kernelERKNSD_10TensorBaseESH_lENKUlvE_clEvENKUlvE4_clEvEUlS6_S6_E_S6_EEDaPvRmT3_T4_T5_mT6_P12ihipStream_tbENKUlT_T0_E_clISt17integral_constantIbLb0EESY_EEDaST_SU_EUlST_E0_NS1_11comp_targetILNS1_3genE2ELNS1_11target_archE906ELNS1_3gpuE6ELNS1_3repE0EEENS1_30default_config_static_selectorELNS0_4arch9wavefront6targetE0EEEvT1_: ; @_ZN7rocprim17ROCPRIM_400000_NS6detail17trampoline_kernelINS0_14default_configENS1_20scan_config_selectorIN3c108BFloat16EEEZZNS1_9scan_implILNS1_25lookback_scan_determinismE0ELb0ELb0ES3_PKS6_PS6_S6_ZZZN2at6native31launch_logcumsumexp_cuda_kernelERKNSD_10TensorBaseESH_lENKUlvE_clEvENKUlvE4_clEvEUlS6_S6_E_S6_EEDaPvRmT3_T4_T5_mT6_P12ihipStream_tbENKUlT_T0_E_clISt17integral_constantIbLb0EESY_EEDaST_SU_EUlST_E0_NS1_11comp_targetILNS1_3genE2ELNS1_11target_archE906ELNS1_3gpuE6ELNS1_3repE0EEENS1_30default_config_static_selectorELNS0_4arch9wavefront6targetE0EEEvT1_
; %bb.0:
	.section	.rodata,"a",@progbits
	.p2align	6, 0x0
	.amdhsa_kernel _ZN7rocprim17ROCPRIM_400000_NS6detail17trampoline_kernelINS0_14default_configENS1_20scan_config_selectorIN3c108BFloat16EEEZZNS1_9scan_implILNS1_25lookback_scan_determinismE0ELb0ELb0ES3_PKS6_PS6_S6_ZZZN2at6native31launch_logcumsumexp_cuda_kernelERKNSD_10TensorBaseESH_lENKUlvE_clEvENKUlvE4_clEvEUlS6_S6_E_S6_EEDaPvRmT3_T4_T5_mT6_P12ihipStream_tbENKUlT_T0_E_clISt17integral_constantIbLb0EESY_EEDaST_SU_EUlST_E0_NS1_11comp_targetILNS1_3genE2ELNS1_11target_archE906ELNS1_3gpuE6ELNS1_3repE0EEENS1_30default_config_static_selectorELNS0_4arch9wavefront6targetE0EEEvT1_
		.amdhsa_group_segment_fixed_size 0
		.amdhsa_private_segment_fixed_size 0
		.amdhsa_kernarg_size 32
		.amdhsa_user_sgpr_count 6
		.amdhsa_user_sgpr_private_segment_buffer 1
		.amdhsa_user_sgpr_dispatch_ptr 0
		.amdhsa_user_sgpr_queue_ptr 0
		.amdhsa_user_sgpr_kernarg_segment_ptr 1
		.amdhsa_user_sgpr_dispatch_id 0
		.amdhsa_user_sgpr_flat_scratch_init 0
		.amdhsa_user_sgpr_private_segment_size 0
		.amdhsa_wavefront_size32 1
		.amdhsa_uses_dynamic_stack 0
		.amdhsa_system_sgpr_private_segment_wavefront_offset 0
		.amdhsa_system_sgpr_workgroup_id_x 1
		.amdhsa_system_sgpr_workgroup_id_y 0
		.amdhsa_system_sgpr_workgroup_id_z 0
		.amdhsa_system_sgpr_workgroup_info 0
		.amdhsa_system_vgpr_workitem_id 0
		.amdhsa_next_free_vgpr 1
		.amdhsa_next_free_sgpr 1
		.amdhsa_reserve_vcc 0
		.amdhsa_reserve_flat_scratch 0
		.amdhsa_float_round_mode_32 0
		.amdhsa_float_round_mode_16_64 0
		.amdhsa_float_denorm_mode_32 3
		.amdhsa_float_denorm_mode_16_64 3
		.amdhsa_dx10_clamp 1
		.amdhsa_ieee_mode 1
		.amdhsa_fp16_overflow 0
		.amdhsa_workgroup_processor_mode 1
		.amdhsa_memory_ordered 1
		.amdhsa_forward_progress 1
		.amdhsa_shared_vgpr_count 0
		.amdhsa_exception_fp_ieee_invalid_op 0
		.amdhsa_exception_fp_denorm_src 0
		.amdhsa_exception_fp_ieee_div_zero 0
		.amdhsa_exception_fp_ieee_overflow 0
		.amdhsa_exception_fp_ieee_underflow 0
		.amdhsa_exception_fp_ieee_inexact 0
		.amdhsa_exception_int_div_zero 0
	.end_amdhsa_kernel
	.section	.text._ZN7rocprim17ROCPRIM_400000_NS6detail17trampoline_kernelINS0_14default_configENS1_20scan_config_selectorIN3c108BFloat16EEEZZNS1_9scan_implILNS1_25lookback_scan_determinismE0ELb0ELb0ES3_PKS6_PS6_S6_ZZZN2at6native31launch_logcumsumexp_cuda_kernelERKNSD_10TensorBaseESH_lENKUlvE_clEvENKUlvE4_clEvEUlS6_S6_E_S6_EEDaPvRmT3_T4_T5_mT6_P12ihipStream_tbENKUlT_T0_E_clISt17integral_constantIbLb0EESY_EEDaST_SU_EUlST_E0_NS1_11comp_targetILNS1_3genE2ELNS1_11target_archE906ELNS1_3gpuE6ELNS1_3repE0EEENS1_30default_config_static_selectorELNS0_4arch9wavefront6targetE0EEEvT1_,"axG",@progbits,_ZN7rocprim17ROCPRIM_400000_NS6detail17trampoline_kernelINS0_14default_configENS1_20scan_config_selectorIN3c108BFloat16EEEZZNS1_9scan_implILNS1_25lookback_scan_determinismE0ELb0ELb0ES3_PKS6_PS6_S6_ZZZN2at6native31launch_logcumsumexp_cuda_kernelERKNSD_10TensorBaseESH_lENKUlvE_clEvENKUlvE4_clEvEUlS6_S6_E_S6_EEDaPvRmT3_T4_T5_mT6_P12ihipStream_tbENKUlT_T0_E_clISt17integral_constantIbLb0EESY_EEDaST_SU_EUlST_E0_NS1_11comp_targetILNS1_3genE2ELNS1_11target_archE906ELNS1_3gpuE6ELNS1_3repE0EEENS1_30default_config_static_selectorELNS0_4arch9wavefront6targetE0EEEvT1_,comdat
.Lfunc_end459:
	.size	_ZN7rocprim17ROCPRIM_400000_NS6detail17trampoline_kernelINS0_14default_configENS1_20scan_config_selectorIN3c108BFloat16EEEZZNS1_9scan_implILNS1_25lookback_scan_determinismE0ELb0ELb0ES3_PKS6_PS6_S6_ZZZN2at6native31launch_logcumsumexp_cuda_kernelERKNSD_10TensorBaseESH_lENKUlvE_clEvENKUlvE4_clEvEUlS6_S6_E_S6_EEDaPvRmT3_T4_T5_mT6_P12ihipStream_tbENKUlT_T0_E_clISt17integral_constantIbLb0EESY_EEDaST_SU_EUlST_E0_NS1_11comp_targetILNS1_3genE2ELNS1_11target_archE906ELNS1_3gpuE6ELNS1_3repE0EEENS1_30default_config_static_selectorELNS0_4arch9wavefront6targetE0EEEvT1_, .Lfunc_end459-_ZN7rocprim17ROCPRIM_400000_NS6detail17trampoline_kernelINS0_14default_configENS1_20scan_config_selectorIN3c108BFloat16EEEZZNS1_9scan_implILNS1_25lookback_scan_determinismE0ELb0ELb0ES3_PKS6_PS6_S6_ZZZN2at6native31launch_logcumsumexp_cuda_kernelERKNSD_10TensorBaseESH_lENKUlvE_clEvENKUlvE4_clEvEUlS6_S6_E_S6_EEDaPvRmT3_T4_T5_mT6_P12ihipStream_tbENKUlT_T0_E_clISt17integral_constantIbLb0EESY_EEDaST_SU_EUlST_E0_NS1_11comp_targetILNS1_3genE2ELNS1_11target_archE906ELNS1_3gpuE6ELNS1_3repE0EEENS1_30default_config_static_selectorELNS0_4arch9wavefront6targetE0EEEvT1_
                                        ; -- End function
	.set _ZN7rocprim17ROCPRIM_400000_NS6detail17trampoline_kernelINS0_14default_configENS1_20scan_config_selectorIN3c108BFloat16EEEZZNS1_9scan_implILNS1_25lookback_scan_determinismE0ELb0ELb0ES3_PKS6_PS6_S6_ZZZN2at6native31launch_logcumsumexp_cuda_kernelERKNSD_10TensorBaseESH_lENKUlvE_clEvENKUlvE4_clEvEUlS6_S6_E_S6_EEDaPvRmT3_T4_T5_mT6_P12ihipStream_tbENKUlT_T0_E_clISt17integral_constantIbLb0EESY_EEDaST_SU_EUlST_E0_NS1_11comp_targetILNS1_3genE2ELNS1_11target_archE906ELNS1_3gpuE6ELNS1_3repE0EEENS1_30default_config_static_selectorELNS0_4arch9wavefront6targetE0EEEvT1_.num_vgpr, 0
	.set _ZN7rocprim17ROCPRIM_400000_NS6detail17trampoline_kernelINS0_14default_configENS1_20scan_config_selectorIN3c108BFloat16EEEZZNS1_9scan_implILNS1_25lookback_scan_determinismE0ELb0ELb0ES3_PKS6_PS6_S6_ZZZN2at6native31launch_logcumsumexp_cuda_kernelERKNSD_10TensorBaseESH_lENKUlvE_clEvENKUlvE4_clEvEUlS6_S6_E_S6_EEDaPvRmT3_T4_T5_mT6_P12ihipStream_tbENKUlT_T0_E_clISt17integral_constantIbLb0EESY_EEDaST_SU_EUlST_E0_NS1_11comp_targetILNS1_3genE2ELNS1_11target_archE906ELNS1_3gpuE6ELNS1_3repE0EEENS1_30default_config_static_selectorELNS0_4arch9wavefront6targetE0EEEvT1_.num_agpr, 0
	.set _ZN7rocprim17ROCPRIM_400000_NS6detail17trampoline_kernelINS0_14default_configENS1_20scan_config_selectorIN3c108BFloat16EEEZZNS1_9scan_implILNS1_25lookback_scan_determinismE0ELb0ELb0ES3_PKS6_PS6_S6_ZZZN2at6native31launch_logcumsumexp_cuda_kernelERKNSD_10TensorBaseESH_lENKUlvE_clEvENKUlvE4_clEvEUlS6_S6_E_S6_EEDaPvRmT3_T4_T5_mT6_P12ihipStream_tbENKUlT_T0_E_clISt17integral_constantIbLb0EESY_EEDaST_SU_EUlST_E0_NS1_11comp_targetILNS1_3genE2ELNS1_11target_archE906ELNS1_3gpuE6ELNS1_3repE0EEENS1_30default_config_static_selectorELNS0_4arch9wavefront6targetE0EEEvT1_.numbered_sgpr, 0
	.set _ZN7rocprim17ROCPRIM_400000_NS6detail17trampoline_kernelINS0_14default_configENS1_20scan_config_selectorIN3c108BFloat16EEEZZNS1_9scan_implILNS1_25lookback_scan_determinismE0ELb0ELb0ES3_PKS6_PS6_S6_ZZZN2at6native31launch_logcumsumexp_cuda_kernelERKNSD_10TensorBaseESH_lENKUlvE_clEvENKUlvE4_clEvEUlS6_S6_E_S6_EEDaPvRmT3_T4_T5_mT6_P12ihipStream_tbENKUlT_T0_E_clISt17integral_constantIbLb0EESY_EEDaST_SU_EUlST_E0_NS1_11comp_targetILNS1_3genE2ELNS1_11target_archE906ELNS1_3gpuE6ELNS1_3repE0EEENS1_30default_config_static_selectorELNS0_4arch9wavefront6targetE0EEEvT1_.num_named_barrier, 0
	.set _ZN7rocprim17ROCPRIM_400000_NS6detail17trampoline_kernelINS0_14default_configENS1_20scan_config_selectorIN3c108BFloat16EEEZZNS1_9scan_implILNS1_25lookback_scan_determinismE0ELb0ELb0ES3_PKS6_PS6_S6_ZZZN2at6native31launch_logcumsumexp_cuda_kernelERKNSD_10TensorBaseESH_lENKUlvE_clEvENKUlvE4_clEvEUlS6_S6_E_S6_EEDaPvRmT3_T4_T5_mT6_P12ihipStream_tbENKUlT_T0_E_clISt17integral_constantIbLb0EESY_EEDaST_SU_EUlST_E0_NS1_11comp_targetILNS1_3genE2ELNS1_11target_archE906ELNS1_3gpuE6ELNS1_3repE0EEENS1_30default_config_static_selectorELNS0_4arch9wavefront6targetE0EEEvT1_.private_seg_size, 0
	.set _ZN7rocprim17ROCPRIM_400000_NS6detail17trampoline_kernelINS0_14default_configENS1_20scan_config_selectorIN3c108BFloat16EEEZZNS1_9scan_implILNS1_25lookback_scan_determinismE0ELb0ELb0ES3_PKS6_PS6_S6_ZZZN2at6native31launch_logcumsumexp_cuda_kernelERKNSD_10TensorBaseESH_lENKUlvE_clEvENKUlvE4_clEvEUlS6_S6_E_S6_EEDaPvRmT3_T4_T5_mT6_P12ihipStream_tbENKUlT_T0_E_clISt17integral_constantIbLb0EESY_EEDaST_SU_EUlST_E0_NS1_11comp_targetILNS1_3genE2ELNS1_11target_archE906ELNS1_3gpuE6ELNS1_3repE0EEENS1_30default_config_static_selectorELNS0_4arch9wavefront6targetE0EEEvT1_.uses_vcc, 0
	.set _ZN7rocprim17ROCPRIM_400000_NS6detail17trampoline_kernelINS0_14default_configENS1_20scan_config_selectorIN3c108BFloat16EEEZZNS1_9scan_implILNS1_25lookback_scan_determinismE0ELb0ELb0ES3_PKS6_PS6_S6_ZZZN2at6native31launch_logcumsumexp_cuda_kernelERKNSD_10TensorBaseESH_lENKUlvE_clEvENKUlvE4_clEvEUlS6_S6_E_S6_EEDaPvRmT3_T4_T5_mT6_P12ihipStream_tbENKUlT_T0_E_clISt17integral_constantIbLb0EESY_EEDaST_SU_EUlST_E0_NS1_11comp_targetILNS1_3genE2ELNS1_11target_archE906ELNS1_3gpuE6ELNS1_3repE0EEENS1_30default_config_static_selectorELNS0_4arch9wavefront6targetE0EEEvT1_.uses_flat_scratch, 0
	.set _ZN7rocprim17ROCPRIM_400000_NS6detail17trampoline_kernelINS0_14default_configENS1_20scan_config_selectorIN3c108BFloat16EEEZZNS1_9scan_implILNS1_25lookback_scan_determinismE0ELb0ELb0ES3_PKS6_PS6_S6_ZZZN2at6native31launch_logcumsumexp_cuda_kernelERKNSD_10TensorBaseESH_lENKUlvE_clEvENKUlvE4_clEvEUlS6_S6_E_S6_EEDaPvRmT3_T4_T5_mT6_P12ihipStream_tbENKUlT_T0_E_clISt17integral_constantIbLb0EESY_EEDaST_SU_EUlST_E0_NS1_11comp_targetILNS1_3genE2ELNS1_11target_archE906ELNS1_3gpuE6ELNS1_3repE0EEENS1_30default_config_static_selectorELNS0_4arch9wavefront6targetE0EEEvT1_.has_dyn_sized_stack, 0
	.set _ZN7rocprim17ROCPRIM_400000_NS6detail17trampoline_kernelINS0_14default_configENS1_20scan_config_selectorIN3c108BFloat16EEEZZNS1_9scan_implILNS1_25lookback_scan_determinismE0ELb0ELb0ES3_PKS6_PS6_S6_ZZZN2at6native31launch_logcumsumexp_cuda_kernelERKNSD_10TensorBaseESH_lENKUlvE_clEvENKUlvE4_clEvEUlS6_S6_E_S6_EEDaPvRmT3_T4_T5_mT6_P12ihipStream_tbENKUlT_T0_E_clISt17integral_constantIbLb0EESY_EEDaST_SU_EUlST_E0_NS1_11comp_targetILNS1_3genE2ELNS1_11target_archE906ELNS1_3gpuE6ELNS1_3repE0EEENS1_30default_config_static_selectorELNS0_4arch9wavefront6targetE0EEEvT1_.has_recursion, 0
	.set _ZN7rocprim17ROCPRIM_400000_NS6detail17trampoline_kernelINS0_14default_configENS1_20scan_config_selectorIN3c108BFloat16EEEZZNS1_9scan_implILNS1_25lookback_scan_determinismE0ELb0ELb0ES3_PKS6_PS6_S6_ZZZN2at6native31launch_logcumsumexp_cuda_kernelERKNSD_10TensorBaseESH_lENKUlvE_clEvENKUlvE4_clEvEUlS6_S6_E_S6_EEDaPvRmT3_T4_T5_mT6_P12ihipStream_tbENKUlT_T0_E_clISt17integral_constantIbLb0EESY_EEDaST_SU_EUlST_E0_NS1_11comp_targetILNS1_3genE2ELNS1_11target_archE906ELNS1_3gpuE6ELNS1_3repE0EEENS1_30default_config_static_selectorELNS0_4arch9wavefront6targetE0EEEvT1_.has_indirect_call, 0
	.section	.AMDGPU.csdata,"",@progbits
; Kernel info:
; codeLenInByte = 0
; TotalNumSgprs: 0
; NumVgprs: 0
; ScratchSize: 0
; MemoryBound: 0
; FloatMode: 240
; IeeeMode: 1
; LDSByteSize: 0 bytes/workgroup (compile time only)
; SGPRBlocks: 0
; VGPRBlocks: 0
; NumSGPRsForWavesPerEU: 1
; NumVGPRsForWavesPerEU: 1
; Occupancy: 16
; WaveLimiterHint : 0
; COMPUTE_PGM_RSRC2:SCRATCH_EN: 0
; COMPUTE_PGM_RSRC2:USER_SGPR: 6
; COMPUTE_PGM_RSRC2:TRAP_HANDLER: 0
; COMPUTE_PGM_RSRC2:TGID_X_EN: 1
; COMPUTE_PGM_RSRC2:TGID_Y_EN: 0
; COMPUTE_PGM_RSRC2:TGID_Z_EN: 0
; COMPUTE_PGM_RSRC2:TIDIG_COMP_CNT: 0
	.section	.text._ZN7rocprim17ROCPRIM_400000_NS6detail17trampoline_kernelINS0_14default_configENS1_20scan_config_selectorIN3c108BFloat16EEEZZNS1_9scan_implILNS1_25lookback_scan_determinismE0ELb0ELb0ES3_PKS6_PS6_S6_ZZZN2at6native31launch_logcumsumexp_cuda_kernelERKNSD_10TensorBaseESH_lENKUlvE_clEvENKUlvE4_clEvEUlS6_S6_E_S6_EEDaPvRmT3_T4_T5_mT6_P12ihipStream_tbENKUlT_T0_E_clISt17integral_constantIbLb0EESY_EEDaST_SU_EUlST_E0_NS1_11comp_targetILNS1_3genE10ELNS1_11target_archE1201ELNS1_3gpuE5ELNS1_3repE0EEENS1_30default_config_static_selectorELNS0_4arch9wavefront6targetE0EEEvT1_,"axG",@progbits,_ZN7rocprim17ROCPRIM_400000_NS6detail17trampoline_kernelINS0_14default_configENS1_20scan_config_selectorIN3c108BFloat16EEEZZNS1_9scan_implILNS1_25lookback_scan_determinismE0ELb0ELb0ES3_PKS6_PS6_S6_ZZZN2at6native31launch_logcumsumexp_cuda_kernelERKNSD_10TensorBaseESH_lENKUlvE_clEvENKUlvE4_clEvEUlS6_S6_E_S6_EEDaPvRmT3_T4_T5_mT6_P12ihipStream_tbENKUlT_T0_E_clISt17integral_constantIbLb0EESY_EEDaST_SU_EUlST_E0_NS1_11comp_targetILNS1_3genE10ELNS1_11target_archE1201ELNS1_3gpuE5ELNS1_3repE0EEENS1_30default_config_static_selectorELNS0_4arch9wavefront6targetE0EEEvT1_,comdat
	.globl	_ZN7rocprim17ROCPRIM_400000_NS6detail17trampoline_kernelINS0_14default_configENS1_20scan_config_selectorIN3c108BFloat16EEEZZNS1_9scan_implILNS1_25lookback_scan_determinismE0ELb0ELb0ES3_PKS6_PS6_S6_ZZZN2at6native31launch_logcumsumexp_cuda_kernelERKNSD_10TensorBaseESH_lENKUlvE_clEvENKUlvE4_clEvEUlS6_S6_E_S6_EEDaPvRmT3_T4_T5_mT6_P12ihipStream_tbENKUlT_T0_E_clISt17integral_constantIbLb0EESY_EEDaST_SU_EUlST_E0_NS1_11comp_targetILNS1_3genE10ELNS1_11target_archE1201ELNS1_3gpuE5ELNS1_3repE0EEENS1_30default_config_static_selectorELNS0_4arch9wavefront6targetE0EEEvT1_ ; -- Begin function _ZN7rocprim17ROCPRIM_400000_NS6detail17trampoline_kernelINS0_14default_configENS1_20scan_config_selectorIN3c108BFloat16EEEZZNS1_9scan_implILNS1_25lookback_scan_determinismE0ELb0ELb0ES3_PKS6_PS6_S6_ZZZN2at6native31launch_logcumsumexp_cuda_kernelERKNSD_10TensorBaseESH_lENKUlvE_clEvENKUlvE4_clEvEUlS6_S6_E_S6_EEDaPvRmT3_T4_T5_mT6_P12ihipStream_tbENKUlT_T0_E_clISt17integral_constantIbLb0EESY_EEDaST_SU_EUlST_E0_NS1_11comp_targetILNS1_3genE10ELNS1_11target_archE1201ELNS1_3gpuE5ELNS1_3repE0EEENS1_30default_config_static_selectorELNS0_4arch9wavefront6targetE0EEEvT1_
	.p2align	8
	.type	_ZN7rocprim17ROCPRIM_400000_NS6detail17trampoline_kernelINS0_14default_configENS1_20scan_config_selectorIN3c108BFloat16EEEZZNS1_9scan_implILNS1_25lookback_scan_determinismE0ELb0ELb0ES3_PKS6_PS6_S6_ZZZN2at6native31launch_logcumsumexp_cuda_kernelERKNSD_10TensorBaseESH_lENKUlvE_clEvENKUlvE4_clEvEUlS6_S6_E_S6_EEDaPvRmT3_T4_T5_mT6_P12ihipStream_tbENKUlT_T0_E_clISt17integral_constantIbLb0EESY_EEDaST_SU_EUlST_E0_NS1_11comp_targetILNS1_3genE10ELNS1_11target_archE1201ELNS1_3gpuE5ELNS1_3repE0EEENS1_30default_config_static_selectorELNS0_4arch9wavefront6targetE0EEEvT1_,@function
_ZN7rocprim17ROCPRIM_400000_NS6detail17trampoline_kernelINS0_14default_configENS1_20scan_config_selectorIN3c108BFloat16EEEZZNS1_9scan_implILNS1_25lookback_scan_determinismE0ELb0ELb0ES3_PKS6_PS6_S6_ZZZN2at6native31launch_logcumsumexp_cuda_kernelERKNSD_10TensorBaseESH_lENKUlvE_clEvENKUlvE4_clEvEUlS6_S6_E_S6_EEDaPvRmT3_T4_T5_mT6_P12ihipStream_tbENKUlT_T0_E_clISt17integral_constantIbLb0EESY_EEDaST_SU_EUlST_E0_NS1_11comp_targetILNS1_3genE10ELNS1_11target_archE1201ELNS1_3gpuE5ELNS1_3repE0EEENS1_30default_config_static_selectorELNS0_4arch9wavefront6targetE0EEEvT1_: ; @_ZN7rocprim17ROCPRIM_400000_NS6detail17trampoline_kernelINS0_14default_configENS1_20scan_config_selectorIN3c108BFloat16EEEZZNS1_9scan_implILNS1_25lookback_scan_determinismE0ELb0ELb0ES3_PKS6_PS6_S6_ZZZN2at6native31launch_logcumsumexp_cuda_kernelERKNSD_10TensorBaseESH_lENKUlvE_clEvENKUlvE4_clEvEUlS6_S6_E_S6_EEDaPvRmT3_T4_T5_mT6_P12ihipStream_tbENKUlT_T0_E_clISt17integral_constantIbLb0EESY_EEDaST_SU_EUlST_E0_NS1_11comp_targetILNS1_3genE10ELNS1_11target_archE1201ELNS1_3gpuE5ELNS1_3repE0EEENS1_30default_config_static_selectorELNS0_4arch9wavefront6targetE0EEEvT1_
; %bb.0:
	.section	.rodata,"a",@progbits
	.p2align	6, 0x0
	.amdhsa_kernel _ZN7rocprim17ROCPRIM_400000_NS6detail17trampoline_kernelINS0_14default_configENS1_20scan_config_selectorIN3c108BFloat16EEEZZNS1_9scan_implILNS1_25lookback_scan_determinismE0ELb0ELb0ES3_PKS6_PS6_S6_ZZZN2at6native31launch_logcumsumexp_cuda_kernelERKNSD_10TensorBaseESH_lENKUlvE_clEvENKUlvE4_clEvEUlS6_S6_E_S6_EEDaPvRmT3_T4_T5_mT6_P12ihipStream_tbENKUlT_T0_E_clISt17integral_constantIbLb0EESY_EEDaST_SU_EUlST_E0_NS1_11comp_targetILNS1_3genE10ELNS1_11target_archE1201ELNS1_3gpuE5ELNS1_3repE0EEENS1_30default_config_static_selectorELNS0_4arch9wavefront6targetE0EEEvT1_
		.amdhsa_group_segment_fixed_size 0
		.amdhsa_private_segment_fixed_size 0
		.amdhsa_kernarg_size 32
		.amdhsa_user_sgpr_count 6
		.amdhsa_user_sgpr_private_segment_buffer 1
		.amdhsa_user_sgpr_dispatch_ptr 0
		.amdhsa_user_sgpr_queue_ptr 0
		.amdhsa_user_sgpr_kernarg_segment_ptr 1
		.amdhsa_user_sgpr_dispatch_id 0
		.amdhsa_user_sgpr_flat_scratch_init 0
		.amdhsa_user_sgpr_private_segment_size 0
		.amdhsa_wavefront_size32 1
		.amdhsa_uses_dynamic_stack 0
		.amdhsa_system_sgpr_private_segment_wavefront_offset 0
		.amdhsa_system_sgpr_workgroup_id_x 1
		.amdhsa_system_sgpr_workgroup_id_y 0
		.amdhsa_system_sgpr_workgroup_id_z 0
		.amdhsa_system_sgpr_workgroup_info 0
		.amdhsa_system_vgpr_workitem_id 0
		.amdhsa_next_free_vgpr 1
		.amdhsa_next_free_sgpr 1
		.amdhsa_reserve_vcc 0
		.amdhsa_reserve_flat_scratch 0
		.amdhsa_float_round_mode_32 0
		.amdhsa_float_round_mode_16_64 0
		.amdhsa_float_denorm_mode_32 3
		.amdhsa_float_denorm_mode_16_64 3
		.amdhsa_dx10_clamp 1
		.amdhsa_ieee_mode 1
		.amdhsa_fp16_overflow 0
		.amdhsa_workgroup_processor_mode 1
		.amdhsa_memory_ordered 1
		.amdhsa_forward_progress 1
		.amdhsa_shared_vgpr_count 0
		.amdhsa_exception_fp_ieee_invalid_op 0
		.amdhsa_exception_fp_denorm_src 0
		.amdhsa_exception_fp_ieee_div_zero 0
		.amdhsa_exception_fp_ieee_overflow 0
		.amdhsa_exception_fp_ieee_underflow 0
		.amdhsa_exception_fp_ieee_inexact 0
		.amdhsa_exception_int_div_zero 0
	.end_amdhsa_kernel
	.section	.text._ZN7rocprim17ROCPRIM_400000_NS6detail17trampoline_kernelINS0_14default_configENS1_20scan_config_selectorIN3c108BFloat16EEEZZNS1_9scan_implILNS1_25lookback_scan_determinismE0ELb0ELb0ES3_PKS6_PS6_S6_ZZZN2at6native31launch_logcumsumexp_cuda_kernelERKNSD_10TensorBaseESH_lENKUlvE_clEvENKUlvE4_clEvEUlS6_S6_E_S6_EEDaPvRmT3_T4_T5_mT6_P12ihipStream_tbENKUlT_T0_E_clISt17integral_constantIbLb0EESY_EEDaST_SU_EUlST_E0_NS1_11comp_targetILNS1_3genE10ELNS1_11target_archE1201ELNS1_3gpuE5ELNS1_3repE0EEENS1_30default_config_static_selectorELNS0_4arch9wavefront6targetE0EEEvT1_,"axG",@progbits,_ZN7rocprim17ROCPRIM_400000_NS6detail17trampoline_kernelINS0_14default_configENS1_20scan_config_selectorIN3c108BFloat16EEEZZNS1_9scan_implILNS1_25lookback_scan_determinismE0ELb0ELb0ES3_PKS6_PS6_S6_ZZZN2at6native31launch_logcumsumexp_cuda_kernelERKNSD_10TensorBaseESH_lENKUlvE_clEvENKUlvE4_clEvEUlS6_S6_E_S6_EEDaPvRmT3_T4_T5_mT6_P12ihipStream_tbENKUlT_T0_E_clISt17integral_constantIbLb0EESY_EEDaST_SU_EUlST_E0_NS1_11comp_targetILNS1_3genE10ELNS1_11target_archE1201ELNS1_3gpuE5ELNS1_3repE0EEENS1_30default_config_static_selectorELNS0_4arch9wavefront6targetE0EEEvT1_,comdat
.Lfunc_end460:
	.size	_ZN7rocprim17ROCPRIM_400000_NS6detail17trampoline_kernelINS0_14default_configENS1_20scan_config_selectorIN3c108BFloat16EEEZZNS1_9scan_implILNS1_25lookback_scan_determinismE0ELb0ELb0ES3_PKS6_PS6_S6_ZZZN2at6native31launch_logcumsumexp_cuda_kernelERKNSD_10TensorBaseESH_lENKUlvE_clEvENKUlvE4_clEvEUlS6_S6_E_S6_EEDaPvRmT3_T4_T5_mT6_P12ihipStream_tbENKUlT_T0_E_clISt17integral_constantIbLb0EESY_EEDaST_SU_EUlST_E0_NS1_11comp_targetILNS1_3genE10ELNS1_11target_archE1201ELNS1_3gpuE5ELNS1_3repE0EEENS1_30default_config_static_selectorELNS0_4arch9wavefront6targetE0EEEvT1_, .Lfunc_end460-_ZN7rocprim17ROCPRIM_400000_NS6detail17trampoline_kernelINS0_14default_configENS1_20scan_config_selectorIN3c108BFloat16EEEZZNS1_9scan_implILNS1_25lookback_scan_determinismE0ELb0ELb0ES3_PKS6_PS6_S6_ZZZN2at6native31launch_logcumsumexp_cuda_kernelERKNSD_10TensorBaseESH_lENKUlvE_clEvENKUlvE4_clEvEUlS6_S6_E_S6_EEDaPvRmT3_T4_T5_mT6_P12ihipStream_tbENKUlT_T0_E_clISt17integral_constantIbLb0EESY_EEDaST_SU_EUlST_E0_NS1_11comp_targetILNS1_3genE10ELNS1_11target_archE1201ELNS1_3gpuE5ELNS1_3repE0EEENS1_30default_config_static_selectorELNS0_4arch9wavefront6targetE0EEEvT1_
                                        ; -- End function
	.set _ZN7rocprim17ROCPRIM_400000_NS6detail17trampoline_kernelINS0_14default_configENS1_20scan_config_selectorIN3c108BFloat16EEEZZNS1_9scan_implILNS1_25lookback_scan_determinismE0ELb0ELb0ES3_PKS6_PS6_S6_ZZZN2at6native31launch_logcumsumexp_cuda_kernelERKNSD_10TensorBaseESH_lENKUlvE_clEvENKUlvE4_clEvEUlS6_S6_E_S6_EEDaPvRmT3_T4_T5_mT6_P12ihipStream_tbENKUlT_T0_E_clISt17integral_constantIbLb0EESY_EEDaST_SU_EUlST_E0_NS1_11comp_targetILNS1_3genE10ELNS1_11target_archE1201ELNS1_3gpuE5ELNS1_3repE0EEENS1_30default_config_static_selectorELNS0_4arch9wavefront6targetE0EEEvT1_.num_vgpr, 0
	.set _ZN7rocprim17ROCPRIM_400000_NS6detail17trampoline_kernelINS0_14default_configENS1_20scan_config_selectorIN3c108BFloat16EEEZZNS1_9scan_implILNS1_25lookback_scan_determinismE0ELb0ELb0ES3_PKS6_PS6_S6_ZZZN2at6native31launch_logcumsumexp_cuda_kernelERKNSD_10TensorBaseESH_lENKUlvE_clEvENKUlvE4_clEvEUlS6_S6_E_S6_EEDaPvRmT3_T4_T5_mT6_P12ihipStream_tbENKUlT_T0_E_clISt17integral_constantIbLb0EESY_EEDaST_SU_EUlST_E0_NS1_11comp_targetILNS1_3genE10ELNS1_11target_archE1201ELNS1_3gpuE5ELNS1_3repE0EEENS1_30default_config_static_selectorELNS0_4arch9wavefront6targetE0EEEvT1_.num_agpr, 0
	.set _ZN7rocprim17ROCPRIM_400000_NS6detail17trampoline_kernelINS0_14default_configENS1_20scan_config_selectorIN3c108BFloat16EEEZZNS1_9scan_implILNS1_25lookback_scan_determinismE0ELb0ELb0ES3_PKS6_PS6_S6_ZZZN2at6native31launch_logcumsumexp_cuda_kernelERKNSD_10TensorBaseESH_lENKUlvE_clEvENKUlvE4_clEvEUlS6_S6_E_S6_EEDaPvRmT3_T4_T5_mT6_P12ihipStream_tbENKUlT_T0_E_clISt17integral_constantIbLb0EESY_EEDaST_SU_EUlST_E0_NS1_11comp_targetILNS1_3genE10ELNS1_11target_archE1201ELNS1_3gpuE5ELNS1_3repE0EEENS1_30default_config_static_selectorELNS0_4arch9wavefront6targetE0EEEvT1_.numbered_sgpr, 0
	.set _ZN7rocprim17ROCPRIM_400000_NS6detail17trampoline_kernelINS0_14default_configENS1_20scan_config_selectorIN3c108BFloat16EEEZZNS1_9scan_implILNS1_25lookback_scan_determinismE0ELb0ELb0ES3_PKS6_PS6_S6_ZZZN2at6native31launch_logcumsumexp_cuda_kernelERKNSD_10TensorBaseESH_lENKUlvE_clEvENKUlvE4_clEvEUlS6_S6_E_S6_EEDaPvRmT3_T4_T5_mT6_P12ihipStream_tbENKUlT_T0_E_clISt17integral_constantIbLb0EESY_EEDaST_SU_EUlST_E0_NS1_11comp_targetILNS1_3genE10ELNS1_11target_archE1201ELNS1_3gpuE5ELNS1_3repE0EEENS1_30default_config_static_selectorELNS0_4arch9wavefront6targetE0EEEvT1_.num_named_barrier, 0
	.set _ZN7rocprim17ROCPRIM_400000_NS6detail17trampoline_kernelINS0_14default_configENS1_20scan_config_selectorIN3c108BFloat16EEEZZNS1_9scan_implILNS1_25lookback_scan_determinismE0ELb0ELb0ES3_PKS6_PS6_S6_ZZZN2at6native31launch_logcumsumexp_cuda_kernelERKNSD_10TensorBaseESH_lENKUlvE_clEvENKUlvE4_clEvEUlS6_S6_E_S6_EEDaPvRmT3_T4_T5_mT6_P12ihipStream_tbENKUlT_T0_E_clISt17integral_constantIbLb0EESY_EEDaST_SU_EUlST_E0_NS1_11comp_targetILNS1_3genE10ELNS1_11target_archE1201ELNS1_3gpuE5ELNS1_3repE0EEENS1_30default_config_static_selectorELNS0_4arch9wavefront6targetE0EEEvT1_.private_seg_size, 0
	.set _ZN7rocprim17ROCPRIM_400000_NS6detail17trampoline_kernelINS0_14default_configENS1_20scan_config_selectorIN3c108BFloat16EEEZZNS1_9scan_implILNS1_25lookback_scan_determinismE0ELb0ELb0ES3_PKS6_PS6_S6_ZZZN2at6native31launch_logcumsumexp_cuda_kernelERKNSD_10TensorBaseESH_lENKUlvE_clEvENKUlvE4_clEvEUlS6_S6_E_S6_EEDaPvRmT3_T4_T5_mT6_P12ihipStream_tbENKUlT_T0_E_clISt17integral_constantIbLb0EESY_EEDaST_SU_EUlST_E0_NS1_11comp_targetILNS1_3genE10ELNS1_11target_archE1201ELNS1_3gpuE5ELNS1_3repE0EEENS1_30default_config_static_selectorELNS0_4arch9wavefront6targetE0EEEvT1_.uses_vcc, 0
	.set _ZN7rocprim17ROCPRIM_400000_NS6detail17trampoline_kernelINS0_14default_configENS1_20scan_config_selectorIN3c108BFloat16EEEZZNS1_9scan_implILNS1_25lookback_scan_determinismE0ELb0ELb0ES3_PKS6_PS6_S6_ZZZN2at6native31launch_logcumsumexp_cuda_kernelERKNSD_10TensorBaseESH_lENKUlvE_clEvENKUlvE4_clEvEUlS6_S6_E_S6_EEDaPvRmT3_T4_T5_mT6_P12ihipStream_tbENKUlT_T0_E_clISt17integral_constantIbLb0EESY_EEDaST_SU_EUlST_E0_NS1_11comp_targetILNS1_3genE10ELNS1_11target_archE1201ELNS1_3gpuE5ELNS1_3repE0EEENS1_30default_config_static_selectorELNS0_4arch9wavefront6targetE0EEEvT1_.uses_flat_scratch, 0
	.set _ZN7rocprim17ROCPRIM_400000_NS6detail17trampoline_kernelINS0_14default_configENS1_20scan_config_selectorIN3c108BFloat16EEEZZNS1_9scan_implILNS1_25lookback_scan_determinismE0ELb0ELb0ES3_PKS6_PS6_S6_ZZZN2at6native31launch_logcumsumexp_cuda_kernelERKNSD_10TensorBaseESH_lENKUlvE_clEvENKUlvE4_clEvEUlS6_S6_E_S6_EEDaPvRmT3_T4_T5_mT6_P12ihipStream_tbENKUlT_T0_E_clISt17integral_constantIbLb0EESY_EEDaST_SU_EUlST_E0_NS1_11comp_targetILNS1_3genE10ELNS1_11target_archE1201ELNS1_3gpuE5ELNS1_3repE0EEENS1_30default_config_static_selectorELNS0_4arch9wavefront6targetE0EEEvT1_.has_dyn_sized_stack, 0
	.set _ZN7rocprim17ROCPRIM_400000_NS6detail17trampoline_kernelINS0_14default_configENS1_20scan_config_selectorIN3c108BFloat16EEEZZNS1_9scan_implILNS1_25lookback_scan_determinismE0ELb0ELb0ES3_PKS6_PS6_S6_ZZZN2at6native31launch_logcumsumexp_cuda_kernelERKNSD_10TensorBaseESH_lENKUlvE_clEvENKUlvE4_clEvEUlS6_S6_E_S6_EEDaPvRmT3_T4_T5_mT6_P12ihipStream_tbENKUlT_T0_E_clISt17integral_constantIbLb0EESY_EEDaST_SU_EUlST_E0_NS1_11comp_targetILNS1_3genE10ELNS1_11target_archE1201ELNS1_3gpuE5ELNS1_3repE0EEENS1_30default_config_static_selectorELNS0_4arch9wavefront6targetE0EEEvT1_.has_recursion, 0
	.set _ZN7rocprim17ROCPRIM_400000_NS6detail17trampoline_kernelINS0_14default_configENS1_20scan_config_selectorIN3c108BFloat16EEEZZNS1_9scan_implILNS1_25lookback_scan_determinismE0ELb0ELb0ES3_PKS6_PS6_S6_ZZZN2at6native31launch_logcumsumexp_cuda_kernelERKNSD_10TensorBaseESH_lENKUlvE_clEvENKUlvE4_clEvEUlS6_S6_E_S6_EEDaPvRmT3_T4_T5_mT6_P12ihipStream_tbENKUlT_T0_E_clISt17integral_constantIbLb0EESY_EEDaST_SU_EUlST_E0_NS1_11comp_targetILNS1_3genE10ELNS1_11target_archE1201ELNS1_3gpuE5ELNS1_3repE0EEENS1_30default_config_static_selectorELNS0_4arch9wavefront6targetE0EEEvT1_.has_indirect_call, 0
	.section	.AMDGPU.csdata,"",@progbits
; Kernel info:
; codeLenInByte = 0
; TotalNumSgprs: 0
; NumVgprs: 0
; ScratchSize: 0
; MemoryBound: 0
; FloatMode: 240
; IeeeMode: 1
; LDSByteSize: 0 bytes/workgroup (compile time only)
; SGPRBlocks: 0
; VGPRBlocks: 0
; NumSGPRsForWavesPerEU: 1
; NumVGPRsForWavesPerEU: 1
; Occupancy: 16
; WaveLimiterHint : 0
; COMPUTE_PGM_RSRC2:SCRATCH_EN: 0
; COMPUTE_PGM_RSRC2:USER_SGPR: 6
; COMPUTE_PGM_RSRC2:TRAP_HANDLER: 0
; COMPUTE_PGM_RSRC2:TGID_X_EN: 1
; COMPUTE_PGM_RSRC2:TGID_Y_EN: 0
; COMPUTE_PGM_RSRC2:TGID_Z_EN: 0
; COMPUTE_PGM_RSRC2:TIDIG_COMP_CNT: 0
	.section	.text._ZN7rocprim17ROCPRIM_400000_NS6detail17trampoline_kernelINS0_14default_configENS1_20scan_config_selectorIN3c108BFloat16EEEZZNS1_9scan_implILNS1_25lookback_scan_determinismE0ELb0ELb0ES3_PKS6_PS6_S6_ZZZN2at6native31launch_logcumsumexp_cuda_kernelERKNSD_10TensorBaseESH_lENKUlvE_clEvENKUlvE4_clEvEUlS6_S6_E_S6_EEDaPvRmT3_T4_T5_mT6_P12ihipStream_tbENKUlT_T0_E_clISt17integral_constantIbLb0EESY_EEDaST_SU_EUlST_E0_NS1_11comp_targetILNS1_3genE10ELNS1_11target_archE1200ELNS1_3gpuE4ELNS1_3repE0EEENS1_30default_config_static_selectorELNS0_4arch9wavefront6targetE0EEEvT1_,"axG",@progbits,_ZN7rocprim17ROCPRIM_400000_NS6detail17trampoline_kernelINS0_14default_configENS1_20scan_config_selectorIN3c108BFloat16EEEZZNS1_9scan_implILNS1_25lookback_scan_determinismE0ELb0ELb0ES3_PKS6_PS6_S6_ZZZN2at6native31launch_logcumsumexp_cuda_kernelERKNSD_10TensorBaseESH_lENKUlvE_clEvENKUlvE4_clEvEUlS6_S6_E_S6_EEDaPvRmT3_T4_T5_mT6_P12ihipStream_tbENKUlT_T0_E_clISt17integral_constantIbLb0EESY_EEDaST_SU_EUlST_E0_NS1_11comp_targetILNS1_3genE10ELNS1_11target_archE1200ELNS1_3gpuE4ELNS1_3repE0EEENS1_30default_config_static_selectorELNS0_4arch9wavefront6targetE0EEEvT1_,comdat
	.globl	_ZN7rocprim17ROCPRIM_400000_NS6detail17trampoline_kernelINS0_14default_configENS1_20scan_config_selectorIN3c108BFloat16EEEZZNS1_9scan_implILNS1_25lookback_scan_determinismE0ELb0ELb0ES3_PKS6_PS6_S6_ZZZN2at6native31launch_logcumsumexp_cuda_kernelERKNSD_10TensorBaseESH_lENKUlvE_clEvENKUlvE4_clEvEUlS6_S6_E_S6_EEDaPvRmT3_T4_T5_mT6_P12ihipStream_tbENKUlT_T0_E_clISt17integral_constantIbLb0EESY_EEDaST_SU_EUlST_E0_NS1_11comp_targetILNS1_3genE10ELNS1_11target_archE1200ELNS1_3gpuE4ELNS1_3repE0EEENS1_30default_config_static_selectorELNS0_4arch9wavefront6targetE0EEEvT1_ ; -- Begin function _ZN7rocprim17ROCPRIM_400000_NS6detail17trampoline_kernelINS0_14default_configENS1_20scan_config_selectorIN3c108BFloat16EEEZZNS1_9scan_implILNS1_25lookback_scan_determinismE0ELb0ELb0ES3_PKS6_PS6_S6_ZZZN2at6native31launch_logcumsumexp_cuda_kernelERKNSD_10TensorBaseESH_lENKUlvE_clEvENKUlvE4_clEvEUlS6_S6_E_S6_EEDaPvRmT3_T4_T5_mT6_P12ihipStream_tbENKUlT_T0_E_clISt17integral_constantIbLb0EESY_EEDaST_SU_EUlST_E0_NS1_11comp_targetILNS1_3genE10ELNS1_11target_archE1200ELNS1_3gpuE4ELNS1_3repE0EEENS1_30default_config_static_selectorELNS0_4arch9wavefront6targetE0EEEvT1_
	.p2align	8
	.type	_ZN7rocprim17ROCPRIM_400000_NS6detail17trampoline_kernelINS0_14default_configENS1_20scan_config_selectorIN3c108BFloat16EEEZZNS1_9scan_implILNS1_25lookback_scan_determinismE0ELb0ELb0ES3_PKS6_PS6_S6_ZZZN2at6native31launch_logcumsumexp_cuda_kernelERKNSD_10TensorBaseESH_lENKUlvE_clEvENKUlvE4_clEvEUlS6_S6_E_S6_EEDaPvRmT3_T4_T5_mT6_P12ihipStream_tbENKUlT_T0_E_clISt17integral_constantIbLb0EESY_EEDaST_SU_EUlST_E0_NS1_11comp_targetILNS1_3genE10ELNS1_11target_archE1200ELNS1_3gpuE4ELNS1_3repE0EEENS1_30default_config_static_selectorELNS0_4arch9wavefront6targetE0EEEvT1_,@function
_ZN7rocprim17ROCPRIM_400000_NS6detail17trampoline_kernelINS0_14default_configENS1_20scan_config_selectorIN3c108BFloat16EEEZZNS1_9scan_implILNS1_25lookback_scan_determinismE0ELb0ELb0ES3_PKS6_PS6_S6_ZZZN2at6native31launch_logcumsumexp_cuda_kernelERKNSD_10TensorBaseESH_lENKUlvE_clEvENKUlvE4_clEvEUlS6_S6_E_S6_EEDaPvRmT3_T4_T5_mT6_P12ihipStream_tbENKUlT_T0_E_clISt17integral_constantIbLb0EESY_EEDaST_SU_EUlST_E0_NS1_11comp_targetILNS1_3genE10ELNS1_11target_archE1200ELNS1_3gpuE4ELNS1_3repE0EEENS1_30default_config_static_selectorELNS0_4arch9wavefront6targetE0EEEvT1_: ; @_ZN7rocprim17ROCPRIM_400000_NS6detail17trampoline_kernelINS0_14default_configENS1_20scan_config_selectorIN3c108BFloat16EEEZZNS1_9scan_implILNS1_25lookback_scan_determinismE0ELb0ELb0ES3_PKS6_PS6_S6_ZZZN2at6native31launch_logcumsumexp_cuda_kernelERKNSD_10TensorBaseESH_lENKUlvE_clEvENKUlvE4_clEvEUlS6_S6_E_S6_EEDaPvRmT3_T4_T5_mT6_P12ihipStream_tbENKUlT_T0_E_clISt17integral_constantIbLb0EESY_EEDaST_SU_EUlST_E0_NS1_11comp_targetILNS1_3genE10ELNS1_11target_archE1200ELNS1_3gpuE4ELNS1_3repE0EEENS1_30default_config_static_selectorELNS0_4arch9wavefront6targetE0EEEvT1_
; %bb.0:
	.section	.rodata,"a",@progbits
	.p2align	6, 0x0
	.amdhsa_kernel _ZN7rocprim17ROCPRIM_400000_NS6detail17trampoline_kernelINS0_14default_configENS1_20scan_config_selectorIN3c108BFloat16EEEZZNS1_9scan_implILNS1_25lookback_scan_determinismE0ELb0ELb0ES3_PKS6_PS6_S6_ZZZN2at6native31launch_logcumsumexp_cuda_kernelERKNSD_10TensorBaseESH_lENKUlvE_clEvENKUlvE4_clEvEUlS6_S6_E_S6_EEDaPvRmT3_T4_T5_mT6_P12ihipStream_tbENKUlT_T0_E_clISt17integral_constantIbLb0EESY_EEDaST_SU_EUlST_E0_NS1_11comp_targetILNS1_3genE10ELNS1_11target_archE1200ELNS1_3gpuE4ELNS1_3repE0EEENS1_30default_config_static_selectorELNS0_4arch9wavefront6targetE0EEEvT1_
		.amdhsa_group_segment_fixed_size 0
		.amdhsa_private_segment_fixed_size 0
		.amdhsa_kernarg_size 32
		.amdhsa_user_sgpr_count 6
		.amdhsa_user_sgpr_private_segment_buffer 1
		.amdhsa_user_sgpr_dispatch_ptr 0
		.amdhsa_user_sgpr_queue_ptr 0
		.amdhsa_user_sgpr_kernarg_segment_ptr 1
		.amdhsa_user_sgpr_dispatch_id 0
		.amdhsa_user_sgpr_flat_scratch_init 0
		.amdhsa_user_sgpr_private_segment_size 0
		.amdhsa_wavefront_size32 1
		.amdhsa_uses_dynamic_stack 0
		.amdhsa_system_sgpr_private_segment_wavefront_offset 0
		.amdhsa_system_sgpr_workgroup_id_x 1
		.amdhsa_system_sgpr_workgroup_id_y 0
		.amdhsa_system_sgpr_workgroup_id_z 0
		.amdhsa_system_sgpr_workgroup_info 0
		.amdhsa_system_vgpr_workitem_id 0
		.amdhsa_next_free_vgpr 1
		.amdhsa_next_free_sgpr 1
		.amdhsa_reserve_vcc 0
		.amdhsa_reserve_flat_scratch 0
		.amdhsa_float_round_mode_32 0
		.amdhsa_float_round_mode_16_64 0
		.amdhsa_float_denorm_mode_32 3
		.amdhsa_float_denorm_mode_16_64 3
		.amdhsa_dx10_clamp 1
		.amdhsa_ieee_mode 1
		.amdhsa_fp16_overflow 0
		.amdhsa_workgroup_processor_mode 1
		.amdhsa_memory_ordered 1
		.amdhsa_forward_progress 1
		.amdhsa_shared_vgpr_count 0
		.amdhsa_exception_fp_ieee_invalid_op 0
		.amdhsa_exception_fp_denorm_src 0
		.amdhsa_exception_fp_ieee_div_zero 0
		.amdhsa_exception_fp_ieee_overflow 0
		.amdhsa_exception_fp_ieee_underflow 0
		.amdhsa_exception_fp_ieee_inexact 0
		.amdhsa_exception_int_div_zero 0
	.end_amdhsa_kernel
	.section	.text._ZN7rocprim17ROCPRIM_400000_NS6detail17trampoline_kernelINS0_14default_configENS1_20scan_config_selectorIN3c108BFloat16EEEZZNS1_9scan_implILNS1_25lookback_scan_determinismE0ELb0ELb0ES3_PKS6_PS6_S6_ZZZN2at6native31launch_logcumsumexp_cuda_kernelERKNSD_10TensorBaseESH_lENKUlvE_clEvENKUlvE4_clEvEUlS6_S6_E_S6_EEDaPvRmT3_T4_T5_mT6_P12ihipStream_tbENKUlT_T0_E_clISt17integral_constantIbLb0EESY_EEDaST_SU_EUlST_E0_NS1_11comp_targetILNS1_3genE10ELNS1_11target_archE1200ELNS1_3gpuE4ELNS1_3repE0EEENS1_30default_config_static_selectorELNS0_4arch9wavefront6targetE0EEEvT1_,"axG",@progbits,_ZN7rocprim17ROCPRIM_400000_NS6detail17trampoline_kernelINS0_14default_configENS1_20scan_config_selectorIN3c108BFloat16EEEZZNS1_9scan_implILNS1_25lookback_scan_determinismE0ELb0ELb0ES3_PKS6_PS6_S6_ZZZN2at6native31launch_logcumsumexp_cuda_kernelERKNSD_10TensorBaseESH_lENKUlvE_clEvENKUlvE4_clEvEUlS6_S6_E_S6_EEDaPvRmT3_T4_T5_mT6_P12ihipStream_tbENKUlT_T0_E_clISt17integral_constantIbLb0EESY_EEDaST_SU_EUlST_E0_NS1_11comp_targetILNS1_3genE10ELNS1_11target_archE1200ELNS1_3gpuE4ELNS1_3repE0EEENS1_30default_config_static_selectorELNS0_4arch9wavefront6targetE0EEEvT1_,comdat
.Lfunc_end461:
	.size	_ZN7rocprim17ROCPRIM_400000_NS6detail17trampoline_kernelINS0_14default_configENS1_20scan_config_selectorIN3c108BFloat16EEEZZNS1_9scan_implILNS1_25lookback_scan_determinismE0ELb0ELb0ES3_PKS6_PS6_S6_ZZZN2at6native31launch_logcumsumexp_cuda_kernelERKNSD_10TensorBaseESH_lENKUlvE_clEvENKUlvE4_clEvEUlS6_S6_E_S6_EEDaPvRmT3_T4_T5_mT6_P12ihipStream_tbENKUlT_T0_E_clISt17integral_constantIbLb0EESY_EEDaST_SU_EUlST_E0_NS1_11comp_targetILNS1_3genE10ELNS1_11target_archE1200ELNS1_3gpuE4ELNS1_3repE0EEENS1_30default_config_static_selectorELNS0_4arch9wavefront6targetE0EEEvT1_, .Lfunc_end461-_ZN7rocprim17ROCPRIM_400000_NS6detail17trampoline_kernelINS0_14default_configENS1_20scan_config_selectorIN3c108BFloat16EEEZZNS1_9scan_implILNS1_25lookback_scan_determinismE0ELb0ELb0ES3_PKS6_PS6_S6_ZZZN2at6native31launch_logcumsumexp_cuda_kernelERKNSD_10TensorBaseESH_lENKUlvE_clEvENKUlvE4_clEvEUlS6_S6_E_S6_EEDaPvRmT3_T4_T5_mT6_P12ihipStream_tbENKUlT_T0_E_clISt17integral_constantIbLb0EESY_EEDaST_SU_EUlST_E0_NS1_11comp_targetILNS1_3genE10ELNS1_11target_archE1200ELNS1_3gpuE4ELNS1_3repE0EEENS1_30default_config_static_selectorELNS0_4arch9wavefront6targetE0EEEvT1_
                                        ; -- End function
	.set _ZN7rocprim17ROCPRIM_400000_NS6detail17trampoline_kernelINS0_14default_configENS1_20scan_config_selectorIN3c108BFloat16EEEZZNS1_9scan_implILNS1_25lookback_scan_determinismE0ELb0ELb0ES3_PKS6_PS6_S6_ZZZN2at6native31launch_logcumsumexp_cuda_kernelERKNSD_10TensorBaseESH_lENKUlvE_clEvENKUlvE4_clEvEUlS6_S6_E_S6_EEDaPvRmT3_T4_T5_mT6_P12ihipStream_tbENKUlT_T0_E_clISt17integral_constantIbLb0EESY_EEDaST_SU_EUlST_E0_NS1_11comp_targetILNS1_3genE10ELNS1_11target_archE1200ELNS1_3gpuE4ELNS1_3repE0EEENS1_30default_config_static_selectorELNS0_4arch9wavefront6targetE0EEEvT1_.num_vgpr, 0
	.set _ZN7rocprim17ROCPRIM_400000_NS6detail17trampoline_kernelINS0_14default_configENS1_20scan_config_selectorIN3c108BFloat16EEEZZNS1_9scan_implILNS1_25lookback_scan_determinismE0ELb0ELb0ES3_PKS6_PS6_S6_ZZZN2at6native31launch_logcumsumexp_cuda_kernelERKNSD_10TensorBaseESH_lENKUlvE_clEvENKUlvE4_clEvEUlS6_S6_E_S6_EEDaPvRmT3_T4_T5_mT6_P12ihipStream_tbENKUlT_T0_E_clISt17integral_constantIbLb0EESY_EEDaST_SU_EUlST_E0_NS1_11comp_targetILNS1_3genE10ELNS1_11target_archE1200ELNS1_3gpuE4ELNS1_3repE0EEENS1_30default_config_static_selectorELNS0_4arch9wavefront6targetE0EEEvT1_.num_agpr, 0
	.set _ZN7rocprim17ROCPRIM_400000_NS6detail17trampoline_kernelINS0_14default_configENS1_20scan_config_selectorIN3c108BFloat16EEEZZNS1_9scan_implILNS1_25lookback_scan_determinismE0ELb0ELb0ES3_PKS6_PS6_S6_ZZZN2at6native31launch_logcumsumexp_cuda_kernelERKNSD_10TensorBaseESH_lENKUlvE_clEvENKUlvE4_clEvEUlS6_S6_E_S6_EEDaPvRmT3_T4_T5_mT6_P12ihipStream_tbENKUlT_T0_E_clISt17integral_constantIbLb0EESY_EEDaST_SU_EUlST_E0_NS1_11comp_targetILNS1_3genE10ELNS1_11target_archE1200ELNS1_3gpuE4ELNS1_3repE0EEENS1_30default_config_static_selectorELNS0_4arch9wavefront6targetE0EEEvT1_.numbered_sgpr, 0
	.set _ZN7rocprim17ROCPRIM_400000_NS6detail17trampoline_kernelINS0_14default_configENS1_20scan_config_selectorIN3c108BFloat16EEEZZNS1_9scan_implILNS1_25lookback_scan_determinismE0ELb0ELb0ES3_PKS6_PS6_S6_ZZZN2at6native31launch_logcumsumexp_cuda_kernelERKNSD_10TensorBaseESH_lENKUlvE_clEvENKUlvE4_clEvEUlS6_S6_E_S6_EEDaPvRmT3_T4_T5_mT6_P12ihipStream_tbENKUlT_T0_E_clISt17integral_constantIbLb0EESY_EEDaST_SU_EUlST_E0_NS1_11comp_targetILNS1_3genE10ELNS1_11target_archE1200ELNS1_3gpuE4ELNS1_3repE0EEENS1_30default_config_static_selectorELNS0_4arch9wavefront6targetE0EEEvT1_.num_named_barrier, 0
	.set _ZN7rocprim17ROCPRIM_400000_NS6detail17trampoline_kernelINS0_14default_configENS1_20scan_config_selectorIN3c108BFloat16EEEZZNS1_9scan_implILNS1_25lookback_scan_determinismE0ELb0ELb0ES3_PKS6_PS6_S6_ZZZN2at6native31launch_logcumsumexp_cuda_kernelERKNSD_10TensorBaseESH_lENKUlvE_clEvENKUlvE4_clEvEUlS6_S6_E_S6_EEDaPvRmT3_T4_T5_mT6_P12ihipStream_tbENKUlT_T0_E_clISt17integral_constantIbLb0EESY_EEDaST_SU_EUlST_E0_NS1_11comp_targetILNS1_3genE10ELNS1_11target_archE1200ELNS1_3gpuE4ELNS1_3repE0EEENS1_30default_config_static_selectorELNS0_4arch9wavefront6targetE0EEEvT1_.private_seg_size, 0
	.set _ZN7rocprim17ROCPRIM_400000_NS6detail17trampoline_kernelINS0_14default_configENS1_20scan_config_selectorIN3c108BFloat16EEEZZNS1_9scan_implILNS1_25lookback_scan_determinismE0ELb0ELb0ES3_PKS6_PS6_S6_ZZZN2at6native31launch_logcumsumexp_cuda_kernelERKNSD_10TensorBaseESH_lENKUlvE_clEvENKUlvE4_clEvEUlS6_S6_E_S6_EEDaPvRmT3_T4_T5_mT6_P12ihipStream_tbENKUlT_T0_E_clISt17integral_constantIbLb0EESY_EEDaST_SU_EUlST_E0_NS1_11comp_targetILNS1_3genE10ELNS1_11target_archE1200ELNS1_3gpuE4ELNS1_3repE0EEENS1_30default_config_static_selectorELNS0_4arch9wavefront6targetE0EEEvT1_.uses_vcc, 0
	.set _ZN7rocprim17ROCPRIM_400000_NS6detail17trampoline_kernelINS0_14default_configENS1_20scan_config_selectorIN3c108BFloat16EEEZZNS1_9scan_implILNS1_25lookback_scan_determinismE0ELb0ELb0ES3_PKS6_PS6_S6_ZZZN2at6native31launch_logcumsumexp_cuda_kernelERKNSD_10TensorBaseESH_lENKUlvE_clEvENKUlvE4_clEvEUlS6_S6_E_S6_EEDaPvRmT3_T4_T5_mT6_P12ihipStream_tbENKUlT_T0_E_clISt17integral_constantIbLb0EESY_EEDaST_SU_EUlST_E0_NS1_11comp_targetILNS1_3genE10ELNS1_11target_archE1200ELNS1_3gpuE4ELNS1_3repE0EEENS1_30default_config_static_selectorELNS0_4arch9wavefront6targetE0EEEvT1_.uses_flat_scratch, 0
	.set _ZN7rocprim17ROCPRIM_400000_NS6detail17trampoline_kernelINS0_14default_configENS1_20scan_config_selectorIN3c108BFloat16EEEZZNS1_9scan_implILNS1_25lookback_scan_determinismE0ELb0ELb0ES3_PKS6_PS6_S6_ZZZN2at6native31launch_logcumsumexp_cuda_kernelERKNSD_10TensorBaseESH_lENKUlvE_clEvENKUlvE4_clEvEUlS6_S6_E_S6_EEDaPvRmT3_T4_T5_mT6_P12ihipStream_tbENKUlT_T0_E_clISt17integral_constantIbLb0EESY_EEDaST_SU_EUlST_E0_NS1_11comp_targetILNS1_3genE10ELNS1_11target_archE1200ELNS1_3gpuE4ELNS1_3repE0EEENS1_30default_config_static_selectorELNS0_4arch9wavefront6targetE0EEEvT1_.has_dyn_sized_stack, 0
	.set _ZN7rocprim17ROCPRIM_400000_NS6detail17trampoline_kernelINS0_14default_configENS1_20scan_config_selectorIN3c108BFloat16EEEZZNS1_9scan_implILNS1_25lookback_scan_determinismE0ELb0ELb0ES3_PKS6_PS6_S6_ZZZN2at6native31launch_logcumsumexp_cuda_kernelERKNSD_10TensorBaseESH_lENKUlvE_clEvENKUlvE4_clEvEUlS6_S6_E_S6_EEDaPvRmT3_T4_T5_mT6_P12ihipStream_tbENKUlT_T0_E_clISt17integral_constantIbLb0EESY_EEDaST_SU_EUlST_E0_NS1_11comp_targetILNS1_3genE10ELNS1_11target_archE1200ELNS1_3gpuE4ELNS1_3repE0EEENS1_30default_config_static_selectorELNS0_4arch9wavefront6targetE0EEEvT1_.has_recursion, 0
	.set _ZN7rocprim17ROCPRIM_400000_NS6detail17trampoline_kernelINS0_14default_configENS1_20scan_config_selectorIN3c108BFloat16EEEZZNS1_9scan_implILNS1_25lookback_scan_determinismE0ELb0ELb0ES3_PKS6_PS6_S6_ZZZN2at6native31launch_logcumsumexp_cuda_kernelERKNSD_10TensorBaseESH_lENKUlvE_clEvENKUlvE4_clEvEUlS6_S6_E_S6_EEDaPvRmT3_T4_T5_mT6_P12ihipStream_tbENKUlT_T0_E_clISt17integral_constantIbLb0EESY_EEDaST_SU_EUlST_E0_NS1_11comp_targetILNS1_3genE10ELNS1_11target_archE1200ELNS1_3gpuE4ELNS1_3repE0EEENS1_30default_config_static_selectorELNS0_4arch9wavefront6targetE0EEEvT1_.has_indirect_call, 0
	.section	.AMDGPU.csdata,"",@progbits
; Kernel info:
; codeLenInByte = 0
; TotalNumSgprs: 0
; NumVgprs: 0
; ScratchSize: 0
; MemoryBound: 0
; FloatMode: 240
; IeeeMode: 1
; LDSByteSize: 0 bytes/workgroup (compile time only)
; SGPRBlocks: 0
; VGPRBlocks: 0
; NumSGPRsForWavesPerEU: 1
; NumVGPRsForWavesPerEU: 1
; Occupancy: 16
; WaveLimiterHint : 0
; COMPUTE_PGM_RSRC2:SCRATCH_EN: 0
; COMPUTE_PGM_RSRC2:USER_SGPR: 6
; COMPUTE_PGM_RSRC2:TRAP_HANDLER: 0
; COMPUTE_PGM_RSRC2:TGID_X_EN: 1
; COMPUTE_PGM_RSRC2:TGID_Y_EN: 0
; COMPUTE_PGM_RSRC2:TGID_Z_EN: 0
; COMPUTE_PGM_RSRC2:TIDIG_COMP_CNT: 0
	.section	.text._ZN7rocprim17ROCPRIM_400000_NS6detail17trampoline_kernelINS0_14default_configENS1_20scan_config_selectorIN3c108BFloat16EEEZZNS1_9scan_implILNS1_25lookback_scan_determinismE0ELb0ELb0ES3_PKS6_PS6_S6_ZZZN2at6native31launch_logcumsumexp_cuda_kernelERKNSD_10TensorBaseESH_lENKUlvE_clEvENKUlvE4_clEvEUlS6_S6_E_S6_EEDaPvRmT3_T4_T5_mT6_P12ihipStream_tbENKUlT_T0_E_clISt17integral_constantIbLb0EESY_EEDaST_SU_EUlST_E0_NS1_11comp_targetILNS1_3genE9ELNS1_11target_archE1100ELNS1_3gpuE3ELNS1_3repE0EEENS1_30default_config_static_selectorELNS0_4arch9wavefront6targetE0EEEvT1_,"axG",@progbits,_ZN7rocprim17ROCPRIM_400000_NS6detail17trampoline_kernelINS0_14default_configENS1_20scan_config_selectorIN3c108BFloat16EEEZZNS1_9scan_implILNS1_25lookback_scan_determinismE0ELb0ELb0ES3_PKS6_PS6_S6_ZZZN2at6native31launch_logcumsumexp_cuda_kernelERKNSD_10TensorBaseESH_lENKUlvE_clEvENKUlvE4_clEvEUlS6_S6_E_S6_EEDaPvRmT3_T4_T5_mT6_P12ihipStream_tbENKUlT_T0_E_clISt17integral_constantIbLb0EESY_EEDaST_SU_EUlST_E0_NS1_11comp_targetILNS1_3genE9ELNS1_11target_archE1100ELNS1_3gpuE3ELNS1_3repE0EEENS1_30default_config_static_selectorELNS0_4arch9wavefront6targetE0EEEvT1_,comdat
	.globl	_ZN7rocprim17ROCPRIM_400000_NS6detail17trampoline_kernelINS0_14default_configENS1_20scan_config_selectorIN3c108BFloat16EEEZZNS1_9scan_implILNS1_25lookback_scan_determinismE0ELb0ELb0ES3_PKS6_PS6_S6_ZZZN2at6native31launch_logcumsumexp_cuda_kernelERKNSD_10TensorBaseESH_lENKUlvE_clEvENKUlvE4_clEvEUlS6_S6_E_S6_EEDaPvRmT3_T4_T5_mT6_P12ihipStream_tbENKUlT_T0_E_clISt17integral_constantIbLb0EESY_EEDaST_SU_EUlST_E0_NS1_11comp_targetILNS1_3genE9ELNS1_11target_archE1100ELNS1_3gpuE3ELNS1_3repE0EEENS1_30default_config_static_selectorELNS0_4arch9wavefront6targetE0EEEvT1_ ; -- Begin function _ZN7rocprim17ROCPRIM_400000_NS6detail17trampoline_kernelINS0_14default_configENS1_20scan_config_selectorIN3c108BFloat16EEEZZNS1_9scan_implILNS1_25lookback_scan_determinismE0ELb0ELb0ES3_PKS6_PS6_S6_ZZZN2at6native31launch_logcumsumexp_cuda_kernelERKNSD_10TensorBaseESH_lENKUlvE_clEvENKUlvE4_clEvEUlS6_S6_E_S6_EEDaPvRmT3_T4_T5_mT6_P12ihipStream_tbENKUlT_T0_E_clISt17integral_constantIbLb0EESY_EEDaST_SU_EUlST_E0_NS1_11comp_targetILNS1_3genE9ELNS1_11target_archE1100ELNS1_3gpuE3ELNS1_3repE0EEENS1_30default_config_static_selectorELNS0_4arch9wavefront6targetE0EEEvT1_
	.p2align	8
	.type	_ZN7rocprim17ROCPRIM_400000_NS6detail17trampoline_kernelINS0_14default_configENS1_20scan_config_selectorIN3c108BFloat16EEEZZNS1_9scan_implILNS1_25lookback_scan_determinismE0ELb0ELb0ES3_PKS6_PS6_S6_ZZZN2at6native31launch_logcumsumexp_cuda_kernelERKNSD_10TensorBaseESH_lENKUlvE_clEvENKUlvE4_clEvEUlS6_S6_E_S6_EEDaPvRmT3_T4_T5_mT6_P12ihipStream_tbENKUlT_T0_E_clISt17integral_constantIbLb0EESY_EEDaST_SU_EUlST_E0_NS1_11comp_targetILNS1_3genE9ELNS1_11target_archE1100ELNS1_3gpuE3ELNS1_3repE0EEENS1_30default_config_static_selectorELNS0_4arch9wavefront6targetE0EEEvT1_,@function
_ZN7rocprim17ROCPRIM_400000_NS6detail17trampoline_kernelINS0_14default_configENS1_20scan_config_selectorIN3c108BFloat16EEEZZNS1_9scan_implILNS1_25lookback_scan_determinismE0ELb0ELb0ES3_PKS6_PS6_S6_ZZZN2at6native31launch_logcumsumexp_cuda_kernelERKNSD_10TensorBaseESH_lENKUlvE_clEvENKUlvE4_clEvEUlS6_S6_E_S6_EEDaPvRmT3_T4_T5_mT6_P12ihipStream_tbENKUlT_T0_E_clISt17integral_constantIbLb0EESY_EEDaST_SU_EUlST_E0_NS1_11comp_targetILNS1_3genE9ELNS1_11target_archE1100ELNS1_3gpuE3ELNS1_3repE0EEENS1_30default_config_static_selectorELNS0_4arch9wavefront6targetE0EEEvT1_: ; @_ZN7rocprim17ROCPRIM_400000_NS6detail17trampoline_kernelINS0_14default_configENS1_20scan_config_selectorIN3c108BFloat16EEEZZNS1_9scan_implILNS1_25lookback_scan_determinismE0ELb0ELb0ES3_PKS6_PS6_S6_ZZZN2at6native31launch_logcumsumexp_cuda_kernelERKNSD_10TensorBaseESH_lENKUlvE_clEvENKUlvE4_clEvEUlS6_S6_E_S6_EEDaPvRmT3_T4_T5_mT6_P12ihipStream_tbENKUlT_T0_E_clISt17integral_constantIbLb0EESY_EEDaST_SU_EUlST_E0_NS1_11comp_targetILNS1_3genE9ELNS1_11target_archE1100ELNS1_3gpuE3ELNS1_3repE0EEENS1_30default_config_static_selectorELNS0_4arch9wavefront6targetE0EEEvT1_
; %bb.0:
	.section	.rodata,"a",@progbits
	.p2align	6, 0x0
	.amdhsa_kernel _ZN7rocprim17ROCPRIM_400000_NS6detail17trampoline_kernelINS0_14default_configENS1_20scan_config_selectorIN3c108BFloat16EEEZZNS1_9scan_implILNS1_25lookback_scan_determinismE0ELb0ELb0ES3_PKS6_PS6_S6_ZZZN2at6native31launch_logcumsumexp_cuda_kernelERKNSD_10TensorBaseESH_lENKUlvE_clEvENKUlvE4_clEvEUlS6_S6_E_S6_EEDaPvRmT3_T4_T5_mT6_P12ihipStream_tbENKUlT_T0_E_clISt17integral_constantIbLb0EESY_EEDaST_SU_EUlST_E0_NS1_11comp_targetILNS1_3genE9ELNS1_11target_archE1100ELNS1_3gpuE3ELNS1_3repE0EEENS1_30default_config_static_selectorELNS0_4arch9wavefront6targetE0EEEvT1_
		.amdhsa_group_segment_fixed_size 0
		.amdhsa_private_segment_fixed_size 0
		.amdhsa_kernarg_size 32
		.amdhsa_user_sgpr_count 6
		.amdhsa_user_sgpr_private_segment_buffer 1
		.amdhsa_user_sgpr_dispatch_ptr 0
		.amdhsa_user_sgpr_queue_ptr 0
		.amdhsa_user_sgpr_kernarg_segment_ptr 1
		.amdhsa_user_sgpr_dispatch_id 0
		.amdhsa_user_sgpr_flat_scratch_init 0
		.amdhsa_user_sgpr_private_segment_size 0
		.amdhsa_wavefront_size32 1
		.amdhsa_uses_dynamic_stack 0
		.amdhsa_system_sgpr_private_segment_wavefront_offset 0
		.amdhsa_system_sgpr_workgroup_id_x 1
		.amdhsa_system_sgpr_workgroup_id_y 0
		.amdhsa_system_sgpr_workgroup_id_z 0
		.amdhsa_system_sgpr_workgroup_info 0
		.amdhsa_system_vgpr_workitem_id 0
		.amdhsa_next_free_vgpr 1
		.amdhsa_next_free_sgpr 1
		.amdhsa_reserve_vcc 0
		.amdhsa_reserve_flat_scratch 0
		.amdhsa_float_round_mode_32 0
		.amdhsa_float_round_mode_16_64 0
		.amdhsa_float_denorm_mode_32 3
		.amdhsa_float_denorm_mode_16_64 3
		.amdhsa_dx10_clamp 1
		.amdhsa_ieee_mode 1
		.amdhsa_fp16_overflow 0
		.amdhsa_workgroup_processor_mode 1
		.amdhsa_memory_ordered 1
		.amdhsa_forward_progress 1
		.amdhsa_shared_vgpr_count 0
		.amdhsa_exception_fp_ieee_invalid_op 0
		.amdhsa_exception_fp_denorm_src 0
		.amdhsa_exception_fp_ieee_div_zero 0
		.amdhsa_exception_fp_ieee_overflow 0
		.amdhsa_exception_fp_ieee_underflow 0
		.amdhsa_exception_fp_ieee_inexact 0
		.amdhsa_exception_int_div_zero 0
	.end_amdhsa_kernel
	.section	.text._ZN7rocprim17ROCPRIM_400000_NS6detail17trampoline_kernelINS0_14default_configENS1_20scan_config_selectorIN3c108BFloat16EEEZZNS1_9scan_implILNS1_25lookback_scan_determinismE0ELb0ELb0ES3_PKS6_PS6_S6_ZZZN2at6native31launch_logcumsumexp_cuda_kernelERKNSD_10TensorBaseESH_lENKUlvE_clEvENKUlvE4_clEvEUlS6_S6_E_S6_EEDaPvRmT3_T4_T5_mT6_P12ihipStream_tbENKUlT_T0_E_clISt17integral_constantIbLb0EESY_EEDaST_SU_EUlST_E0_NS1_11comp_targetILNS1_3genE9ELNS1_11target_archE1100ELNS1_3gpuE3ELNS1_3repE0EEENS1_30default_config_static_selectorELNS0_4arch9wavefront6targetE0EEEvT1_,"axG",@progbits,_ZN7rocprim17ROCPRIM_400000_NS6detail17trampoline_kernelINS0_14default_configENS1_20scan_config_selectorIN3c108BFloat16EEEZZNS1_9scan_implILNS1_25lookback_scan_determinismE0ELb0ELb0ES3_PKS6_PS6_S6_ZZZN2at6native31launch_logcumsumexp_cuda_kernelERKNSD_10TensorBaseESH_lENKUlvE_clEvENKUlvE4_clEvEUlS6_S6_E_S6_EEDaPvRmT3_T4_T5_mT6_P12ihipStream_tbENKUlT_T0_E_clISt17integral_constantIbLb0EESY_EEDaST_SU_EUlST_E0_NS1_11comp_targetILNS1_3genE9ELNS1_11target_archE1100ELNS1_3gpuE3ELNS1_3repE0EEENS1_30default_config_static_selectorELNS0_4arch9wavefront6targetE0EEEvT1_,comdat
.Lfunc_end462:
	.size	_ZN7rocprim17ROCPRIM_400000_NS6detail17trampoline_kernelINS0_14default_configENS1_20scan_config_selectorIN3c108BFloat16EEEZZNS1_9scan_implILNS1_25lookback_scan_determinismE0ELb0ELb0ES3_PKS6_PS6_S6_ZZZN2at6native31launch_logcumsumexp_cuda_kernelERKNSD_10TensorBaseESH_lENKUlvE_clEvENKUlvE4_clEvEUlS6_S6_E_S6_EEDaPvRmT3_T4_T5_mT6_P12ihipStream_tbENKUlT_T0_E_clISt17integral_constantIbLb0EESY_EEDaST_SU_EUlST_E0_NS1_11comp_targetILNS1_3genE9ELNS1_11target_archE1100ELNS1_3gpuE3ELNS1_3repE0EEENS1_30default_config_static_selectorELNS0_4arch9wavefront6targetE0EEEvT1_, .Lfunc_end462-_ZN7rocprim17ROCPRIM_400000_NS6detail17trampoline_kernelINS0_14default_configENS1_20scan_config_selectorIN3c108BFloat16EEEZZNS1_9scan_implILNS1_25lookback_scan_determinismE0ELb0ELb0ES3_PKS6_PS6_S6_ZZZN2at6native31launch_logcumsumexp_cuda_kernelERKNSD_10TensorBaseESH_lENKUlvE_clEvENKUlvE4_clEvEUlS6_S6_E_S6_EEDaPvRmT3_T4_T5_mT6_P12ihipStream_tbENKUlT_T0_E_clISt17integral_constantIbLb0EESY_EEDaST_SU_EUlST_E0_NS1_11comp_targetILNS1_3genE9ELNS1_11target_archE1100ELNS1_3gpuE3ELNS1_3repE0EEENS1_30default_config_static_selectorELNS0_4arch9wavefront6targetE0EEEvT1_
                                        ; -- End function
	.set _ZN7rocprim17ROCPRIM_400000_NS6detail17trampoline_kernelINS0_14default_configENS1_20scan_config_selectorIN3c108BFloat16EEEZZNS1_9scan_implILNS1_25lookback_scan_determinismE0ELb0ELb0ES3_PKS6_PS6_S6_ZZZN2at6native31launch_logcumsumexp_cuda_kernelERKNSD_10TensorBaseESH_lENKUlvE_clEvENKUlvE4_clEvEUlS6_S6_E_S6_EEDaPvRmT3_T4_T5_mT6_P12ihipStream_tbENKUlT_T0_E_clISt17integral_constantIbLb0EESY_EEDaST_SU_EUlST_E0_NS1_11comp_targetILNS1_3genE9ELNS1_11target_archE1100ELNS1_3gpuE3ELNS1_3repE0EEENS1_30default_config_static_selectorELNS0_4arch9wavefront6targetE0EEEvT1_.num_vgpr, 0
	.set _ZN7rocprim17ROCPRIM_400000_NS6detail17trampoline_kernelINS0_14default_configENS1_20scan_config_selectorIN3c108BFloat16EEEZZNS1_9scan_implILNS1_25lookback_scan_determinismE0ELb0ELb0ES3_PKS6_PS6_S6_ZZZN2at6native31launch_logcumsumexp_cuda_kernelERKNSD_10TensorBaseESH_lENKUlvE_clEvENKUlvE4_clEvEUlS6_S6_E_S6_EEDaPvRmT3_T4_T5_mT6_P12ihipStream_tbENKUlT_T0_E_clISt17integral_constantIbLb0EESY_EEDaST_SU_EUlST_E0_NS1_11comp_targetILNS1_3genE9ELNS1_11target_archE1100ELNS1_3gpuE3ELNS1_3repE0EEENS1_30default_config_static_selectorELNS0_4arch9wavefront6targetE0EEEvT1_.num_agpr, 0
	.set _ZN7rocprim17ROCPRIM_400000_NS6detail17trampoline_kernelINS0_14default_configENS1_20scan_config_selectorIN3c108BFloat16EEEZZNS1_9scan_implILNS1_25lookback_scan_determinismE0ELb0ELb0ES3_PKS6_PS6_S6_ZZZN2at6native31launch_logcumsumexp_cuda_kernelERKNSD_10TensorBaseESH_lENKUlvE_clEvENKUlvE4_clEvEUlS6_S6_E_S6_EEDaPvRmT3_T4_T5_mT6_P12ihipStream_tbENKUlT_T0_E_clISt17integral_constantIbLb0EESY_EEDaST_SU_EUlST_E0_NS1_11comp_targetILNS1_3genE9ELNS1_11target_archE1100ELNS1_3gpuE3ELNS1_3repE0EEENS1_30default_config_static_selectorELNS0_4arch9wavefront6targetE0EEEvT1_.numbered_sgpr, 0
	.set _ZN7rocprim17ROCPRIM_400000_NS6detail17trampoline_kernelINS0_14default_configENS1_20scan_config_selectorIN3c108BFloat16EEEZZNS1_9scan_implILNS1_25lookback_scan_determinismE0ELb0ELb0ES3_PKS6_PS6_S6_ZZZN2at6native31launch_logcumsumexp_cuda_kernelERKNSD_10TensorBaseESH_lENKUlvE_clEvENKUlvE4_clEvEUlS6_S6_E_S6_EEDaPvRmT3_T4_T5_mT6_P12ihipStream_tbENKUlT_T0_E_clISt17integral_constantIbLb0EESY_EEDaST_SU_EUlST_E0_NS1_11comp_targetILNS1_3genE9ELNS1_11target_archE1100ELNS1_3gpuE3ELNS1_3repE0EEENS1_30default_config_static_selectorELNS0_4arch9wavefront6targetE0EEEvT1_.num_named_barrier, 0
	.set _ZN7rocprim17ROCPRIM_400000_NS6detail17trampoline_kernelINS0_14default_configENS1_20scan_config_selectorIN3c108BFloat16EEEZZNS1_9scan_implILNS1_25lookback_scan_determinismE0ELb0ELb0ES3_PKS6_PS6_S6_ZZZN2at6native31launch_logcumsumexp_cuda_kernelERKNSD_10TensorBaseESH_lENKUlvE_clEvENKUlvE4_clEvEUlS6_S6_E_S6_EEDaPvRmT3_T4_T5_mT6_P12ihipStream_tbENKUlT_T0_E_clISt17integral_constantIbLb0EESY_EEDaST_SU_EUlST_E0_NS1_11comp_targetILNS1_3genE9ELNS1_11target_archE1100ELNS1_3gpuE3ELNS1_3repE0EEENS1_30default_config_static_selectorELNS0_4arch9wavefront6targetE0EEEvT1_.private_seg_size, 0
	.set _ZN7rocprim17ROCPRIM_400000_NS6detail17trampoline_kernelINS0_14default_configENS1_20scan_config_selectorIN3c108BFloat16EEEZZNS1_9scan_implILNS1_25lookback_scan_determinismE0ELb0ELb0ES3_PKS6_PS6_S6_ZZZN2at6native31launch_logcumsumexp_cuda_kernelERKNSD_10TensorBaseESH_lENKUlvE_clEvENKUlvE4_clEvEUlS6_S6_E_S6_EEDaPvRmT3_T4_T5_mT6_P12ihipStream_tbENKUlT_T0_E_clISt17integral_constantIbLb0EESY_EEDaST_SU_EUlST_E0_NS1_11comp_targetILNS1_3genE9ELNS1_11target_archE1100ELNS1_3gpuE3ELNS1_3repE0EEENS1_30default_config_static_selectorELNS0_4arch9wavefront6targetE0EEEvT1_.uses_vcc, 0
	.set _ZN7rocprim17ROCPRIM_400000_NS6detail17trampoline_kernelINS0_14default_configENS1_20scan_config_selectorIN3c108BFloat16EEEZZNS1_9scan_implILNS1_25lookback_scan_determinismE0ELb0ELb0ES3_PKS6_PS6_S6_ZZZN2at6native31launch_logcumsumexp_cuda_kernelERKNSD_10TensorBaseESH_lENKUlvE_clEvENKUlvE4_clEvEUlS6_S6_E_S6_EEDaPvRmT3_T4_T5_mT6_P12ihipStream_tbENKUlT_T0_E_clISt17integral_constantIbLb0EESY_EEDaST_SU_EUlST_E0_NS1_11comp_targetILNS1_3genE9ELNS1_11target_archE1100ELNS1_3gpuE3ELNS1_3repE0EEENS1_30default_config_static_selectorELNS0_4arch9wavefront6targetE0EEEvT1_.uses_flat_scratch, 0
	.set _ZN7rocprim17ROCPRIM_400000_NS6detail17trampoline_kernelINS0_14default_configENS1_20scan_config_selectorIN3c108BFloat16EEEZZNS1_9scan_implILNS1_25lookback_scan_determinismE0ELb0ELb0ES3_PKS6_PS6_S6_ZZZN2at6native31launch_logcumsumexp_cuda_kernelERKNSD_10TensorBaseESH_lENKUlvE_clEvENKUlvE4_clEvEUlS6_S6_E_S6_EEDaPvRmT3_T4_T5_mT6_P12ihipStream_tbENKUlT_T0_E_clISt17integral_constantIbLb0EESY_EEDaST_SU_EUlST_E0_NS1_11comp_targetILNS1_3genE9ELNS1_11target_archE1100ELNS1_3gpuE3ELNS1_3repE0EEENS1_30default_config_static_selectorELNS0_4arch9wavefront6targetE0EEEvT1_.has_dyn_sized_stack, 0
	.set _ZN7rocprim17ROCPRIM_400000_NS6detail17trampoline_kernelINS0_14default_configENS1_20scan_config_selectorIN3c108BFloat16EEEZZNS1_9scan_implILNS1_25lookback_scan_determinismE0ELb0ELb0ES3_PKS6_PS6_S6_ZZZN2at6native31launch_logcumsumexp_cuda_kernelERKNSD_10TensorBaseESH_lENKUlvE_clEvENKUlvE4_clEvEUlS6_S6_E_S6_EEDaPvRmT3_T4_T5_mT6_P12ihipStream_tbENKUlT_T0_E_clISt17integral_constantIbLb0EESY_EEDaST_SU_EUlST_E0_NS1_11comp_targetILNS1_3genE9ELNS1_11target_archE1100ELNS1_3gpuE3ELNS1_3repE0EEENS1_30default_config_static_selectorELNS0_4arch9wavefront6targetE0EEEvT1_.has_recursion, 0
	.set _ZN7rocprim17ROCPRIM_400000_NS6detail17trampoline_kernelINS0_14default_configENS1_20scan_config_selectorIN3c108BFloat16EEEZZNS1_9scan_implILNS1_25lookback_scan_determinismE0ELb0ELb0ES3_PKS6_PS6_S6_ZZZN2at6native31launch_logcumsumexp_cuda_kernelERKNSD_10TensorBaseESH_lENKUlvE_clEvENKUlvE4_clEvEUlS6_S6_E_S6_EEDaPvRmT3_T4_T5_mT6_P12ihipStream_tbENKUlT_T0_E_clISt17integral_constantIbLb0EESY_EEDaST_SU_EUlST_E0_NS1_11comp_targetILNS1_3genE9ELNS1_11target_archE1100ELNS1_3gpuE3ELNS1_3repE0EEENS1_30default_config_static_selectorELNS0_4arch9wavefront6targetE0EEEvT1_.has_indirect_call, 0
	.section	.AMDGPU.csdata,"",@progbits
; Kernel info:
; codeLenInByte = 0
; TotalNumSgprs: 0
; NumVgprs: 0
; ScratchSize: 0
; MemoryBound: 0
; FloatMode: 240
; IeeeMode: 1
; LDSByteSize: 0 bytes/workgroup (compile time only)
; SGPRBlocks: 0
; VGPRBlocks: 0
; NumSGPRsForWavesPerEU: 1
; NumVGPRsForWavesPerEU: 1
; Occupancy: 16
; WaveLimiterHint : 0
; COMPUTE_PGM_RSRC2:SCRATCH_EN: 0
; COMPUTE_PGM_RSRC2:USER_SGPR: 6
; COMPUTE_PGM_RSRC2:TRAP_HANDLER: 0
; COMPUTE_PGM_RSRC2:TGID_X_EN: 1
; COMPUTE_PGM_RSRC2:TGID_Y_EN: 0
; COMPUTE_PGM_RSRC2:TGID_Z_EN: 0
; COMPUTE_PGM_RSRC2:TIDIG_COMP_CNT: 0
	.section	.text._ZN7rocprim17ROCPRIM_400000_NS6detail17trampoline_kernelINS0_14default_configENS1_20scan_config_selectorIN3c108BFloat16EEEZZNS1_9scan_implILNS1_25lookback_scan_determinismE0ELb0ELb0ES3_PKS6_PS6_S6_ZZZN2at6native31launch_logcumsumexp_cuda_kernelERKNSD_10TensorBaseESH_lENKUlvE_clEvENKUlvE4_clEvEUlS6_S6_E_S6_EEDaPvRmT3_T4_T5_mT6_P12ihipStream_tbENKUlT_T0_E_clISt17integral_constantIbLb0EESY_EEDaST_SU_EUlST_E0_NS1_11comp_targetILNS1_3genE8ELNS1_11target_archE1030ELNS1_3gpuE2ELNS1_3repE0EEENS1_30default_config_static_selectorELNS0_4arch9wavefront6targetE0EEEvT1_,"axG",@progbits,_ZN7rocprim17ROCPRIM_400000_NS6detail17trampoline_kernelINS0_14default_configENS1_20scan_config_selectorIN3c108BFloat16EEEZZNS1_9scan_implILNS1_25lookback_scan_determinismE0ELb0ELb0ES3_PKS6_PS6_S6_ZZZN2at6native31launch_logcumsumexp_cuda_kernelERKNSD_10TensorBaseESH_lENKUlvE_clEvENKUlvE4_clEvEUlS6_S6_E_S6_EEDaPvRmT3_T4_T5_mT6_P12ihipStream_tbENKUlT_T0_E_clISt17integral_constantIbLb0EESY_EEDaST_SU_EUlST_E0_NS1_11comp_targetILNS1_3genE8ELNS1_11target_archE1030ELNS1_3gpuE2ELNS1_3repE0EEENS1_30default_config_static_selectorELNS0_4arch9wavefront6targetE0EEEvT1_,comdat
	.globl	_ZN7rocprim17ROCPRIM_400000_NS6detail17trampoline_kernelINS0_14default_configENS1_20scan_config_selectorIN3c108BFloat16EEEZZNS1_9scan_implILNS1_25lookback_scan_determinismE0ELb0ELb0ES3_PKS6_PS6_S6_ZZZN2at6native31launch_logcumsumexp_cuda_kernelERKNSD_10TensorBaseESH_lENKUlvE_clEvENKUlvE4_clEvEUlS6_S6_E_S6_EEDaPvRmT3_T4_T5_mT6_P12ihipStream_tbENKUlT_T0_E_clISt17integral_constantIbLb0EESY_EEDaST_SU_EUlST_E0_NS1_11comp_targetILNS1_3genE8ELNS1_11target_archE1030ELNS1_3gpuE2ELNS1_3repE0EEENS1_30default_config_static_selectorELNS0_4arch9wavefront6targetE0EEEvT1_ ; -- Begin function _ZN7rocprim17ROCPRIM_400000_NS6detail17trampoline_kernelINS0_14default_configENS1_20scan_config_selectorIN3c108BFloat16EEEZZNS1_9scan_implILNS1_25lookback_scan_determinismE0ELb0ELb0ES3_PKS6_PS6_S6_ZZZN2at6native31launch_logcumsumexp_cuda_kernelERKNSD_10TensorBaseESH_lENKUlvE_clEvENKUlvE4_clEvEUlS6_S6_E_S6_EEDaPvRmT3_T4_T5_mT6_P12ihipStream_tbENKUlT_T0_E_clISt17integral_constantIbLb0EESY_EEDaST_SU_EUlST_E0_NS1_11comp_targetILNS1_3genE8ELNS1_11target_archE1030ELNS1_3gpuE2ELNS1_3repE0EEENS1_30default_config_static_selectorELNS0_4arch9wavefront6targetE0EEEvT1_
	.p2align	8
	.type	_ZN7rocprim17ROCPRIM_400000_NS6detail17trampoline_kernelINS0_14default_configENS1_20scan_config_selectorIN3c108BFloat16EEEZZNS1_9scan_implILNS1_25lookback_scan_determinismE0ELb0ELb0ES3_PKS6_PS6_S6_ZZZN2at6native31launch_logcumsumexp_cuda_kernelERKNSD_10TensorBaseESH_lENKUlvE_clEvENKUlvE4_clEvEUlS6_S6_E_S6_EEDaPvRmT3_T4_T5_mT6_P12ihipStream_tbENKUlT_T0_E_clISt17integral_constantIbLb0EESY_EEDaST_SU_EUlST_E0_NS1_11comp_targetILNS1_3genE8ELNS1_11target_archE1030ELNS1_3gpuE2ELNS1_3repE0EEENS1_30default_config_static_selectorELNS0_4arch9wavefront6targetE0EEEvT1_,@function
_ZN7rocprim17ROCPRIM_400000_NS6detail17trampoline_kernelINS0_14default_configENS1_20scan_config_selectorIN3c108BFloat16EEEZZNS1_9scan_implILNS1_25lookback_scan_determinismE0ELb0ELb0ES3_PKS6_PS6_S6_ZZZN2at6native31launch_logcumsumexp_cuda_kernelERKNSD_10TensorBaseESH_lENKUlvE_clEvENKUlvE4_clEvEUlS6_S6_E_S6_EEDaPvRmT3_T4_T5_mT6_P12ihipStream_tbENKUlT_T0_E_clISt17integral_constantIbLb0EESY_EEDaST_SU_EUlST_E0_NS1_11comp_targetILNS1_3genE8ELNS1_11target_archE1030ELNS1_3gpuE2ELNS1_3repE0EEENS1_30default_config_static_selectorELNS0_4arch9wavefront6targetE0EEEvT1_: ; @_ZN7rocprim17ROCPRIM_400000_NS6detail17trampoline_kernelINS0_14default_configENS1_20scan_config_selectorIN3c108BFloat16EEEZZNS1_9scan_implILNS1_25lookback_scan_determinismE0ELb0ELb0ES3_PKS6_PS6_S6_ZZZN2at6native31launch_logcumsumexp_cuda_kernelERKNSD_10TensorBaseESH_lENKUlvE_clEvENKUlvE4_clEvEUlS6_S6_E_S6_EEDaPvRmT3_T4_T5_mT6_P12ihipStream_tbENKUlT_T0_E_clISt17integral_constantIbLb0EESY_EEDaST_SU_EUlST_E0_NS1_11comp_targetILNS1_3genE8ELNS1_11target_archE1030ELNS1_3gpuE2ELNS1_3repE0EEENS1_30default_config_static_selectorELNS0_4arch9wavefront6targetE0EEEvT1_
; %bb.0:
	s_load_dwordx4 s[16:19], s[4:5], 0x0
	v_mov_b32_e32 v1, 0
	v_lshlrev_b32_e32 v7, 1, v0
	s_waitcnt lgkmcnt(0)
	global_load_ushort v1, v1, s[16:17]
	v_cmp_gt_u32_e64 s0, s18, v0
	s_waitcnt vmcnt(0)
	v_mov_b32_e32 v2, v1
	s_and_saveexec_b32 s1, s0
	s_cbranch_execz .LBB463_2
; %bb.1:
	global_load_ushort v2, v7, s[16:17]
.LBB463_2:
	s_or_b32 exec_lo, exec_lo, s1
	v_or_b32_e32 v3, 64, v0
	v_cmp_gt_u32_e64 s1, s18, v3
	v_mov_b32_e32 v3, v1
	s_and_saveexec_b32 s2, s1
	s_cbranch_execz .LBB463_4
; %bb.3:
	global_load_ushort v3, v7, s[16:17] offset:128
.LBB463_4:
	s_or_b32 exec_lo, exec_lo, s2
	v_or_b32_e32 v4, 0x80, v0
	v_cmp_gt_u32_e64 s2, s18, v4
	v_mov_b32_e32 v4, v1
	s_and_saveexec_b32 s3, s2
	s_cbranch_execz .LBB463_6
; %bb.5:
	global_load_ushort v4, v7, s[16:17] offset:256
.LBB463_6:
	;; [unrolled: 9-line block ×10, first 2 shown]
	s_or_b32 exec_lo, exec_lo, s13
	v_or_b32_e32 v14, 0x2c0, v0
	s_mov_b32 s14, exec_lo
	v_cmp_gt_u32_e64 s13, s18, v14
	v_cmpx_le_u32_e64 s18, v14
	s_xor_b32 s14, exec_lo, s14
	s_andn2_saveexec_b32 s14, s14
	s_cbranch_execz .LBB463_24
; %bb.23:
	v_lshlrev_b32_e32 v1, 1, v0
	global_load_ushort v1, v1, s[16:17] offset:1408
.LBB463_24:
	s_or_b32 exec_lo, exec_lo, s14
	s_waitcnt vmcnt(0)
	ds_write_b16 v7, v2
	ds_write_b16 v7, v3 offset:128
	ds_write_b16 v7, v4 offset:256
	;; [unrolled: 1-line block ×10, first 2 shown]
	v_mad_u32_u24 v5, v0, 22, v7
	ds_write_b16 v7, v1 offset:1408
	s_waitcnt lgkmcnt(0)
	s_barrier
	buffer_gl0_inv
	ds_read2_b64 v[1:4], v5 offset1:1
	ds_read_b64 v[5:6], v5 offset:16
	s_waitcnt lgkmcnt(0)
	s_barrier
	buffer_gl0_inv
	v_and_b32_e32 v8, 0xffff0000, v1
	v_lshlrev_b32_e32 v25, 16, v1
	v_max_f32_e32 v14, v8, v8
	v_max_f32_e32 v28, v25, v25
	v_cmp_u_f32_e64 s25, v25, v25
	v_cmp_u_f32_e64 s14, v8, v8
	v_min_f32_e32 v26, v28, v14
	v_max_f32_e32 v27, v28, v14
	v_cndmask_b32_e64 v9, v26, v25, s25
	v_cndmask_b32_e64 v10, v27, v25, s25
	;; [unrolled: 1-line block ×4, first 2 shown]
	v_mov_b32_e32 v10, v25
	v_cmp_class_f32_e64 s15, v11, 0x1f8
	v_cmp_neq_f32_e32 vcc_lo, v11, v9
	s_or_b32 s16, vcc_lo, s15
	s_and_saveexec_b32 s15, s16
	s_cbranch_execz .LBB463_26
; %bb.25:
	v_sub_f32_e32 v10, v11, v9
	s_mov_b32 s16, 0x3e9b6dac
	v_mul_f32_e32 v11, 0x3fb8aa3b, v10
	v_cmp_ngt_f32_e32 vcc_lo, 0xc2ce8ed0, v10
	v_fma_f32 v12, 0x3fb8aa3b, v10, -v11
	v_rndne_f32_e32 v13, v11
	v_fmamk_f32 v12, v10, 0x32a5705f, v12
	v_sub_f32_e32 v11, v11, v13
	v_add_f32_e32 v11, v11, v12
	v_cvt_i32_f32_e32 v12, v13
	v_exp_f32_e32 v11, v11
	v_ldexp_f32 v11, v11, v12
	v_cndmask_b32_e32 v11, 0, v11, vcc_lo
	v_cmp_nlt_f32_e32 vcc_lo, 0x42b17218, v10
	v_cndmask_b32_e32 v12, 0x7f800000, v11, vcc_lo
	v_add_f32_e32 v13, 1.0, v12
	v_cvt_f64_f32_e32 v[10:11], v13
	v_frexp_exp_i32_f64_e32 v10, v[10:11]
	v_frexp_mant_f32_e32 v11, v13
	v_cmp_gt_f32_e32 vcc_lo, 0x3f2aaaab, v11
	v_add_f32_e32 v11, -1.0, v13
	v_sub_f32_e32 v16, v11, v13
	v_sub_f32_e32 v11, v12, v11
	v_add_f32_e32 v16, 1.0, v16
	v_add_f32_e32 v11, v11, v16
	v_subrev_co_ci_u32_e64 v10, null, 0, v10, vcc_lo
	v_cmp_neq_f32_e32 vcc_lo, 0x7f800000, v12
	v_sub_nc_u32_e32 v15, 0, v10
	v_cvt_f32_i32_e32 v10, v10
	v_ldexp_f32 v13, v13, v15
	v_ldexp_f32 v11, v11, v15
	v_add_f32_e32 v17, 1.0, v13
	v_add_f32_e32 v15, -1.0, v13
	v_add_f32_e32 v16, -1.0, v17
	v_add_f32_e32 v18, 1.0, v15
	v_sub_f32_e32 v16, v13, v16
	v_sub_f32_e32 v13, v13, v18
	v_add_f32_e32 v16, v11, v16
	v_add_f32_e32 v11, v11, v13
	;; [unrolled: 1-line block ×4, first 2 shown]
	v_rcp_f32_e32 v13, v18
	v_sub_f32_e32 v17, v17, v18
	v_sub_f32_e32 v15, v15, v19
	v_add_f32_e32 v16, v16, v17
	v_add_f32_e32 v11, v11, v15
	v_mul_f32_e32 v20, v19, v13
	v_mul_f32_e32 v21, v18, v20
	v_fma_f32 v17, v20, v18, -v21
	v_fmac_f32_e32 v17, v20, v16
	v_add_f32_e32 v22, v21, v17
	v_sub_f32_e32 v23, v19, v22
	v_sub_f32_e32 v15, v22, v21
	;; [unrolled: 1-line block ×5, first 2 shown]
	v_add_f32_e32 v11, v11, v19
	v_add_f32_e32 v11, v15, v11
	;; [unrolled: 1-line block ×3, first 2 shown]
	v_mul_f32_e32 v17, v13, v15
	v_sub_f32_e32 v22, v23, v15
	v_mul_f32_e32 v19, v18, v17
	v_add_f32_e32 v11, v11, v22
	v_fma_f32 v18, v17, v18, -v19
	v_fmac_f32_e32 v18, v17, v16
	v_add_f32_e32 v16, v19, v18
	v_sub_f32_e32 v21, v15, v16
	v_sub_f32_e32 v19, v16, v19
	;; [unrolled: 1-line block ×5, first 2 shown]
	v_add_f32_e32 v11, v11, v15
	v_add_f32_e32 v15, v20, v17
	;; [unrolled: 1-line block ×3, first 2 shown]
	v_sub_f32_e32 v16, v15, v20
	v_add_f32_e32 v11, v21, v11
	v_sub_f32_e32 v16, v17, v16
	v_mul_f32_e32 v11, v13, v11
	v_add_f32_e32 v11, v16, v11
	v_add_f32_e32 v13, v15, v11
	v_mul_f32_e32 v16, v13, v13
	v_fmaak_f32 v17, s16, v16, 0x3ecc95a3
	v_mul_f32_e32 v18, v13, v16
	v_fmaak_f32 v16, v16, v17, 0x3f2aaada
	v_ldexp_f32 v17, v13, 1
	v_sub_f32_e32 v13, v13, v15
	v_mul_f32_e32 v16, v18, v16
	v_mul_f32_e32 v18, 0x3f317218, v10
	v_sub_f32_e32 v11, v11, v13
	v_add_f32_e32 v15, v17, v16
	v_ldexp_f32 v11, v11, 1
	v_sub_f32_e32 v13, v15, v17
	v_fma_f32 v17, 0x3f317218, v10, -v18
	v_sub_f32_e32 v13, v16, v13
	v_fmamk_f32 v10, v10, 0xb102e308, v17
	v_add_f32_e32 v11, v11, v13
	v_add_f32_e32 v13, v18, v10
	;; [unrolled: 1-line block ×3, first 2 shown]
	v_sub_f32_e32 v18, v13, v18
	v_add_f32_e32 v17, v13, v16
	v_sub_f32_e32 v15, v16, v15
	v_sub_f32_e32 v10, v10, v18
	;; [unrolled: 1-line block ×6, first 2 shown]
	v_add_f32_e32 v16, v10, v11
	v_sub_f32_e32 v13, v13, v20
	v_add_f32_e32 v13, v15, v13
	v_sub_f32_e32 v15, v16, v10
	;; [unrolled: 2-line block ×3, first 2 shown]
	v_sub_f32_e32 v11, v11, v15
	v_add_f32_e32 v18, v17, v13
	v_sub_f32_e32 v10, v10, v16
	v_sub_f32_e32 v15, v18, v17
	v_add_f32_e32 v10, v11, v10
	v_sub_f32_e32 v11, v13, v15
	v_add_f32_e32 v10, v10, v11
	v_add_f32_e32 v10, v18, v10
	v_cndmask_b32_e32 v10, 0x7f800000, v10, vcc_lo
	v_cmp_gt_f32_e64 vcc_lo, 0x33800000, |v12|
	v_cndmask_b32_e32 v10, v10, v12, vcc_lo
	v_add_f32_e32 v10, v9, v10
.LBB463_26:
	s_or_b32 exec_lo, exec_lo, s15
	v_bfe_u32 v9, v10, 16, 1
	v_cmp_o_f32_e32 vcc_lo, v10, v10
	v_add3_u32 v9, v10, v9, 0x7fff
	v_and_b32_e32 v11, 0xffff0000, v9
	v_lshlrev_b32_e32 v9, 16, v2
	v_cndmask_b32_e32 v12, 0x7fc00000, v11, vcc_lo
	v_max_f32_e32 v11, v9, v9
	v_cmp_u_f32_e64 s15, v9, v9
	v_max_f32_e32 v10, v12, v12
	v_cmp_u_f32_e32 vcc_lo, v12, v12
	v_min_f32_e32 v13, v10, v11
	v_max_f32_e32 v10, v10, v11
	v_cndmask_b32_e32 v13, v13, v12, vcc_lo
	v_cndmask_b32_e32 v10, v10, v12, vcc_lo
	v_cndmask_b32_e64 v13, v13, v9, s15
	v_cndmask_b32_e64 v10, v10, v9, s15
	v_cmp_class_f32_e64 s16, v13, 0x1f8
	v_cmp_neq_f32_e32 vcc_lo, v13, v10
	s_or_b32 s17, vcc_lo, s16
	s_and_saveexec_b32 s16, s17
	s_cbranch_execz .LBB463_28
; %bb.27:
	v_sub_f32_e32 v12, v13, v10
	s_mov_b32 s17, 0x3e9b6dac
	v_mul_f32_e32 v13, 0x3fb8aa3b, v12
	v_cmp_ngt_f32_e32 vcc_lo, 0xc2ce8ed0, v12
	v_fma_f32 v15, 0x3fb8aa3b, v12, -v13
	v_rndne_f32_e32 v16, v13
	v_fmamk_f32 v15, v12, 0x32a5705f, v15
	v_sub_f32_e32 v13, v13, v16
	v_add_f32_e32 v13, v13, v15
	v_cvt_i32_f32_e32 v15, v16
	v_exp_f32_e32 v13, v13
	v_ldexp_f32 v13, v13, v15
	v_cndmask_b32_e32 v13, 0, v13, vcc_lo
	v_cmp_nlt_f32_e32 vcc_lo, 0x42b17218, v12
	v_cndmask_b32_e32 v15, 0x7f800000, v13, vcc_lo
	v_add_f32_e32 v16, 1.0, v15
	v_cvt_f64_f32_e32 v[12:13], v16
	v_frexp_exp_i32_f64_e32 v12, v[12:13]
	v_frexp_mant_f32_e32 v13, v16
	v_cmp_gt_f32_e32 vcc_lo, 0x3f2aaaab, v13
	v_add_f32_e32 v13, -1.0, v16
	v_sub_f32_e32 v18, v13, v16
	v_sub_f32_e32 v13, v15, v13
	v_add_f32_e32 v18, 1.0, v18
	v_add_f32_e32 v13, v13, v18
	v_subrev_co_ci_u32_e64 v12, null, 0, v12, vcc_lo
	v_cmp_neq_f32_e32 vcc_lo, 0x7f800000, v15
	v_sub_nc_u32_e32 v17, 0, v12
	v_cvt_f32_i32_e32 v12, v12
	v_ldexp_f32 v16, v16, v17
	v_ldexp_f32 v13, v13, v17
	v_add_f32_e32 v19, 1.0, v16
	v_add_f32_e32 v17, -1.0, v16
	v_add_f32_e32 v18, -1.0, v19
	v_add_f32_e32 v20, 1.0, v17
	v_sub_f32_e32 v18, v16, v18
	v_sub_f32_e32 v16, v16, v20
	v_add_f32_e32 v18, v13, v18
	v_add_f32_e32 v13, v13, v16
	;; [unrolled: 1-line block ×4, first 2 shown]
	v_rcp_f32_e32 v16, v20
	v_sub_f32_e32 v19, v19, v20
	v_sub_f32_e32 v17, v17, v21
	v_add_f32_e32 v18, v18, v19
	v_add_f32_e32 v13, v13, v17
	v_mul_f32_e32 v22, v21, v16
	v_mul_f32_e32 v23, v20, v22
	v_fma_f32 v19, v22, v20, -v23
	v_fmac_f32_e32 v19, v22, v18
	v_add_f32_e32 v24, v23, v19
	v_sub_f32_e32 v29, v21, v24
	v_sub_f32_e32 v17, v24, v23
	;; [unrolled: 1-line block ×5, first 2 shown]
	v_add_f32_e32 v13, v13, v21
	v_add_f32_e32 v13, v17, v13
	;; [unrolled: 1-line block ×3, first 2 shown]
	v_mul_f32_e32 v19, v16, v17
	v_sub_f32_e32 v24, v29, v17
	v_mul_f32_e32 v21, v20, v19
	v_add_f32_e32 v13, v13, v24
	v_fma_f32 v20, v19, v20, -v21
	v_fmac_f32_e32 v20, v19, v18
	v_add_f32_e32 v18, v21, v20
	v_sub_f32_e32 v23, v17, v18
	v_sub_f32_e32 v21, v18, v21
	;; [unrolled: 1-line block ×5, first 2 shown]
	v_add_f32_e32 v13, v13, v17
	v_add_f32_e32 v17, v22, v19
	;; [unrolled: 1-line block ×3, first 2 shown]
	v_sub_f32_e32 v18, v17, v22
	v_add_f32_e32 v13, v23, v13
	v_sub_f32_e32 v18, v19, v18
	v_mul_f32_e32 v13, v16, v13
	v_add_f32_e32 v13, v18, v13
	v_add_f32_e32 v16, v17, v13
	v_mul_f32_e32 v18, v16, v16
	v_fmaak_f32 v19, s17, v18, 0x3ecc95a3
	v_mul_f32_e32 v20, v16, v18
	v_fmaak_f32 v18, v18, v19, 0x3f2aaada
	v_ldexp_f32 v19, v16, 1
	v_sub_f32_e32 v16, v16, v17
	v_mul_f32_e32 v18, v20, v18
	v_mul_f32_e32 v20, 0x3f317218, v12
	v_sub_f32_e32 v13, v13, v16
	v_add_f32_e32 v17, v19, v18
	v_ldexp_f32 v13, v13, 1
	v_sub_f32_e32 v16, v17, v19
	v_fma_f32 v19, 0x3f317218, v12, -v20
	v_sub_f32_e32 v16, v18, v16
	v_fmamk_f32 v12, v12, 0xb102e308, v19
	v_add_f32_e32 v13, v13, v16
	v_add_f32_e32 v16, v20, v12
	;; [unrolled: 1-line block ×3, first 2 shown]
	v_sub_f32_e32 v20, v16, v20
	v_add_f32_e32 v19, v16, v18
	v_sub_f32_e32 v17, v18, v17
	v_sub_f32_e32 v12, v12, v20
	;; [unrolled: 1-line block ×6, first 2 shown]
	v_add_f32_e32 v18, v12, v13
	v_sub_f32_e32 v16, v16, v22
	v_add_f32_e32 v16, v17, v16
	v_sub_f32_e32 v17, v18, v12
	;; [unrolled: 2-line block ×3, first 2 shown]
	v_sub_f32_e32 v13, v13, v17
	v_add_f32_e32 v20, v19, v16
	v_sub_f32_e32 v12, v12, v18
	v_sub_f32_e32 v17, v20, v19
	v_add_f32_e32 v12, v13, v12
	v_sub_f32_e32 v13, v16, v17
	v_add_f32_e32 v12, v12, v13
	v_add_f32_e32 v12, v20, v12
	v_cndmask_b32_e32 v12, 0x7f800000, v12, vcc_lo
	v_cmp_gt_f32_e64 vcc_lo, 0x33800000, |v15|
	v_cndmask_b32_e32 v12, v12, v15, vcc_lo
	v_add_f32_e32 v12, v10, v12
.LBB463_28:
	s_or_b32 exec_lo, exec_lo, s16
	v_bfe_u32 v10, v12, 16, 1
	v_cmp_o_f32_e32 vcc_lo, v12, v12
	v_and_b32_e32 v2, 0xffff0000, v2
	v_add3_u32 v10, v12, v10, 0x7fff
	v_max_f32_e32 v13, v2, v2
	v_cmp_u_f32_e64 s16, v2, v2
	v_and_b32_e32 v10, 0xffff0000, v10
	v_cndmask_b32_e32 v12, 0x7fc00000, v10, vcc_lo
	v_max_f32_e32 v10, v12, v12
	v_cmp_u_f32_e32 vcc_lo, v12, v12
	v_min_f32_e32 v15, v10, v13
	v_max_f32_e32 v10, v10, v13
	v_cndmask_b32_e32 v15, v15, v12, vcc_lo
	v_cndmask_b32_e32 v10, v10, v12, vcc_lo
	v_cndmask_b32_e64 v15, v15, v2, s16
	v_cndmask_b32_e64 v10, v10, v2, s16
	v_cmp_class_f32_e64 s17, v15, 0x1f8
	v_cmp_neq_f32_e32 vcc_lo, v15, v10
	s_or_b32 s18, vcc_lo, s17
	s_and_saveexec_b32 s17, s18
	s_cbranch_execz .LBB463_30
; %bb.29:
	v_sub_f32_e32 v12, v15, v10
	s_mov_b32 s18, 0x3e9b6dac
	v_mul_f32_e32 v15, 0x3fb8aa3b, v12
	v_cmp_ngt_f32_e32 vcc_lo, 0xc2ce8ed0, v12
	v_fma_f32 v16, 0x3fb8aa3b, v12, -v15
	v_rndne_f32_e32 v17, v15
	v_fmamk_f32 v16, v12, 0x32a5705f, v16
	v_sub_f32_e32 v15, v15, v17
	v_add_f32_e32 v15, v15, v16
	v_cvt_i32_f32_e32 v16, v17
	v_exp_f32_e32 v15, v15
	v_ldexp_f32 v15, v15, v16
	v_cndmask_b32_e32 v15, 0, v15, vcc_lo
	v_cmp_nlt_f32_e32 vcc_lo, 0x42b17218, v12
	v_cndmask_b32_e32 v12, 0x7f800000, v15, vcc_lo
	v_add_f32_e32 v17, 1.0, v12
	v_cvt_f64_f32_e32 v[15:16], v17
	v_frexp_exp_i32_f64_e32 v15, v[15:16]
	v_frexp_mant_f32_e32 v16, v17
	v_cmp_gt_f32_e32 vcc_lo, 0x3f2aaaab, v16
	v_add_f32_e32 v16, -1.0, v17
	v_sub_f32_e32 v19, v16, v17
	v_sub_f32_e32 v16, v12, v16
	v_add_f32_e32 v19, 1.0, v19
	v_add_f32_e32 v16, v16, v19
	v_subrev_co_ci_u32_e64 v15, null, 0, v15, vcc_lo
	v_cmp_neq_f32_e32 vcc_lo, 0x7f800000, v12
	v_sub_nc_u32_e32 v18, 0, v15
	v_cvt_f32_i32_e32 v15, v15
	v_ldexp_f32 v17, v17, v18
	v_ldexp_f32 v16, v16, v18
	v_add_f32_e32 v20, 1.0, v17
	v_add_f32_e32 v18, -1.0, v17
	v_add_f32_e32 v19, -1.0, v20
	v_add_f32_e32 v21, 1.0, v18
	v_sub_f32_e32 v19, v17, v19
	v_sub_f32_e32 v17, v17, v21
	v_add_f32_e32 v19, v16, v19
	v_add_f32_e32 v16, v16, v17
	;; [unrolled: 1-line block ×4, first 2 shown]
	v_rcp_f32_e32 v17, v21
	v_sub_f32_e32 v20, v20, v21
	v_sub_f32_e32 v18, v18, v22
	v_add_f32_e32 v19, v19, v20
	v_add_f32_e32 v16, v16, v18
	v_mul_f32_e32 v23, v22, v17
	v_mul_f32_e32 v24, v21, v23
	v_fma_f32 v20, v23, v21, -v24
	v_fmac_f32_e32 v20, v23, v19
	v_add_f32_e32 v29, v24, v20
	v_sub_f32_e32 v30, v22, v29
	v_sub_f32_e32 v18, v29, v24
	;; [unrolled: 1-line block ×5, first 2 shown]
	v_add_f32_e32 v16, v16, v22
	v_add_f32_e32 v16, v18, v16
	;; [unrolled: 1-line block ×3, first 2 shown]
	v_mul_f32_e32 v20, v17, v18
	v_sub_f32_e32 v29, v30, v18
	v_mul_f32_e32 v22, v21, v20
	v_add_f32_e32 v16, v16, v29
	v_fma_f32 v21, v20, v21, -v22
	v_fmac_f32_e32 v21, v20, v19
	v_add_f32_e32 v19, v22, v21
	v_sub_f32_e32 v24, v18, v19
	v_sub_f32_e32 v22, v19, v22
	;; [unrolled: 1-line block ×5, first 2 shown]
	v_add_f32_e32 v16, v16, v18
	v_add_f32_e32 v18, v23, v20
	;; [unrolled: 1-line block ×3, first 2 shown]
	v_sub_f32_e32 v19, v18, v23
	v_add_f32_e32 v16, v24, v16
	v_sub_f32_e32 v19, v20, v19
	v_mul_f32_e32 v16, v17, v16
	v_add_f32_e32 v16, v19, v16
	v_add_f32_e32 v17, v18, v16
	v_mul_f32_e32 v19, v17, v17
	v_fmaak_f32 v20, s18, v19, 0x3ecc95a3
	v_mul_f32_e32 v21, v17, v19
	v_fmaak_f32 v19, v19, v20, 0x3f2aaada
	v_ldexp_f32 v20, v17, 1
	v_sub_f32_e32 v17, v17, v18
	v_mul_f32_e32 v19, v21, v19
	v_mul_f32_e32 v21, 0x3f317218, v15
	v_sub_f32_e32 v16, v16, v17
	v_add_f32_e32 v18, v20, v19
	v_ldexp_f32 v16, v16, 1
	v_sub_f32_e32 v17, v18, v20
	v_fma_f32 v20, 0x3f317218, v15, -v21
	v_sub_f32_e32 v17, v19, v17
	v_fmamk_f32 v15, v15, 0xb102e308, v20
	v_add_f32_e32 v16, v16, v17
	v_add_f32_e32 v17, v21, v15
	;; [unrolled: 1-line block ×3, first 2 shown]
	v_sub_f32_e32 v21, v17, v21
	v_add_f32_e32 v20, v17, v19
	v_sub_f32_e32 v18, v19, v18
	v_sub_f32_e32 v15, v15, v21
	;; [unrolled: 1-line block ×6, first 2 shown]
	v_add_f32_e32 v19, v15, v16
	v_sub_f32_e32 v17, v17, v23
	v_add_f32_e32 v17, v18, v17
	v_sub_f32_e32 v18, v19, v15
	;; [unrolled: 2-line block ×3, first 2 shown]
	v_sub_f32_e32 v16, v16, v18
	v_add_f32_e32 v21, v20, v17
	v_sub_f32_e32 v15, v15, v19
	v_sub_f32_e32 v18, v21, v20
	v_add_f32_e32 v15, v16, v15
	v_sub_f32_e32 v16, v17, v18
	v_add_f32_e32 v15, v15, v16
	v_add_f32_e32 v15, v21, v15
	v_cndmask_b32_e32 v15, 0x7f800000, v15, vcc_lo
	v_cmp_gt_f32_e64 vcc_lo, 0x33800000, |v12|
	v_cndmask_b32_e32 v12, v15, v12, vcc_lo
	v_add_f32_e32 v12, v10, v12
.LBB463_30:
	s_or_b32 exec_lo, exec_lo, s17
	v_bfe_u32 v10, v12, 16, 1
	v_cmp_o_f32_e32 vcc_lo, v12, v12
	v_add3_u32 v10, v12, v10, 0x7fff
	v_and_b32_e32 v15, 0xffff0000, v10
	v_lshlrev_b32_e32 v10, 16, v3
	v_cndmask_b32_e32 v16, 0x7fc00000, v15, vcc_lo
	v_max_f32_e32 v15, v10, v10
	v_cmp_u_f32_e64 s17, v10, v10
	v_max_f32_e32 v12, v16, v16
	v_cmp_u_f32_e32 vcc_lo, v16, v16
	v_min_f32_e32 v17, v12, v15
	v_max_f32_e32 v12, v12, v15
	v_cndmask_b32_e32 v17, v17, v16, vcc_lo
	v_cndmask_b32_e32 v12, v12, v16, vcc_lo
	v_cndmask_b32_e64 v17, v17, v10, s17
	v_cndmask_b32_e64 v12, v12, v10, s17
	v_cmp_class_f32_e64 s18, v17, 0x1f8
	v_cmp_neq_f32_e32 vcc_lo, v17, v12
	s_or_b32 s19, vcc_lo, s18
	s_and_saveexec_b32 s18, s19
	s_cbranch_execz .LBB463_32
; %bb.31:
	v_sub_f32_e32 v16, v17, v12
	s_mov_b32 s19, 0x3e9b6dac
	v_mul_f32_e32 v17, 0x3fb8aa3b, v16
	v_cmp_ngt_f32_e32 vcc_lo, 0xc2ce8ed0, v16
	v_fma_f32 v18, 0x3fb8aa3b, v16, -v17
	v_rndne_f32_e32 v19, v17
	v_fmamk_f32 v18, v16, 0x32a5705f, v18
	v_sub_f32_e32 v17, v17, v19
	v_add_f32_e32 v17, v17, v18
	v_cvt_i32_f32_e32 v18, v19
	v_exp_f32_e32 v17, v17
	v_ldexp_f32 v17, v17, v18
	v_cndmask_b32_e32 v17, 0, v17, vcc_lo
	v_cmp_nlt_f32_e32 vcc_lo, 0x42b17218, v16
	v_cndmask_b32_e32 v18, 0x7f800000, v17, vcc_lo
	v_add_f32_e32 v19, 1.0, v18
	v_cvt_f64_f32_e32 v[16:17], v19
	v_frexp_exp_i32_f64_e32 v16, v[16:17]
	v_frexp_mant_f32_e32 v17, v19
	v_cmp_gt_f32_e32 vcc_lo, 0x3f2aaaab, v17
	v_add_f32_e32 v17, -1.0, v19
	v_sub_f32_e32 v21, v17, v19
	v_sub_f32_e32 v17, v18, v17
	v_add_f32_e32 v21, 1.0, v21
	v_add_f32_e32 v17, v17, v21
	v_subrev_co_ci_u32_e64 v16, null, 0, v16, vcc_lo
	v_cmp_neq_f32_e32 vcc_lo, 0x7f800000, v18
	v_sub_nc_u32_e32 v20, 0, v16
	v_cvt_f32_i32_e32 v16, v16
	v_ldexp_f32 v19, v19, v20
	v_ldexp_f32 v17, v17, v20
	v_add_f32_e32 v22, 1.0, v19
	v_add_f32_e32 v20, -1.0, v19
	v_add_f32_e32 v21, -1.0, v22
	v_add_f32_e32 v23, 1.0, v20
	v_sub_f32_e32 v21, v19, v21
	v_sub_f32_e32 v19, v19, v23
	v_add_f32_e32 v21, v17, v21
	v_add_f32_e32 v17, v17, v19
	;; [unrolled: 1-line block ×4, first 2 shown]
	v_rcp_f32_e32 v19, v23
	v_sub_f32_e32 v22, v22, v23
	v_sub_f32_e32 v20, v20, v24
	v_add_f32_e32 v21, v21, v22
	v_add_f32_e32 v17, v17, v20
	v_mul_f32_e32 v29, v24, v19
	v_mul_f32_e32 v30, v23, v29
	v_fma_f32 v22, v29, v23, -v30
	v_fmac_f32_e32 v22, v29, v21
	v_add_f32_e32 v31, v30, v22
	v_sub_f32_e32 v32, v24, v31
	v_sub_f32_e32 v20, v31, v30
	;; [unrolled: 1-line block ×5, first 2 shown]
	v_add_f32_e32 v17, v17, v24
	v_add_f32_e32 v17, v20, v17
	;; [unrolled: 1-line block ×3, first 2 shown]
	v_mul_f32_e32 v22, v19, v20
	v_sub_f32_e32 v31, v32, v20
	v_mul_f32_e32 v24, v23, v22
	v_add_f32_e32 v17, v17, v31
	v_fma_f32 v23, v22, v23, -v24
	v_fmac_f32_e32 v23, v22, v21
	v_add_f32_e32 v21, v24, v23
	v_sub_f32_e32 v30, v20, v21
	v_sub_f32_e32 v24, v21, v24
	;; [unrolled: 1-line block ×5, first 2 shown]
	v_add_f32_e32 v17, v17, v20
	v_add_f32_e32 v20, v29, v22
	;; [unrolled: 1-line block ×3, first 2 shown]
	v_sub_f32_e32 v21, v20, v29
	v_add_f32_e32 v17, v30, v17
	v_sub_f32_e32 v21, v22, v21
	v_mul_f32_e32 v17, v19, v17
	v_add_f32_e32 v17, v21, v17
	v_add_f32_e32 v19, v20, v17
	v_mul_f32_e32 v21, v19, v19
	v_fmaak_f32 v22, s19, v21, 0x3ecc95a3
	v_mul_f32_e32 v23, v19, v21
	v_fmaak_f32 v21, v21, v22, 0x3f2aaada
	v_ldexp_f32 v22, v19, 1
	v_sub_f32_e32 v19, v19, v20
	v_mul_f32_e32 v21, v23, v21
	v_mul_f32_e32 v23, 0x3f317218, v16
	v_sub_f32_e32 v17, v17, v19
	v_add_f32_e32 v20, v22, v21
	v_ldexp_f32 v17, v17, 1
	v_sub_f32_e32 v19, v20, v22
	v_fma_f32 v22, 0x3f317218, v16, -v23
	v_sub_f32_e32 v19, v21, v19
	v_fmamk_f32 v16, v16, 0xb102e308, v22
	v_add_f32_e32 v17, v17, v19
	v_add_f32_e32 v19, v23, v16
	v_add_f32_e32 v21, v20, v17
	v_sub_f32_e32 v23, v19, v23
	v_add_f32_e32 v22, v19, v21
	v_sub_f32_e32 v20, v21, v20
	v_sub_f32_e32 v16, v16, v23
	;; [unrolled: 1-line block ×6, first 2 shown]
	v_add_f32_e32 v21, v16, v17
	v_sub_f32_e32 v19, v19, v29
	v_add_f32_e32 v19, v20, v19
	v_sub_f32_e32 v20, v21, v16
	;; [unrolled: 2-line block ×3, first 2 shown]
	v_sub_f32_e32 v17, v17, v20
	v_add_f32_e32 v23, v22, v19
	v_sub_f32_e32 v16, v16, v21
	v_sub_f32_e32 v20, v23, v22
	v_add_f32_e32 v16, v17, v16
	v_sub_f32_e32 v17, v19, v20
	v_add_f32_e32 v16, v16, v17
	v_add_f32_e32 v16, v23, v16
	v_cndmask_b32_e32 v16, 0x7f800000, v16, vcc_lo
	v_cmp_gt_f32_e64 vcc_lo, 0x33800000, |v18|
	v_cndmask_b32_e32 v16, v16, v18, vcc_lo
	v_add_f32_e32 v16, v12, v16
.LBB463_32:
	s_or_b32 exec_lo, exec_lo, s18
	v_bfe_u32 v12, v16, 16, 1
	v_cmp_o_f32_e32 vcc_lo, v16, v16
	v_and_b32_e32 v3, 0xffff0000, v3
	v_add3_u32 v12, v16, v12, 0x7fff
	v_max_f32_e32 v17, v3, v3
	v_cmp_u_f32_e64 s18, v3, v3
	v_and_b32_e32 v12, 0xffff0000, v12
	v_cndmask_b32_e32 v16, 0x7fc00000, v12, vcc_lo
	v_max_f32_e32 v12, v16, v16
	v_cmp_u_f32_e32 vcc_lo, v16, v16
	v_min_f32_e32 v18, v12, v17
	v_max_f32_e32 v12, v12, v17
	v_cndmask_b32_e32 v18, v18, v16, vcc_lo
	v_cndmask_b32_e32 v12, v12, v16, vcc_lo
	v_cndmask_b32_e64 v18, v18, v3, s18
	v_cndmask_b32_e64 v12, v12, v3, s18
	v_cmp_class_f32_e64 s19, v18, 0x1f8
	v_cmp_neq_f32_e32 vcc_lo, v18, v12
	s_or_b32 s20, vcc_lo, s19
	s_and_saveexec_b32 s19, s20
	s_cbranch_execz .LBB463_34
; %bb.33:
	v_sub_f32_e32 v16, v18, v12
	s_mov_b32 s20, 0x3e9b6dac
	v_mul_f32_e32 v18, 0x3fb8aa3b, v16
	v_cmp_ngt_f32_e32 vcc_lo, 0xc2ce8ed0, v16
	v_fma_f32 v19, 0x3fb8aa3b, v16, -v18
	v_rndne_f32_e32 v20, v18
	v_fmamk_f32 v19, v16, 0x32a5705f, v19
	v_sub_f32_e32 v18, v18, v20
	v_add_f32_e32 v18, v18, v19
	v_cvt_i32_f32_e32 v19, v20
	v_exp_f32_e32 v18, v18
	v_ldexp_f32 v18, v18, v19
	v_cndmask_b32_e32 v18, 0, v18, vcc_lo
	v_cmp_nlt_f32_e32 vcc_lo, 0x42b17218, v16
	v_cndmask_b32_e32 v16, 0x7f800000, v18, vcc_lo
	v_add_f32_e32 v20, 1.0, v16
	v_cvt_f64_f32_e32 v[18:19], v20
	v_frexp_exp_i32_f64_e32 v18, v[18:19]
	v_frexp_mant_f32_e32 v19, v20
	v_cmp_gt_f32_e32 vcc_lo, 0x3f2aaaab, v19
	v_add_f32_e32 v19, -1.0, v20
	v_sub_f32_e32 v22, v19, v20
	v_sub_f32_e32 v19, v16, v19
	v_add_f32_e32 v22, 1.0, v22
	v_add_f32_e32 v19, v19, v22
	v_subrev_co_ci_u32_e64 v18, null, 0, v18, vcc_lo
	v_cmp_neq_f32_e32 vcc_lo, 0x7f800000, v16
	v_sub_nc_u32_e32 v21, 0, v18
	v_cvt_f32_i32_e32 v18, v18
	v_ldexp_f32 v20, v20, v21
	v_ldexp_f32 v19, v19, v21
	v_add_f32_e32 v23, 1.0, v20
	v_add_f32_e32 v21, -1.0, v20
	v_add_f32_e32 v22, -1.0, v23
	v_add_f32_e32 v24, 1.0, v21
	v_sub_f32_e32 v22, v20, v22
	v_sub_f32_e32 v20, v20, v24
	v_add_f32_e32 v22, v19, v22
	v_add_f32_e32 v19, v19, v20
	;; [unrolled: 1-line block ×4, first 2 shown]
	v_rcp_f32_e32 v20, v24
	v_sub_f32_e32 v23, v23, v24
	v_sub_f32_e32 v21, v21, v29
	v_add_f32_e32 v22, v22, v23
	v_add_f32_e32 v19, v19, v21
	v_mul_f32_e32 v30, v29, v20
	v_mul_f32_e32 v31, v24, v30
	v_fma_f32 v23, v30, v24, -v31
	v_fmac_f32_e32 v23, v30, v22
	v_add_f32_e32 v32, v31, v23
	v_sub_f32_e32 v33, v29, v32
	v_sub_f32_e32 v21, v32, v31
	;; [unrolled: 1-line block ×5, first 2 shown]
	v_add_f32_e32 v19, v19, v29
	v_add_f32_e32 v19, v21, v19
	;; [unrolled: 1-line block ×3, first 2 shown]
	v_mul_f32_e32 v23, v20, v21
	v_sub_f32_e32 v32, v33, v21
	v_mul_f32_e32 v29, v24, v23
	v_add_f32_e32 v19, v19, v32
	v_fma_f32 v24, v23, v24, -v29
	v_fmac_f32_e32 v24, v23, v22
	v_add_f32_e32 v22, v29, v24
	v_sub_f32_e32 v31, v21, v22
	v_sub_f32_e32 v29, v22, v29
	;; [unrolled: 1-line block ×5, first 2 shown]
	v_add_f32_e32 v19, v19, v21
	v_add_f32_e32 v21, v30, v23
	;; [unrolled: 1-line block ×3, first 2 shown]
	v_sub_f32_e32 v22, v21, v30
	v_add_f32_e32 v19, v31, v19
	v_sub_f32_e32 v22, v23, v22
	v_mul_f32_e32 v19, v20, v19
	v_add_f32_e32 v19, v22, v19
	v_add_f32_e32 v20, v21, v19
	v_mul_f32_e32 v22, v20, v20
	v_fmaak_f32 v23, s20, v22, 0x3ecc95a3
	v_mul_f32_e32 v24, v20, v22
	v_fmaak_f32 v22, v22, v23, 0x3f2aaada
	v_ldexp_f32 v23, v20, 1
	v_sub_f32_e32 v20, v20, v21
	v_mul_f32_e32 v22, v24, v22
	v_mul_f32_e32 v24, 0x3f317218, v18
	v_sub_f32_e32 v19, v19, v20
	v_add_f32_e32 v21, v23, v22
	v_ldexp_f32 v19, v19, 1
	v_sub_f32_e32 v20, v21, v23
	v_fma_f32 v23, 0x3f317218, v18, -v24
	v_sub_f32_e32 v20, v22, v20
	v_fmamk_f32 v18, v18, 0xb102e308, v23
	v_add_f32_e32 v19, v19, v20
	v_add_f32_e32 v20, v24, v18
	;; [unrolled: 1-line block ×3, first 2 shown]
	v_sub_f32_e32 v24, v20, v24
	v_add_f32_e32 v23, v20, v22
	v_sub_f32_e32 v21, v22, v21
	v_sub_f32_e32 v18, v18, v24
	;; [unrolled: 1-line block ×6, first 2 shown]
	v_add_f32_e32 v22, v18, v19
	v_sub_f32_e32 v20, v20, v30
	v_add_f32_e32 v20, v21, v20
	v_sub_f32_e32 v21, v22, v18
	;; [unrolled: 2-line block ×3, first 2 shown]
	v_sub_f32_e32 v19, v19, v21
	v_add_f32_e32 v24, v23, v20
	v_sub_f32_e32 v18, v18, v22
	v_sub_f32_e32 v21, v24, v23
	v_add_f32_e32 v18, v19, v18
	v_sub_f32_e32 v19, v20, v21
	v_add_f32_e32 v18, v18, v19
	v_add_f32_e32 v18, v24, v18
	v_cndmask_b32_e32 v18, 0x7f800000, v18, vcc_lo
	v_cmp_gt_f32_e64 vcc_lo, 0x33800000, |v16|
	v_cndmask_b32_e32 v16, v18, v16, vcc_lo
	v_add_f32_e32 v16, v12, v16
.LBB463_34:
	s_or_b32 exec_lo, exec_lo, s19
	v_bfe_u32 v12, v16, 16, 1
	v_cmp_o_f32_e32 vcc_lo, v16, v16
	v_add3_u32 v12, v16, v12, 0x7fff
	v_and_b32_e32 v18, 0xffff0000, v12
	v_lshlrev_b32_e32 v12, 16, v4
	v_cndmask_b32_e32 v19, 0x7fc00000, v18, vcc_lo
	v_max_f32_e32 v18, v12, v12
	v_cmp_u_f32_e64 s19, v12, v12
	v_max_f32_e32 v16, v19, v19
	v_cmp_u_f32_e32 vcc_lo, v19, v19
	v_min_f32_e32 v20, v16, v18
	v_max_f32_e32 v16, v16, v18
	v_cndmask_b32_e32 v20, v20, v19, vcc_lo
	v_cndmask_b32_e32 v16, v16, v19, vcc_lo
	v_cndmask_b32_e64 v20, v20, v12, s19
	v_cndmask_b32_e64 v16, v16, v12, s19
	v_cmp_class_f32_e64 s20, v20, 0x1f8
	v_cmp_neq_f32_e32 vcc_lo, v20, v16
	s_or_b32 s21, vcc_lo, s20
	s_and_saveexec_b32 s20, s21
	s_cbranch_execz .LBB463_36
; %bb.35:
	v_sub_f32_e32 v19, v20, v16
	s_mov_b32 s21, 0x3e9b6dac
	v_mul_f32_e32 v20, 0x3fb8aa3b, v19
	v_cmp_ngt_f32_e32 vcc_lo, 0xc2ce8ed0, v19
	v_fma_f32 v21, 0x3fb8aa3b, v19, -v20
	v_rndne_f32_e32 v22, v20
	v_fmamk_f32 v21, v19, 0x32a5705f, v21
	v_sub_f32_e32 v20, v20, v22
	v_add_f32_e32 v20, v20, v21
	v_cvt_i32_f32_e32 v21, v22
	v_exp_f32_e32 v20, v20
	v_ldexp_f32 v20, v20, v21
	v_cndmask_b32_e32 v20, 0, v20, vcc_lo
	v_cmp_nlt_f32_e32 vcc_lo, 0x42b17218, v19
	v_cndmask_b32_e32 v21, 0x7f800000, v20, vcc_lo
	v_add_f32_e32 v22, 1.0, v21
	v_cvt_f64_f32_e32 v[19:20], v22
	v_frexp_exp_i32_f64_e32 v19, v[19:20]
	v_frexp_mant_f32_e32 v20, v22
	v_cmp_gt_f32_e32 vcc_lo, 0x3f2aaaab, v20
	v_add_f32_e32 v20, -1.0, v22
	v_sub_f32_e32 v24, v20, v22
	v_sub_f32_e32 v20, v21, v20
	v_add_f32_e32 v24, 1.0, v24
	v_add_f32_e32 v20, v20, v24
	v_subrev_co_ci_u32_e64 v19, null, 0, v19, vcc_lo
	v_cmp_neq_f32_e32 vcc_lo, 0x7f800000, v21
	v_sub_nc_u32_e32 v23, 0, v19
	v_cvt_f32_i32_e32 v19, v19
	v_ldexp_f32 v22, v22, v23
	v_ldexp_f32 v20, v20, v23
	v_add_f32_e32 v29, 1.0, v22
	v_add_f32_e32 v23, -1.0, v22
	v_add_f32_e32 v24, -1.0, v29
	v_add_f32_e32 v30, 1.0, v23
	v_sub_f32_e32 v24, v22, v24
	v_sub_f32_e32 v22, v22, v30
	v_add_f32_e32 v24, v20, v24
	v_add_f32_e32 v20, v20, v22
	;; [unrolled: 1-line block ×4, first 2 shown]
	v_rcp_f32_e32 v22, v30
	v_sub_f32_e32 v29, v29, v30
	v_sub_f32_e32 v23, v23, v31
	v_add_f32_e32 v24, v24, v29
	v_add_f32_e32 v20, v20, v23
	v_mul_f32_e32 v32, v31, v22
	v_mul_f32_e32 v33, v30, v32
	v_fma_f32 v29, v32, v30, -v33
	v_fmac_f32_e32 v29, v32, v24
	v_add_f32_e32 v34, v33, v29
	v_sub_f32_e32 v35, v31, v34
	v_sub_f32_e32 v23, v34, v33
	;; [unrolled: 1-line block ×5, first 2 shown]
	v_add_f32_e32 v20, v20, v31
	v_add_f32_e32 v20, v23, v20
	;; [unrolled: 1-line block ×3, first 2 shown]
	v_mul_f32_e32 v29, v22, v23
	v_sub_f32_e32 v34, v35, v23
	v_mul_f32_e32 v31, v30, v29
	v_add_f32_e32 v20, v20, v34
	v_fma_f32 v30, v29, v30, -v31
	v_fmac_f32_e32 v30, v29, v24
	v_add_f32_e32 v24, v31, v30
	v_sub_f32_e32 v33, v23, v24
	v_sub_f32_e32 v31, v24, v31
	;; [unrolled: 1-line block ×5, first 2 shown]
	v_add_f32_e32 v20, v20, v23
	v_add_f32_e32 v23, v32, v29
	;; [unrolled: 1-line block ×3, first 2 shown]
	v_sub_f32_e32 v24, v23, v32
	v_add_f32_e32 v20, v33, v20
	v_sub_f32_e32 v24, v29, v24
	v_mul_f32_e32 v20, v22, v20
	v_add_f32_e32 v20, v24, v20
	v_add_f32_e32 v22, v23, v20
	v_mul_f32_e32 v24, v22, v22
	v_fmaak_f32 v29, s21, v24, 0x3ecc95a3
	v_mul_f32_e32 v30, v22, v24
	v_fmaak_f32 v24, v24, v29, 0x3f2aaada
	v_ldexp_f32 v29, v22, 1
	v_sub_f32_e32 v22, v22, v23
	v_mul_f32_e32 v24, v30, v24
	v_mul_f32_e32 v30, 0x3f317218, v19
	v_sub_f32_e32 v20, v20, v22
	v_add_f32_e32 v23, v29, v24
	v_ldexp_f32 v20, v20, 1
	v_sub_f32_e32 v22, v23, v29
	v_fma_f32 v29, 0x3f317218, v19, -v30
	v_sub_f32_e32 v22, v24, v22
	v_fmamk_f32 v19, v19, 0xb102e308, v29
	v_add_f32_e32 v20, v20, v22
	v_add_f32_e32 v22, v30, v19
	;; [unrolled: 1-line block ×3, first 2 shown]
	v_sub_f32_e32 v30, v22, v30
	v_add_f32_e32 v29, v22, v24
	v_sub_f32_e32 v23, v24, v23
	v_sub_f32_e32 v19, v19, v30
	;; [unrolled: 1-line block ×6, first 2 shown]
	v_add_f32_e32 v24, v19, v20
	v_sub_f32_e32 v22, v22, v32
	v_add_f32_e32 v22, v23, v22
	v_sub_f32_e32 v23, v24, v19
	;; [unrolled: 2-line block ×3, first 2 shown]
	v_sub_f32_e32 v20, v20, v23
	v_add_f32_e32 v30, v29, v22
	v_sub_f32_e32 v19, v19, v24
	v_sub_f32_e32 v23, v30, v29
	v_add_f32_e32 v19, v20, v19
	v_sub_f32_e32 v20, v22, v23
	v_add_f32_e32 v19, v19, v20
	v_add_f32_e32 v19, v30, v19
	v_cndmask_b32_e32 v19, 0x7f800000, v19, vcc_lo
	v_cmp_gt_f32_e64 vcc_lo, 0x33800000, |v21|
	v_cndmask_b32_e32 v19, v19, v21, vcc_lo
	v_add_f32_e32 v19, v16, v19
.LBB463_36:
	s_or_b32 exec_lo, exec_lo, s20
	v_bfe_u32 v16, v19, 16, 1
	v_cmp_o_f32_e32 vcc_lo, v19, v19
	v_and_b32_e32 v4, 0xffff0000, v4
	v_add3_u32 v16, v19, v16, 0x7fff
	v_max_f32_e32 v20, v4, v4
	v_cmp_u_f32_e64 s20, v4, v4
	v_and_b32_e32 v16, 0xffff0000, v16
	v_cndmask_b32_e32 v19, 0x7fc00000, v16, vcc_lo
	v_max_f32_e32 v16, v19, v19
	v_cmp_u_f32_e32 vcc_lo, v19, v19
	v_min_f32_e32 v21, v16, v20
	v_max_f32_e32 v16, v16, v20
	v_cndmask_b32_e32 v21, v21, v19, vcc_lo
	v_cndmask_b32_e32 v16, v16, v19, vcc_lo
	v_cndmask_b32_e64 v21, v21, v4, s20
	v_cndmask_b32_e64 v16, v16, v4, s20
	v_cmp_class_f32_e64 s21, v21, 0x1f8
	v_cmp_neq_f32_e32 vcc_lo, v21, v16
	s_or_b32 s22, vcc_lo, s21
	s_and_saveexec_b32 s21, s22
	s_cbranch_execz .LBB463_38
; %bb.37:
	v_sub_f32_e32 v19, v21, v16
	s_mov_b32 s22, 0x3e9b6dac
	v_mul_f32_e32 v21, 0x3fb8aa3b, v19
	v_cmp_ngt_f32_e32 vcc_lo, 0xc2ce8ed0, v19
	v_fma_f32 v22, 0x3fb8aa3b, v19, -v21
	v_rndne_f32_e32 v23, v21
	v_fmamk_f32 v22, v19, 0x32a5705f, v22
	v_sub_f32_e32 v21, v21, v23
	v_add_f32_e32 v21, v21, v22
	v_cvt_i32_f32_e32 v22, v23
	v_exp_f32_e32 v21, v21
	v_ldexp_f32 v21, v21, v22
	v_cndmask_b32_e32 v21, 0, v21, vcc_lo
	v_cmp_nlt_f32_e32 vcc_lo, 0x42b17218, v19
	v_cndmask_b32_e32 v19, 0x7f800000, v21, vcc_lo
	v_add_f32_e32 v23, 1.0, v19
	v_cvt_f64_f32_e32 v[21:22], v23
	v_frexp_exp_i32_f64_e32 v21, v[21:22]
	v_frexp_mant_f32_e32 v22, v23
	v_cmp_gt_f32_e32 vcc_lo, 0x3f2aaaab, v22
	v_add_f32_e32 v22, -1.0, v23
	v_sub_f32_e32 v29, v22, v23
	v_sub_f32_e32 v22, v19, v22
	v_add_f32_e32 v29, 1.0, v29
	v_add_f32_e32 v22, v22, v29
	v_subrev_co_ci_u32_e64 v21, null, 0, v21, vcc_lo
	v_cmp_neq_f32_e32 vcc_lo, 0x7f800000, v19
	v_sub_nc_u32_e32 v24, 0, v21
	v_cvt_f32_i32_e32 v21, v21
	v_ldexp_f32 v23, v23, v24
	v_ldexp_f32 v22, v22, v24
	v_add_f32_e32 v30, 1.0, v23
	v_add_f32_e32 v24, -1.0, v23
	v_add_f32_e32 v29, -1.0, v30
	v_add_f32_e32 v31, 1.0, v24
	v_sub_f32_e32 v29, v23, v29
	v_sub_f32_e32 v23, v23, v31
	v_add_f32_e32 v29, v22, v29
	v_add_f32_e32 v22, v22, v23
	;; [unrolled: 1-line block ×4, first 2 shown]
	v_rcp_f32_e32 v23, v31
	v_sub_f32_e32 v30, v30, v31
	v_sub_f32_e32 v24, v24, v32
	v_add_f32_e32 v29, v29, v30
	v_add_f32_e32 v22, v22, v24
	v_mul_f32_e32 v33, v32, v23
	v_mul_f32_e32 v34, v31, v33
	v_fma_f32 v30, v33, v31, -v34
	v_fmac_f32_e32 v30, v33, v29
	v_add_f32_e32 v35, v34, v30
	v_sub_f32_e32 v36, v32, v35
	v_sub_f32_e32 v24, v35, v34
	;; [unrolled: 1-line block ×5, first 2 shown]
	v_add_f32_e32 v22, v22, v32
	v_add_f32_e32 v22, v24, v22
	;; [unrolled: 1-line block ×3, first 2 shown]
	v_mul_f32_e32 v30, v23, v24
	v_sub_f32_e32 v35, v36, v24
	v_mul_f32_e32 v32, v31, v30
	v_add_f32_e32 v22, v22, v35
	v_fma_f32 v31, v30, v31, -v32
	v_fmac_f32_e32 v31, v30, v29
	v_add_f32_e32 v29, v32, v31
	v_sub_f32_e32 v34, v24, v29
	v_sub_f32_e32 v32, v29, v32
	;; [unrolled: 1-line block ×5, first 2 shown]
	v_add_f32_e32 v22, v22, v24
	v_add_f32_e32 v24, v33, v30
	v_add_f32_e32 v22, v29, v22
	v_sub_f32_e32 v29, v24, v33
	v_add_f32_e32 v22, v34, v22
	v_sub_f32_e32 v29, v30, v29
	v_mul_f32_e32 v22, v23, v22
	v_add_f32_e32 v22, v29, v22
	v_add_f32_e32 v23, v24, v22
	v_mul_f32_e32 v29, v23, v23
	v_fmaak_f32 v30, s22, v29, 0x3ecc95a3
	v_mul_f32_e32 v31, v23, v29
	v_fmaak_f32 v29, v29, v30, 0x3f2aaada
	v_ldexp_f32 v30, v23, 1
	v_sub_f32_e32 v23, v23, v24
	v_mul_f32_e32 v29, v31, v29
	v_mul_f32_e32 v31, 0x3f317218, v21
	v_sub_f32_e32 v22, v22, v23
	v_add_f32_e32 v24, v30, v29
	v_ldexp_f32 v22, v22, 1
	v_sub_f32_e32 v23, v24, v30
	v_fma_f32 v30, 0x3f317218, v21, -v31
	v_sub_f32_e32 v23, v29, v23
	v_fmamk_f32 v21, v21, 0xb102e308, v30
	v_add_f32_e32 v22, v22, v23
	v_add_f32_e32 v23, v31, v21
	;; [unrolled: 1-line block ×3, first 2 shown]
	v_sub_f32_e32 v31, v23, v31
	v_add_f32_e32 v30, v23, v29
	v_sub_f32_e32 v24, v29, v24
	v_sub_f32_e32 v21, v21, v31
	v_sub_f32_e32 v32, v30, v23
	v_sub_f32_e32 v22, v22, v24
	v_sub_f32_e32 v33, v30, v32
	v_sub_f32_e32 v24, v29, v32
	v_add_f32_e32 v29, v21, v22
	v_sub_f32_e32 v23, v23, v33
	v_add_f32_e32 v23, v24, v23
	v_sub_f32_e32 v24, v29, v21
	;; [unrolled: 2-line block ×3, first 2 shown]
	v_sub_f32_e32 v22, v22, v24
	v_add_f32_e32 v31, v30, v23
	v_sub_f32_e32 v21, v21, v29
	v_sub_f32_e32 v24, v31, v30
	v_add_f32_e32 v21, v22, v21
	v_sub_f32_e32 v22, v23, v24
	v_add_f32_e32 v21, v21, v22
	v_add_f32_e32 v21, v31, v21
	v_cndmask_b32_e32 v21, 0x7f800000, v21, vcc_lo
	v_cmp_gt_f32_e64 vcc_lo, 0x33800000, |v19|
	v_cndmask_b32_e32 v19, v21, v19, vcc_lo
	v_add_f32_e32 v19, v16, v19
.LBB463_38:
	s_or_b32 exec_lo, exec_lo, s21
	v_bfe_u32 v16, v19, 16, 1
	v_cmp_o_f32_e32 vcc_lo, v19, v19
	v_add3_u32 v16, v19, v16, 0x7fff
	v_and_b32_e32 v21, 0xffff0000, v16
	v_lshlrev_b32_e32 v16, 16, v5
	v_cndmask_b32_e32 v22, 0x7fc00000, v21, vcc_lo
	v_max_f32_e32 v21, v16, v16
	v_cmp_u_f32_e64 s21, v16, v16
	v_max_f32_e32 v19, v22, v22
	v_cmp_u_f32_e32 vcc_lo, v22, v22
	v_min_f32_e32 v23, v19, v21
	v_max_f32_e32 v19, v19, v21
	v_cndmask_b32_e32 v23, v23, v22, vcc_lo
	v_cndmask_b32_e32 v19, v19, v22, vcc_lo
	v_cndmask_b32_e64 v23, v23, v16, s21
	v_cndmask_b32_e64 v19, v19, v16, s21
	v_cmp_class_f32_e64 s22, v23, 0x1f8
	v_cmp_neq_f32_e32 vcc_lo, v23, v19
	s_or_b32 s23, vcc_lo, s22
	s_and_saveexec_b32 s22, s23
	s_cbranch_execz .LBB463_40
; %bb.39:
	v_sub_f32_e32 v22, v23, v19
	s_mov_b32 s23, 0x3e9b6dac
	v_mul_f32_e32 v23, 0x3fb8aa3b, v22
	v_cmp_ngt_f32_e32 vcc_lo, 0xc2ce8ed0, v22
	v_fma_f32 v24, 0x3fb8aa3b, v22, -v23
	v_rndne_f32_e32 v29, v23
	v_fmamk_f32 v24, v22, 0x32a5705f, v24
	v_sub_f32_e32 v23, v23, v29
	v_add_f32_e32 v23, v23, v24
	v_cvt_i32_f32_e32 v24, v29
	v_exp_f32_e32 v23, v23
	v_ldexp_f32 v23, v23, v24
	v_cndmask_b32_e32 v23, 0, v23, vcc_lo
	v_cmp_nlt_f32_e32 vcc_lo, 0x42b17218, v22
	v_cndmask_b32_e32 v24, 0x7f800000, v23, vcc_lo
	v_add_f32_e32 v29, 1.0, v24
	v_cvt_f64_f32_e32 v[22:23], v29
	v_frexp_exp_i32_f64_e32 v22, v[22:23]
	v_frexp_mant_f32_e32 v23, v29
	v_cmp_gt_f32_e32 vcc_lo, 0x3f2aaaab, v23
	v_add_f32_e32 v23, -1.0, v29
	v_sub_f32_e32 v31, v23, v29
	v_sub_f32_e32 v23, v24, v23
	v_add_f32_e32 v31, 1.0, v31
	v_add_f32_e32 v23, v23, v31
	v_subrev_co_ci_u32_e64 v22, null, 0, v22, vcc_lo
	v_cmp_neq_f32_e32 vcc_lo, 0x7f800000, v24
	v_sub_nc_u32_e32 v30, 0, v22
	v_cvt_f32_i32_e32 v22, v22
	v_ldexp_f32 v29, v29, v30
	v_ldexp_f32 v23, v23, v30
	v_add_f32_e32 v32, 1.0, v29
	v_add_f32_e32 v30, -1.0, v29
	v_add_f32_e32 v31, -1.0, v32
	v_add_f32_e32 v33, 1.0, v30
	v_sub_f32_e32 v31, v29, v31
	v_sub_f32_e32 v29, v29, v33
	v_add_f32_e32 v31, v23, v31
	v_add_f32_e32 v23, v23, v29
	;; [unrolled: 1-line block ×4, first 2 shown]
	v_rcp_f32_e32 v29, v33
	v_sub_f32_e32 v32, v32, v33
	v_sub_f32_e32 v30, v30, v34
	v_add_f32_e32 v31, v31, v32
	v_add_f32_e32 v23, v23, v30
	v_mul_f32_e32 v35, v34, v29
	v_mul_f32_e32 v36, v33, v35
	v_fma_f32 v32, v35, v33, -v36
	v_fmac_f32_e32 v32, v35, v31
	v_add_f32_e32 v37, v36, v32
	v_sub_f32_e32 v38, v34, v37
	v_sub_f32_e32 v30, v37, v36
	;; [unrolled: 1-line block ×5, first 2 shown]
	v_add_f32_e32 v23, v23, v34
	v_add_f32_e32 v23, v30, v23
	;; [unrolled: 1-line block ×3, first 2 shown]
	v_mul_f32_e32 v32, v29, v30
	v_sub_f32_e32 v37, v38, v30
	v_mul_f32_e32 v34, v33, v32
	v_add_f32_e32 v23, v23, v37
	v_fma_f32 v33, v32, v33, -v34
	v_fmac_f32_e32 v33, v32, v31
	v_add_f32_e32 v31, v34, v33
	v_sub_f32_e32 v36, v30, v31
	v_sub_f32_e32 v34, v31, v34
	;; [unrolled: 1-line block ×5, first 2 shown]
	v_add_f32_e32 v23, v23, v30
	v_add_f32_e32 v30, v35, v32
	;; [unrolled: 1-line block ×3, first 2 shown]
	v_sub_f32_e32 v31, v30, v35
	v_add_f32_e32 v23, v36, v23
	v_sub_f32_e32 v31, v32, v31
	v_mul_f32_e32 v23, v29, v23
	v_add_f32_e32 v23, v31, v23
	v_add_f32_e32 v29, v30, v23
	v_mul_f32_e32 v31, v29, v29
	v_fmaak_f32 v32, s23, v31, 0x3ecc95a3
	v_mul_f32_e32 v33, v29, v31
	v_fmaak_f32 v31, v31, v32, 0x3f2aaada
	v_ldexp_f32 v32, v29, 1
	v_sub_f32_e32 v29, v29, v30
	v_mul_f32_e32 v31, v33, v31
	v_mul_f32_e32 v33, 0x3f317218, v22
	v_sub_f32_e32 v23, v23, v29
	v_add_f32_e32 v30, v32, v31
	v_ldexp_f32 v23, v23, 1
	v_sub_f32_e32 v29, v30, v32
	v_fma_f32 v32, 0x3f317218, v22, -v33
	v_sub_f32_e32 v29, v31, v29
	v_fmamk_f32 v22, v22, 0xb102e308, v32
	v_add_f32_e32 v23, v23, v29
	v_add_f32_e32 v29, v33, v22
	;; [unrolled: 1-line block ×3, first 2 shown]
	v_sub_f32_e32 v33, v29, v33
	v_add_f32_e32 v32, v29, v31
	v_sub_f32_e32 v30, v31, v30
	v_sub_f32_e32 v22, v22, v33
	;; [unrolled: 1-line block ×6, first 2 shown]
	v_add_f32_e32 v31, v22, v23
	v_sub_f32_e32 v29, v29, v35
	v_add_f32_e32 v29, v30, v29
	v_sub_f32_e32 v30, v31, v22
	;; [unrolled: 2-line block ×3, first 2 shown]
	v_sub_f32_e32 v23, v23, v30
	v_add_f32_e32 v33, v32, v29
	v_sub_f32_e32 v22, v22, v31
	v_sub_f32_e32 v30, v33, v32
	v_add_f32_e32 v22, v23, v22
	v_sub_f32_e32 v23, v29, v30
	v_add_f32_e32 v22, v22, v23
	v_add_f32_e32 v22, v33, v22
	v_cndmask_b32_e32 v22, 0x7f800000, v22, vcc_lo
	v_cmp_gt_f32_e64 vcc_lo, 0x33800000, |v24|
	v_cndmask_b32_e32 v22, v22, v24, vcc_lo
	v_add_f32_e32 v22, v19, v22
.LBB463_40:
	s_or_b32 exec_lo, exec_lo, s22
	v_bfe_u32 v19, v22, 16, 1
	v_cmp_o_f32_e32 vcc_lo, v22, v22
	v_and_b32_e32 v5, 0xffff0000, v5
	v_add3_u32 v19, v22, v19, 0x7fff
	v_max_f32_e32 v22, v5, v5
	v_cmp_u_f32_e64 s22, v5, v5
	v_and_b32_e32 v19, 0xffff0000, v19
	v_cndmask_b32_e32 v23, 0x7fc00000, v19, vcc_lo
	v_max_f32_e32 v19, v23, v23
	v_cmp_u_f32_e32 vcc_lo, v23, v23
	v_min_f32_e32 v24, v19, v22
	v_max_f32_e32 v19, v19, v22
	v_cndmask_b32_e32 v24, v24, v23, vcc_lo
	v_cndmask_b32_e32 v19, v19, v23, vcc_lo
	v_cndmask_b32_e64 v24, v24, v5, s22
	v_cndmask_b32_e64 v19, v19, v5, s22
	v_cmp_class_f32_e64 s23, v24, 0x1f8
	v_cmp_neq_f32_e32 vcc_lo, v24, v19
	s_or_b32 s24, vcc_lo, s23
	s_and_saveexec_b32 s23, s24
	s_cbranch_execz .LBB463_42
; %bb.41:
	v_sub_f32_e32 v23, v24, v19
	s_mov_b32 s24, 0x3e9b6dac
	v_mul_f32_e32 v24, 0x3fb8aa3b, v23
	v_cmp_ngt_f32_e32 vcc_lo, 0xc2ce8ed0, v23
	v_fma_f32 v29, 0x3fb8aa3b, v23, -v24
	v_rndne_f32_e32 v30, v24
	v_fmamk_f32 v29, v23, 0x32a5705f, v29
	v_sub_f32_e32 v24, v24, v30
	v_add_f32_e32 v24, v24, v29
	v_cvt_i32_f32_e32 v29, v30
	v_exp_f32_e32 v24, v24
	v_ldexp_f32 v24, v24, v29
	v_cndmask_b32_e32 v24, 0, v24, vcc_lo
	v_cmp_nlt_f32_e32 vcc_lo, 0x42b17218, v23
	v_cndmask_b32_e32 v29, 0x7f800000, v24, vcc_lo
	v_add_f32_e32 v30, 1.0, v29
	v_cvt_f64_f32_e32 v[23:24], v30
	v_frexp_exp_i32_f64_e32 v23, v[23:24]
	v_frexp_mant_f32_e32 v24, v30
	v_cmp_gt_f32_e32 vcc_lo, 0x3f2aaaab, v24
	v_add_f32_e32 v24, -1.0, v30
	v_sub_f32_e32 v32, v24, v30
	v_sub_f32_e32 v24, v29, v24
	v_add_f32_e32 v32, 1.0, v32
	v_add_f32_e32 v24, v24, v32
	v_subrev_co_ci_u32_e64 v23, null, 0, v23, vcc_lo
	v_cmp_neq_f32_e32 vcc_lo, 0x7f800000, v29
	v_sub_nc_u32_e32 v31, 0, v23
	v_cvt_f32_i32_e32 v23, v23
	v_ldexp_f32 v30, v30, v31
	v_ldexp_f32 v24, v24, v31
	v_add_f32_e32 v33, 1.0, v30
	v_add_f32_e32 v31, -1.0, v30
	v_add_f32_e32 v32, -1.0, v33
	v_add_f32_e32 v34, 1.0, v31
	v_sub_f32_e32 v32, v30, v32
	v_sub_f32_e32 v30, v30, v34
	v_add_f32_e32 v32, v24, v32
	v_add_f32_e32 v24, v24, v30
	;; [unrolled: 1-line block ×4, first 2 shown]
	v_rcp_f32_e32 v30, v34
	v_sub_f32_e32 v33, v33, v34
	v_sub_f32_e32 v31, v31, v35
	v_add_f32_e32 v32, v32, v33
	v_add_f32_e32 v24, v24, v31
	v_mul_f32_e32 v36, v35, v30
	v_mul_f32_e32 v37, v34, v36
	v_fma_f32 v33, v36, v34, -v37
	v_fmac_f32_e32 v33, v36, v32
	v_add_f32_e32 v38, v37, v33
	v_sub_f32_e32 v39, v35, v38
	v_sub_f32_e32 v31, v38, v37
	;; [unrolled: 1-line block ×5, first 2 shown]
	v_add_f32_e32 v24, v24, v35
	v_add_f32_e32 v24, v31, v24
	;; [unrolled: 1-line block ×3, first 2 shown]
	v_mul_f32_e32 v33, v30, v31
	v_sub_f32_e32 v38, v39, v31
	v_mul_f32_e32 v35, v34, v33
	v_add_f32_e32 v24, v24, v38
	v_fma_f32 v34, v33, v34, -v35
	v_fmac_f32_e32 v34, v33, v32
	v_add_f32_e32 v32, v35, v34
	v_sub_f32_e32 v37, v31, v32
	v_sub_f32_e32 v35, v32, v35
	v_sub_f32_e32 v31, v31, v37
	v_sub_f32_e32 v31, v31, v32
	v_sub_f32_e32 v32, v35, v34
	v_add_f32_e32 v24, v24, v31
	v_add_f32_e32 v31, v36, v33
	;; [unrolled: 1-line block ×3, first 2 shown]
	v_sub_f32_e32 v32, v31, v36
	v_add_f32_e32 v24, v37, v24
	v_sub_f32_e32 v32, v33, v32
	v_mul_f32_e32 v24, v30, v24
	v_add_f32_e32 v24, v32, v24
	v_add_f32_e32 v30, v31, v24
	v_mul_f32_e32 v32, v30, v30
	v_fmaak_f32 v33, s24, v32, 0x3ecc95a3
	v_mul_f32_e32 v34, v30, v32
	v_fmaak_f32 v32, v32, v33, 0x3f2aaada
	v_ldexp_f32 v33, v30, 1
	v_sub_f32_e32 v30, v30, v31
	v_mul_f32_e32 v32, v34, v32
	v_mul_f32_e32 v34, 0x3f317218, v23
	v_sub_f32_e32 v24, v24, v30
	v_add_f32_e32 v31, v33, v32
	v_ldexp_f32 v24, v24, 1
	v_sub_f32_e32 v30, v31, v33
	v_fma_f32 v33, 0x3f317218, v23, -v34
	v_sub_f32_e32 v30, v32, v30
	v_fmamk_f32 v23, v23, 0xb102e308, v33
	v_add_f32_e32 v24, v24, v30
	v_add_f32_e32 v30, v34, v23
	;; [unrolled: 1-line block ×3, first 2 shown]
	v_sub_f32_e32 v34, v30, v34
	v_add_f32_e32 v33, v30, v32
	v_sub_f32_e32 v31, v32, v31
	v_sub_f32_e32 v23, v23, v34
	;; [unrolled: 1-line block ×6, first 2 shown]
	v_add_f32_e32 v32, v23, v24
	v_sub_f32_e32 v30, v30, v36
	v_add_f32_e32 v30, v31, v30
	v_sub_f32_e32 v31, v32, v23
	;; [unrolled: 2-line block ×3, first 2 shown]
	v_sub_f32_e32 v24, v24, v31
	v_add_f32_e32 v34, v33, v30
	v_sub_f32_e32 v23, v23, v32
	v_sub_f32_e32 v31, v34, v33
	v_add_f32_e32 v23, v24, v23
	v_sub_f32_e32 v24, v30, v31
	v_add_f32_e32 v23, v23, v24
	v_add_f32_e32 v23, v34, v23
	v_cndmask_b32_e32 v23, 0x7f800000, v23, vcc_lo
	v_cmp_gt_f32_e64 vcc_lo, 0x33800000, |v29|
	v_cndmask_b32_e32 v23, v23, v29, vcc_lo
	v_add_f32_e32 v23, v19, v23
.LBB463_42:
	s_or_b32 exec_lo, exec_lo, s23
	v_bfe_u32 v19, v23, 16, 1
	v_cmp_o_f32_e32 vcc_lo, v23, v23
	v_add3_u32 v19, v23, v19, 0x7fff
	v_and_b32_e32 v24, 0xffff0000, v19
	v_lshlrev_b32_e32 v19, 16, v6
	v_cndmask_b32_e32 v29, 0x7fc00000, v24, vcc_lo
	v_max_f32_e32 v23, v19, v19
	v_cmp_u_f32_e64 s23, v19, v19
	v_max_f32_e32 v24, v29, v29
	v_cmp_u_f32_e32 vcc_lo, v29, v29
	v_min_f32_e32 v30, v24, v23
	v_max_f32_e32 v24, v24, v23
	v_cndmask_b32_e32 v30, v30, v29, vcc_lo
	v_cndmask_b32_e32 v24, v24, v29, vcc_lo
	v_cndmask_b32_e64 v30, v30, v19, s23
	v_cndmask_b32_e64 v24, v24, v19, s23
	v_cmp_class_f32_e64 s24, v30, 0x1f8
	v_cmp_neq_f32_e32 vcc_lo, v30, v24
	s_or_b32 s26, vcc_lo, s24
	s_and_saveexec_b32 s24, s26
	s_cbranch_execz .LBB463_44
; %bb.43:
	v_sub_f32_e32 v29, v30, v24
	s_mov_b32 s26, 0x3e9b6dac
	v_mul_f32_e32 v30, 0x3fb8aa3b, v29
	v_cmp_ngt_f32_e32 vcc_lo, 0xc2ce8ed0, v29
	v_fma_f32 v31, 0x3fb8aa3b, v29, -v30
	v_rndne_f32_e32 v32, v30
	v_fmamk_f32 v31, v29, 0x32a5705f, v31
	v_sub_f32_e32 v30, v30, v32
	v_add_f32_e32 v30, v30, v31
	v_cvt_i32_f32_e32 v31, v32
	v_exp_f32_e32 v30, v30
	v_ldexp_f32 v30, v30, v31
	v_cndmask_b32_e32 v30, 0, v30, vcc_lo
	v_cmp_nlt_f32_e32 vcc_lo, 0x42b17218, v29
	v_cndmask_b32_e32 v31, 0x7f800000, v30, vcc_lo
	v_add_f32_e32 v32, 1.0, v31
	v_cvt_f64_f32_e32 v[29:30], v32
	v_frexp_exp_i32_f64_e32 v29, v[29:30]
	v_frexp_mant_f32_e32 v30, v32
	v_cmp_gt_f32_e32 vcc_lo, 0x3f2aaaab, v30
	v_add_f32_e32 v30, -1.0, v32
	v_sub_f32_e32 v34, v30, v32
	v_sub_f32_e32 v30, v31, v30
	v_add_f32_e32 v34, 1.0, v34
	v_add_f32_e32 v30, v30, v34
	v_subrev_co_ci_u32_e64 v29, null, 0, v29, vcc_lo
	v_cmp_neq_f32_e32 vcc_lo, 0x7f800000, v31
	v_sub_nc_u32_e32 v33, 0, v29
	v_cvt_f32_i32_e32 v29, v29
	v_ldexp_f32 v32, v32, v33
	v_ldexp_f32 v30, v30, v33
	v_add_f32_e32 v35, 1.0, v32
	v_add_f32_e32 v33, -1.0, v32
	v_add_f32_e32 v34, -1.0, v35
	v_add_f32_e32 v36, 1.0, v33
	v_sub_f32_e32 v34, v32, v34
	v_sub_f32_e32 v32, v32, v36
	v_add_f32_e32 v34, v30, v34
	v_add_f32_e32 v30, v30, v32
	;; [unrolled: 1-line block ×4, first 2 shown]
	v_rcp_f32_e32 v32, v36
	v_sub_f32_e32 v35, v35, v36
	v_sub_f32_e32 v33, v33, v37
	v_add_f32_e32 v34, v34, v35
	v_add_f32_e32 v30, v30, v33
	v_mul_f32_e32 v38, v37, v32
	v_mul_f32_e32 v39, v36, v38
	v_fma_f32 v35, v38, v36, -v39
	v_fmac_f32_e32 v35, v38, v34
	v_add_f32_e32 v40, v39, v35
	v_sub_f32_e32 v41, v37, v40
	v_sub_f32_e32 v33, v40, v39
	;; [unrolled: 1-line block ×5, first 2 shown]
	v_add_f32_e32 v30, v30, v37
	v_add_f32_e32 v30, v33, v30
	;; [unrolled: 1-line block ×3, first 2 shown]
	v_mul_f32_e32 v35, v32, v33
	v_sub_f32_e32 v40, v41, v33
	v_mul_f32_e32 v37, v36, v35
	v_add_f32_e32 v30, v30, v40
	v_fma_f32 v36, v35, v36, -v37
	v_fmac_f32_e32 v36, v35, v34
	v_add_f32_e32 v34, v37, v36
	v_sub_f32_e32 v39, v33, v34
	v_sub_f32_e32 v37, v34, v37
	;; [unrolled: 1-line block ×5, first 2 shown]
	v_add_f32_e32 v30, v30, v33
	v_add_f32_e32 v33, v38, v35
	;; [unrolled: 1-line block ×3, first 2 shown]
	v_sub_f32_e32 v34, v33, v38
	v_add_f32_e32 v30, v39, v30
	v_sub_f32_e32 v34, v35, v34
	v_mul_f32_e32 v30, v32, v30
	v_add_f32_e32 v30, v34, v30
	v_add_f32_e32 v32, v33, v30
	v_mul_f32_e32 v34, v32, v32
	v_fmaak_f32 v35, s26, v34, 0x3ecc95a3
	v_mul_f32_e32 v36, v32, v34
	v_fmaak_f32 v34, v34, v35, 0x3f2aaada
	v_ldexp_f32 v35, v32, 1
	v_sub_f32_e32 v32, v32, v33
	v_mul_f32_e32 v34, v36, v34
	v_mul_f32_e32 v36, 0x3f317218, v29
	v_sub_f32_e32 v30, v30, v32
	v_add_f32_e32 v33, v35, v34
	v_ldexp_f32 v30, v30, 1
	v_sub_f32_e32 v32, v33, v35
	v_fma_f32 v35, 0x3f317218, v29, -v36
	v_sub_f32_e32 v32, v34, v32
	v_fmamk_f32 v29, v29, 0xb102e308, v35
	v_add_f32_e32 v30, v30, v32
	v_add_f32_e32 v32, v36, v29
	;; [unrolled: 1-line block ×3, first 2 shown]
	v_sub_f32_e32 v36, v32, v36
	v_add_f32_e32 v35, v32, v34
	v_sub_f32_e32 v33, v34, v33
	v_sub_f32_e32 v29, v29, v36
	;; [unrolled: 1-line block ×6, first 2 shown]
	v_add_f32_e32 v34, v29, v30
	v_sub_f32_e32 v32, v32, v38
	v_add_f32_e32 v32, v33, v32
	v_sub_f32_e32 v33, v34, v29
	;; [unrolled: 2-line block ×3, first 2 shown]
	v_sub_f32_e32 v30, v30, v33
	v_add_f32_e32 v36, v35, v32
	v_sub_f32_e32 v29, v29, v34
	v_sub_f32_e32 v33, v36, v35
	v_add_f32_e32 v29, v30, v29
	v_sub_f32_e32 v30, v32, v33
	v_add_f32_e32 v29, v29, v30
	v_add_f32_e32 v29, v36, v29
	v_cndmask_b32_e32 v29, 0x7f800000, v29, vcc_lo
	v_cmp_gt_f32_e64 vcc_lo, 0x33800000, |v31|
	v_cndmask_b32_e32 v29, v29, v31, vcc_lo
	v_add_f32_e32 v29, v24, v29
.LBB463_44:
	s_or_b32 exec_lo, exec_lo, s24
	v_bfe_u32 v24, v29, 16, 1
	v_cmp_o_f32_e32 vcc_lo, v29, v29
	v_and_b32_e32 v6, 0xffff0000, v6
	v_add3_u32 v24, v29, v24, 0x7fff
	v_cmp_u_f32_e64 s24, v6, v6
	v_and_b32_e32 v24, 0xffff0000, v24
	v_cndmask_b32_e32 v30, 0x7fc00000, v24, vcc_lo
	v_max_f32_e32 v24, v6, v6
	v_max_f32_e32 v29, v30, v30
	v_cmp_u_f32_e32 vcc_lo, v30, v30
	v_min_f32_e32 v31, v29, v24
	v_max_f32_e32 v29, v29, v24
	v_cndmask_b32_e32 v31, v31, v30, vcc_lo
	v_cndmask_b32_e32 v29, v29, v30, vcc_lo
	v_cndmask_b32_e64 v31, v31, v6, s24
	v_cndmask_b32_e64 v29, v29, v6, s24
	v_cmp_class_f32_e64 s26, v31, 0x1f8
	v_cmp_neq_f32_e32 vcc_lo, v31, v29
	s_or_b32 s27, vcc_lo, s26
	s_and_saveexec_b32 s26, s27
	s_cbranch_execz .LBB463_46
; %bb.45:
	v_sub_f32_e32 v30, v31, v29
	s_mov_b32 s27, 0x3e9b6dac
	v_mul_f32_e32 v31, 0x3fb8aa3b, v30
	v_cmp_ngt_f32_e32 vcc_lo, 0xc2ce8ed0, v30
	v_fma_f32 v32, 0x3fb8aa3b, v30, -v31
	v_rndne_f32_e32 v33, v31
	v_fmamk_f32 v32, v30, 0x32a5705f, v32
	v_sub_f32_e32 v31, v31, v33
	v_add_f32_e32 v31, v31, v32
	v_cvt_i32_f32_e32 v32, v33
	v_exp_f32_e32 v31, v31
	v_ldexp_f32 v31, v31, v32
	v_cndmask_b32_e32 v31, 0, v31, vcc_lo
	v_cmp_nlt_f32_e32 vcc_lo, 0x42b17218, v30
	v_cndmask_b32_e32 v32, 0x7f800000, v31, vcc_lo
	v_add_f32_e32 v33, 1.0, v32
	v_cvt_f64_f32_e32 v[30:31], v33
	v_frexp_exp_i32_f64_e32 v30, v[30:31]
	v_frexp_mant_f32_e32 v31, v33
	v_cmp_gt_f32_e32 vcc_lo, 0x3f2aaaab, v31
	v_add_f32_e32 v31, -1.0, v33
	v_sub_f32_e32 v35, v31, v33
	v_sub_f32_e32 v31, v32, v31
	v_add_f32_e32 v35, 1.0, v35
	v_add_f32_e32 v31, v31, v35
	v_subrev_co_ci_u32_e64 v30, null, 0, v30, vcc_lo
	v_cmp_neq_f32_e32 vcc_lo, 0x7f800000, v32
	v_sub_nc_u32_e32 v34, 0, v30
	v_cvt_f32_i32_e32 v30, v30
	v_ldexp_f32 v33, v33, v34
	v_ldexp_f32 v31, v31, v34
	v_add_f32_e32 v36, 1.0, v33
	v_add_f32_e32 v34, -1.0, v33
	v_add_f32_e32 v35, -1.0, v36
	v_add_f32_e32 v37, 1.0, v34
	v_sub_f32_e32 v35, v33, v35
	v_sub_f32_e32 v33, v33, v37
	v_add_f32_e32 v35, v31, v35
	v_add_f32_e32 v31, v31, v33
	;; [unrolled: 1-line block ×4, first 2 shown]
	v_rcp_f32_e32 v33, v37
	v_sub_f32_e32 v36, v36, v37
	v_sub_f32_e32 v34, v34, v38
	v_add_f32_e32 v35, v35, v36
	v_add_f32_e32 v31, v31, v34
	v_mul_f32_e32 v39, v38, v33
	v_mul_f32_e32 v40, v37, v39
	v_fma_f32 v36, v39, v37, -v40
	v_fmac_f32_e32 v36, v39, v35
	v_add_f32_e32 v41, v40, v36
	v_sub_f32_e32 v42, v38, v41
	v_sub_f32_e32 v34, v41, v40
	;; [unrolled: 1-line block ×5, first 2 shown]
	v_add_f32_e32 v31, v31, v38
	v_add_f32_e32 v31, v34, v31
	;; [unrolled: 1-line block ×3, first 2 shown]
	v_mul_f32_e32 v36, v33, v34
	v_sub_f32_e32 v41, v42, v34
	v_mul_f32_e32 v38, v37, v36
	v_add_f32_e32 v31, v31, v41
	v_fma_f32 v37, v36, v37, -v38
	v_fmac_f32_e32 v37, v36, v35
	v_add_f32_e32 v35, v38, v37
	v_sub_f32_e32 v40, v34, v35
	v_sub_f32_e32 v38, v35, v38
	v_sub_f32_e32 v34, v34, v40
	v_sub_f32_e32 v34, v34, v35
	v_sub_f32_e32 v35, v38, v37
	v_add_f32_e32 v31, v31, v34
	v_add_f32_e32 v34, v39, v36
	;; [unrolled: 1-line block ×3, first 2 shown]
	v_sub_f32_e32 v35, v34, v39
	v_add_f32_e32 v31, v40, v31
	v_sub_f32_e32 v35, v36, v35
	v_mul_f32_e32 v31, v33, v31
	v_add_f32_e32 v31, v35, v31
	v_add_f32_e32 v33, v34, v31
	v_mul_f32_e32 v35, v33, v33
	v_fmaak_f32 v36, s27, v35, 0x3ecc95a3
	v_mul_f32_e32 v37, v33, v35
	v_fmaak_f32 v35, v35, v36, 0x3f2aaada
	v_ldexp_f32 v36, v33, 1
	v_sub_f32_e32 v33, v33, v34
	v_mul_f32_e32 v35, v37, v35
	v_mul_f32_e32 v37, 0x3f317218, v30
	v_sub_f32_e32 v31, v31, v33
	v_add_f32_e32 v34, v36, v35
	v_ldexp_f32 v31, v31, 1
	v_sub_f32_e32 v33, v34, v36
	v_fma_f32 v36, 0x3f317218, v30, -v37
	v_sub_f32_e32 v33, v35, v33
	v_fmamk_f32 v30, v30, 0xb102e308, v36
	v_add_f32_e32 v31, v31, v33
	v_add_f32_e32 v33, v37, v30
	;; [unrolled: 1-line block ×3, first 2 shown]
	v_sub_f32_e32 v37, v33, v37
	v_add_f32_e32 v36, v33, v35
	v_sub_f32_e32 v34, v35, v34
	v_sub_f32_e32 v30, v30, v37
	;; [unrolled: 1-line block ×6, first 2 shown]
	v_add_f32_e32 v35, v30, v31
	v_sub_f32_e32 v33, v33, v39
	v_add_f32_e32 v33, v34, v33
	v_sub_f32_e32 v34, v35, v30
	;; [unrolled: 2-line block ×3, first 2 shown]
	v_sub_f32_e32 v31, v31, v34
	v_add_f32_e32 v37, v36, v33
	v_sub_f32_e32 v30, v30, v35
	v_sub_f32_e32 v34, v37, v36
	v_add_f32_e32 v30, v31, v30
	v_sub_f32_e32 v31, v33, v34
	v_add_f32_e32 v30, v30, v31
	v_add_f32_e32 v30, v37, v30
	v_cndmask_b32_e32 v30, 0x7f800000, v30, vcc_lo
	v_cmp_gt_f32_e64 vcc_lo, 0x33800000, |v32|
	v_cndmask_b32_e32 v30, v30, v32, vcc_lo
	v_add_f32_e32 v30, v29, v30
.LBB463_46:
	s_or_b32 exec_lo, exec_lo, s26
	s_load_dwordx2 s[26:27], s[4:5], 0x18
	v_bfe_u32 v29, v30, 16, 1
	v_lshrrev_b32_e32 v31, 4, v0
	v_cmp_o_f32_e32 vcc_lo, v30, v30
	s_mov_b32 s5, exec_lo
	v_add3_u32 v29, v30, v29, 0x7fff
	v_mov_b32_e32 v30, 0x7fc0
	v_and_b32_e32 v31, 2, v31
	v_cndmask_b32_sdwa v30, v30, v29, vcc_lo dst_sel:DWORD dst_unused:UNUSED_PAD src0_sel:DWORD src1_sel:WORD_1
	v_lshl_add_u32 v29, v0, 1, v31
	ds_write_b16 v29, v30
	s_waitcnt lgkmcnt(0)
	s_barrier
	buffer_gl0_inv
	v_cmpx_gt_u32_e32 32, v0
	s_cbranch_execz .LBB463_74
; %bb.47:
	v_lshrrev_b32_e32 v29, 3, v0
	v_lshlrev_b32_e32 v31, 2, v0
	v_and_b32_e32 v29, 6, v29
	v_add_nc_u32_e32 v29, v29, v31
	ds_read_u16 v31, v29 offset:2
	ds_read_u16 v32, v29
	s_waitcnt lgkmcnt(1)
	v_lshlrev_b32_e32 v33, 16, v31
	s_waitcnt lgkmcnt(0)
	v_lshlrev_b32_e32 v31, 16, v32
	v_max_f32_e32 v34, v33, v33
	v_max_f32_e32 v32, v31, v31
	v_cmp_u_f32_e64 s4, v31, v31
	v_cmp_u_f32_e32 vcc_lo, v33, v33
	v_min_f32_e32 v35, v32, v34
	v_max_f32_e32 v34, v32, v34
	v_cndmask_b32_e64 v35, v35, v31, s4
	v_cndmask_b32_e64 v34, v34, v31, s4
	v_cndmask_b32_e32 v35, v35, v33, vcc_lo
	v_cndmask_b32_e32 v33, v34, v33, vcc_lo
	v_mov_b32_e32 v34, v31
	v_cmp_class_f32_e64 s28, v35, 0x1f8
	v_cmp_neq_f32_e32 vcc_lo, v35, v33
	s_or_b32 s29, vcc_lo, s28
	s_and_saveexec_b32 s28, s29
	s_cbranch_execz .LBB463_49
; %bb.48:
	v_sub_f32_e32 v34, v35, v33
	s_mov_b32 s29, 0x3e9b6dac
	v_mul_f32_e32 v35, 0x3fb8aa3b, v34
	v_cmp_ngt_f32_e32 vcc_lo, 0xc2ce8ed0, v34
	v_fma_f32 v36, 0x3fb8aa3b, v34, -v35
	v_rndne_f32_e32 v37, v35
	v_fmamk_f32 v36, v34, 0x32a5705f, v36
	v_sub_f32_e32 v35, v35, v37
	v_add_f32_e32 v35, v35, v36
	v_cvt_i32_f32_e32 v36, v37
	v_exp_f32_e32 v35, v35
	v_ldexp_f32 v35, v35, v36
	v_cndmask_b32_e32 v35, 0, v35, vcc_lo
	v_cmp_nlt_f32_e32 vcc_lo, 0x42b17218, v34
	v_cndmask_b32_e32 v36, 0x7f800000, v35, vcc_lo
	v_add_f32_e32 v37, 1.0, v36
	v_cvt_f64_f32_e32 v[34:35], v37
	v_frexp_exp_i32_f64_e32 v34, v[34:35]
	v_frexp_mant_f32_e32 v35, v37
	v_cmp_gt_f32_e32 vcc_lo, 0x3f2aaaab, v35
	v_add_f32_e32 v35, -1.0, v37
	v_sub_f32_e32 v39, v35, v37
	v_sub_f32_e32 v35, v36, v35
	v_add_f32_e32 v39, 1.0, v39
	v_add_f32_e32 v35, v35, v39
	v_subrev_co_ci_u32_e64 v34, null, 0, v34, vcc_lo
	v_cmp_neq_f32_e32 vcc_lo, 0x7f800000, v36
	v_sub_nc_u32_e32 v38, 0, v34
	v_cvt_f32_i32_e32 v34, v34
	v_ldexp_f32 v37, v37, v38
	v_ldexp_f32 v35, v35, v38
	v_add_f32_e32 v40, 1.0, v37
	v_add_f32_e32 v38, -1.0, v37
	v_add_f32_e32 v39, -1.0, v40
	v_add_f32_e32 v41, 1.0, v38
	v_sub_f32_e32 v39, v37, v39
	v_sub_f32_e32 v37, v37, v41
	v_add_f32_e32 v39, v35, v39
	v_add_f32_e32 v35, v35, v37
	;; [unrolled: 1-line block ×4, first 2 shown]
	v_rcp_f32_e32 v37, v41
	v_sub_f32_e32 v40, v40, v41
	v_sub_f32_e32 v38, v38, v42
	v_add_f32_e32 v39, v39, v40
	v_add_f32_e32 v35, v35, v38
	v_mul_f32_e32 v43, v42, v37
	v_mul_f32_e32 v44, v41, v43
	v_fma_f32 v40, v43, v41, -v44
	v_fmac_f32_e32 v40, v43, v39
	v_add_f32_e32 v45, v44, v40
	v_sub_f32_e32 v46, v42, v45
	v_sub_f32_e32 v38, v45, v44
	;; [unrolled: 1-line block ×5, first 2 shown]
	v_add_f32_e32 v35, v35, v42
	v_add_f32_e32 v35, v38, v35
	;; [unrolled: 1-line block ×3, first 2 shown]
	v_mul_f32_e32 v40, v37, v38
	v_sub_f32_e32 v45, v46, v38
	v_mul_f32_e32 v42, v41, v40
	v_add_f32_e32 v35, v35, v45
	v_fma_f32 v41, v40, v41, -v42
	v_fmac_f32_e32 v41, v40, v39
	v_add_f32_e32 v39, v42, v41
	v_sub_f32_e32 v44, v38, v39
	v_sub_f32_e32 v42, v39, v42
	;; [unrolled: 1-line block ×5, first 2 shown]
	v_add_f32_e32 v35, v35, v38
	v_add_f32_e32 v38, v43, v40
	;; [unrolled: 1-line block ×3, first 2 shown]
	v_sub_f32_e32 v39, v38, v43
	v_add_f32_e32 v35, v44, v35
	v_sub_f32_e32 v39, v40, v39
	v_mul_f32_e32 v35, v37, v35
	v_add_f32_e32 v35, v39, v35
	v_add_f32_e32 v37, v38, v35
	v_mul_f32_e32 v39, v37, v37
	v_fmaak_f32 v40, s29, v39, 0x3ecc95a3
	v_mul_f32_e32 v41, v37, v39
	v_fmaak_f32 v39, v39, v40, 0x3f2aaada
	v_ldexp_f32 v40, v37, 1
	v_sub_f32_e32 v37, v37, v38
	v_mul_f32_e32 v39, v41, v39
	v_mul_f32_e32 v41, 0x3f317218, v34
	v_sub_f32_e32 v35, v35, v37
	v_add_f32_e32 v38, v40, v39
	v_ldexp_f32 v35, v35, 1
	v_sub_f32_e32 v37, v38, v40
	v_fma_f32 v40, 0x3f317218, v34, -v41
	v_sub_f32_e32 v37, v39, v37
	v_fmamk_f32 v34, v34, 0xb102e308, v40
	v_add_f32_e32 v35, v35, v37
	v_add_f32_e32 v37, v41, v34
	;; [unrolled: 1-line block ×3, first 2 shown]
	v_sub_f32_e32 v41, v37, v41
	v_add_f32_e32 v40, v37, v39
	v_sub_f32_e32 v38, v39, v38
	v_sub_f32_e32 v34, v34, v41
	;; [unrolled: 1-line block ×6, first 2 shown]
	v_add_f32_e32 v39, v34, v35
	v_sub_f32_e32 v37, v37, v43
	v_add_f32_e32 v37, v38, v37
	v_sub_f32_e32 v38, v39, v34
	v_add_f32_e32 v37, v39, v37
	v_sub_f32_e32 v39, v39, v38
	v_sub_f32_e32 v35, v35, v38
	v_add_f32_e32 v41, v40, v37
	v_sub_f32_e32 v34, v34, v39
	v_sub_f32_e32 v38, v41, v40
	v_add_f32_e32 v34, v35, v34
	v_sub_f32_e32 v35, v37, v38
	v_add_f32_e32 v34, v34, v35
	v_add_f32_e32 v34, v41, v34
	v_cndmask_b32_e32 v34, 0x7f800000, v34, vcc_lo
	v_cmp_gt_f32_e64 vcc_lo, 0x33800000, |v36|
	v_cndmask_b32_e32 v34, v34, v36, vcc_lo
	v_add_f32_e32 v34, v33, v34
.LBB463_49:
	s_or_b32 exec_lo, exec_lo, s28
	v_bfe_u32 v33, v34, 16, 1
	v_cmp_o_f32_e32 vcc_lo, v34, v34
	v_mov_b32_e32 v35, 0x7fc0
	s_mov_b32 s28, exec_lo
	v_add3_u32 v33, v34, v33, 0x7fff
	v_cndmask_b32_sdwa v35, v35, v33, vcc_lo dst_sel:DWORD dst_unused:UNUSED_PAD src0_sel:DWORD src1_sel:WORD_1
	v_mbcnt_lo_u32_b32 v33, -1, 0
	v_and_b32_e32 v36, 0xffff, v35
	v_and_b32_e32 v34, 15, v33
	v_mov_b32_dpp v37, v36 row_shr:1 row_mask:0xf bank_mask:0xf
	v_cmpx_ne_u32_e32 0, v34
	s_xor_b32 s28, exec_lo, s28
	s_cbranch_execz .LBB463_53
; %bb.50:
	v_lshlrev_b32_e32 v35, 16, v36
	v_lshlrev_b32_e32 v36, 16, v37
	v_max_f32_e32 v37, v35, v35
	v_max_f32_e32 v38, v36, v36
	v_cmp_u_f32_e32 vcc_lo, v36, v36
	v_min_f32_e32 v39, v38, v37
	v_max_f32_e32 v37, v38, v37
	v_cndmask_b32_e32 v38, v39, v36, vcc_lo
	v_cndmask_b32_e32 v39, v37, v36, vcc_lo
	v_cmp_u_f32_e32 vcc_lo, v35, v35
	v_cndmask_b32_e32 v37, v38, v35, vcc_lo
	v_cndmask_b32_e32 v35, v39, v35, vcc_lo
	v_cmp_class_f32_e64 s29, v37, 0x1f8
	v_cmp_neq_f32_e32 vcc_lo, v37, v35
	s_or_b32 s30, vcc_lo, s29
	s_and_saveexec_b32 s29, s30
	s_cbranch_execz .LBB463_52
; %bb.51:
	v_sub_f32_e32 v36, v37, v35
	s_mov_b32 s30, 0x3e9b6dac
	v_mul_f32_e32 v37, 0x3fb8aa3b, v36
	v_cmp_ngt_f32_e32 vcc_lo, 0xc2ce8ed0, v36
	v_fma_f32 v38, 0x3fb8aa3b, v36, -v37
	v_rndne_f32_e32 v39, v37
	v_fmamk_f32 v38, v36, 0x32a5705f, v38
	v_sub_f32_e32 v37, v37, v39
	v_add_f32_e32 v37, v37, v38
	v_cvt_i32_f32_e32 v38, v39
	v_exp_f32_e32 v37, v37
	v_ldexp_f32 v37, v37, v38
	v_cndmask_b32_e32 v37, 0, v37, vcc_lo
	v_cmp_nlt_f32_e32 vcc_lo, 0x42b17218, v36
	v_cndmask_b32_e32 v38, 0x7f800000, v37, vcc_lo
	v_add_f32_e32 v39, 1.0, v38
	v_cvt_f64_f32_e32 v[36:37], v39
	v_frexp_exp_i32_f64_e32 v36, v[36:37]
	v_frexp_mant_f32_e32 v37, v39
	v_cmp_gt_f32_e32 vcc_lo, 0x3f2aaaab, v37
	v_add_f32_e32 v37, -1.0, v39
	v_sub_f32_e32 v41, v37, v39
	v_sub_f32_e32 v37, v38, v37
	v_add_f32_e32 v41, 1.0, v41
	v_add_f32_e32 v37, v37, v41
	v_subrev_co_ci_u32_e64 v36, null, 0, v36, vcc_lo
	v_cmp_neq_f32_e32 vcc_lo, 0x7f800000, v38
	v_sub_nc_u32_e32 v40, 0, v36
	v_cvt_f32_i32_e32 v36, v36
	v_ldexp_f32 v39, v39, v40
	v_ldexp_f32 v37, v37, v40
	v_add_f32_e32 v42, 1.0, v39
	v_add_f32_e32 v40, -1.0, v39
	v_add_f32_e32 v41, -1.0, v42
	v_add_f32_e32 v43, 1.0, v40
	v_sub_f32_e32 v41, v39, v41
	v_sub_f32_e32 v39, v39, v43
	v_add_f32_e32 v41, v37, v41
	v_add_f32_e32 v37, v37, v39
	;; [unrolled: 1-line block ×4, first 2 shown]
	v_rcp_f32_e32 v39, v43
	v_sub_f32_e32 v42, v42, v43
	v_sub_f32_e32 v40, v40, v44
	v_add_f32_e32 v41, v41, v42
	v_add_f32_e32 v37, v37, v40
	v_mul_f32_e32 v45, v44, v39
	v_mul_f32_e32 v46, v43, v45
	v_fma_f32 v42, v45, v43, -v46
	v_fmac_f32_e32 v42, v45, v41
	v_add_f32_e32 v47, v46, v42
	v_sub_f32_e32 v48, v44, v47
	v_sub_f32_e32 v40, v47, v46
	;; [unrolled: 1-line block ×5, first 2 shown]
	v_add_f32_e32 v37, v37, v44
	v_add_f32_e32 v37, v40, v37
	;; [unrolled: 1-line block ×3, first 2 shown]
	v_mul_f32_e32 v42, v39, v40
	v_sub_f32_e32 v47, v48, v40
	v_mul_f32_e32 v44, v43, v42
	v_add_f32_e32 v37, v37, v47
	v_fma_f32 v43, v42, v43, -v44
	v_fmac_f32_e32 v43, v42, v41
	v_add_f32_e32 v41, v44, v43
	v_sub_f32_e32 v46, v40, v41
	v_sub_f32_e32 v44, v41, v44
	;; [unrolled: 1-line block ×5, first 2 shown]
	v_add_f32_e32 v37, v37, v40
	v_add_f32_e32 v40, v45, v42
	;; [unrolled: 1-line block ×3, first 2 shown]
	v_sub_f32_e32 v41, v40, v45
	v_add_f32_e32 v37, v46, v37
	v_sub_f32_e32 v41, v42, v41
	v_mul_f32_e32 v37, v39, v37
	v_add_f32_e32 v37, v41, v37
	v_add_f32_e32 v39, v40, v37
	v_mul_f32_e32 v41, v39, v39
	v_fmaak_f32 v42, s30, v41, 0x3ecc95a3
	v_mul_f32_e32 v43, v39, v41
	v_fmaak_f32 v41, v41, v42, 0x3f2aaada
	v_ldexp_f32 v42, v39, 1
	v_sub_f32_e32 v39, v39, v40
	v_mul_f32_e32 v41, v43, v41
	v_mul_f32_e32 v43, 0x3f317218, v36
	v_sub_f32_e32 v37, v37, v39
	v_add_f32_e32 v40, v42, v41
	v_ldexp_f32 v37, v37, 1
	v_sub_f32_e32 v39, v40, v42
	v_fma_f32 v42, 0x3f317218, v36, -v43
	v_sub_f32_e32 v39, v41, v39
	v_fmamk_f32 v36, v36, 0xb102e308, v42
	v_add_f32_e32 v37, v37, v39
	v_add_f32_e32 v39, v43, v36
	;; [unrolled: 1-line block ×3, first 2 shown]
	v_sub_f32_e32 v43, v39, v43
	v_add_f32_e32 v42, v39, v41
	v_sub_f32_e32 v40, v41, v40
	v_sub_f32_e32 v36, v36, v43
	;; [unrolled: 1-line block ×6, first 2 shown]
	v_add_f32_e32 v41, v36, v37
	v_sub_f32_e32 v39, v39, v45
	v_add_f32_e32 v39, v40, v39
	v_sub_f32_e32 v40, v41, v36
	;; [unrolled: 2-line block ×3, first 2 shown]
	v_sub_f32_e32 v37, v37, v40
	v_add_f32_e32 v43, v42, v39
	v_sub_f32_e32 v36, v36, v41
	v_sub_f32_e32 v40, v43, v42
	v_add_f32_e32 v36, v37, v36
	v_sub_f32_e32 v37, v39, v40
	v_add_f32_e32 v36, v36, v37
	v_add_f32_e32 v36, v43, v36
	v_cndmask_b32_e32 v36, 0x7f800000, v36, vcc_lo
	v_cmp_gt_f32_e64 vcc_lo, 0x33800000, |v38|
	v_cndmask_b32_e32 v36, v36, v38, vcc_lo
	v_add_f32_e32 v36, v35, v36
.LBB463_52:
	s_or_b32 exec_lo, exec_lo, s29
	v_bfe_u32 v35, v36, 16, 1
	v_cmp_o_f32_e32 vcc_lo, v36, v36
	v_add3_u32 v35, v36, v35, 0x7fff
	v_mov_b32_e32 v36, 0x7fc0
	v_cndmask_b32_sdwa v35, v36, v35, vcc_lo dst_sel:DWORD dst_unused:UNUSED_PAD src0_sel:DWORD src1_sel:WORD_1
	v_and_b32_e32 v36, 0xffff, v35
.LBB463_53:
	s_or_b32 exec_lo, exec_lo, s28
	v_mov_b32_dpp v37, v36 row_shr:2 row_mask:0xf bank_mask:0xf
	s_mov_b32 s28, exec_lo
	v_cmpx_lt_u32_e32 1, v34
	s_cbranch_execz .LBB463_57
; %bb.54:
	v_lshlrev_b32_e32 v35, 16, v36
	v_lshlrev_b32_e32 v36, 16, v37
	v_max_f32_e32 v37, v35, v35
	v_max_f32_e32 v38, v36, v36
	v_cmp_u_f32_e32 vcc_lo, v36, v36
	v_min_f32_e32 v39, v38, v37
	v_max_f32_e32 v37, v38, v37
	v_cndmask_b32_e32 v38, v39, v36, vcc_lo
	v_cndmask_b32_e32 v39, v37, v36, vcc_lo
	v_cmp_u_f32_e32 vcc_lo, v35, v35
	v_cndmask_b32_e32 v37, v38, v35, vcc_lo
	v_cndmask_b32_e32 v35, v39, v35, vcc_lo
	v_cmp_class_f32_e64 s29, v37, 0x1f8
	v_cmp_neq_f32_e32 vcc_lo, v37, v35
	s_or_b32 s30, vcc_lo, s29
	s_and_saveexec_b32 s29, s30
	s_cbranch_execz .LBB463_56
; %bb.55:
	v_sub_f32_e32 v36, v37, v35
	s_mov_b32 s30, 0x3e9b6dac
	v_mul_f32_e32 v37, 0x3fb8aa3b, v36
	v_cmp_ngt_f32_e32 vcc_lo, 0xc2ce8ed0, v36
	v_fma_f32 v38, 0x3fb8aa3b, v36, -v37
	v_rndne_f32_e32 v39, v37
	v_fmamk_f32 v38, v36, 0x32a5705f, v38
	v_sub_f32_e32 v37, v37, v39
	v_add_f32_e32 v37, v37, v38
	v_cvt_i32_f32_e32 v38, v39
	v_exp_f32_e32 v37, v37
	v_ldexp_f32 v37, v37, v38
	v_cndmask_b32_e32 v37, 0, v37, vcc_lo
	v_cmp_nlt_f32_e32 vcc_lo, 0x42b17218, v36
	v_cndmask_b32_e32 v38, 0x7f800000, v37, vcc_lo
	v_add_f32_e32 v39, 1.0, v38
	v_cvt_f64_f32_e32 v[36:37], v39
	v_frexp_exp_i32_f64_e32 v36, v[36:37]
	v_frexp_mant_f32_e32 v37, v39
	v_cmp_gt_f32_e32 vcc_lo, 0x3f2aaaab, v37
	v_add_f32_e32 v37, -1.0, v39
	v_sub_f32_e32 v41, v37, v39
	v_sub_f32_e32 v37, v38, v37
	v_add_f32_e32 v41, 1.0, v41
	v_add_f32_e32 v37, v37, v41
	v_subrev_co_ci_u32_e64 v36, null, 0, v36, vcc_lo
	v_cmp_neq_f32_e32 vcc_lo, 0x7f800000, v38
	v_sub_nc_u32_e32 v40, 0, v36
	v_cvt_f32_i32_e32 v36, v36
	v_ldexp_f32 v39, v39, v40
	v_ldexp_f32 v37, v37, v40
	v_add_f32_e32 v42, 1.0, v39
	v_add_f32_e32 v40, -1.0, v39
	v_add_f32_e32 v41, -1.0, v42
	v_add_f32_e32 v43, 1.0, v40
	v_sub_f32_e32 v41, v39, v41
	v_sub_f32_e32 v39, v39, v43
	v_add_f32_e32 v41, v37, v41
	v_add_f32_e32 v37, v37, v39
	;; [unrolled: 1-line block ×4, first 2 shown]
	v_rcp_f32_e32 v39, v43
	v_sub_f32_e32 v42, v42, v43
	v_sub_f32_e32 v40, v40, v44
	v_add_f32_e32 v41, v41, v42
	v_add_f32_e32 v37, v37, v40
	v_mul_f32_e32 v45, v44, v39
	v_mul_f32_e32 v46, v43, v45
	v_fma_f32 v42, v45, v43, -v46
	v_fmac_f32_e32 v42, v45, v41
	v_add_f32_e32 v47, v46, v42
	v_sub_f32_e32 v48, v44, v47
	v_sub_f32_e32 v40, v47, v46
	;; [unrolled: 1-line block ×5, first 2 shown]
	v_add_f32_e32 v37, v37, v44
	v_add_f32_e32 v37, v40, v37
	;; [unrolled: 1-line block ×3, first 2 shown]
	v_mul_f32_e32 v42, v39, v40
	v_sub_f32_e32 v47, v48, v40
	v_mul_f32_e32 v44, v43, v42
	v_add_f32_e32 v37, v37, v47
	v_fma_f32 v43, v42, v43, -v44
	v_fmac_f32_e32 v43, v42, v41
	v_add_f32_e32 v41, v44, v43
	v_sub_f32_e32 v46, v40, v41
	v_sub_f32_e32 v44, v41, v44
	;; [unrolled: 1-line block ×5, first 2 shown]
	v_add_f32_e32 v37, v37, v40
	v_add_f32_e32 v40, v45, v42
	v_add_f32_e32 v37, v41, v37
	v_sub_f32_e32 v41, v40, v45
	v_add_f32_e32 v37, v46, v37
	v_sub_f32_e32 v41, v42, v41
	v_mul_f32_e32 v37, v39, v37
	v_add_f32_e32 v37, v41, v37
	v_add_f32_e32 v39, v40, v37
	v_mul_f32_e32 v41, v39, v39
	v_fmaak_f32 v42, s30, v41, 0x3ecc95a3
	v_mul_f32_e32 v43, v39, v41
	v_fmaak_f32 v41, v41, v42, 0x3f2aaada
	v_ldexp_f32 v42, v39, 1
	v_sub_f32_e32 v39, v39, v40
	v_mul_f32_e32 v41, v43, v41
	v_mul_f32_e32 v43, 0x3f317218, v36
	v_sub_f32_e32 v37, v37, v39
	v_add_f32_e32 v40, v42, v41
	v_ldexp_f32 v37, v37, 1
	v_sub_f32_e32 v39, v40, v42
	v_fma_f32 v42, 0x3f317218, v36, -v43
	v_sub_f32_e32 v39, v41, v39
	v_fmamk_f32 v36, v36, 0xb102e308, v42
	v_add_f32_e32 v37, v37, v39
	v_add_f32_e32 v39, v43, v36
	;; [unrolled: 1-line block ×3, first 2 shown]
	v_sub_f32_e32 v43, v39, v43
	v_add_f32_e32 v42, v39, v41
	v_sub_f32_e32 v40, v41, v40
	v_sub_f32_e32 v36, v36, v43
	;; [unrolled: 1-line block ×6, first 2 shown]
	v_add_f32_e32 v41, v36, v37
	v_sub_f32_e32 v39, v39, v45
	v_add_f32_e32 v39, v40, v39
	v_sub_f32_e32 v40, v41, v36
	;; [unrolled: 2-line block ×3, first 2 shown]
	v_sub_f32_e32 v37, v37, v40
	v_add_f32_e32 v43, v42, v39
	v_sub_f32_e32 v36, v36, v41
	v_sub_f32_e32 v40, v43, v42
	v_add_f32_e32 v36, v37, v36
	v_sub_f32_e32 v37, v39, v40
	v_add_f32_e32 v36, v36, v37
	v_add_f32_e32 v36, v43, v36
	v_cndmask_b32_e32 v36, 0x7f800000, v36, vcc_lo
	v_cmp_gt_f32_e64 vcc_lo, 0x33800000, |v38|
	v_cndmask_b32_e32 v36, v36, v38, vcc_lo
	v_add_f32_e32 v36, v35, v36
.LBB463_56:
	s_or_b32 exec_lo, exec_lo, s29
	v_bfe_u32 v35, v36, 16, 1
	v_cmp_o_f32_e32 vcc_lo, v36, v36
	v_add3_u32 v35, v36, v35, 0x7fff
	v_mov_b32_e32 v36, 0x7fc0
	v_cndmask_b32_sdwa v35, v36, v35, vcc_lo dst_sel:DWORD dst_unused:UNUSED_PAD src0_sel:DWORD src1_sel:WORD_1
	v_and_b32_e32 v36, 0xffff, v35
.LBB463_57:
	s_or_b32 exec_lo, exec_lo, s28
	v_mov_b32_dpp v37, v36 row_shr:4 row_mask:0xf bank_mask:0xf
	s_mov_b32 s28, exec_lo
	v_cmpx_lt_u32_e32 3, v34
	s_cbranch_execz .LBB463_61
; %bb.58:
	v_lshlrev_b32_e32 v35, 16, v36
	v_lshlrev_b32_e32 v36, 16, v37
	v_max_f32_e32 v37, v35, v35
	v_max_f32_e32 v38, v36, v36
	v_cmp_u_f32_e32 vcc_lo, v36, v36
	v_min_f32_e32 v39, v38, v37
	v_max_f32_e32 v37, v38, v37
	v_cndmask_b32_e32 v38, v39, v36, vcc_lo
	v_cndmask_b32_e32 v39, v37, v36, vcc_lo
	v_cmp_u_f32_e32 vcc_lo, v35, v35
	v_cndmask_b32_e32 v37, v38, v35, vcc_lo
	v_cndmask_b32_e32 v35, v39, v35, vcc_lo
	v_cmp_class_f32_e64 s29, v37, 0x1f8
	v_cmp_neq_f32_e32 vcc_lo, v37, v35
	s_or_b32 s30, vcc_lo, s29
	s_and_saveexec_b32 s29, s30
	s_cbranch_execz .LBB463_60
; %bb.59:
	v_sub_f32_e32 v36, v37, v35
	s_mov_b32 s30, 0x3e9b6dac
	v_mul_f32_e32 v37, 0x3fb8aa3b, v36
	v_cmp_ngt_f32_e32 vcc_lo, 0xc2ce8ed0, v36
	v_fma_f32 v38, 0x3fb8aa3b, v36, -v37
	v_rndne_f32_e32 v39, v37
	v_fmamk_f32 v38, v36, 0x32a5705f, v38
	v_sub_f32_e32 v37, v37, v39
	v_add_f32_e32 v37, v37, v38
	v_cvt_i32_f32_e32 v38, v39
	v_exp_f32_e32 v37, v37
	v_ldexp_f32 v37, v37, v38
	v_cndmask_b32_e32 v37, 0, v37, vcc_lo
	v_cmp_nlt_f32_e32 vcc_lo, 0x42b17218, v36
	v_cndmask_b32_e32 v38, 0x7f800000, v37, vcc_lo
	v_add_f32_e32 v39, 1.0, v38
	v_cvt_f64_f32_e32 v[36:37], v39
	v_frexp_exp_i32_f64_e32 v36, v[36:37]
	v_frexp_mant_f32_e32 v37, v39
	v_cmp_gt_f32_e32 vcc_lo, 0x3f2aaaab, v37
	v_add_f32_e32 v37, -1.0, v39
	v_sub_f32_e32 v41, v37, v39
	v_sub_f32_e32 v37, v38, v37
	v_add_f32_e32 v41, 1.0, v41
	v_add_f32_e32 v37, v37, v41
	v_subrev_co_ci_u32_e64 v36, null, 0, v36, vcc_lo
	v_cmp_neq_f32_e32 vcc_lo, 0x7f800000, v38
	v_sub_nc_u32_e32 v40, 0, v36
	v_cvt_f32_i32_e32 v36, v36
	v_ldexp_f32 v39, v39, v40
	v_ldexp_f32 v37, v37, v40
	v_add_f32_e32 v42, 1.0, v39
	v_add_f32_e32 v40, -1.0, v39
	v_add_f32_e32 v41, -1.0, v42
	v_add_f32_e32 v43, 1.0, v40
	v_sub_f32_e32 v41, v39, v41
	v_sub_f32_e32 v39, v39, v43
	v_add_f32_e32 v41, v37, v41
	v_add_f32_e32 v37, v37, v39
	;; [unrolled: 1-line block ×4, first 2 shown]
	v_rcp_f32_e32 v39, v43
	v_sub_f32_e32 v42, v42, v43
	v_sub_f32_e32 v40, v40, v44
	v_add_f32_e32 v41, v41, v42
	v_add_f32_e32 v37, v37, v40
	v_mul_f32_e32 v45, v44, v39
	v_mul_f32_e32 v46, v43, v45
	v_fma_f32 v42, v45, v43, -v46
	v_fmac_f32_e32 v42, v45, v41
	v_add_f32_e32 v47, v46, v42
	v_sub_f32_e32 v48, v44, v47
	v_sub_f32_e32 v40, v47, v46
	;; [unrolled: 1-line block ×5, first 2 shown]
	v_add_f32_e32 v37, v37, v44
	v_add_f32_e32 v37, v40, v37
	;; [unrolled: 1-line block ×3, first 2 shown]
	v_mul_f32_e32 v42, v39, v40
	v_sub_f32_e32 v47, v48, v40
	v_mul_f32_e32 v44, v43, v42
	v_add_f32_e32 v37, v37, v47
	v_fma_f32 v43, v42, v43, -v44
	v_fmac_f32_e32 v43, v42, v41
	v_add_f32_e32 v41, v44, v43
	v_sub_f32_e32 v46, v40, v41
	v_sub_f32_e32 v44, v41, v44
	;; [unrolled: 1-line block ×5, first 2 shown]
	v_add_f32_e32 v37, v37, v40
	v_add_f32_e32 v40, v45, v42
	;; [unrolled: 1-line block ×3, first 2 shown]
	v_sub_f32_e32 v41, v40, v45
	v_add_f32_e32 v37, v46, v37
	v_sub_f32_e32 v41, v42, v41
	v_mul_f32_e32 v37, v39, v37
	v_add_f32_e32 v37, v41, v37
	v_add_f32_e32 v39, v40, v37
	v_mul_f32_e32 v41, v39, v39
	v_fmaak_f32 v42, s30, v41, 0x3ecc95a3
	v_mul_f32_e32 v43, v39, v41
	v_fmaak_f32 v41, v41, v42, 0x3f2aaada
	v_ldexp_f32 v42, v39, 1
	v_sub_f32_e32 v39, v39, v40
	v_mul_f32_e32 v41, v43, v41
	v_mul_f32_e32 v43, 0x3f317218, v36
	v_sub_f32_e32 v37, v37, v39
	v_add_f32_e32 v40, v42, v41
	v_ldexp_f32 v37, v37, 1
	v_sub_f32_e32 v39, v40, v42
	v_fma_f32 v42, 0x3f317218, v36, -v43
	v_sub_f32_e32 v39, v41, v39
	v_fmamk_f32 v36, v36, 0xb102e308, v42
	v_add_f32_e32 v37, v37, v39
	v_add_f32_e32 v39, v43, v36
	;; [unrolled: 1-line block ×3, first 2 shown]
	v_sub_f32_e32 v43, v39, v43
	v_add_f32_e32 v42, v39, v41
	v_sub_f32_e32 v40, v41, v40
	v_sub_f32_e32 v36, v36, v43
	;; [unrolled: 1-line block ×6, first 2 shown]
	v_add_f32_e32 v41, v36, v37
	v_sub_f32_e32 v39, v39, v45
	v_add_f32_e32 v39, v40, v39
	v_sub_f32_e32 v40, v41, v36
	;; [unrolled: 2-line block ×3, first 2 shown]
	v_sub_f32_e32 v37, v37, v40
	v_add_f32_e32 v43, v42, v39
	v_sub_f32_e32 v36, v36, v41
	v_sub_f32_e32 v40, v43, v42
	v_add_f32_e32 v36, v37, v36
	v_sub_f32_e32 v37, v39, v40
	v_add_f32_e32 v36, v36, v37
	v_add_f32_e32 v36, v43, v36
	v_cndmask_b32_e32 v36, 0x7f800000, v36, vcc_lo
	v_cmp_gt_f32_e64 vcc_lo, 0x33800000, |v38|
	v_cndmask_b32_e32 v36, v36, v38, vcc_lo
	v_add_f32_e32 v36, v35, v36
.LBB463_60:
	s_or_b32 exec_lo, exec_lo, s29
	v_bfe_u32 v35, v36, 16, 1
	v_cmp_o_f32_e32 vcc_lo, v36, v36
	v_add3_u32 v35, v36, v35, 0x7fff
	v_mov_b32_e32 v36, 0x7fc0
	v_cndmask_b32_sdwa v35, v36, v35, vcc_lo dst_sel:DWORD dst_unused:UNUSED_PAD src0_sel:DWORD src1_sel:WORD_1
	v_and_b32_e32 v36, 0xffff, v35
.LBB463_61:
	s_or_b32 exec_lo, exec_lo, s28
	v_mov_b32_dpp v37, v36 row_shr:8 row_mask:0xf bank_mask:0xf
	s_mov_b32 s28, exec_lo
	v_cmpx_lt_u32_e32 7, v34
	s_cbranch_execz .LBB463_65
; %bb.62:
	v_lshlrev_b32_e32 v34, 16, v36
	v_lshlrev_b32_e32 v35, 16, v37
	v_max_f32_e32 v36, v34, v34
	v_max_f32_e32 v37, v35, v35
	v_cmp_u_f32_e32 vcc_lo, v35, v35
	v_min_f32_e32 v38, v37, v36
	v_max_f32_e32 v36, v37, v36
	v_cndmask_b32_e32 v37, v38, v35, vcc_lo
	v_cndmask_b32_e32 v38, v36, v35, vcc_lo
	v_cmp_u_f32_e32 vcc_lo, v34, v34
	v_cndmask_b32_e32 v36, v37, v34, vcc_lo
	v_cndmask_b32_e32 v34, v38, v34, vcc_lo
	v_cmp_class_f32_e64 s29, v36, 0x1f8
	v_cmp_neq_f32_e32 vcc_lo, v36, v34
	s_or_b32 s30, vcc_lo, s29
	s_and_saveexec_b32 s29, s30
	s_cbranch_execz .LBB463_64
; %bb.63:
	v_sub_f32_e32 v35, v36, v34
	s_mov_b32 s30, 0x3e9b6dac
	v_mul_f32_e32 v36, 0x3fb8aa3b, v35
	v_cmp_ngt_f32_e32 vcc_lo, 0xc2ce8ed0, v35
	v_fma_f32 v37, 0x3fb8aa3b, v35, -v36
	v_rndne_f32_e32 v38, v36
	v_fmamk_f32 v37, v35, 0x32a5705f, v37
	v_sub_f32_e32 v36, v36, v38
	v_add_f32_e32 v36, v36, v37
	v_cvt_i32_f32_e32 v37, v38
	v_exp_f32_e32 v36, v36
	v_ldexp_f32 v36, v36, v37
	v_cndmask_b32_e32 v36, 0, v36, vcc_lo
	v_cmp_nlt_f32_e32 vcc_lo, 0x42b17218, v35
	v_cndmask_b32_e32 v37, 0x7f800000, v36, vcc_lo
	v_add_f32_e32 v38, 1.0, v37
	v_cvt_f64_f32_e32 v[35:36], v38
	v_frexp_exp_i32_f64_e32 v35, v[35:36]
	v_frexp_mant_f32_e32 v36, v38
	v_cmp_gt_f32_e32 vcc_lo, 0x3f2aaaab, v36
	v_add_f32_e32 v36, -1.0, v38
	v_sub_f32_e32 v40, v36, v38
	v_sub_f32_e32 v36, v37, v36
	v_add_f32_e32 v40, 1.0, v40
	v_add_f32_e32 v36, v36, v40
	v_subrev_co_ci_u32_e64 v35, null, 0, v35, vcc_lo
	v_cmp_neq_f32_e32 vcc_lo, 0x7f800000, v37
	v_sub_nc_u32_e32 v39, 0, v35
	v_cvt_f32_i32_e32 v35, v35
	v_ldexp_f32 v38, v38, v39
	v_ldexp_f32 v36, v36, v39
	v_add_f32_e32 v41, 1.0, v38
	v_add_f32_e32 v39, -1.0, v38
	v_add_f32_e32 v40, -1.0, v41
	v_add_f32_e32 v42, 1.0, v39
	v_sub_f32_e32 v40, v38, v40
	v_sub_f32_e32 v38, v38, v42
	v_add_f32_e32 v40, v36, v40
	v_add_f32_e32 v36, v36, v38
	;; [unrolled: 1-line block ×4, first 2 shown]
	v_rcp_f32_e32 v38, v42
	v_sub_f32_e32 v41, v41, v42
	v_sub_f32_e32 v39, v39, v43
	v_add_f32_e32 v40, v40, v41
	v_add_f32_e32 v36, v36, v39
	v_mul_f32_e32 v44, v43, v38
	v_mul_f32_e32 v45, v42, v44
	v_fma_f32 v41, v44, v42, -v45
	v_fmac_f32_e32 v41, v44, v40
	v_add_f32_e32 v46, v45, v41
	v_sub_f32_e32 v47, v43, v46
	v_sub_f32_e32 v39, v46, v45
	;; [unrolled: 1-line block ×5, first 2 shown]
	v_add_f32_e32 v36, v36, v43
	v_add_f32_e32 v36, v39, v36
	;; [unrolled: 1-line block ×3, first 2 shown]
	v_mul_f32_e32 v41, v38, v39
	v_sub_f32_e32 v46, v47, v39
	v_mul_f32_e32 v43, v42, v41
	v_add_f32_e32 v36, v36, v46
	v_fma_f32 v42, v41, v42, -v43
	v_fmac_f32_e32 v42, v41, v40
	v_add_f32_e32 v40, v43, v42
	v_sub_f32_e32 v45, v39, v40
	v_sub_f32_e32 v43, v40, v43
	;; [unrolled: 1-line block ×5, first 2 shown]
	v_add_f32_e32 v36, v36, v39
	v_add_f32_e32 v39, v44, v41
	;; [unrolled: 1-line block ×3, first 2 shown]
	v_sub_f32_e32 v40, v39, v44
	v_add_f32_e32 v36, v45, v36
	v_sub_f32_e32 v40, v41, v40
	v_mul_f32_e32 v36, v38, v36
	v_add_f32_e32 v36, v40, v36
	v_add_f32_e32 v38, v39, v36
	v_mul_f32_e32 v40, v38, v38
	v_fmaak_f32 v41, s30, v40, 0x3ecc95a3
	v_mul_f32_e32 v42, v38, v40
	v_fmaak_f32 v40, v40, v41, 0x3f2aaada
	v_ldexp_f32 v41, v38, 1
	v_sub_f32_e32 v38, v38, v39
	v_mul_f32_e32 v40, v42, v40
	v_mul_f32_e32 v42, 0x3f317218, v35
	v_sub_f32_e32 v36, v36, v38
	v_add_f32_e32 v39, v41, v40
	v_ldexp_f32 v36, v36, 1
	v_sub_f32_e32 v38, v39, v41
	v_fma_f32 v41, 0x3f317218, v35, -v42
	v_sub_f32_e32 v38, v40, v38
	v_fmamk_f32 v35, v35, 0xb102e308, v41
	v_add_f32_e32 v36, v36, v38
	v_add_f32_e32 v38, v42, v35
	;; [unrolled: 1-line block ×3, first 2 shown]
	v_sub_f32_e32 v42, v38, v42
	v_add_f32_e32 v41, v38, v40
	v_sub_f32_e32 v39, v40, v39
	v_sub_f32_e32 v35, v35, v42
	;; [unrolled: 1-line block ×6, first 2 shown]
	v_add_f32_e32 v40, v35, v36
	v_sub_f32_e32 v38, v38, v44
	v_add_f32_e32 v38, v39, v38
	v_sub_f32_e32 v39, v40, v35
	;; [unrolled: 2-line block ×3, first 2 shown]
	v_sub_f32_e32 v36, v36, v39
	v_add_f32_e32 v42, v41, v38
	v_sub_f32_e32 v35, v35, v40
	v_sub_f32_e32 v39, v42, v41
	v_add_f32_e32 v35, v36, v35
	v_sub_f32_e32 v36, v38, v39
	v_add_f32_e32 v35, v35, v36
	v_add_f32_e32 v35, v42, v35
	v_cndmask_b32_e32 v35, 0x7f800000, v35, vcc_lo
	v_cmp_gt_f32_e64 vcc_lo, 0x33800000, |v37|
	v_cndmask_b32_e32 v35, v35, v37, vcc_lo
	v_add_f32_e32 v35, v34, v35
.LBB463_64:
	s_or_b32 exec_lo, exec_lo, s29
	v_bfe_u32 v34, v35, 16, 1
	v_cmp_o_f32_e32 vcc_lo, v35, v35
	v_add3_u32 v34, v35, v34, 0x7fff
	v_mov_b32_e32 v35, 0x7fc0
	v_cndmask_b32_sdwa v35, v35, v34, vcc_lo dst_sel:DWORD dst_unused:UNUSED_PAD src0_sel:DWORD src1_sel:WORD_1
	v_and_b32_e32 v36, 0xffff, v35
.LBB463_65:
	s_or_b32 exec_lo, exec_lo, s28
	ds_swizzle_b32 v34, v36 offset:swizzle(BROADCAST,32,15)
	v_and_b32_e32 v37, 16, v33
	s_mov_b32 s28, exec_lo
	v_cmpx_ne_u32_e32 0, v37
	s_cbranch_execz .LBB463_69
; %bb.66:
	v_lshlrev_b32_e32 v37, 16, v36
	s_waitcnt lgkmcnt(0)
	v_lshlrev_b32_e32 v35, 16, v34
	v_max_f32_e32 v34, v37, v37
	v_max_f32_e32 v36, v35, v35
	v_cmp_u_f32_e32 vcc_lo, v35, v35
	v_min_f32_e32 v38, v36, v34
	v_max_f32_e32 v34, v36, v34
	v_cndmask_b32_e32 v36, v38, v35, vcc_lo
	v_cndmask_b32_e32 v34, v34, v35, vcc_lo
	v_cmp_u_f32_e32 vcc_lo, v37, v37
	v_cndmask_b32_e32 v36, v36, v37, vcc_lo
	v_cndmask_b32_e32 v34, v34, v37, vcc_lo
	v_cmp_class_f32_e64 s29, v36, 0x1f8
	v_cmp_neq_f32_e32 vcc_lo, v36, v34
	s_or_b32 s30, vcc_lo, s29
	s_and_saveexec_b32 s29, s30
	s_cbranch_execz .LBB463_68
; %bb.67:
	v_sub_f32_e32 v35, v36, v34
	s_mov_b32 s30, 0x3e9b6dac
	v_mul_f32_e32 v36, 0x3fb8aa3b, v35
	v_cmp_ngt_f32_e32 vcc_lo, 0xc2ce8ed0, v35
	v_fma_f32 v37, 0x3fb8aa3b, v35, -v36
	v_rndne_f32_e32 v38, v36
	v_fmamk_f32 v37, v35, 0x32a5705f, v37
	v_sub_f32_e32 v36, v36, v38
	v_add_f32_e32 v36, v36, v37
	v_cvt_i32_f32_e32 v37, v38
	v_exp_f32_e32 v36, v36
	v_ldexp_f32 v36, v36, v37
	v_cndmask_b32_e32 v36, 0, v36, vcc_lo
	v_cmp_nlt_f32_e32 vcc_lo, 0x42b17218, v35
	v_cndmask_b32_e32 v37, 0x7f800000, v36, vcc_lo
	v_add_f32_e32 v38, 1.0, v37
	v_cvt_f64_f32_e32 v[35:36], v38
	v_frexp_exp_i32_f64_e32 v35, v[35:36]
	v_frexp_mant_f32_e32 v36, v38
	v_cmp_gt_f32_e32 vcc_lo, 0x3f2aaaab, v36
	v_add_f32_e32 v36, -1.0, v38
	v_sub_f32_e32 v40, v36, v38
	v_sub_f32_e32 v36, v37, v36
	v_add_f32_e32 v40, 1.0, v40
	v_add_f32_e32 v36, v36, v40
	v_subrev_co_ci_u32_e64 v35, null, 0, v35, vcc_lo
	v_cmp_neq_f32_e32 vcc_lo, 0x7f800000, v37
	v_sub_nc_u32_e32 v39, 0, v35
	v_cvt_f32_i32_e32 v35, v35
	v_ldexp_f32 v38, v38, v39
	v_ldexp_f32 v36, v36, v39
	v_add_f32_e32 v41, 1.0, v38
	v_add_f32_e32 v39, -1.0, v38
	v_add_f32_e32 v40, -1.0, v41
	v_add_f32_e32 v42, 1.0, v39
	v_sub_f32_e32 v40, v38, v40
	v_sub_f32_e32 v38, v38, v42
	v_add_f32_e32 v40, v36, v40
	v_add_f32_e32 v36, v36, v38
	;; [unrolled: 1-line block ×4, first 2 shown]
	v_rcp_f32_e32 v38, v42
	v_sub_f32_e32 v41, v41, v42
	v_sub_f32_e32 v39, v39, v43
	v_add_f32_e32 v40, v40, v41
	v_add_f32_e32 v36, v36, v39
	v_mul_f32_e32 v44, v43, v38
	v_mul_f32_e32 v45, v42, v44
	v_fma_f32 v41, v44, v42, -v45
	v_fmac_f32_e32 v41, v44, v40
	v_add_f32_e32 v46, v45, v41
	v_sub_f32_e32 v47, v43, v46
	v_sub_f32_e32 v39, v46, v45
	;; [unrolled: 1-line block ×5, first 2 shown]
	v_add_f32_e32 v36, v36, v43
	v_add_f32_e32 v36, v39, v36
	;; [unrolled: 1-line block ×3, first 2 shown]
	v_mul_f32_e32 v41, v38, v39
	v_sub_f32_e32 v46, v47, v39
	v_mul_f32_e32 v43, v42, v41
	v_add_f32_e32 v36, v36, v46
	v_fma_f32 v42, v41, v42, -v43
	v_fmac_f32_e32 v42, v41, v40
	v_add_f32_e32 v40, v43, v42
	v_sub_f32_e32 v45, v39, v40
	v_sub_f32_e32 v43, v40, v43
	;; [unrolled: 1-line block ×5, first 2 shown]
	v_add_f32_e32 v36, v36, v39
	v_add_f32_e32 v39, v44, v41
	;; [unrolled: 1-line block ×3, first 2 shown]
	v_sub_f32_e32 v40, v39, v44
	v_add_f32_e32 v36, v45, v36
	v_sub_f32_e32 v40, v41, v40
	v_mul_f32_e32 v36, v38, v36
	v_add_f32_e32 v36, v40, v36
	v_add_f32_e32 v38, v39, v36
	v_mul_f32_e32 v40, v38, v38
	v_fmaak_f32 v41, s30, v40, 0x3ecc95a3
	v_mul_f32_e32 v42, v38, v40
	v_fmaak_f32 v40, v40, v41, 0x3f2aaada
	v_ldexp_f32 v41, v38, 1
	v_sub_f32_e32 v38, v38, v39
	v_mul_f32_e32 v40, v42, v40
	v_mul_f32_e32 v42, 0x3f317218, v35
	v_sub_f32_e32 v36, v36, v38
	v_add_f32_e32 v39, v41, v40
	v_ldexp_f32 v36, v36, 1
	v_sub_f32_e32 v38, v39, v41
	v_fma_f32 v41, 0x3f317218, v35, -v42
	v_sub_f32_e32 v38, v40, v38
	v_fmamk_f32 v35, v35, 0xb102e308, v41
	v_add_f32_e32 v36, v36, v38
	v_add_f32_e32 v38, v42, v35
	;; [unrolled: 1-line block ×3, first 2 shown]
	v_sub_f32_e32 v42, v38, v42
	v_add_f32_e32 v41, v38, v40
	v_sub_f32_e32 v39, v40, v39
	v_sub_f32_e32 v35, v35, v42
	;; [unrolled: 1-line block ×6, first 2 shown]
	v_add_f32_e32 v40, v35, v36
	v_sub_f32_e32 v38, v38, v44
	v_add_f32_e32 v38, v39, v38
	v_sub_f32_e32 v39, v40, v35
	;; [unrolled: 2-line block ×3, first 2 shown]
	v_sub_f32_e32 v36, v36, v39
	v_add_f32_e32 v42, v41, v38
	v_sub_f32_e32 v35, v35, v40
	v_sub_f32_e32 v39, v42, v41
	v_add_f32_e32 v35, v36, v35
	v_sub_f32_e32 v36, v38, v39
	v_add_f32_e32 v35, v35, v36
	v_add_f32_e32 v35, v42, v35
	v_cndmask_b32_e32 v35, 0x7f800000, v35, vcc_lo
	v_cmp_gt_f32_e64 vcc_lo, 0x33800000, |v37|
	v_cndmask_b32_e32 v35, v35, v37, vcc_lo
	v_add_f32_e32 v35, v34, v35
.LBB463_68:
	s_or_b32 exec_lo, exec_lo, s29
	v_bfe_u32 v34, v35, 16, 1
	v_cmp_o_f32_e32 vcc_lo, v35, v35
	v_add3_u32 v34, v35, v34, 0x7fff
	v_mov_b32_e32 v35, 0x7fc0
	v_cndmask_b32_sdwa v35, v35, v34, vcc_lo dst_sel:DWORD dst_unused:UNUSED_PAD src0_sel:DWORD src1_sel:WORD_1
.LBB463_69:
	s_or_b32 exec_lo, exec_lo, s28
	s_waitcnt lgkmcnt(0)
	v_add_nc_u32_e32 v34, -1, v33
	v_cmp_gt_i32_e32 vcc_lo, 0, v34
	v_cndmask_b32_e32 v33, v34, v33, vcc_lo
	v_and_b32_e32 v34, 0xffff, v35
	v_lshlrev_b32_e32 v33, 2, v33
	ds_bpermute_b32 v33, v33, v34
	s_waitcnt lgkmcnt(0)
	v_lshlrev_b32_e32 v33, 16, v33
	v_max_f32_e32 v34, v33, v33
	v_cmp_u_f32_e32 vcc_lo, v33, v33
	v_min_f32_e32 v35, v34, v32
	v_max_f32_e32 v32, v34, v32
	v_cndmask_b32_e32 v34, v35, v33, vcc_lo
	v_cndmask_b32_e32 v35, v32, v33, vcc_lo
	v_cndmask_b32_e64 v32, v34, v31, s4
	v_cndmask_b32_e64 v31, v35, v31, s4
	v_cmp_class_f32_e64 s4, v32, 0x1f8
	v_cmp_neq_f32_e32 vcc_lo, v32, v31
	s_or_b32 s28, vcc_lo, s4
	s_and_saveexec_b32 s4, s28
	s_cbranch_execz .LBB463_71
; %bb.70:
	v_sub_f32_e32 v32, v32, v31
	s_mov_b32 s28, 0x3e9b6dac
	v_mul_f32_e32 v33, 0x3fb8aa3b, v32
	v_cmp_ngt_f32_e32 vcc_lo, 0xc2ce8ed0, v32
	v_fma_f32 v34, 0x3fb8aa3b, v32, -v33
	v_rndne_f32_e32 v35, v33
	v_fmamk_f32 v34, v32, 0x32a5705f, v34
	v_sub_f32_e32 v33, v33, v35
	v_add_f32_e32 v33, v33, v34
	v_cvt_i32_f32_e32 v34, v35
	v_exp_f32_e32 v33, v33
	v_ldexp_f32 v33, v33, v34
	v_cndmask_b32_e32 v33, 0, v33, vcc_lo
	v_cmp_nlt_f32_e32 vcc_lo, 0x42b17218, v32
	v_cndmask_b32_e32 v34, 0x7f800000, v33, vcc_lo
	v_add_f32_e32 v35, 1.0, v34
	v_cvt_f64_f32_e32 v[32:33], v35
	v_frexp_exp_i32_f64_e32 v32, v[32:33]
	v_frexp_mant_f32_e32 v33, v35
	v_cmp_gt_f32_e32 vcc_lo, 0x3f2aaaab, v33
	v_add_f32_e32 v33, -1.0, v35
	v_sub_f32_e32 v37, v33, v35
	v_sub_f32_e32 v33, v34, v33
	v_add_f32_e32 v37, 1.0, v37
	v_add_f32_e32 v33, v33, v37
	v_subrev_co_ci_u32_e64 v32, null, 0, v32, vcc_lo
	v_cmp_neq_f32_e32 vcc_lo, 0x7f800000, v34
	v_sub_nc_u32_e32 v36, 0, v32
	v_cvt_f32_i32_e32 v32, v32
	v_ldexp_f32 v35, v35, v36
	v_ldexp_f32 v33, v33, v36
	v_add_f32_e32 v38, 1.0, v35
	v_add_f32_e32 v36, -1.0, v35
	v_add_f32_e32 v37, -1.0, v38
	v_add_f32_e32 v39, 1.0, v36
	v_sub_f32_e32 v37, v35, v37
	v_sub_f32_e32 v35, v35, v39
	v_add_f32_e32 v37, v33, v37
	v_add_f32_e32 v33, v33, v35
	;; [unrolled: 1-line block ×4, first 2 shown]
	v_rcp_f32_e32 v35, v39
	v_sub_f32_e32 v38, v38, v39
	v_sub_f32_e32 v36, v36, v40
	v_add_f32_e32 v37, v37, v38
	v_add_f32_e32 v33, v33, v36
	v_mul_f32_e32 v41, v40, v35
	v_mul_f32_e32 v42, v39, v41
	v_fma_f32 v38, v41, v39, -v42
	v_fmac_f32_e32 v38, v41, v37
	v_add_f32_e32 v43, v42, v38
	v_sub_f32_e32 v44, v40, v43
	v_sub_f32_e32 v36, v43, v42
	v_sub_f32_e32 v40, v40, v44
	v_sub_f32_e32 v36, v36, v38
	v_sub_f32_e32 v40, v40, v43
	v_add_f32_e32 v33, v33, v40
	v_add_f32_e32 v33, v36, v33
	;; [unrolled: 1-line block ×3, first 2 shown]
	v_mul_f32_e32 v38, v35, v36
	v_sub_f32_e32 v43, v44, v36
	v_mul_f32_e32 v40, v39, v38
	v_add_f32_e32 v33, v33, v43
	v_fma_f32 v39, v38, v39, -v40
	v_fmac_f32_e32 v39, v38, v37
	v_add_f32_e32 v37, v40, v39
	v_sub_f32_e32 v42, v36, v37
	v_sub_f32_e32 v40, v37, v40
	;; [unrolled: 1-line block ×5, first 2 shown]
	v_add_f32_e32 v33, v33, v36
	v_add_f32_e32 v36, v41, v38
	;; [unrolled: 1-line block ×3, first 2 shown]
	v_sub_f32_e32 v37, v36, v41
	v_add_f32_e32 v33, v42, v33
	v_sub_f32_e32 v37, v38, v37
	v_mul_f32_e32 v33, v35, v33
	v_add_f32_e32 v33, v37, v33
	v_add_f32_e32 v35, v36, v33
	v_mul_f32_e32 v37, v35, v35
	v_fmaak_f32 v38, s28, v37, 0x3ecc95a3
	v_mul_f32_e32 v39, v35, v37
	v_fmaak_f32 v37, v37, v38, 0x3f2aaada
	v_ldexp_f32 v38, v35, 1
	v_sub_f32_e32 v35, v35, v36
	v_mul_f32_e32 v37, v39, v37
	v_mul_f32_e32 v39, 0x3f317218, v32
	v_sub_f32_e32 v33, v33, v35
	v_add_f32_e32 v36, v38, v37
	v_ldexp_f32 v33, v33, 1
	v_sub_f32_e32 v35, v36, v38
	v_fma_f32 v38, 0x3f317218, v32, -v39
	v_sub_f32_e32 v35, v37, v35
	v_fmamk_f32 v32, v32, 0xb102e308, v38
	v_add_f32_e32 v33, v33, v35
	v_add_f32_e32 v35, v39, v32
	;; [unrolled: 1-line block ×3, first 2 shown]
	v_sub_f32_e32 v39, v35, v39
	v_add_f32_e32 v38, v35, v37
	v_sub_f32_e32 v36, v37, v36
	v_sub_f32_e32 v32, v32, v39
	;; [unrolled: 1-line block ×6, first 2 shown]
	v_add_f32_e32 v37, v32, v33
	v_sub_f32_e32 v35, v35, v41
	v_add_f32_e32 v35, v36, v35
	v_sub_f32_e32 v36, v37, v32
	;; [unrolled: 2-line block ×3, first 2 shown]
	v_sub_f32_e32 v33, v33, v36
	v_add_f32_e32 v39, v38, v35
	v_sub_f32_e32 v32, v32, v37
	v_sub_f32_e32 v36, v39, v38
	v_add_f32_e32 v32, v33, v32
	v_sub_f32_e32 v33, v35, v36
	v_add_f32_e32 v32, v32, v33
	v_add_f32_e32 v32, v39, v32
	v_cndmask_b32_e32 v32, 0x7f800000, v32, vcc_lo
	v_cmp_gt_f32_e64 vcc_lo, 0x33800000, |v34|
	v_cndmask_b32_e32 v32, v32, v34, vcc_lo
	v_add_f32_e32 v33, v31, v32
.LBB463_71:
	s_or_b32 exec_lo, exec_lo, s4
	v_bfe_u32 v32, v33, 16, 1
	v_cmp_o_f32_e32 vcc_lo, v33, v33
	v_mov_b32_e32 v31, 0x7fc0
	; wave barrier
	v_add3_u32 v32, v33, v32, 0x7fff
	v_cndmask_b32_sdwa v32, v31, v32, vcc_lo dst_sel:DWORD dst_unused:UNUSED_PAD src0_sel:DWORD src1_sel:WORD_1
	v_cmp_eq_u32_e32 vcc_lo, 0, v0
	v_cndmask_b32_e32 v30, v32, v30, vcc_lo
	ds_write_b16 v29, v30
	; wave barrier
	ds_read_u16 v33, v29 offset:2
	v_lshlrev_b32_e32 v32, 16, v30
	v_cmp_u_f32_e32 vcc_lo, v32, v32
	s_waitcnt lgkmcnt(0)
	v_lshlrev_b32_e32 v30, 16, v33
	v_max_f32_e32 v33, v32, v32
	v_max_f32_e32 v34, v30, v30
	v_min_f32_e32 v35, v33, v34
	v_max_f32_e32 v33, v33, v34
	v_cndmask_b32_e32 v34, v35, v32, vcc_lo
	v_cndmask_b32_e32 v35, v33, v32, vcc_lo
	v_cmp_u_f32_e32 vcc_lo, v30, v30
	v_cndmask_b32_e32 v33, v34, v30, vcc_lo
	v_cndmask_b32_e32 v30, v35, v30, vcc_lo
	v_cmp_class_f32_e64 s4, v33, 0x1f8
	v_cmp_neq_f32_e32 vcc_lo, v33, v30
	s_or_b32 s28, vcc_lo, s4
	s_and_saveexec_b32 s4, s28
	s_cbranch_execz .LBB463_73
; %bb.72:
	v_sub_f32_e32 v32, v33, v30
	s_mov_b32 s28, 0x3e9b6dac
	v_mul_f32_e32 v33, 0x3fb8aa3b, v32
	v_cmp_ngt_f32_e32 vcc_lo, 0xc2ce8ed0, v32
	v_fma_f32 v34, 0x3fb8aa3b, v32, -v33
	v_rndne_f32_e32 v35, v33
	v_fmamk_f32 v34, v32, 0x32a5705f, v34
	v_sub_f32_e32 v33, v33, v35
	v_add_f32_e32 v33, v33, v34
	v_cvt_i32_f32_e32 v34, v35
	v_exp_f32_e32 v33, v33
	v_ldexp_f32 v33, v33, v34
	v_cndmask_b32_e32 v33, 0, v33, vcc_lo
	v_cmp_nlt_f32_e32 vcc_lo, 0x42b17218, v32
	v_cndmask_b32_e32 v34, 0x7f800000, v33, vcc_lo
	v_add_f32_e32 v35, 1.0, v34
	v_cvt_f64_f32_e32 v[32:33], v35
	v_frexp_exp_i32_f64_e32 v32, v[32:33]
	v_frexp_mant_f32_e32 v33, v35
	v_cmp_gt_f32_e32 vcc_lo, 0x3f2aaaab, v33
	v_add_f32_e32 v33, -1.0, v35
	v_sub_f32_e32 v37, v33, v35
	v_sub_f32_e32 v33, v34, v33
	v_add_f32_e32 v37, 1.0, v37
	v_add_f32_e32 v33, v33, v37
	v_subrev_co_ci_u32_e64 v32, null, 0, v32, vcc_lo
	v_cmp_neq_f32_e32 vcc_lo, 0x7f800000, v34
	v_sub_nc_u32_e32 v36, 0, v32
	v_cvt_f32_i32_e32 v32, v32
	v_ldexp_f32 v35, v35, v36
	v_ldexp_f32 v33, v33, v36
	v_add_f32_e32 v38, 1.0, v35
	v_add_f32_e32 v36, -1.0, v35
	v_add_f32_e32 v37, -1.0, v38
	v_add_f32_e32 v39, 1.0, v36
	v_sub_f32_e32 v37, v35, v37
	v_sub_f32_e32 v35, v35, v39
	v_add_f32_e32 v37, v33, v37
	v_add_f32_e32 v33, v33, v35
	v_add_f32_e32 v39, v38, v37
	v_add_f32_e32 v40, v36, v33
	v_rcp_f32_e32 v35, v39
	v_sub_f32_e32 v38, v38, v39
	v_sub_f32_e32 v36, v36, v40
	v_add_f32_e32 v37, v37, v38
	v_add_f32_e32 v33, v33, v36
	v_mul_f32_e32 v41, v40, v35
	v_mul_f32_e32 v42, v39, v41
	v_fma_f32 v38, v41, v39, -v42
	v_fmac_f32_e32 v38, v41, v37
	v_add_f32_e32 v43, v42, v38
	v_sub_f32_e32 v44, v40, v43
	v_sub_f32_e32 v36, v43, v42
	;; [unrolled: 1-line block ×5, first 2 shown]
	v_add_f32_e32 v33, v33, v40
	v_add_f32_e32 v33, v36, v33
	;; [unrolled: 1-line block ×3, first 2 shown]
	v_mul_f32_e32 v38, v35, v36
	v_sub_f32_e32 v43, v44, v36
	v_mul_f32_e32 v40, v39, v38
	v_add_f32_e32 v33, v33, v43
	v_fma_f32 v39, v38, v39, -v40
	v_fmac_f32_e32 v39, v38, v37
	v_add_f32_e32 v37, v40, v39
	v_sub_f32_e32 v42, v36, v37
	v_sub_f32_e32 v40, v37, v40
	;; [unrolled: 1-line block ×5, first 2 shown]
	v_add_f32_e32 v33, v33, v36
	v_add_f32_e32 v36, v41, v38
	v_add_f32_e32 v33, v37, v33
	v_sub_f32_e32 v37, v36, v41
	v_add_f32_e32 v33, v42, v33
	v_sub_f32_e32 v37, v38, v37
	v_mul_f32_e32 v33, v35, v33
	v_add_f32_e32 v33, v37, v33
	v_add_f32_e32 v35, v36, v33
	v_mul_f32_e32 v37, v35, v35
	v_fmaak_f32 v38, s28, v37, 0x3ecc95a3
	v_mul_f32_e32 v39, v35, v37
	v_fmaak_f32 v37, v37, v38, 0x3f2aaada
	v_ldexp_f32 v38, v35, 1
	v_sub_f32_e32 v35, v35, v36
	v_mul_f32_e32 v37, v39, v37
	v_mul_f32_e32 v39, 0x3f317218, v32
	v_sub_f32_e32 v33, v33, v35
	v_add_f32_e32 v36, v38, v37
	v_ldexp_f32 v33, v33, 1
	v_sub_f32_e32 v35, v36, v38
	v_fma_f32 v38, 0x3f317218, v32, -v39
	v_sub_f32_e32 v35, v37, v35
	v_fmamk_f32 v32, v32, 0xb102e308, v38
	v_add_f32_e32 v33, v33, v35
	v_add_f32_e32 v35, v39, v32
	;; [unrolled: 1-line block ×3, first 2 shown]
	v_sub_f32_e32 v39, v35, v39
	v_add_f32_e32 v38, v35, v37
	v_sub_f32_e32 v36, v37, v36
	v_sub_f32_e32 v32, v32, v39
	;; [unrolled: 1-line block ×6, first 2 shown]
	v_add_f32_e32 v37, v32, v33
	v_sub_f32_e32 v35, v35, v41
	v_add_f32_e32 v35, v36, v35
	v_sub_f32_e32 v36, v37, v32
	;; [unrolled: 2-line block ×3, first 2 shown]
	v_sub_f32_e32 v33, v33, v36
	v_add_f32_e32 v39, v38, v35
	v_sub_f32_e32 v32, v32, v37
	v_sub_f32_e32 v36, v39, v38
	v_add_f32_e32 v32, v33, v32
	v_sub_f32_e32 v33, v35, v36
	v_add_f32_e32 v32, v32, v33
	v_add_f32_e32 v32, v39, v32
	v_cndmask_b32_e32 v32, 0x7f800000, v32, vcc_lo
	v_cmp_gt_f32_e64 vcc_lo, 0x33800000, |v34|
	v_cndmask_b32_e32 v32, v32, v34, vcc_lo
	v_add_f32_e32 v32, v30, v32
.LBB463_73:
	s_or_b32 exec_lo, exec_lo, s4
	v_bfe_u32 v30, v32, 16, 1
	v_cmp_o_f32_e32 vcc_lo, v32, v32
	v_add3_u32 v30, v32, v30, 0x7fff
	v_cndmask_b32_sdwa v30, v31, v30, vcc_lo dst_sel:DWORD dst_unused:UNUSED_PAD src0_sel:DWORD src1_sel:WORD_1
	ds_write_b16 v29, v30 offset:2
.LBB463_74:
	s_or_b32 exec_lo, exec_lo, s5
	v_mul_u32_u24_e32 v29, 22, v0
	s_mov_b32 s4, exec_lo
	s_waitcnt lgkmcnt(0)
	s_barrier
	buffer_gl0_inv
	v_cmpx_ne_u32_e32 0, v0
	s_cbranch_execz .LBB463_78
; %bb.75:
	v_add_nc_u32_e32 v1, -1, v0
	v_lshrrev_b32_e32 v26, 4, v1
	v_and_b32_e32 v26, 0xffffffe, v26
	v_lshl_add_u32 v1, v1, 1, v26
	ds_read_u16 v1, v1
	s_waitcnt lgkmcnt(0)
	v_lshlrev_b32_e32 v26, 16, v1
	v_max_f32_e32 v1, v26, v26
	v_cmp_u_f32_e32 vcc_lo, v26, v26
	v_min_f32_e32 v27, v1, v28
	v_max_f32_e32 v1, v1, v28
	v_cndmask_b32_e32 v27, v27, v26, vcc_lo
	v_cndmask_b32_e32 v1, v1, v26, vcc_lo
	v_cndmask_b32_e64 v27, v27, v25, s25
	v_cndmask_b32_e64 v1, v1, v25, s25
	v_cmp_class_f32_e64 s5, v27, 0x1f8
	v_cmp_neq_f32_e32 vcc_lo, v27, v1
	s_or_b32 s25, vcc_lo, s5
	s_and_saveexec_b32 s5, s25
	s_cbranch_execz .LBB463_77
; %bb.76:
	v_sub_f32_e32 v25, v27, v1
	s_mov_b32 s25, 0x3e9b6dac
	v_mul_f32_e32 v26, 0x3fb8aa3b, v25
	v_cmp_ngt_f32_e32 vcc_lo, 0xc2ce8ed0, v25
	v_fma_f32 v27, 0x3fb8aa3b, v25, -v26
	v_rndne_f32_e32 v28, v26
	v_fmamk_f32 v27, v25, 0x32a5705f, v27
	v_sub_f32_e32 v26, v26, v28
	v_add_f32_e32 v26, v26, v27
	v_cvt_i32_f32_e32 v27, v28
	v_exp_f32_e32 v26, v26
	v_ldexp_f32 v26, v26, v27
	v_cndmask_b32_e32 v26, 0, v26, vcc_lo
	v_cmp_nlt_f32_e32 vcc_lo, 0x42b17218, v25
	v_cndmask_b32_e32 v27, 0x7f800000, v26, vcc_lo
	v_add_f32_e32 v28, 1.0, v27
	v_cvt_f64_f32_e32 v[25:26], v28
	v_frexp_exp_i32_f64_e32 v25, v[25:26]
	v_frexp_mant_f32_e32 v26, v28
	v_cmp_gt_f32_e32 vcc_lo, 0x3f2aaaab, v26
	v_add_f32_e32 v26, -1.0, v28
	v_sub_f32_e32 v31, v26, v28
	v_sub_f32_e32 v26, v27, v26
	v_add_f32_e32 v31, 1.0, v31
	v_add_f32_e32 v26, v26, v31
	v_subrev_co_ci_u32_e64 v25, null, 0, v25, vcc_lo
	v_cmp_neq_f32_e32 vcc_lo, 0x7f800000, v27
	v_sub_nc_u32_e32 v30, 0, v25
	v_cvt_f32_i32_e32 v25, v25
	v_ldexp_f32 v28, v28, v30
	v_ldexp_f32 v26, v26, v30
	v_add_f32_e32 v32, 1.0, v28
	v_add_f32_e32 v30, -1.0, v28
	v_add_f32_e32 v31, -1.0, v32
	v_add_f32_e32 v33, 1.0, v30
	v_sub_f32_e32 v31, v28, v31
	v_sub_f32_e32 v28, v28, v33
	v_add_f32_e32 v31, v26, v31
	v_add_f32_e32 v26, v26, v28
	;; [unrolled: 1-line block ×4, first 2 shown]
	v_rcp_f32_e32 v28, v33
	v_sub_f32_e32 v32, v32, v33
	v_sub_f32_e32 v30, v30, v34
	v_add_f32_e32 v31, v31, v32
	v_add_f32_e32 v26, v26, v30
	v_mul_f32_e32 v35, v34, v28
	v_mul_f32_e32 v36, v33, v35
	v_fma_f32 v32, v35, v33, -v36
	v_fmac_f32_e32 v32, v35, v31
	v_add_f32_e32 v37, v36, v32
	v_sub_f32_e32 v38, v34, v37
	v_sub_f32_e32 v30, v37, v36
	;; [unrolled: 1-line block ×5, first 2 shown]
	v_add_f32_e32 v26, v26, v34
	v_add_f32_e32 v26, v30, v26
	;; [unrolled: 1-line block ×3, first 2 shown]
	v_mul_f32_e32 v32, v28, v30
	v_sub_f32_e32 v37, v38, v30
	v_mul_f32_e32 v34, v33, v32
	v_add_f32_e32 v26, v26, v37
	v_fma_f32 v33, v32, v33, -v34
	v_fmac_f32_e32 v33, v32, v31
	v_add_f32_e32 v31, v34, v33
	v_sub_f32_e32 v36, v30, v31
	v_sub_f32_e32 v34, v31, v34
	;; [unrolled: 1-line block ×5, first 2 shown]
	v_add_f32_e32 v26, v26, v30
	v_add_f32_e32 v30, v35, v32
	;; [unrolled: 1-line block ×3, first 2 shown]
	v_sub_f32_e32 v31, v30, v35
	v_add_f32_e32 v26, v36, v26
	v_sub_f32_e32 v31, v32, v31
	v_mul_f32_e32 v26, v28, v26
	v_add_f32_e32 v26, v31, v26
	v_add_f32_e32 v28, v30, v26
	v_mul_f32_e32 v31, v28, v28
	v_fmaak_f32 v32, s25, v31, 0x3ecc95a3
	v_mul_f32_e32 v33, v28, v31
	v_fmaak_f32 v31, v31, v32, 0x3f2aaada
	v_ldexp_f32 v32, v28, 1
	v_sub_f32_e32 v28, v28, v30
	v_mul_f32_e32 v31, v33, v31
	v_mul_f32_e32 v33, 0x3f317218, v25
	v_sub_f32_e32 v26, v26, v28
	v_add_f32_e32 v30, v32, v31
	v_ldexp_f32 v26, v26, 1
	v_sub_f32_e32 v28, v30, v32
	v_fma_f32 v32, 0x3f317218, v25, -v33
	v_sub_f32_e32 v28, v31, v28
	v_fmamk_f32 v25, v25, 0xb102e308, v32
	v_add_f32_e32 v26, v26, v28
	v_add_f32_e32 v28, v33, v25
	v_add_f32_e32 v31, v30, v26
	v_sub_f32_e32 v33, v28, v33
	v_add_f32_e32 v32, v28, v31
	v_sub_f32_e32 v30, v31, v30
	v_sub_f32_e32 v25, v25, v33
	;; [unrolled: 1-line block ×6, first 2 shown]
	v_add_f32_e32 v31, v25, v26
	v_sub_f32_e32 v28, v28, v35
	v_add_f32_e32 v28, v30, v28
	v_sub_f32_e32 v30, v31, v25
	;; [unrolled: 2-line block ×3, first 2 shown]
	v_sub_f32_e32 v26, v26, v30
	v_add_f32_e32 v33, v32, v28
	v_sub_f32_e32 v25, v25, v31
	v_sub_f32_e32 v30, v33, v32
	v_add_f32_e32 v25, v26, v25
	v_sub_f32_e32 v26, v28, v30
	v_add_f32_e32 v25, v25, v26
	v_add_f32_e32 v25, v33, v25
	v_cndmask_b32_e32 v25, 0x7f800000, v25, vcc_lo
	v_cmp_gt_f32_e64 vcc_lo, 0x33800000, |v27|
	v_cndmask_b32_e32 v25, v25, v27, vcc_lo
	v_add_f32_e32 v26, v1, v25
.LBB463_77:
	s_or_b32 exec_lo, exec_lo, s5
	v_bfe_u32 v1, v26, 16, 1
	v_cmp_o_f32_e32 vcc_lo, v26, v26
	v_mov_b32_e32 v25, 0x7fc0
	;;#ASMSTART
	;;#ASMEND
	v_add3_u32 v1, v26, v1, 0x7fff
	v_cndmask_b32_sdwa v1, v25, v1, vcc_lo dst_sel:DWORD dst_unused:UNUSED_PAD src0_sel:DWORD src1_sel:WORD_1
	v_lshlrev_b32_e32 v25, 16, v1
	v_max_f32_e32 v27, v25, v25
	v_min_f32_e32 v26, v27, v14
	v_max_f32_e32 v27, v27, v14
.LBB463_78:
	s_or_b32 exec_lo, exec_lo, s4
	v_cmp_u_f32_e32 vcc_lo, v25, v25
	v_cndmask_b32_e32 v14, v26, v25, vcc_lo
	v_cndmask_b32_e32 v26, v27, v25, vcc_lo
	v_cndmask_b32_e64 v14, v14, v8, s14
	v_cndmask_b32_e64 v8, v26, v8, s14
	v_cmp_class_f32_e64 s4, v14, 0x1f8
	v_cmp_neq_f32_e32 vcc_lo, v14, v8
	s_or_b32 s5, vcc_lo, s4
	s_and_saveexec_b32 s4, s5
	s_cbranch_execz .LBB463_80
; %bb.79:
	v_sub_f32_e32 v14, v14, v8
	s_mov_b32 s5, 0x3e9b6dac
	v_mul_f32_e32 v25, 0x3fb8aa3b, v14
	v_cmp_ngt_f32_e32 vcc_lo, 0xc2ce8ed0, v14
	v_fma_f32 v26, 0x3fb8aa3b, v14, -v25
	v_rndne_f32_e32 v27, v25
	v_fmamk_f32 v26, v14, 0x32a5705f, v26
	v_sub_f32_e32 v25, v25, v27
	v_add_f32_e32 v25, v25, v26
	v_cvt_i32_f32_e32 v26, v27
	v_exp_f32_e32 v25, v25
	v_ldexp_f32 v25, v25, v26
	v_cndmask_b32_e32 v25, 0, v25, vcc_lo
	v_cmp_nlt_f32_e32 vcc_lo, 0x42b17218, v14
	v_cndmask_b32_e32 v14, 0x7f800000, v25, vcc_lo
	v_add_f32_e32 v27, 1.0, v14
	v_cvt_f64_f32_e32 v[25:26], v27
	v_frexp_exp_i32_f64_e32 v25, v[25:26]
	v_frexp_mant_f32_e32 v26, v27
	v_cmp_gt_f32_e32 vcc_lo, 0x3f2aaaab, v26
	v_add_f32_e32 v26, -1.0, v27
	v_sub_f32_e32 v30, v26, v27
	v_sub_f32_e32 v26, v14, v26
	v_add_f32_e32 v30, 1.0, v30
	v_add_f32_e32 v26, v26, v30
	v_subrev_co_ci_u32_e64 v25, null, 0, v25, vcc_lo
	v_cmp_neq_f32_e32 vcc_lo, 0x7f800000, v14
	v_sub_nc_u32_e32 v28, 0, v25
	v_cvt_f32_i32_e32 v25, v25
	v_ldexp_f32 v27, v27, v28
	v_ldexp_f32 v26, v26, v28
	v_add_f32_e32 v31, 1.0, v27
	v_add_f32_e32 v28, -1.0, v27
	v_add_f32_e32 v30, -1.0, v31
	v_add_f32_e32 v32, 1.0, v28
	v_sub_f32_e32 v30, v27, v30
	v_sub_f32_e32 v27, v27, v32
	v_add_f32_e32 v30, v26, v30
	v_add_f32_e32 v26, v26, v27
	;; [unrolled: 1-line block ×4, first 2 shown]
	v_rcp_f32_e32 v27, v32
	v_sub_f32_e32 v31, v31, v32
	v_sub_f32_e32 v28, v28, v33
	v_add_f32_e32 v30, v30, v31
	v_add_f32_e32 v26, v26, v28
	v_mul_f32_e32 v34, v33, v27
	v_mul_f32_e32 v35, v32, v34
	v_fma_f32 v31, v34, v32, -v35
	v_fmac_f32_e32 v31, v34, v30
	v_add_f32_e32 v36, v35, v31
	v_sub_f32_e32 v37, v33, v36
	v_sub_f32_e32 v28, v36, v35
	;; [unrolled: 1-line block ×5, first 2 shown]
	v_add_f32_e32 v26, v26, v33
	v_add_f32_e32 v26, v28, v26
	;; [unrolled: 1-line block ×3, first 2 shown]
	v_mul_f32_e32 v31, v27, v28
	v_sub_f32_e32 v36, v37, v28
	v_mul_f32_e32 v33, v32, v31
	v_add_f32_e32 v26, v26, v36
	v_fma_f32 v32, v31, v32, -v33
	v_fmac_f32_e32 v32, v31, v30
	v_add_f32_e32 v30, v33, v32
	v_sub_f32_e32 v35, v28, v30
	v_sub_f32_e32 v33, v30, v33
	;; [unrolled: 1-line block ×5, first 2 shown]
	v_add_f32_e32 v26, v26, v28
	v_add_f32_e32 v28, v34, v31
	;; [unrolled: 1-line block ×3, first 2 shown]
	v_sub_f32_e32 v30, v28, v34
	v_add_f32_e32 v26, v35, v26
	v_sub_f32_e32 v30, v31, v30
	v_mul_f32_e32 v26, v27, v26
	v_add_f32_e32 v26, v30, v26
	v_add_f32_e32 v27, v28, v26
	v_mul_f32_e32 v30, v27, v27
	v_fmaak_f32 v31, s5, v30, 0x3ecc95a3
	v_mul_f32_e32 v32, v27, v30
	v_fmaak_f32 v30, v30, v31, 0x3f2aaada
	v_ldexp_f32 v31, v27, 1
	v_sub_f32_e32 v27, v27, v28
	v_mul_f32_e32 v30, v32, v30
	v_mul_f32_e32 v32, 0x3f317218, v25
	v_sub_f32_e32 v26, v26, v27
	v_add_f32_e32 v28, v31, v30
	v_ldexp_f32 v26, v26, 1
	v_sub_f32_e32 v27, v28, v31
	v_fma_f32 v31, 0x3f317218, v25, -v32
	v_sub_f32_e32 v27, v30, v27
	v_fmamk_f32 v25, v25, 0xb102e308, v31
	v_add_f32_e32 v26, v26, v27
	v_add_f32_e32 v27, v32, v25
	;; [unrolled: 1-line block ×3, first 2 shown]
	v_sub_f32_e32 v32, v27, v32
	v_add_f32_e32 v31, v27, v30
	v_sub_f32_e32 v28, v30, v28
	v_sub_f32_e32 v25, v25, v32
	;; [unrolled: 1-line block ×6, first 2 shown]
	v_add_f32_e32 v30, v25, v26
	v_sub_f32_e32 v27, v27, v34
	v_add_f32_e32 v27, v28, v27
	v_sub_f32_e32 v28, v30, v25
	;; [unrolled: 2-line block ×3, first 2 shown]
	v_sub_f32_e32 v26, v26, v28
	v_add_f32_e32 v32, v31, v27
	v_sub_f32_e32 v25, v25, v30
	v_sub_f32_e32 v28, v32, v31
	v_add_f32_e32 v25, v26, v25
	v_sub_f32_e32 v26, v27, v28
	v_add_f32_e32 v25, v25, v26
	v_add_f32_e32 v25, v32, v25
	v_cndmask_b32_e32 v25, 0x7f800000, v25, vcc_lo
	v_cmp_gt_f32_e64 vcc_lo, 0x33800000, |v14|
	v_cndmask_b32_e32 v14, v25, v14, vcc_lo
	v_add_f32_e32 v25, v8, v14
.LBB463_80:
	s_or_b32 exec_lo, exec_lo, s4
	v_bfe_u32 v8, v25, 16, 1
	v_cmp_o_f32_e32 vcc_lo, v25, v25
	v_mov_b32_e32 v14, 0x7fc0
	v_add3_u32 v8, v25, v8, 0x7fff
	v_cndmask_b32_sdwa v8, v14, v8, vcc_lo dst_sel:DWORD dst_unused:UNUSED_PAD src0_sel:DWORD src1_sel:WORD_1
	v_lshlrev_b32_e32 v25, 16, v8
	v_max_f32_e32 v26, v25, v25
	v_cmp_u_f32_e32 vcc_lo, v25, v25
	v_min_f32_e32 v27, v26, v11
	v_max_f32_e32 v11, v26, v11
	v_cndmask_b32_e32 v26, v27, v25, vcc_lo
	v_cndmask_b32_e32 v27, v11, v25, vcc_lo
	v_cndmask_b32_e64 v11, v26, v9, s15
	v_cndmask_b32_e64 v9, v27, v9, s15
	v_cmp_class_f32_e64 s4, v11, 0x1f8
	v_cmp_neq_f32_e32 vcc_lo, v11, v9
	s_or_b32 s5, vcc_lo, s4
	s_and_saveexec_b32 s4, s5
	s_cbranch_execz .LBB463_82
; %bb.81:
	v_sub_f32_e32 v11, v11, v9
	s_mov_b32 s5, 0x3e9b6dac
	v_mul_f32_e32 v25, 0x3fb8aa3b, v11
	v_cmp_ngt_f32_e32 vcc_lo, 0xc2ce8ed0, v11
	v_fma_f32 v26, 0x3fb8aa3b, v11, -v25
	v_rndne_f32_e32 v27, v25
	v_fmamk_f32 v26, v11, 0x32a5705f, v26
	v_sub_f32_e32 v25, v25, v27
	v_add_f32_e32 v25, v25, v26
	v_cvt_i32_f32_e32 v26, v27
	v_exp_f32_e32 v25, v25
	v_ldexp_f32 v25, v25, v26
	v_cndmask_b32_e32 v25, 0, v25, vcc_lo
	v_cmp_nlt_f32_e32 vcc_lo, 0x42b17218, v11
	v_cndmask_b32_e32 v11, 0x7f800000, v25, vcc_lo
	v_add_f32_e32 v27, 1.0, v11
	v_cvt_f64_f32_e32 v[25:26], v27
	v_frexp_exp_i32_f64_e32 v25, v[25:26]
	v_frexp_mant_f32_e32 v26, v27
	v_cmp_gt_f32_e32 vcc_lo, 0x3f2aaaab, v26
	v_add_f32_e32 v26, -1.0, v27
	v_sub_f32_e32 v30, v26, v27
	v_sub_f32_e32 v26, v11, v26
	v_add_f32_e32 v30, 1.0, v30
	v_add_f32_e32 v26, v26, v30
	v_subrev_co_ci_u32_e64 v25, null, 0, v25, vcc_lo
	v_cmp_neq_f32_e32 vcc_lo, 0x7f800000, v11
	v_sub_nc_u32_e32 v28, 0, v25
	v_cvt_f32_i32_e32 v25, v25
	v_ldexp_f32 v27, v27, v28
	v_ldexp_f32 v26, v26, v28
	v_add_f32_e32 v31, 1.0, v27
	v_add_f32_e32 v28, -1.0, v27
	v_add_f32_e32 v30, -1.0, v31
	v_add_f32_e32 v32, 1.0, v28
	v_sub_f32_e32 v30, v27, v30
	v_sub_f32_e32 v27, v27, v32
	v_add_f32_e32 v30, v26, v30
	v_add_f32_e32 v26, v26, v27
	v_add_f32_e32 v32, v31, v30
	v_add_f32_e32 v33, v28, v26
	v_rcp_f32_e32 v27, v32
	v_sub_f32_e32 v31, v31, v32
	v_sub_f32_e32 v28, v28, v33
	v_add_f32_e32 v30, v30, v31
	v_add_f32_e32 v26, v26, v28
	v_mul_f32_e32 v34, v33, v27
	v_mul_f32_e32 v35, v32, v34
	v_fma_f32 v31, v34, v32, -v35
	v_fmac_f32_e32 v31, v34, v30
	v_add_f32_e32 v36, v35, v31
	v_sub_f32_e32 v37, v33, v36
	v_sub_f32_e32 v28, v36, v35
	;; [unrolled: 1-line block ×5, first 2 shown]
	v_add_f32_e32 v26, v26, v33
	v_add_f32_e32 v26, v28, v26
	;; [unrolled: 1-line block ×3, first 2 shown]
	v_mul_f32_e32 v31, v27, v28
	v_sub_f32_e32 v36, v37, v28
	v_mul_f32_e32 v33, v32, v31
	v_add_f32_e32 v26, v26, v36
	v_fma_f32 v32, v31, v32, -v33
	v_fmac_f32_e32 v32, v31, v30
	v_add_f32_e32 v30, v33, v32
	v_sub_f32_e32 v35, v28, v30
	v_sub_f32_e32 v33, v30, v33
	;; [unrolled: 1-line block ×5, first 2 shown]
	v_add_f32_e32 v26, v26, v28
	v_add_f32_e32 v28, v34, v31
	v_add_f32_e32 v26, v30, v26
	v_sub_f32_e32 v30, v28, v34
	v_add_f32_e32 v26, v35, v26
	v_sub_f32_e32 v30, v31, v30
	v_mul_f32_e32 v26, v27, v26
	v_add_f32_e32 v26, v30, v26
	v_add_f32_e32 v27, v28, v26
	v_mul_f32_e32 v30, v27, v27
	v_fmaak_f32 v31, s5, v30, 0x3ecc95a3
	v_mul_f32_e32 v32, v27, v30
	v_fmaak_f32 v30, v30, v31, 0x3f2aaada
	v_ldexp_f32 v31, v27, 1
	v_sub_f32_e32 v27, v27, v28
	v_mul_f32_e32 v30, v32, v30
	v_mul_f32_e32 v32, 0x3f317218, v25
	v_sub_f32_e32 v26, v26, v27
	v_add_f32_e32 v28, v31, v30
	v_ldexp_f32 v26, v26, 1
	v_sub_f32_e32 v27, v28, v31
	v_fma_f32 v31, 0x3f317218, v25, -v32
	v_sub_f32_e32 v27, v30, v27
	v_fmamk_f32 v25, v25, 0xb102e308, v31
	v_add_f32_e32 v26, v26, v27
	v_add_f32_e32 v27, v32, v25
	;; [unrolled: 1-line block ×3, first 2 shown]
	v_sub_f32_e32 v32, v27, v32
	v_add_f32_e32 v31, v27, v30
	v_sub_f32_e32 v28, v30, v28
	v_sub_f32_e32 v25, v25, v32
	;; [unrolled: 1-line block ×6, first 2 shown]
	v_add_f32_e32 v30, v25, v26
	v_sub_f32_e32 v27, v27, v34
	v_add_f32_e32 v27, v28, v27
	v_sub_f32_e32 v28, v30, v25
	v_add_f32_e32 v27, v30, v27
	v_sub_f32_e32 v30, v30, v28
	v_sub_f32_e32 v26, v26, v28
	v_add_f32_e32 v32, v31, v27
	v_sub_f32_e32 v25, v25, v30
	v_sub_f32_e32 v28, v32, v31
	v_add_f32_e32 v25, v26, v25
	v_sub_f32_e32 v26, v27, v28
	v_add_f32_e32 v25, v25, v26
	v_add_f32_e32 v25, v32, v25
	v_cndmask_b32_e32 v25, 0x7f800000, v25, vcc_lo
	v_cmp_gt_f32_e64 vcc_lo, 0x33800000, |v11|
	v_cndmask_b32_e32 v11, v25, v11, vcc_lo
	v_add_f32_e32 v25, v9, v11
.LBB463_82:
	s_or_b32 exec_lo, exec_lo, s4
	v_bfe_u32 v9, v25, 16, 1
	v_cmp_o_f32_e32 vcc_lo, v25, v25
	v_add3_u32 v9, v25, v9, 0x7fff
	v_cndmask_b32_sdwa v9, v14, v9, vcc_lo dst_sel:DWORD dst_unused:UNUSED_PAD src0_sel:DWORD src1_sel:WORD_1
	v_lshlrev_b32_e32 v14, 16, v9
	v_max_f32_e32 v11, v14, v14
	v_cmp_u_f32_e32 vcc_lo, v14, v14
	v_min_f32_e32 v25, v11, v13
	v_max_f32_e32 v11, v11, v13
	v_cndmask_b32_e32 v13, v25, v14, vcc_lo
	v_cndmask_b32_e32 v25, v11, v14, vcc_lo
	v_cndmask_b32_e64 v11, v13, v2, s16
	v_cndmask_b32_e64 v2, v25, v2, s16
	v_cmp_class_f32_e64 s4, v11, 0x1f8
	v_cmp_neq_f32_e32 vcc_lo, v11, v2
	s_or_b32 s5, vcc_lo, s4
	s_and_saveexec_b32 s4, s5
	s_cbranch_execz .LBB463_84
; %bb.83:
	v_sub_f32_e32 v11, v11, v2
	s_mov_b32 s5, 0x3e9b6dac
	v_mul_f32_e32 v13, 0x3fb8aa3b, v11
	v_cmp_ngt_f32_e32 vcc_lo, 0xc2ce8ed0, v11
	v_fma_f32 v14, 0x3fb8aa3b, v11, -v13
	v_rndne_f32_e32 v25, v13
	v_fmamk_f32 v14, v11, 0x32a5705f, v14
	v_sub_f32_e32 v13, v13, v25
	v_add_f32_e32 v13, v13, v14
	v_cvt_i32_f32_e32 v14, v25
	v_exp_f32_e32 v13, v13
	v_ldexp_f32 v13, v13, v14
	v_cndmask_b32_e32 v13, 0, v13, vcc_lo
	v_cmp_nlt_f32_e32 vcc_lo, 0x42b17218, v11
	v_cndmask_b32_e32 v11, 0x7f800000, v13, vcc_lo
	v_add_f32_e32 v25, 1.0, v11
	v_cvt_f64_f32_e32 v[13:14], v25
	v_frexp_exp_i32_f64_e32 v13, v[13:14]
	v_frexp_mant_f32_e32 v14, v25
	v_cmp_gt_f32_e32 vcc_lo, 0x3f2aaaab, v14
	v_add_f32_e32 v14, -1.0, v25
	v_sub_f32_e32 v27, v14, v25
	v_sub_f32_e32 v14, v11, v14
	v_add_f32_e32 v27, 1.0, v27
	v_add_f32_e32 v14, v14, v27
	v_subrev_co_ci_u32_e64 v13, null, 0, v13, vcc_lo
	v_cmp_neq_f32_e32 vcc_lo, 0x7f800000, v11
	v_sub_nc_u32_e32 v26, 0, v13
	v_cvt_f32_i32_e32 v13, v13
	v_ldexp_f32 v25, v25, v26
	v_ldexp_f32 v14, v14, v26
	v_add_f32_e32 v28, 1.0, v25
	v_add_f32_e32 v26, -1.0, v25
	v_add_f32_e32 v27, -1.0, v28
	v_add_f32_e32 v30, 1.0, v26
	v_sub_f32_e32 v27, v25, v27
	v_sub_f32_e32 v25, v25, v30
	v_add_f32_e32 v27, v14, v27
	v_add_f32_e32 v14, v14, v25
	;; [unrolled: 1-line block ×4, first 2 shown]
	v_rcp_f32_e32 v25, v30
	v_sub_f32_e32 v28, v28, v30
	v_sub_f32_e32 v26, v26, v31
	v_add_f32_e32 v27, v27, v28
	v_add_f32_e32 v14, v14, v26
	v_mul_f32_e32 v32, v31, v25
	v_mul_f32_e32 v33, v30, v32
	v_fma_f32 v28, v32, v30, -v33
	v_fmac_f32_e32 v28, v32, v27
	v_add_f32_e32 v34, v33, v28
	v_sub_f32_e32 v35, v31, v34
	v_sub_f32_e32 v26, v34, v33
	;; [unrolled: 1-line block ×5, first 2 shown]
	v_add_f32_e32 v14, v14, v31
	v_add_f32_e32 v14, v26, v14
	;; [unrolled: 1-line block ×3, first 2 shown]
	v_mul_f32_e32 v28, v25, v26
	v_sub_f32_e32 v34, v35, v26
	v_mul_f32_e32 v31, v30, v28
	v_add_f32_e32 v14, v14, v34
	v_fma_f32 v30, v28, v30, -v31
	v_fmac_f32_e32 v30, v28, v27
	v_add_f32_e32 v27, v31, v30
	v_sub_f32_e32 v33, v26, v27
	v_sub_f32_e32 v31, v27, v31
	v_sub_f32_e32 v26, v26, v33
	v_sub_f32_e32 v26, v26, v27
	v_sub_f32_e32 v27, v31, v30
	v_add_f32_e32 v14, v14, v26
	v_add_f32_e32 v26, v32, v28
	;; [unrolled: 1-line block ×3, first 2 shown]
	v_sub_f32_e32 v27, v26, v32
	v_add_f32_e32 v14, v33, v14
	v_sub_f32_e32 v27, v28, v27
	v_mul_f32_e32 v14, v25, v14
	v_add_f32_e32 v14, v27, v14
	v_add_f32_e32 v25, v26, v14
	v_mul_f32_e32 v27, v25, v25
	v_fmaak_f32 v28, s5, v27, 0x3ecc95a3
	v_mul_f32_e32 v30, v25, v27
	v_fmaak_f32 v27, v27, v28, 0x3f2aaada
	v_ldexp_f32 v28, v25, 1
	v_sub_f32_e32 v25, v25, v26
	v_mul_f32_e32 v27, v30, v27
	v_mul_f32_e32 v30, 0x3f317218, v13
	v_sub_f32_e32 v14, v14, v25
	v_add_f32_e32 v26, v28, v27
	v_ldexp_f32 v14, v14, 1
	v_sub_f32_e32 v25, v26, v28
	v_fma_f32 v28, 0x3f317218, v13, -v30
	v_sub_f32_e32 v25, v27, v25
	v_fmamk_f32 v13, v13, 0xb102e308, v28
	v_add_f32_e32 v14, v14, v25
	v_add_f32_e32 v25, v30, v13
	;; [unrolled: 1-line block ×3, first 2 shown]
	v_sub_f32_e32 v30, v25, v30
	v_add_f32_e32 v28, v25, v27
	v_sub_f32_e32 v26, v27, v26
	v_sub_f32_e32 v13, v13, v30
	;; [unrolled: 1-line block ×6, first 2 shown]
	v_add_f32_e32 v27, v13, v14
	v_sub_f32_e32 v25, v25, v32
	v_add_f32_e32 v25, v26, v25
	v_sub_f32_e32 v26, v27, v13
	;; [unrolled: 2-line block ×3, first 2 shown]
	v_sub_f32_e32 v14, v14, v26
	v_add_f32_e32 v30, v28, v25
	v_sub_f32_e32 v13, v13, v27
	v_sub_f32_e32 v26, v30, v28
	v_add_f32_e32 v13, v14, v13
	v_sub_f32_e32 v14, v25, v26
	v_add_f32_e32 v13, v13, v14
	v_add_f32_e32 v13, v30, v13
	v_cndmask_b32_e32 v13, 0x7f800000, v13, vcc_lo
	v_cmp_gt_f32_e64 vcc_lo, 0x33800000, |v11|
	v_cndmask_b32_e32 v11, v13, v11, vcc_lo
	v_add_f32_e32 v14, v2, v11
.LBB463_84:
	s_or_b32 exec_lo, exec_lo, s4
	v_bfe_u32 v2, v14, 16, 1
	v_cmp_o_f32_e32 vcc_lo, v14, v14
	v_mov_b32_e32 v11, 0x7fc0
	v_add3_u32 v2, v14, v2, 0x7fff
	v_cndmask_b32_sdwa v2, v11, v2, vcc_lo dst_sel:DWORD dst_unused:UNUSED_PAD src0_sel:DWORD src1_sel:WORD_1
	v_lshlrev_b32_e32 v13, 16, v2
	v_max_f32_e32 v14, v13, v13
	v_cmp_u_f32_e32 vcc_lo, v13, v13
	v_min_f32_e32 v25, v14, v15
	v_max_f32_e32 v14, v14, v15
	v_cndmask_b32_e32 v15, v25, v13, vcc_lo
	v_cndmask_b32_e32 v25, v14, v13, vcc_lo
	v_cndmask_b32_e64 v14, v15, v10, s17
	v_cndmask_b32_e64 v10, v25, v10, s17
	v_cmp_class_f32_e64 s4, v14, 0x1f8
	v_cmp_neq_f32_e32 vcc_lo, v14, v10
	s_or_b32 s5, vcc_lo, s4
	s_and_saveexec_b32 s4, s5
	s_cbranch_execz .LBB463_86
; %bb.85:
	v_sub_f32_e32 v13, v14, v10
	s_mov_b32 s5, 0x3e9b6dac
	v_mul_f32_e32 v14, 0x3fb8aa3b, v13
	v_cmp_ngt_f32_e32 vcc_lo, 0xc2ce8ed0, v13
	v_fma_f32 v15, 0x3fb8aa3b, v13, -v14
	v_rndne_f32_e32 v25, v14
	v_fmamk_f32 v15, v13, 0x32a5705f, v15
	v_sub_f32_e32 v14, v14, v25
	v_add_f32_e32 v14, v14, v15
	v_cvt_i32_f32_e32 v15, v25
	v_exp_f32_e32 v14, v14
	v_ldexp_f32 v14, v14, v15
	v_cndmask_b32_e32 v14, 0, v14, vcc_lo
	v_cmp_nlt_f32_e32 vcc_lo, 0x42b17218, v13
	v_cndmask_b32_e32 v15, 0x7f800000, v14, vcc_lo
	v_add_f32_e32 v25, 1.0, v15
	v_cvt_f64_f32_e32 v[13:14], v25
	v_frexp_exp_i32_f64_e32 v13, v[13:14]
	v_frexp_mant_f32_e32 v14, v25
	v_cmp_gt_f32_e32 vcc_lo, 0x3f2aaaab, v14
	v_add_f32_e32 v14, -1.0, v25
	v_sub_f32_e32 v27, v14, v25
	v_sub_f32_e32 v14, v15, v14
	v_add_f32_e32 v27, 1.0, v27
	v_add_f32_e32 v14, v14, v27
	v_subrev_co_ci_u32_e64 v13, null, 0, v13, vcc_lo
	v_cmp_neq_f32_e32 vcc_lo, 0x7f800000, v15
	v_sub_nc_u32_e32 v26, 0, v13
	v_cvt_f32_i32_e32 v13, v13
	v_ldexp_f32 v25, v25, v26
	v_ldexp_f32 v14, v14, v26
	v_add_f32_e32 v28, 1.0, v25
	v_add_f32_e32 v26, -1.0, v25
	v_add_f32_e32 v27, -1.0, v28
	v_add_f32_e32 v30, 1.0, v26
	v_sub_f32_e32 v27, v25, v27
	v_sub_f32_e32 v25, v25, v30
	v_add_f32_e32 v27, v14, v27
	v_add_f32_e32 v14, v14, v25
	;; [unrolled: 1-line block ×4, first 2 shown]
	v_rcp_f32_e32 v25, v30
	v_sub_f32_e32 v28, v28, v30
	v_sub_f32_e32 v26, v26, v31
	v_add_f32_e32 v27, v27, v28
	v_add_f32_e32 v14, v14, v26
	v_mul_f32_e32 v32, v31, v25
	v_mul_f32_e32 v33, v30, v32
	v_fma_f32 v28, v32, v30, -v33
	v_fmac_f32_e32 v28, v32, v27
	v_add_f32_e32 v34, v33, v28
	v_sub_f32_e32 v35, v31, v34
	v_sub_f32_e32 v26, v34, v33
	;; [unrolled: 1-line block ×5, first 2 shown]
	v_add_f32_e32 v14, v14, v31
	v_add_f32_e32 v14, v26, v14
	;; [unrolled: 1-line block ×3, first 2 shown]
	v_mul_f32_e32 v28, v25, v26
	v_sub_f32_e32 v34, v35, v26
	v_mul_f32_e32 v31, v30, v28
	v_add_f32_e32 v14, v14, v34
	v_fma_f32 v30, v28, v30, -v31
	v_fmac_f32_e32 v30, v28, v27
	v_add_f32_e32 v27, v31, v30
	v_sub_f32_e32 v33, v26, v27
	v_sub_f32_e32 v31, v27, v31
	;; [unrolled: 1-line block ×5, first 2 shown]
	v_add_f32_e32 v14, v14, v26
	v_add_f32_e32 v26, v32, v28
	v_add_f32_e32 v14, v27, v14
	v_sub_f32_e32 v27, v26, v32
	v_add_f32_e32 v14, v33, v14
	v_sub_f32_e32 v27, v28, v27
	v_mul_f32_e32 v14, v25, v14
	v_add_f32_e32 v14, v27, v14
	v_add_f32_e32 v25, v26, v14
	v_mul_f32_e32 v27, v25, v25
	v_fmaak_f32 v28, s5, v27, 0x3ecc95a3
	v_mul_f32_e32 v30, v25, v27
	v_fmaak_f32 v27, v27, v28, 0x3f2aaada
	v_ldexp_f32 v28, v25, 1
	v_sub_f32_e32 v25, v25, v26
	v_mul_f32_e32 v27, v30, v27
	v_mul_f32_e32 v30, 0x3f317218, v13
	v_sub_f32_e32 v14, v14, v25
	v_add_f32_e32 v26, v28, v27
	v_ldexp_f32 v14, v14, 1
	v_sub_f32_e32 v25, v26, v28
	v_fma_f32 v28, 0x3f317218, v13, -v30
	v_sub_f32_e32 v25, v27, v25
	v_fmamk_f32 v13, v13, 0xb102e308, v28
	v_add_f32_e32 v14, v14, v25
	v_add_f32_e32 v25, v30, v13
	;; [unrolled: 1-line block ×3, first 2 shown]
	v_sub_f32_e32 v30, v25, v30
	v_add_f32_e32 v28, v25, v27
	v_sub_f32_e32 v26, v27, v26
	v_sub_f32_e32 v13, v13, v30
	;; [unrolled: 1-line block ×6, first 2 shown]
	v_add_f32_e32 v27, v13, v14
	v_sub_f32_e32 v25, v25, v32
	v_add_f32_e32 v25, v26, v25
	v_sub_f32_e32 v26, v27, v13
	;; [unrolled: 2-line block ×3, first 2 shown]
	v_sub_f32_e32 v14, v14, v26
	v_add_f32_e32 v30, v28, v25
	v_sub_f32_e32 v13, v13, v27
	v_sub_f32_e32 v26, v30, v28
	v_add_f32_e32 v13, v14, v13
	v_sub_f32_e32 v14, v25, v26
	v_add_f32_e32 v13, v13, v14
	v_add_f32_e32 v13, v30, v13
	v_cndmask_b32_e32 v13, 0x7f800000, v13, vcc_lo
	v_cmp_gt_f32_e64 vcc_lo, 0x33800000, |v15|
	v_cndmask_b32_e32 v13, v13, v15, vcc_lo
	v_add_f32_e32 v13, v10, v13
.LBB463_86:
	s_or_b32 exec_lo, exec_lo, s4
	v_bfe_u32 v10, v13, 16, 1
	v_cmp_o_f32_e32 vcc_lo, v13, v13
	v_add3_u32 v10, v13, v10, 0x7fff
	v_cndmask_b32_sdwa v10, v11, v10, vcc_lo dst_sel:DWORD dst_unused:UNUSED_PAD src0_sel:DWORD src1_sel:WORD_1
	v_lshlrev_b32_e32 v13, 16, v10
	v_max_f32_e32 v11, v13, v13
	v_cmp_u_f32_e32 vcc_lo, v13, v13
	v_min_f32_e32 v14, v11, v17
	v_max_f32_e32 v11, v11, v17
	v_cndmask_b32_e32 v14, v14, v13, vcc_lo
	v_cndmask_b32_e32 v15, v11, v13, vcc_lo
	v_cndmask_b32_e64 v11, v14, v3, s18
	v_cndmask_b32_e64 v3, v15, v3, s18
	v_cmp_class_f32_e64 s4, v11, 0x1f8
	v_cmp_neq_f32_e32 vcc_lo, v11, v3
	s_or_b32 s5, vcc_lo, s4
	s_and_saveexec_b32 s4, s5
	s_cbranch_execz .LBB463_88
; %bb.87:
	v_sub_f32_e32 v11, v11, v3
	s_mov_b32 s5, 0x3e9b6dac
	v_mul_f32_e32 v13, 0x3fb8aa3b, v11
	v_cmp_ngt_f32_e32 vcc_lo, 0xc2ce8ed0, v11
	v_fma_f32 v14, 0x3fb8aa3b, v11, -v13
	v_rndne_f32_e32 v15, v13
	v_fmamk_f32 v14, v11, 0x32a5705f, v14
	v_sub_f32_e32 v13, v13, v15
	v_add_f32_e32 v13, v13, v14
	v_cvt_i32_f32_e32 v14, v15
	v_exp_f32_e32 v13, v13
	v_ldexp_f32 v13, v13, v14
	v_cndmask_b32_e32 v13, 0, v13, vcc_lo
	v_cmp_nlt_f32_e32 vcc_lo, 0x42b17218, v11
	v_cndmask_b32_e32 v11, 0x7f800000, v13, vcc_lo
	v_add_f32_e32 v15, 1.0, v11
	v_cvt_f64_f32_e32 v[13:14], v15
	v_frexp_exp_i32_f64_e32 v13, v[13:14]
	v_frexp_mant_f32_e32 v14, v15
	v_cmp_gt_f32_e32 vcc_lo, 0x3f2aaaab, v14
	v_add_f32_e32 v14, -1.0, v15
	v_sub_f32_e32 v25, v14, v15
	v_sub_f32_e32 v14, v11, v14
	v_add_f32_e32 v25, 1.0, v25
	v_add_f32_e32 v14, v14, v25
	v_subrev_co_ci_u32_e64 v13, null, 0, v13, vcc_lo
	v_cmp_neq_f32_e32 vcc_lo, 0x7f800000, v11
	v_sub_nc_u32_e32 v17, 0, v13
	v_cvt_f32_i32_e32 v13, v13
	v_ldexp_f32 v15, v15, v17
	v_ldexp_f32 v14, v14, v17
	v_add_f32_e32 v26, 1.0, v15
	v_add_f32_e32 v17, -1.0, v15
	v_add_f32_e32 v25, -1.0, v26
	v_add_f32_e32 v27, 1.0, v17
	v_sub_f32_e32 v25, v15, v25
	v_sub_f32_e32 v15, v15, v27
	v_add_f32_e32 v25, v14, v25
	v_add_f32_e32 v14, v14, v15
	;; [unrolled: 1-line block ×4, first 2 shown]
	v_rcp_f32_e32 v15, v27
	v_sub_f32_e32 v26, v26, v27
	v_sub_f32_e32 v17, v17, v28
	v_add_f32_e32 v25, v25, v26
	v_add_f32_e32 v14, v14, v17
	v_mul_f32_e32 v30, v28, v15
	v_mul_f32_e32 v31, v27, v30
	v_fma_f32 v26, v30, v27, -v31
	v_fmac_f32_e32 v26, v30, v25
	v_add_f32_e32 v32, v31, v26
	v_sub_f32_e32 v33, v28, v32
	v_sub_f32_e32 v17, v32, v31
	;; [unrolled: 1-line block ×5, first 2 shown]
	v_add_f32_e32 v14, v14, v28
	v_add_f32_e32 v14, v17, v14
	;; [unrolled: 1-line block ×3, first 2 shown]
	v_mul_f32_e32 v26, v15, v17
	v_sub_f32_e32 v32, v33, v17
	v_mul_f32_e32 v28, v27, v26
	v_add_f32_e32 v14, v14, v32
	v_fma_f32 v27, v26, v27, -v28
	v_fmac_f32_e32 v27, v26, v25
	v_add_f32_e32 v25, v28, v27
	v_sub_f32_e32 v31, v17, v25
	v_sub_f32_e32 v28, v25, v28
	;; [unrolled: 1-line block ×5, first 2 shown]
	v_add_f32_e32 v14, v14, v17
	v_add_f32_e32 v17, v30, v26
	;; [unrolled: 1-line block ×3, first 2 shown]
	v_sub_f32_e32 v25, v17, v30
	v_add_f32_e32 v14, v31, v14
	v_sub_f32_e32 v25, v26, v25
	v_mul_f32_e32 v14, v15, v14
	v_add_f32_e32 v14, v25, v14
	v_add_f32_e32 v15, v17, v14
	v_mul_f32_e32 v25, v15, v15
	v_fmaak_f32 v26, s5, v25, 0x3ecc95a3
	v_mul_f32_e32 v27, v15, v25
	v_fmaak_f32 v25, v25, v26, 0x3f2aaada
	v_ldexp_f32 v26, v15, 1
	v_sub_f32_e32 v15, v15, v17
	v_mul_f32_e32 v25, v27, v25
	v_mul_f32_e32 v27, 0x3f317218, v13
	v_sub_f32_e32 v14, v14, v15
	v_add_f32_e32 v17, v26, v25
	v_ldexp_f32 v14, v14, 1
	v_sub_f32_e32 v15, v17, v26
	v_fma_f32 v26, 0x3f317218, v13, -v27
	v_sub_f32_e32 v15, v25, v15
	v_fmamk_f32 v13, v13, 0xb102e308, v26
	v_add_f32_e32 v14, v14, v15
	v_add_f32_e32 v15, v27, v13
	;; [unrolled: 1-line block ×3, first 2 shown]
	v_sub_f32_e32 v27, v15, v27
	v_add_f32_e32 v26, v15, v25
	v_sub_f32_e32 v17, v25, v17
	v_sub_f32_e32 v13, v13, v27
	;; [unrolled: 1-line block ×6, first 2 shown]
	v_add_f32_e32 v25, v13, v14
	v_sub_f32_e32 v15, v15, v30
	v_add_f32_e32 v15, v17, v15
	v_sub_f32_e32 v17, v25, v13
	;; [unrolled: 2-line block ×3, first 2 shown]
	v_sub_f32_e32 v14, v14, v17
	v_add_f32_e32 v27, v26, v15
	v_sub_f32_e32 v13, v13, v25
	v_sub_f32_e32 v17, v27, v26
	v_add_f32_e32 v13, v14, v13
	v_sub_f32_e32 v14, v15, v17
	v_add_f32_e32 v13, v13, v14
	v_add_f32_e32 v13, v27, v13
	v_cndmask_b32_e32 v13, 0x7f800000, v13, vcc_lo
	v_cmp_gt_f32_e64 vcc_lo, 0x33800000, |v11|
	v_cndmask_b32_e32 v11, v13, v11, vcc_lo
	v_add_f32_e32 v13, v3, v11
.LBB463_88:
	s_or_b32 exec_lo, exec_lo, s4
	v_bfe_u32 v3, v13, 16, 1
	v_cmp_o_f32_e32 vcc_lo, v13, v13
	v_mov_b32_e32 v11, 0x7fc0
	v_add3_u32 v3, v13, v3, 0x7fff
	v_cndmask_b32_sdwa v3, v11, v3, vcc_lo dst_sel:DWORD dst_unused:UNUSED_PAD src0_sel:DWORD src1_sel:WORD_1
	v_lshlrev_b32_e32 v13, 16, v3
	v_max_f32_e32 v14, v13, v13
	v_cmp_u_f32_e32 vcc_lo, v13, v13
	v_min_f32_e32 v15, v14, v18
	v_max_f32_e32 v14, v14, v18
	v_cndmask_b32_e32 v15, v15, v13, vcc_lo
	v_cndmask_b32_e32 v17, v14, v13, vcc_lo
	v_cndmask_b32_e64 v14, v15, v12, s19
	v_cndmask_b32_e64 v12, v17, v12, s19
	v_cmp_class_f32_e64 s4, v14, 0x1f8
	v_cmp_neq_f32_e32 vcc_lo, v14, v12
	s_or_b32 s5, vcc_lo, s4
	s_and_saveexec_b32 s4, s5
	s_cbranch_execz .LBB463_90
; %bb.89:
	v_sub_f32_e32 v13, v14, v12
	s_mov_b32 s5, 0x3e9b6dac
	v_mul_f32_e32 v14, 0x3fb8aa3b, v13
	v_cmp_ngt_f32_e32 vcc_lo, 0xc2ce8ed0, v13
	v_fma_f32 v15, 0x3fb8aa3b, v13, -v14
	v_rndne_f32_e32 v17, v14
	v_fmamk_f32 v15, v13, 0x32a5705f, v15
	v_sub_f32_e32 v14, v14, v17
	v_add_f32_e32 v14, v14, v15
	v_cvt_i32_f32_e32 v15, v17
	v_exp_f32_e32 v14, v14
	v_ldexp_f32 v14, v14, v15
	v_cndmask_b32_e32 v14, 0, v14, vcc_lo
	v_cmp_nlt_f32_e32 vcc_lo, 0x42b17218, v13
	v_cndmask_b32_e32 v15, 0x7f800000, v14, vcc_lo
	v_add_f32_e32 v17, 1.0, v15
	v_cvt_f64_f32_e32 v[13:14], v17
	v_frexp_exp_i32_f64_e32 v13, v[13:14]
	v_frexp_mant_f32_e32 v14, v17
	v_cmp_gt_f32_e32 vcc_lo, 0x3f2aaaab, v14
	v_add_f32_e32 v14, -1.0, v17
	v_sub_f32_e32 v25, v14, v17
	v_sub_f32_e32 v14, v15, v14
	v_add_f32_e32 v25, 1.0, v25
	v_add_f32_e32 v14, v14, v25
	v_subrev_co_ci_u32_e64 v13, null, 0, v13, vcc_lo
	v_cmp_neq_f32_e32 vcc_lo, 0x7f800000, v15
	v_sub_nc_u32_e32 v18, 0, v13
	v_cvt_f32_i32_e32 v13, v13
	v_ldexp_f32 v17, v17, v18
	v_ldexp_f32 v14, v14, v18
	v_add_f32_e32 v26, 1.0, v17
	v_add_f32_e32 v18, -1.0, v17
	v_add_f32_e32 v25, -1.0, v26
	v_add_f32_e32 v27, 1.0, v18
	v_sub_f32_e32 v25, v17, v25
	v_sub_f32_e32 v17, v17, v27
	v_add_f32_e32 v25, v14, v25
	v_add_f32_e32 v14, v14, v17
	;; [unrolled: 1-line block ×4, first 2 shown]
	v_rcp_f32_e32 v17, v27
	v_sub_f32_e32 v26, v26, v27
	v_sub_f32_e32 v18, v18, v28
	v_add_f32_e32 v25, v25, v26
	v_add_f32_e32 v14, v14, v18
	v_mul_f32_e32 v30, v28, v17
	v_mul_f32_e32 v31, v27, v30
	v_fma_f32 v26, v30, v27, -v31
	v_fmac_f32_e32 v26, v30, v25
	v_add_f32_e32 v32, v31, v26
	v_sub_f32_e32 v33, v28, v32
	v_sub_f32_e32 v18, v32, v31
	;; [unrolled: 1-line block ×5, first 2 shown]
	v_add_f32_e32 v14, v14, v28
	v_add_f32_e32 v14, v18, v14
	;; [unrolled: 1-line block ×3, first 2 shown]
	v_mul_f32_e32 v26, v17, v18
	v_sub_f32_e32 v32, v33, v18
	v_mul_f32_e32 v28, v27, v26
	v_add_f32_e32 v14, v14, v32
	v_fma_f32 v27, v26, v27, -v28
	v_fmac_f32_e32 v27, v26, v25
	v_add_f32_e32 v25, v28, v27
	v_sub_f32_e32 v31, v18, v25
	v_sub_f32_e32 v28, v25, v28
	;; [unrolled: 1-line block ×5, first 2 shown]
	v_add_f32_e32 v14, v14, v18
	v_add_f32_e32 v18, v30, v26
	;; [unrolled: 1-line block ×3, first 2 shown]
	v_sub_f32_e32 v25, v18, v30
	v_add_f32_e32 v14, v31, v14
	v_sub_f32_e32 v25, v26, v25
	v_mul_f32_e32 v14, v17, v14
	v_add_f32_e32 v14, v25, v14
	v_add_f32_e32 v17, v18, v14
	v_mul_f32_e32 v25, v17, v17
	v_fmaak_f32 v26, s5, v25, 0x3ecc95a3
	v_mul_f32_e32 v27, v17, v25
	v_fmaak_f32 v25, v25, v26, 0x3f2aaada
	v_ldexp_f32 v26, v17, 1
	v_sub_f32_e32 v17, v17, v18
	v_mul_f32_e32 v25, v27, v25
	v_mul_f32_e32 v27, 0x3f317218, v13
	v_sub_f32_e32 v14, v14, v17
	v_add_f32_e32 v18, v26, v25
	v_ldexp_f32 v14, v14, 1
	v_sub_f32_e32 v17, v18, v26
	v_fma_f32 v26, 0x3f317218, v13, -v27
	v_sub_f32_e32 v17, v25, v17
	v_fmamk_f32 v13, v13, 0xb102e308, v26
	v_add_f32_e32 v14, v14, v17
	v_add_f32_e32 v17, v27, v13
	;; [unrolled: 1-line block ×3, first 2 shown]
	v_sub_f32_e32 v27, v17, v27
	v_add_f32_e32 v26, v17, v25
	v_sub_f32_e32 v18, v25, v18
	v_sub_f32_e32 v13, v13, v27
	;; [unrolled: 1-line block ×6, first 2 shown]
	v_add_f32_e32 v25, v13, v14
	v_sub_f32_e32 v17, v17, v30
	v_add_f32_e32 v17, v18, v17
	v_sub_f32_e32 v18, v25, v13
	;; [unrolled: 2-line block ×3, first 2 shown]
	v_sub_f32_e32 v14, v14, v18
	v_add_f32_e32 v27, v26, v17
	v_sub_f32_e32 v13, v13, v25
	v_sub_f32_e32 v18, v27, v26
	v_add_f32_e32 v13, v14, v13
	v_sub_f32_e32 v14, v17, v18
	v_add_f32_e32 v13, v13, v14
	v_add_f32_e32 v13, v27, v13
	v_cndmask_b32_e32 v13, 0x7f800000, v13, vcc_lo
	v_cmp_gt_f32_e64 vcc_lo, 0x33800000, |v15|
	v_cndmask_b32_e32 v13, v13, v15, vcc_lo
	v_add_f32_e32 v13, v12, v13
.LBB463_90:
	s_or_b32 exec_lo, exec_lo, s4
	v_bfe_u32 v12, v13, 16, 1
	v_cmp_o_f32_e32 vcc_lo, v13, v13
	v_add3_u32 v12, v13, v12, 0x7fff
	v_cndmask_b32_sdwa v11, v11, v12, vcc_lo dst_sel:DWORD dst_unused:UNUSED_PAD src0_sel:DWORD src1_sel:WORD_1
	v_lshlrev_b32_e32 v13, 16, v11
	v_max_f32_e32 v12, v13, v13
	v_cmp_u_f32_e32 vcc_lo, v13, v13
	v_min_f32_e32 v14, v12, v20
	v_max_f32_e32 v12, v12, v20
	v_cndmask_b32_e32 v14, v14, v13, vcc_lo
	v_cndmask_b32_e32 v15, v12, v13, vcc_lo
	v_cndmask_b32_e64 v12, v14, v4, s20
	v_cndmask_b32_e64 v4, v15, v4, s20
	v_cmp_class_f32_e64 s4, v12, 0x1f8
	v_cmp_neq_f32_e32 vcc_lo, v12, v4
	s_or_b32 s5, vcc_lo, s4
	s_and_saveexec_b32 s4, s5
	s_cbranch_execz .LBB463_92
; %bb.91:
	v_sub_f32_e32 v12, v12, v4
	s_mov_b32 s5, 0x3e9b6dac
	v_mul_f32_e32 v13, 0x3fb8aa3b, v12
	v_cmp_ngt_f32_e32 vcc_lo, 0xc2ce8ed0, v12
	v_fma_f32 v14, 0x3fb8aa3b, v12, -v13
	v_rndne_f32_e32 v15, v13
	v_fmamk_f32 v14, v12, 0x32a5705f, v14
	v_sub_f32_e32 v13, v13, v15
	v_add_f32_e32 v13, v13, v14
	v_cvt_i32_f32_e32 v14, v15
	v_exp_f32_e32 v13, v13
	v_ldexp_f32 v13, v13, v14
	v_cndmask_b32_e32 v13, 0, v13, vcc_lo
	v_cmp_nlt_f32_e32 vcc_lo, 0x42b17218, v12
	v_cndmask_b32_e32 v14, 0x7f800000, v13, vcc_lo
	v_add_f32_e32 v15, 1.0, v14
	v_cvt_f64_f32_e32 v[12:13], v15
	v_frexp_exp_i32_f64_e32 v12, v[12:13]
	v_frexp_mant_f32_e32 v13, v15
	v_cmp_gt_f32_e32 vcc_lo, 0x3f2aaaab, v13
	v_add_f32_e32 v13, -1.0, v15
	v_sub_f32_e32 v18, v13, v15
	v_sub_f32_e32 v13, v14, v13
	v_add_f32_e32 v18, 1.0, v18
	v_add_f32_e32 v13, v13, v18
	v_subrev_co_ci_u32_e64 v12, null, 0, v12, vcc_lo
	v_cmp_neq_f32_e32 vcc_lo, 0x7f800000, v14
	v_sub_nc_u32_e32 v17, 0, v12
	v_cvt_f32_i32_e32 v12, v12
	v_ldexp_f32 v15, v15, v17
	v_ldexp_f32 v13, v13, v17
	v_add_f32_e32 v20, 1.0, v15
	v_add_f32_e32 v17, -1.0, v15
	v_add_f32_e32 v18, -1.0, v20
	v_add_f32_e32 v25, 1.0, v17
	v_sub_f32_e32 v18, v15, v18
	v_sub_f32_e32 v15, v15, v25
	v_add_f32_e32 v18, v13, v18
	v_add_f32_e32 v13, v13, v15
	;; [unrolled: 1-line block ×4, first 2 shown]
	v_rcp_f32_e32 v15, v25
	v_sub_f32_e32 v20, v20, v25
	v_sub_f32_e32 v17, v17, v26
	v_add_f32_e32 v18, v18, v20
	v_add_f32_e32 v13, v13, v17
	v_mul_f32_e32 v27, v26, v15
	v_mul_f32_e32 v28, v25, v27
	v_fma_f32 v20, v27, v25, -v28
	v_fmac_f32_e32 v20, v27, v18
	v_add_f32_e32 v30, v28, v20
	v_sub_f32_e32 v31, v26, v30
	v_sub_f32_e32 v17, v30, v28
	v_sub_f32_e32 v26, v26, v31
	v_sub_f32_e32 v17, v17, v20
	v_sub_f32_e32 v26, v26, v30
	v_add_f32_e32 v13, v13, v26
	v_add_f32_e32 v13, v17, v13
	;; [unrolled: 1-line block ×3, first 2 shown]
	v_mul_f32_e32 v20, v15, v17
	v_sub_f32_e32 v30, v31, v17
	v_mul_f32_e32 v26, v25, v20
	v_add_f32_e32 v13, v13, v30
	v_fma_f32 v25, v20, v25, -v26
	v_fmac_f32_e32 v25, v20, v18
	v_add_f32_e32 v18, v26, v25
	v_sub_f32_e32 v28, v17, v18
	v_sub_f32_e32 v26, v18, v26
	v_sub_f32_e32 v17, v17, v28
	v_sub_f32_e32 v17, v17, v18
	v_sub_f32_e32 v18, v26, v25
	v_add_f32_e32 v13, v13, v17
	v_add_f32_e32 v17, v27, v20
	;; [unrolled: 1-line block ×3, first 2 shown]
	v_sub_f32_e32 v18, v17, v27
	v_add_f32_e32 v13, v28, v13
	v_sub_f32_e32 v18, v20, v18
	v_mul_f32_e32 v13, v15, v13
	v_add_f32_e32 v13, v18, v13
	v_add_f32_e32 v15, v17, v13
	v_mul_f32_e32 v18, v15, v15
	v_fmaak_f32 v20, s5, v18, 0x3ecc95a3
	v_mul_f32_e32 v25, v15, v18
	v_fmaak_f32 v18, v18, v20, 0x3f2aaada
	v_ldexp_f32 v20, v15, 1
	v_sub_f32_e32 v15, v15, v17
	v_mul_f32_e32 v18, v25, v18
	v_mul_f32_e32 v25, 0x3f317218, v12
	v_sub_f32_e32 v13, v13, v15
	v_add_f32_e32 v17, v20, v18
	v_ldexp_f32 v13, v13, 1
	v_sub_f32_e32 v15, v17, v20
	v_fma_f32 v20, 0x3f317218, v12, -v25
	v_sub_f32_e32 v15, v18, v15
	v_fmamk_f32 v12, v12, 0xb102e308, v20
	v_add_f32_e32 v13, v13, v15
	v_add_f32_e32 v15, v25, v12
	;; [unrolled: 1-line block ×3, first 2 shown]
	v_sub_f32_e32 v25, v15, v25
	v_add_f32_e32 v20, v15, v18
	v_sub_f32_e32 v17, v18, v17
	v_sub_f32_e32 v12, v12, v25
	;; [unrolled: 1-line block ×6, first 2 shown]
	v_add_f32_e32 v18, v12, v13
	v_sub_f32_e32 v15, v15, v27
	v_add_f32_e32 v15, v17, v15
	v_sub_f32_e32 v17, v18, v12
	;; [unrolled: 2-line block ×3, first 2 shown]
	v_sub_f32_e32 v13, v13, v17
	v_add_f32_e32 v25, v20, v15
	v_sub_f32_e32 v12, v12, v18
	v_sub_f32_e32 v17, v25, v20
	v_add_f32_e32 v12, v13, v12
	v_sub_f32_e32 v13, v15, v17
	v_add_f32_e32 v12, v12, v13
	v_add_f32_e32 v12, v25, v12
	v_cndmask_b32_e32 v12, 0x7f800000, v12, vcc_lo
	v_cmp_gt_f32_e64 vcc_lo, 0x33800000, |v14|
	v_cndmask_b32_e32 v12, v12, v14, vcc_lo
	v_add_f32_e32 v13, v4, v12
.LBB463_92:
	s_or_b32 exec_lo, exec_lo, s4
	v_bfe_u32 v4, v13, 16, 1
	v_cmp_o_f32_e32 vcc_lo, v13, v13
	v_mov_b32_e32 v12, 0x7fc0
	v_add3_u32 v4, v13, v4, 0x7fff
	v_cndmask_b32_sdwa v4, v12, v4, vcc_lo dst_sel:DWORD dst_unused:UNUSED_PAD src0_sel:DWORD src1_sel:WORD_1
	v_lshlrev_b32_e32 v14, 16, v4
	v_max_f32_e32 v13, v14, v14
	v_cmp_u_f32_e32 vcc_lo, v14, v14
	v_min_f32_e32 v15, v13, v21
	v_max_f32_e32 v13, v13, v21
	v_cndmask_b32_e32 v15, v15, v14, vcc_lo
	v_cndmask_b32_e32 v13, v13, v14, vcc_lo
	v_cndmask_b32_e64 v15, v15, v16, s21
	v_cndmask_b32_e64 v13, v13, v16, s21
	v_cmp_class_f32_e64 s4, v15, 0x1f8
	v_cmp_neq_f32_e32 vcc_lo, v15, v13
	s_or_b32 s5, vcc_lo, s4
	s_and_saveexec_b32 s4, s5
	s_cbranch_execz .LBB463_94
; %bb.93:
	v_sub_f32_e32 v14, v15, v13
	s_mov_b32 s5, 0x3e9b6dac
	v_mul_f32_e32 v15, 0x3fb8aa3b, v14
	v_cmp_ngt_f32_e32 vcc_lo, 0xc2ce8ed0, v14
	v_fma_f32 v16, 0x3fb8aa3b, v14, -v15
	v_rndne_f32_e32 v17, v15
	v_fmamk_f32 v16, v14, 0x32a5705f, v16
	v_sub_f32_e32 v15, v15, v17
	v_add_f32_e32 v15, v15, v16
	v_cvt_i32_f32_e32 v16, v17
	v_exp_f32_e32 v15, v15
	v_ldexp_f32 v15, v15, v16
	v_cndmask_b32_e32 v15, 0, v15, vcc_lo
	v_cmp_nlt_f32_e32 vcc_lo, 0x42b17218, v14
	v_cndmask_b32_e32 v16, 0x7f800000, v15, vcc_lo
	v_add_f32_e32 v17, 1.0, v16
	v_cvt_f64_f32_e32 v[14:15], v17
	v_frexp_exp_i32_f64_e32 v14, v[14:15]
	v_frexp_mant_f32_e32 v15, v17
	v_cmp_gt_f32_e32 vcc_lo, 0x3f2aaaab, v15
	v_add_f32_e32 v15, -1.0, v17
	v_sub_f32_e32 v20, v15, v17
	v_sub_f32_e32 v15, v16, v15
	v_add_f32_e32 v20, 1.0, v20
	v_add_f32_e32 v15, v15, v20
	v_subrev_co_ci_u32_e64 v14, null, 0, v14, vcc_lo
	v_cmp_neq_f32_e32 vcc_lo, 0x7f800000, v16
	v_sub_nc_u32_e32 v18, 0, v14
	v_cvt_f32_i32_e32 v14, v14
	v_ldexp_f32 v17, v17, v18
	v_ldexp_f32 v15, v15, v18
	v_add_f32_e32 v21, 1.0, v17
	v_add_f32_e32 v18, -1.0, v17
	v_add_f32_e32 v20, -1.0, v21
	v_add_f32_e32 v25, 1.0, v18
	v_sub_f32_e32 v20, v17, v20
	v_sub_f32_e32 v17, v17, v25
	v_add_f32_e32 v20, v15, v20
	v_add_f32_e32 v15, v15, v17
	v_add_f32_e32 v25, v21, v20
	v_add_f32_e32 v26, v18, v15
	v_rcp_f32_e32 v17, v25
	v_sub_f32_e32 v21, v21, v25
	v_sub_f32_e32 v18, v18, v26
	v_add_f32_e32 v20, v20, v21
	v_add_f32_e32 v15, v15, v18
	v_mul_f32_e32 v27, v26, v17
	v_mul_f32_e32 v28, v25, v27
	v_fma_f32 v21, v27, v25, -v28
	v_fmac_f32_e32 v21, v27, v20
	v_add_f32_e32 v30, v28, v21
	v_sub_f32_e32 v31, v26, v30
	v_sub_f32_e32 v18, v30, v28
	;; [unrolled: 1-line block ×5, first 2 shown]
	v_add_f32_e32 v15, v15, v26
	v_add_f32_e32 v15, v18, v15
	;; [unrolled: 1-line block ×3, first 2 shown]
	v_mul_f32_e32 v21, v17, v18
	v_sub_f32_e32 v30, v31, v18
	v_mul_f32_e32 v26, v25, v21
	v_add_f32_e32 v15, v15, v30
	v_fma_f32 v25, v21, v25, -v26
	v_fmac_f32_e32 v25, v21, v20
	v_add_f32_e32 v20, v26, v25
	v_sub_f32_e32 v28, v18, v20
	v_sub_f32_e32 v26, v20, v26
	;; [unrolled: 1-line block ×5, first 2 shown]
	v_add_f32_e32 v15, v15, v18
	v_add_f32_e32 v18, v27, v21
	;; [unrolled: 1-line block ×3, first 2 shown]
	v_sub_f32_e32 v20, v18, v27
	v_add_f32_e32 v15, v28, v15
	v_sub_f32_e32 v20, v21, v20
	v_mul_f32_e32 v15, v17, v15
	v_add_f32_e32 v15, v20, v15
	v_add_f32_e32 v17, v18, v15
	v_mul_f32_e32 v20, v17, v17
	v_fmaak_f32 v21, s5, v20, 0x3ecc95a3
	v_mul_f32_e32 v25, v17, v20
	v_fmaak_f32 v20, v20, v21, 0x3f2aaada
	v_ldexp_f32 v21, v17, 1
	v_sub_f32_e32 v17, v17, v18
	v_mul_f32_e32 v20, v25, v20
	v_mul_f32_e32 v25, 0x3f317218, v14
	v_sub_f32_e32 v15, v15, v17
	v_add_f32_e32 v18, v21, v20
	v_ldexp_f32 v15, v15, 1
	v_sub_f32_e32 v17, v18, v21
	v_fma_f32 v21, 0x3f317218, v14, -v25
	v_sub_f32_e32 v17, v20, v17
	v_fmamk_f32 v14, v14, 0xb102e308, v21
	v_add_f32_e32 v15, v15, v17
	v_add_f32_e32 v17, v25, v14
	;; [unrolled: 1-line block ×3, first 2 shown]
	v_sub_f32_e32 v25, v17, v25
	v_add_f32_e32 v21, v17, v20
	v_sub_f32_e32 v18, v20, v18
	v_sub_f32_e32 v14, v14, v25
	;; [unrolled: 1-line block ×6, first 2 shown]
	v_add_f32_e32 v20, v14, v15
	v_sub_f32_e32 v17, v17, v27
	v_add_f32_e32 v17, v18, v17
	v_sub_f32_e32 v18, v20, v14
	;; [unrolled: 2-line block ×3, first 2 shown]
	v_sub_f32_e32 v15, v15, v18
	v_add_f32_e32 v25, v21, v17
	v_sub_f32_e32 v14, v14, v20
	v_sub_f32_e32 v18, v25, v21
	v_add_f32_e32 v14, v15, v14
	v_sub_f32_e32 v15, v17, v18
	v_add_f32_e32 v14, v14, v15
	v_add_f32_e32 v14, v25, v14
	v_cndmask_b32_e32 v14, 0x7f800000, v14, vcc_lo
	v_cmp_gt_f32_e64 vcc_lo, 0x33800000, |v16|
	v_cndmask_b32_e32 v14, v14, v16, vcc_lo
	v_add_f32_e32 v14, v13, v14
.LBB463_94:
	s_or_b32 exec_lo, exec_lo, s4
	v_bfe_u32 v13, v14, 16, 1
	v_cmp_o_f32_e32 vcc_lo, v14, v14
	v_add3_u32 v13, v14, v13, 0x7fff
	v_cndmask_b32_sdwa v12, v12, v13, vcc_lo dst_sel:DWORD dst_unused:UNUSED_PAD src0_sel:DWORD src1_sel:WORD_1
	v_lshlrev_b32_e32 v14, 16, v12
	v_max_f32_e32 v13, v14, v14
	v_cmp_u_f32_e32 vcc_lo, v14, v14
	v_min_f32_e32 v15, v13, v22
	v_max_f32_e32 v13, v13, v22
	v_cndmask_b32_e32 v15, v15, v14, vcc_lo
	v_cndmask_b32_e32 v16, v13, v14, vcc_lo
	v_cndmask_b32_e64 v13, v15, v5, s22
	v_cndmask_b32_e64 v5, v16, v5, s22
	v_cmp_class_f32_e64 s4, v13, 0x1f8
	v_cmp_neq_f32_e32 vcc_lo, v13, v5
	s_or_b32 s5, vcc_lo, s4
	s_and_saveexec_b32 s4, s5
	s_cbranch_execz .LBB463_96
; %bb.95:
	v_sub_f32_e32 v13, v13, v5
	s_mov_b32 s5, 0x3e9b6dac
	v_mul_f32_e32 v14, 0x3fb8aa3b, v13
	v_cmp_ngt_f32_e32 vcc_lo, 0xc2ce8ed0, v13
	v_fma_f32 v15, 0x3fb8aa3b, v13, -v14
	v_rndne_f32_e32 v16, v14
	v_fmamk_f32 v15, v13, 0x32a5705f, v15
	v_sub_f32_e32 v14, v14, v16
	v_add_f32_e32 v14, v14, v15
	v_cvt_i32_f32_e32 v15, v16
	v_exp_f32_e32 v14, v14
	v_ldexp_f32 v14, v14, v15
	v_cndmask_b32_e32 v14, 0, v14, vcc_lo
	v_cmp_nlt_f32_e32 vcc_lo, 0x42b17218, v13
	v_cndmask_b32_e32 v15, 0x7f800000, v14, vcc_lo
	v_add_f32_e32 v16, 1.0, v15
	v_cvt_f64_f32_e32 v[13:14], v16
	v_frexp_exp_i32_f64_e32 v13, v[13:14]
	v_frexp_mant_f32_e32 v14, v16
	v_cmp_gt_f32_e32 vcc_lo, 0x3f2aaaab, v14
	v_add_f32_e32 v14, -1.0, v16
	v_sub_f32_e32 v18, v14, v16
	v_sub_f32_e32 v14, v15, v14
	v_add_f32_e32 v18, 1.0, v18
	v_add_f32_e32 v14, v14, v18
	v_subrev_co_ci_u32_e64 v13, null, 0, v13, vcc_lo
	v_cmp_neq_f32_e32 vcc_lo, 0x7f800000, v15
	v_sub_nc_u32_e32 v17, 0, v13
	v_cvt_f32_i32_e32 v13, v13
	v_ldexp_f32 v16, v16, v17
	v_ldexp_f32 v14, v14, v17
	v_add_f32_e32 v20, 1.0, v16
	v_add_f32_e32 v17, -1.0, v16
	v_add_f32_e32 v18, -1.0, v20
	v_add_f32_e32 v21, 1.0, v17
	v_sub_f32_e32 v18, v16, v18
	v_sub_f32_e32 v16, v16, v21
	v_add_f32_e32 v18, v14, v18
	v_add_f32_e32 v14, v14, v16
	;; [unrolled: 1-line block ×4, first 2 shown]
	v_rcp_f32_e32 v16, v21
	v_sub_f32_e32 v20, v20, v21
	v_sub_f32_e32 v17, v17, v22
	v_add_f32_e32 v18, v18, v20
	v_add_f32_e32 v14, v14, v17
	v_mul_f32_e32 v25, v22, v16
	v_mul_f32_e32 v26, v21, v25
	v_fma_f32 v20, v25, v21, -v26
	v_fmac_f32_e32 v20, v25, v18
	v_add_f32_e32 v27, v26, v20
	v_sub_f32_e32 v28, v22, v27
	v_sub_f32_e32 v17, v27, v26
	;; [unrolled: 1-line block ×5, first 2 shown]
	v_add_f32_e32 v14, v14, v22
	v_add_f32_e32 v14, v17, v14
	;; [unrolled: 1-line block ×3, first 2 shown]
	v_mul_f32_e32 v20, v16, v17
	v_sub_f32_e32 v27, v28, v17
	v_mul_f32_e32 v22, v21, v20
	v_add_f32_e32 v14, v14, v27
	v_fma_f32 v21, v20, v21, -v22
	v_fmac_f32_e32 v21, v20, v18
	v_add_f32_e32 v18, v22, v21
	v_sub_f32_e32 v26, v17, v18
	v_sub_f32_e32 v22, v18, v22
	;; [unrolled: 1-line block ×5, first 2 shown]
	v_add_f32_e32 v14, v14, v17
	v_add_f32_e32 v17, v25, v20
	;; [unrolled: 1-line block ×3, first 2 shown]
	v_sub_f32_e32 v18, v17, v25
	v_add_f32_e32 v14, v26, v14
	v_sub_f32_e32 v18, v20, v18
	v_mul_f32_e32 v14, v16, v14
	v_add_f32_e32 v14, v18, v14
	v_add_f32_e32 v16, v17, v14
	v_mul_f32_e32 v18, v16, v16
	v_fmaak_f32 v20, s5, v18, 0x3ecc95a3
	v_mul_f32_e32 v21, v16, v18
	v_fmaak_f32 v18, v18, v20, 0x3f2aaada
	v_ldexp_f32 v20, v16, 1
	v_sub_f32_e32 v16, v16, v17
	v_mul_f32_e32 v18, v21, v18
	v_mul_f32_e32 v21, 0x3f317218, v13
	v_sub_f32_e32 v14, v14, v16
	v_add_f32_e32 v17, v20, v18
	v_ldexp_f32 v14, v14, 1
	v_sub_f32_e32 v16, v17, v20
	v_fma_f32 v20, 0x3f317218, v13, -v21
	v_sub_f32_e32 v16, v18, v16
	v_fmamk_f32 v13, v13, 0xb102e308, v20
	v_add_f32_e32 v14, v14, v16
	v_add_f32_e32 v16, v21, v13
	;; [unrolled: 1-line block ×3, first 2 shown]
	v_sub_f32_e32 v21, v16, v21
	v_add_f32_e32 v20, v16, v18
	v_sub_f32_e32 v17, v18, v17
	v_sub_f32_e32 v13, v13, v21
	;; [unrolled: 1-line block ×6, first 2 shown]
	v_add_f32_e32 v18, v13, v14
	v_sub_f32_e32 v16, v16, v25
	v_add_f32_e32 v16, v17, v16
	v_sub_f32_e32 v17, v18, v13
	;; [unrolled: 2-line block ×3, first 2 shown]
	v_sub_f32_e32 v14, v14, v17
	v_add_f32_e32 v21, v20, v16
	v_sub_f32_e32 v13, v13, v18
	v_sub_f32_e32 v17, v21, v20
	v_add_f32_e32 v13, v14, v13
	v_sub_f32_e32 v14, v16, v17
	v_add_f32_e32 v13, v13, v14
	v_add_f32_e32 v13, v21, v13
	v_cndmask_b32_e32 v13, 0x7f800000, v13, vcc_lo
	v_cmp_gt_f32_e64 vcc_lo, 0x33800000, |v15|
	v_cndmask_b32_e32 v13, v13, v15, vcc_lo
	v_add_f32_e32 v14, v5, v13
.LBB463_96:
	s_or_b32 exec_lo, exec_lo, s4
	v_bfe_u32 v5, v14, 16, 1
	v_cmp_o_f32_e32 vcc_lo, v14, v14
	v_mov_b32_e32 v13, 0x7fc0
	v_add3_u32 v5, v14, v5, 0x7fff
	v_cndmask_b32_sdwa v5, v13, v5, vcc_lo dst_sel:DWORD dst_unused:UNUSED_PAD src0_sel:DWORD src1_sel:WORD_1
	v_lshlrev_b32_e32 v15, 16, v5
	v_max_f32_e32 v14, v15, v15
	v_cmp_u_f32_e32 vcc_lo, v15, v15
	v_min_f32_e32 v16, v14, v23
	v_max_f32_e32 v14, v14, v23
	v_cndmask_b32_e32 v16, v16, v15, vcc_lo
	v_cndmask_b32_e32 v14, v14, v15, vcc_lo
	v_cndmask_b32_e64 v16, v16, v19, s23
	v_cndmask_b32_e64 v14, v14, v19, s23
	v_cmp_class_f32_e64 s4, v16, 0x1f8
	v_cmp_neq_f32_e32 vcc_lo, v16, v14
	s_or_b32 s5, vcc_lo, s4
	s_and_saveexec_b32 s4, s5
	s_cbranch_execz .LBB463_98
; %bb.97:
	v_sub_f32_e32 v15, v16, v14
	s_mov_b32 s5, 0x3e9b6dac
	v_mul_f32_e32 v16, 0x3fb8aa3b, v15
	v_cmp_ngt_f32_e32 vcc_lo, 0xc2ce8ed0, v15
	v_fma_f32 v17, 0x3fb8aa3b, v15, -v16
	v_rndne_f32_e32 v18, v16
	v_fmamk_f32 v17, v15, 0x32a5705f, v17
	v_sub_f32_e32 v16, v16, v18
	v_add_f32_e32 v16, v16, v17
	v_cvt_i32_f32_e32 v17, v18
	v_exp_f32_e32 v16, v16
	v_ldexp_f32 v16, v16, v17
	v_cndmask_b32_e32 v16, 0, v16, vcc_lo
	v_cmp_nlt_f32_e32 vcc_lo, 0x42b17218, v15
	v_cndmask_b32_e32 v17, 0x7f800000, v16, vcc_lo
	v_add_f32_e32 v18, 1.0, v17
	v_cvt_f64_f32_e32 v[15:16], v18
	v_frexp_exp_i32_f64_e32 v15, v[15:16]
	v_frexp_mant_f32_e32 v16, v18
	v_cmp_gt_f32_e32 vcc_lo, 0x3f2aaaab, v16
	v_add_f32_e32 v16, -1.0, v18
	v_sub_f32_e32 v20, v16, v18
	v_sub_f32_e32 v16, v17, v16
	v_add_f32_e32 v20, 1.0, v20
	v_add_f32_e32 v16, v16, v20
	v_subrev_co_ci_u32_e64 v15, null, 0, v15, vcc_lo
	v_cmp_neq_f32_e32 vcc_lo, 0x7f800000, v17
	v_sub_nc_u32_e32 v19, 0, v15
	v_cvt_f32_i32_e32 v15, v15
	v_ldexp_f32 v18, v18, v19
	v_ldexp_f32 v16, v16, v19
	v_add_f32_e32 v21, 1.0, v18
	v_add_f32_e32 v19, -1.0, v18
	v_add_f32_e32 v20, -1.0, v21
	v_add_f32_e32 v22, 1.0, v19
	v_sub_f32_e32 v20, v18, v20
	v_sub_f32_e32 v18, v18, v22
	v_add_f32_e32 v20, v16, v20
	v_add_f32_e32 v16, v16, v18
	;; [unrolled: 1-line block ×4, first 2 shown]
	v_rcp_f32_e32 v18, v22
	v_sub_f32_e32 v21, v21, v22
	v_sub_f32_e32 v19, v19, v23
	v_add_f32_e32 v20, v20, v21
	v_add_f32_e32 v16, v16, v19
	v_mul_f32_e32 v25, v23, v18
	v_mul_f32_e32 v26, v22, v25
	v_fma_f32 v21, v25, v22, -v26
	v_fmac_f32_e32 v21, v25, v20
	v_add_f32_e32 v27, v26, v21
	v_sub_f32_e32 v28, v23, v27
	v_sub_f32_e32 v19, v27, v26
	;; [unrolled: 1-line block ×5, first 2 shown]
	v_add_f32_e32 v16, v16, v23
	v_add_f32_e32 v16, v19, v16
	;; [unrolled: 1-line block ×3, first 2 shown]
	v_mul_f32_e32 v21, v18, v19
	v_sub_f32_e32 v27, v28, v19
	v_mul_f32_e32 v23, v22, v21
	v_add_f32_e32 v16, v16, v27
	v_fma_f32 v22, v21, v22, -v23
	v_fmac_f32_e32 v22, v21, v20
	v_add_f32_e32 v20, v23, v22
	v_sub_f32_e32 v26, v19, v20
	v_sub_f32_e32 v23, v20, v23
	;; [unrolled: 1-line block ×5, first 2 shown]
	v_add_f32_e32 v16, v16, v19
	v_add_f32_e32 v19, v25, v21
	v_add_f32_e32 v16, v20, v16
	v_sub_f32_e32 v20, v19, v25
	v_add_f32_e32 v16, v26, v16
	v_sub_f32_e32 v20, v21, v20
	v_mul_f32_e32 v16, v18, v16
	v_add_f32_e32 v16, v20, v16
	v_add_f32_e32 v18, v19, v16
	v_mul_f32_e32 v20, v18, v18
	v_fmaak_f32 v21, s5, v20, 0x3ecc95a3
	v_mul_f32_e32 v22, v18, v20
	v_fmaak_f32 v20, v20, v21, 0x3f2aaada
	v_ldexp_f32 v21, v18, 1
	v_sub_f32_e32 v18, v18, v19
	v_mul_f32_e32 v20, v22, v20
	v_mul_f32_e32 v22, 0x3f317218, v15
	v_sub_f32_e32 v16, v16, v18
	v_add_f32_e32 v19, v21, v20
	v_ldexp_f32 v16, v16, 1
	v_sub_f32_e32 v18, v19, v21
	v_fma_f32 v21, 0x3f317218, v15, -v22
	v_sub_f32_e32 v18, v20, v18
	v_fmamk_f32 v15, v15, 0xb102e308, v21
	v_add_f32_e32 v16, v16, v18
	v_add_f32_e32 v18, v22, v15
	;; [unrolled: 1-line block ×3, first 2 shown]
	v_sub_f32_e32 v22, v18, v22
	v_add_f32_e32 v21, v18, v20
	v_sub_f32_e32 v19, v20, v19
	v_sub_f32_e32 v15, v15, v22
	v_sub_f32_e32 v23, v21, v18
	v_sub_f32_e32 v16, v16, v19
	v_sub_f32_e32 v25, v21, v23
	v_sub_f32_e32 v19, v20, v23
	v_add_f32_e32 v20, v15, v16
	v_sub_f32_e32 v18, v18, v25
	v_add_f32_e32 v18, v19, v18
	v_sub_f32_e32 v19, v20, v15
	;; [unrolled: 2-line block ×3, first 2 shown]
	v_sub_f32_e32 v16, v16, v19
	v_add_f32_e32 v22, v21, v18
	v_sub_f32_e32 v15, v15, v20
	v_sub_f32_e32 v19, v22, v21
	v_add_f32_e32 v15, v16, v15
	v_sub_f32_e32 v16, v18, v19
	v_add_f32_e32 v15, v15, v16
	v_add_f32_e32 v15, v22, v15
	v_cndmask_b32_e32 v15, 0x7f800000, v15, vcc_lo
	v_cmp_gt_f32_e64 vcc_lo, 0x33800000, |v17|
	v_cndmask_b32_e32 v15, v15, v17, vcc_lo
	v_add_f32_e32 v15, v14, v15
.LBB463_98:
	s_or_b32 exec_lo, exec_lo, s4
	v_bfe_u32 v14, v15, 16, 1
	v_cmp_o_f32_e32 vcc_lo, v15, v15
	v_add3_u32 v14, v15, v14, 0x7fff
	v_cndmask_b32_sdwa v13, v13, v14, vcc_lo dst_sel:DWORD dst_unused:UNUSED_PAD src0_sel:DWORD src1_sel:WORD_1
	v_lshlrev_b32_e32 v14, 16, v13
	v_max_f32_e32 v15, v14, v14
	v_cmp_u_f32_e32 vcc_lo, v14, v14
	v_min_f32_e32 v16, v15, v24
	v_max_f32_e32 v15, v15, v24
	v_cndmask_b32_e32 v16, v16, v14, vcc_lo
	v_cndmask_b32_e32 v17, v15, v14, vcc_lo
	v_cndmask_b32_e64 v15, v16, v6, s24
	v_cndmask_b32_e64 v6, v17, v6, s24
	v_cmp_class_f32_e64 s4, v15, 0x1f8
	v_cmp_neq_f32_e32 vcc_lo, v15, v6
	s_or_b32 s5, vcc_lo, s4
	s_and_saveexec_b32 s4, s5
	s_cbranch_execz .LBB463_100
; %bb.99:
	v_sub_f32_e32 v14, v15, v6
	s_mov_b32 s5, 0x3e9b6dac
	v_mul_f32_e32 v15, 0x3fb8aa3b, v14
	v_cmp_ngt_f32_e32 vcc_lo, 0xc2ce8ed0, v14
	v_fma_f32 v16, 0x3fb8aa3b, v14, -v15
	v_rndne_f32_e32 v17, v15
	v_fmamk_f32 v16, v14, 0x32a5705f, v16
	v_sub_f32_e32 v15, v15, v17
	v_add_f32_e32 v15, v15, v16
	v_cvt_i32_f32_e32 v16, v17
	v_exp_f32_e32 v15, v15
	v_ldexp_f32 v15, v15, v16
	v_cndmask_b32_e32 v15, 0, v15, vcc_lo
	v_cmp_nlt_f32_e32 vcc_lo, 0x42b17218, v14
	v_cndmask_b32_e32 v16, 0x7f800000, v15, vcc_lo
	v_add_f32_e32 v17, 1.0, v16
	v_cvt_f64_f32_e32 v[14:15], v17
	v_frexp_exp_i32_f64_e32 v14, v[14:15]
	v_frexp_mant_f32_e32 v15, v17
	v_cmp_gt_f32_e32 vcc_lo, 0x3f2aaaab, v15
	v_add_f32_e32 v15, -1.0, v17
	v_sub_f32_e32 v19, v15, v17
	v_sub_f32_e32 v15, v16, v15
	v_add_f32_e32 v19, 1.0, v19
	v_add_f32_e32 v15, v15, v19
	v_subrev_co_ci_u32_e64 v14, null, 0, v14, vcc_lo
	v_cmp_neq_f32_e32 vcc_lo, 0x7f800000, v16
	v_sub_nc_u32_e32 v18, 0, v14
	v_cvt_f32_i32_e32 v14, v14
	v_ldexp_f32 v17, v17, v18
	v_ldexp_f32 v15, v15, v18
	v_add_f32_e32 v20, 1.0, v17
	v_add_f32_e32 v18, -1.0, v17
	v_add_f32_e32 v19, -1.0, v20
	v_add_f32_e32 v21, 1.0, v18
	v_sub_f32_e32 v19, v17, v19
	v_sub_f32_e32 v17, v17, v21
	v_add_f32_e32 v19, v15, v19
	v_add_f32_e32 v15, v15, v17
	v_add_f32_e32 v21, v20, v19
	v_add_f32_e32 v22, v18, v15
	v_rcp_f32_e32 v17, v21
	v_sub_f32_e32 v20, v20, v21
	v_sub_f32_e32 v18, v18, v22
	v_add_f32_e32 v19, v19, v20
	v_add_f32_e32 v15, v15, v18
	v_mul_f32_e32 v23, v22, v17
	v_mul_f32_e32 v24, v21, v23
	v_fma_f32 v20, v23, v21, -v24
	v_fmac_f32_e32 v20, v23, v19
	v_add_f32_e32 v25, v24, v20
	v_sub_f32_e32 v26, v22, v25
	v_sub_f32_e32 v18, v25, v24
	;; [unrolled: 1-line block ×5, first 2 shown]
	v_add_f32_e32 v15, v15, v22
	v_add_f32_e32 v15, v18, v15
	;; [unrolled: 1-line block ×3, first 2 shown]
	v_mul_f32_e32 v20, v17, v18
	v_sub_f32_e32 v25, v26, v18
	v_mul_f32_e32 v22, v21, v20
	v_add_f32_e32 v15, v15, v25
	v_fma_f32 v21, v20, v21, -v22
	v_fmac_f32_e32 v21, v20, v19
	v_add_f32_e32 v19, v22, v21
	v_sub_f32_e32 v24, v18, v19
	v_sub_f32_e32 v22, v19, v22
	;; [unrolled: 1-line block ×5, first 2 shown]
	v_add_f32_e32 v15, v15, v18
	v_add_f32_e32 v18, v23, v20
	;; [unrolled: 1-line block ×3, first 2 shown]
	v_sub_f32_e32 v19, v18, v23
	v_add_f32_e32 v15, v24, v15
	v_sub_f32_e32 v19, v20, v19
	v_mul_f32_e32 v15, v17, v15
	v_add_f32_e32 v15, v19, v15
	v_add_f32_e32 v17, v18, v15
	v_mul_f32_e32 v19, v17, v17
	v_fmaak_f32 v20, s5, v19, 0x3ecc95a3
	v_mul_f32_e32 v21, v17, v19
	v_fmaak_f32 v19, v19, v20, 0x3f2aaada
	v_ldexp_f32 v20, v17, 1
	v_sub_f32_e32 v17, v17, v18
	v_mul_f32_e32 v19, v21, v19
	v_mul_f32_e32 v21, 0x3f317218, v14
	v_sub_f32_e32 v15, v15, v17
	v_add_f32_e32 v18, v20, v19
	v_ldexp_f32 v15, v15, 1
	v_sub_f32_e32 v17, v18, v20
	v_fma_f32 v20, 0x3f317218, v14, -v21
	v_sub_f32_e32 v17, v19, v17
	v_fmamk_f32 v14, v14, 0xb102e308, v20
	v_add_f32_e32 v15, v15, v17
	v_add_f32_e32 v17, v21, v14
	;; [unrolled: 1-line block ×3, first 2 shown]
	v_sub_f32_e32 v21, v17, v21
	v_add_f32_e32 v20, v17, v19
	v_sub_f32_e32 v18, v19, v18
	v_sub_f32_e32 v14, v14, v21
	;; [unrolled: 1-line block ×6, first 2 shown]
	v_add_f32_e32 v19, v14, v15
	v_sub_f32_e32 v17, v17, v23
	v_add_f32_e32 v17, v18, v17
	v_sub_f32_e32 v18, v19, v14
	;; [unrolled: 2-line block ×3, first 2 shown]
	v_sub_f32_e32 v15, v15, v18
	v_add_f32_e32 v21, v20, v17
	v_sub_f32_e32 v14, v14, v19
	v_sub_f32_e32 v18, v21, v20
	v_add_f32_e32 v14, v15, v14
	v_sub_f32_e32 v15, v17, v18
	v_add_f32_e32 v14, v14, v15
	v_add_f32_e32 v14, v21, v14
	v_cndmask_b32_e32 v14, 0x7f800000, v14, vcc_lo
	v_cmp_gt_f32_e64 vcc_lo, 0x33800000, |v16|
	v_cndmask_b32_e32 v14, v14, v16, vcc_lo
	v_add_f32_e32 v14, v6, v14
.LBB463_100:
	s_or_b32 exec_lo, exec_lo, s4
	v_bfe_u32 v6, v14, 16, 1
	v_cmp_o_f32_e32 vcc_lo, v14, v14
	v_mov_b32_e32 v15, 0x7fc0
	v_perm_b32 v4, v4, v11, 0x5040100
	v_perm_b32 v3, v3, v10, 0x5040100
	v_add3_u32 v6, v14, v6, 0x7fff
	v_add_nc_u32_e32 v14, v7, v29
	v_perm_b32 v2, v2, v9, 0x5040100
	v_perm_b32 v1, v8, v1, 0x5040100
	;; [unrolled: 1-line block ×3, first 2 shown]
	v_cndmask_b32_sdwa v6, v15, v6, vcc_lo dst_sel:DWORD dst_unused:UNUSED_PAD src0_sel:DWORD src1_sel:WORD_1
	s_barrier
	buffer_gl0_inv
	v_lshlrev_b32_e32 v0, 1, v0
	v_perm_b32 v6, v6, v13, 0x5040100
	ds_write2_b64 v14, v[1:2], v[3:4] offset1:1
	ds_write_b64 v14, v[5:6] offset:16
	s_waitcnt lgkmcnt(0)
	s_barrier
	buffer_gl0_inv
	ds_read_u16 v13, v7 offset:128
	ds_read_u16 v12, v7 offset:256
	;; [unrolled: 1-line block ×11, first 2 shown]
	v_add_co_u32 v0, s4, s26, v0
	v_add_co_ci_u32_e64 v1, null, s27, 0, s4
	s_and_saveexec_b32 s4, s0
	s_cbranch_execnz .LBB463_113
; %bb.101:
	s_or_b32 exec_lo, exec_lo, s4
	s_and_saveexec_b32 s0, s1
	s_cbranch_execnz .LBB463_114
.LBB463_102:
	s_or_b32 exec_lo, exec_lo, s0
	s_and_saveexec_b32 s0, s2
	s_cbranch_execnz .LBB463_115
.LBB463_103:
	s_or_b32 exec_lo, exec_lo, s0
	s_and_saveexec_b32 s0, s3
	s_cbranch_execnz .LBB463_116
.LBB463_104:
	s_or_b32 exec_lo, exec_lo, s0
	s_and_saveexec_b32 s0, s6
	s_cbranch_execnz .LBB463_117
.LBB463_105:
	s_or_b32 exec_lo, exec_lo, s0
	s_and_saveexec_b32 s0, s7
	s_cbranch_execnz .LBB463_118
.LBB463_106:
	s_or_b32 exec_lo, exec_lo, s0
	s_and_saveexec_b32 s0, s8
	s_cbranch_execnz .LBB463_119
.LBB463_107:
	s_or_b32 exec_lo, exec_lo, s0
	s_and_saveexec_b32 s0, s9
	s_cbranch_execnz .LBB463_120
.LBB463_108:
	s_or_b32 exec_lo, exec_lo, s0
	s_and_saveexec_b32 s0, s10
	s_cbranch_execnz .LBB463_121
.LBB463_109:
	s_or_b32 exec_lo, exec_lo, s0
	s_and_saveexec_b32 s0, s11
	s_cbranch_execnz .LBB463_122
.LBB463_110:
	s_or_b32 exec_lo, exec_lo, s0
	s_and_saveexec_b32 s0, s12
	s_cbranch_execnz .LBB463_123
.LBB463_111:
	s_or_b32 exec_lo, exec_lo, s0
	s_and_saveexec_b32 s0, s13
	s_cbranch_execnz .LBB463_124
.LBB463_112:
	s_endpgm
.LBB463_113:
	ds_read_u16 v7, v7
	s_waitcnt lgkmcnt(0)
	global_store_short v[0:1], v7, off
	s_or_b32 exec_lo, exec_lo, s4
	s_and_saveexec_b32 s0, s1
	s_cbranch_execz .LBB463_102
.LBB463_114:
	s_waitcnt lgkmcnt(10)
	global_store_short v[0:1], v13, off offset:128
	s_or_b32 exec_lo, exec_lo, s0
	s_and_saveexec_b32 s0, s2
	s_cbranch_execz .LBB463_103
.LBB463_115:
	s_waitcnt lgkmcnt(9)
	global_store_short v[0:1], v12, off offset:256
	s_or_b32 exec_lo, exec_lo, s0
	s_and_saveexec_b32 s0, s3
	s_cbranch_execz .LBB463_104
.LBB463_116:
	s_waitcnt lgkmcnt(8)
	global_store_short v[0:1], v11, off offset:384
	s_or_b32 exec_lo, exec_lo, s0
	s_and_saveexec_b32 s0, s6
	s_cbranch_execz .LBB463_105
.LBB463_117:
	s_waitcnt lgkmcnt(7)
	global_store_short v[0:1], v10, off offset:512
	s_or_b32 exec_lo, exec_lo, s0
	s_and_saveexec_b32 s0, s7
	s_cbranch_execz .LBB463_106
.LBB463_118:
	s_waitcnt lgkmcnt(6)
	global_store_short v[0:1], v9, off offset:640
	s_or_b32 exec_lo, exec_lo, s0
	s_and_saveexec_b32 s0, s8
	s_cbranch_execz .LBB463_107
.LBB463_119:
	s_waitcnt lgkmcnt(5)
	global_store_short v[0:1], v8, off offset:768
	s_or_b32 exec_lo, exec_lo, s0
	s_and_saveexec_b32 s0, s9
	s_cbranch_execz .LBB463_108
.LBB463_120:
	s_waitcnt lgkmcnt(4)
	global_store_short v[0:1], v6, off offset:896
	s_or_b32 exec_lo, exec_lo, s0
	s_and_saveexec_b32 s0, s10
	s_cbranch_execz .LBB463_109
.LBB463_121:
	s_waitcnt lgkmcnt(3)
	global_store_short v[0:1], v5, off offset:1024
	s_or_b32 exec_lo, exec_lo, s0
	s_and_saveexec_b32 s0, s11
	s_cbranch_execz .LBB463_110
.LBB463_122:
	s_waitcnt lgkmcnt(2)
	global_store_short v[0:1], v4, off offset:1152
	s_or_b32 exec_lo, exec_lo, s0
	s_and_saveexec_b32 s0, s12
	s_cbranch_execz .LBB463_111
.LBB463_123:
	s_waitcnt lgkmcnt(1)
	global_store_short v[0:1], v3, off offset:1280
	s_or_b32 exec_lo, exec_lo, s0
	s_and_saveexec_b32 s0, s13
	s_cbranch_execz .LBB463_112
.LBB463_124:
	s_waitcnt lgkmcnt(0)
	global_store_short v[0:1], v2, off offset:1408
	s_endpgm
	.section	.rodata,"a",@progbits
	.p2align	6, 0x0
	.amdhsa_kernel _ZN7rocprim17ROCPRIM_400000_NS6detail17trampoline_kernelINS0_14default_configENS1_20scan_config_selectorIN3c108BFloat16EEEZZNS1_9scan_implILNS1_25lookback_scan_determinismE0ELb0ELb0ES3_PKS6_PS6_S6_ZZZN2at6native31launch_logcumsumexp_cuda_kernelERKNSD_10TensorBaseESH_lENKUlvE_clEvENKUlvE4_clEvEUlS6_S6_E_S6_EEDaPvRmT3_T4_T5_mT6_P12ihipStream_tbENKUlT_T0_E_clISt17integral_constantIbLb0EESY_EEDaST_SU_EUlST_E0_NS1_11comp_targetILNS1_3genE8ELNS1_11target_archE1030ELNS1_3gpuE2ELNS1_3repE0EEENS1_30default_config_static_selectorELNS0_4arch9wavefront6targetE0EEEvT1_
		.amdhsa_group_segment_fixed_size 1536
		.amdhsa_private_segment_fixed_size 0
		.amdhsa_kernarg_size 32
		.amdhsa_user_sgpr_count 6
		.amdhsa_user_sgpr_private_segment_buffer 1
		.amdhsa_user_sgpr_dispatch_ptr 0
		.amdhsa_user_sgpr_queue_ptr 0
		.amdhsa_user_sgpr_kernarg_segment_ptr 1
		.amdhsa_user_sgpr_dispatch_id 0
		.amdhsa_user_sgpr_flat_scratch_init 0
		.amdhsa_user_sgpr_private_segment_size 0
		.amdhsa_wavefront_size32 1
		.amdhsa_uses_dynamic_stack 0
		.amdhsa_system_sgpr_private_segment_wavefront_offset 0
		.amdhsa_system_sgpr_workgroup_id_x 1
		.amdhsa_system_sgpr_workgroup_id_y 0
		.amdhsa_system_sgpr_workgroup_id_z 0
		.amdhsa_system_sgpr_workgroup_info 0
		.amdhsa_system_vgpr_workitem_id 0
		.amdhsa_next_free_vgpr 49
		.amdhsa_next_free_sgpr 31
		.amdhsa_reserve_vcc 1
		.amdhsa_reserve_flat_scratch 0
		.amdhsa_float_round_mode_32 0
		.amdhsa_float_round_mode_16_64 0
		.amdhsa_float_denorm_mode_32 3
		.amdhsa_float_denorm_mode_16_64 3
		.amdhsa_dx10_clamp 1
		.amdhsa_ieee_mode 1
		.amdhsa_fp16_overflow 0
		.amdhsa_workgroup_processor_mode 1
		.amdhsa_memory_ordered 1
		.amdhsa_forward_progress 1
		.amdhsa_shared_vgpr_count 0
		.amdhsa_exception_fp_ieee_invalid_op 0
		.amdhsa_exception_fp_denorm_src 0
		.amdhsa_exception_fp_ieee_div_zero 0
		.amdhsa_exception_fp_ieee_overflow 0
		.amdhsa_exception_fp_ieee_underflow 0
		.amdhsa_exception_fp_ieee_inexact 0
		.amdhsa_exception_int_div_zero 0
	.end_amdhsa_kernel
	.section	.text._ZN7rocprim17ROCPRIM_400000_NS6detail17trampoline_kernelINS0_14default_configENS1_20scan_config_selectorIN3c108BFloat16EEEZZNS1_9scan_implILNS1_25lookback_scan_determinismE0ELb0ELb0ES3_PKS6_PS6_S6_ZZZN2at6native31launch_logcumsumexp_cuda_kernelERKNSD_10TensorBaseESH_lENKUlvE_clEvENKUlvE4_clEvEUlS6_S6_E_S6_EEDaPvRmT3_T4_T5_mT6_P12ihipStream_tbENKUlT_T0_E_clISt17integral_constantIbLb0EESY_EEDaST_SU_EUlST_E0_NS1_11comp_targetILNS1_3genE8ELNS1_11target_archE1030ELNS1_3gpuE2ELNS1_3repE0EEENS1_30default_config_static_selectorELNS0_4arch9wavefront6targetE0EEEvT1_,"axG",@progbits,_ZN7rocprim17ROCPRIM_400000_NS6detail17trampoline_kernelINS0_14default_configENS1_20scan_config_selectorIN3c108BFloat16EEEZZNS1_9scan_implILNS1_25lookback_scan_determinismE0ELb0ELb0ES3_PKS6_PS6_S6_ZZZN2at6native31launch_logcumsumexp_cuda_kernelERKNSD_10TensorBaseESH_lENKUlvE_clEvENKUlvE4_clEvEUlS6_S6_E_S6_EEDaPvRmT3_T4_T5_mT6_P12ihipStream_tbENKUlT_T0_E_clISt17integral_constantIbLb0EESY_EEDaST_SU_EUlST_E0_NS1_11comp_targetILNS1_3genE8ELNS1_11target_archE1030ELNS1_3gpuE2ELNS1_3repE0EEENS1_30default_config_static_selectorELNS0_4arch9wavefront6targetE0EEEvT1_,comdat
.Lfunc_end463:
	.size	_ZN7rocprim17ROCPRIM_400000_NS6detail17trampoline_kernelINS0_14default_configENS1_20scan_config_selectorIN3c108BFloat16EEEZZNS1_9scan_implILNS1_25lookback_scan_determinismE0ELb0ELb0ES3_PKS6_PS6_S6_ZZZN2at6native31launch_logcumsumexp_cuda_kernelERKNSD_10TensorBaseESH_lENKUlvE_clEvENKUlvE4_clEvEUlS6_S6_E_S6_EEDaPvRmT3_T4_T5_mT6_P12ihipStream_tbENKUlT_T0_E_clISt17integral_constantIbLb0EESY_EEDaST_SU_EUlST_E0_NS1_11comp_targetILNS1_3genE8ELNS1_11target_archE1030ELNS1_3gpuE2ELNS1_3repE0EEENS1_30default_config_static_selectorELNS0_4arch9wavefront6targetE0EEEvT1_, .Lfunc_end463-_ZN7rocprim17ROCPRIM_400000_NS6detail17trampoline_kernelINS0_14default_configENS1_20scan_config_selectorIN3c108BFloat16EEEZZNS1_9scan_implILNS1_25lookback_scan_determinismE0ELb0ELb0ES3_PKS6_PS6_S6_ZZZN2at6native31launch_logcumsumexp_cuda_kernelERKNSD_10TensorBaseESH_lENKUlvE_clEvENKUlvE4_clEvEUlS6_S6_E_S6_EEDaPvRmT3_T4_T5_mT6_P12ihipStream_tbENKUlT_T0_E_clISt17integral_constantIbLb0EESY_EEDaST_SU_EUlST_E0_NS1_11comp_targetILNS1_3genE8ELNS1_11target_archE1030ELNS1_3gpuE2ELNS1_3repE0EEENS1_30default_config_static_selectorELNS0_4arch9wavefront6targetE0EEEvT1_
                                        ; -- End function
	.set _ZN7rocprim17ROCPRIM_400000_NS6detail17trampoline_kernelINS0_14default_configENS1_20scan_config_selectorIN3c108BFloat16EEEZZNS1_9scan_implILNS1_25lookback_scan_determinismE0ELb0ELb0ES3_PKS6_PS6_S6_ZZZN2at6native31launch_logcumsumexp_cuda_kernelERKNSD_10TensorBaseESH_lENKUlvE_clEvENKUlvE4_clEvEUlS6_S6_E_S6_EEDaPvRmT3_T4_T5_mT6_P12ihipStream_tbENKUlT_T0_E_clISt17integral_constantIbLb0EESY_EEDaST_SU_EUlST_E0_NS1_11comp_targetILNS1_3genE8ELNS1_11target_archE1030ELNS1_3gpuE2ELNS1_3repE0EEENS1_30default_config_static_selectorELNS0_4arch9wavefront6targetE0EEEvT1_.num_vgpr, 49
	.set _ZN7rocprim17ROCPRIM_400000_NS6detail17trampoline_kernelINS0_14default_configENS1_20scan_config_selectorIN3c108BFloat16EEEZZNS1_9scan_implILNS1_25lookback_scan_determinismE0ELb0ELb0ES3_PKS6_PS6_S6_ZZZN2at6native31launch_logcumsumexp_cuda_kernelERKNSD_10TensorBaseESH_lENKUlvE_clEvENKUlvE4_clEvEUlS6_S6_E_S6_EEDaPvRmT3_T4_T5_mT6_P12ihipStream_tbENKUlT_T0_E_clISt17integral_constantIbLb0EESY_EEDaST_SU_EUlST_E0_NS1_11comp_targetILNS1_3genE8ELNS1_11target_archE1030ELNS1_3gpuE2ELNS1_3repE0EEENS1_30default_config_static_selectorELNS0_4arch9wavefront6targetE0EEEvT1_.num_agpr, 0
	.set _ZN7rocprim17ROCPRIM_400000_NS6detail17trampoline_kernelINS0_14default_configENS1_20scan_config_selectorIN3c108BFloat16EEEZZNS1_9scan_implILNS1_25lookback_scan_determinismE0ELb0ELb0ES3_PKS6_PS6_S6_ZZZN2at6native31launch_logcumsumexp_cuda_kernelERKNSD_10TensorBaseESH_lENKUlvE_clEvENKUlvE4_clEvEUlS6_S6_E_S6_EEDaPvRmT3_T4_T5_mT6_P12ihipStream_tbENKUlT_T0_E_clISt17integral_constantIbLb0EESY_EEDaST_SU_EUlST_E0_NS1_11comp_targetILNS1_3genE8ELNS1_11target_archE1030ELNS1_3gpuE2ELNS1_3repE0EEENS1_30default_config_static_selectorELNS0_4arch9wavefront6targetE0EEEvT1_.numbered_sgpr, 31
	.set _ZN7rocprim17ROCPRIM_400000_NS6detail17trampoline_kernelINS0_14default_configENS1_20scan_config_selectorIN3c108BFloat16EEEZZNS1_9scan_implILNS1_25lookback_scan_determinismE0ELb0ELb0ES3_PKS6_PS6_S6_ZZZN2at6native31launch_logcumsumexp_cuda_kernelERKNSD_10TensorBaseESH_lENKUlvE_clEvENKUlvE4_clEvEUlS6_S6_E_S6_EEDaPvRmT3_T4_T5_mT6_P12ihipStream_tbENKUlT_T0_E_clISt17integral_constantIbLb0EESY_EEDaST_SU_EUlST_E0_NS1_11comp_targetILNS1_3genE8ELNS1_11target_archE1030ELNS1_3gpuE2ELNS1_3repE0EEENS1_30default_config_static_selectorELNS0_4arch9wavefront6targetE0EEEvT1_.num_named_barrier, 0
	.set _ZN7rocprim17ROCPRIM_400000_NS6detail17trampoline_kernelINS0_14default_configENS1_20scan_config_selectorIN3c108BFloat16EEEZZNS1_9scan_implILNS1_25lookback_scan_determinismE0ELb0ELb0ES3_PKS6_PS6_S6_ZZZN2at6native31launch_logcumsumexp_cuda_kernelERKNSD_10TensorBaseESH_lENKUlvE_clEvENKUlvE4_clEvEUlS6_S6_E_S6_EEDaPvRmT3_T4_T5_mT6_P12ihipStream_tbENKUlT_T0_E_clISt17integral_constantIbLb0EESY_EEDaST_SU_EUlST_E0_NS1_11comp_targetILNS1_3genE8ELNS1_11target_archE1030ELNS1_3gpuE2ELNS1_3repE0EEENS1_30default_config_static_selectorELNS0_4arch9wavefront6targetE0EEEvT1_.private_seg_size, 0
	.set _ZN7rocprim17ROCPRIM_400000_NS6detail17trampoline_kernelINS0_14default_configENS1_20scan_config_selectorIN3c108BFloat16EEEZZNS1_9scan_implILNS1_25lookback_scan_determinismE0ELb0ELb0ES3_PKS6_PS6_S6_ZZZN2at6native31launch_logcumsumexp_cuda_kernelERKNSD_10TensorBaseESH_lENKUlvE_clEvENKUlvE4_clEvEUlS6_S6_E_S6_EEDaPvRmT3_T4_T5_mT6_P12ihipStream_tbENKUlT_T0_E_clISt17integral_constantIbLb0EESY_EEDaST_SU_EUlST_E0_NS1_11comp_targetILNS1_3genE8ELNS1_11target_archE1030ELNS1_3gpuE2ELNS1_3repE0EEENS1_30default_config_static_selectorELNS0_4arch9wavefront6targetE0EEEvT1_.uses_vcc, 1
	.set _ZN7rocprim17ROCPRIM_400000_NS6detail17trampoline_kernelINS0_14default_configENS1_20scan_config_selectorIN3c108BFloat16EEEZZNS1_9scan_implILNS1_25lookback_scan_determinismE0ELb0ELb0ES3_PKS6_PS6_S6_ZZZN2at6native31launch_logcumsumexp_cuda_kernelERKNSD_10TensorBaseESH_lENKUlvE_clEvENKUlvE4_clEvEUlS6_S6_E_S6_EEDaPvRmT3_T4_T5_mT6_P12ihipStream_tbENKUlT_T0_E_clISt17integral_constantIbLb0EESY_EEDaST_SU_EUlST_E0_NS1_11comp_targetILNS1_3genE8ELNS1_11target_archE1030ELNS1_3gpuE2ELNS1_3repE0EEENS1_30default_config_static_selectorELNS0_4arch9wavefront6targetE0EEEvT1_.uses_flat_scratch, 0
	.set _ZN7rocprim17ROCPRIM_400000_NS6detail17trampoline_kernelINS0_14default_configENS1_20scan_config_selectorIN3c108BFloat16EEEZZNS1_9scan_implILNS1_25lookback_scan_determinismE0ELb0ELb0ES3_PKS6_PS6_S6_ZZZN2at6native31launch_logcumsumexp_cuda_kernelERKNSD_10TensorBaseESH_lENKUlvE_clEvENKUlvE4_clEvEUlS6_S6_E_S6_EEDaPvRmT3_T4_T5_mT6_P12ihipStream_tbENKUlT_T0_E_clISt17integral_constantIbLb0EESY_EEDaST_SU_EUlST_E0_NS1_11comp_targetILNS1_3genE8ELNS1_11target_archE1030ELNS1_3gpuE2ELNS1_3repE0EEENS1_30default_config_static_selectorELNS0_4arch9wavefront6targetE0EEEvT1_.has_dyn_sized_stack, 0
	.set _ZN7rocprim17ROCPRIM_400000_NS6detail17trampoline_kernelINS0_14default_configENS1_20scan_config_selectorIN3c108BFloat16EEEZZNS1_9scan_implILNS1_25lookback_scan_determinismE0ELb0ELb0ES3_PKS6_PS6_S6_ZZZN2at6native31launch_logcumsumexp_cuda_kernelERKNSD_10TensorBaseESH_lENKUlvE_clEvENKUlvE4_clEvEUlS6_S6_E_S6_EEDaPvRmT3_T4_T5_mT6_P12ihipStream_tbENKUlT_T0_E_clISt17integral_constantIbLb0EESY_EEDaST_SU_EUlST_E0_NS1_11comp_targetILNS1_3genE8ELNS1_11target_archE1030ELNS1_3gpuE2ELNS1_3repE0EEENS1_30default_config_static_selectorELNS0_4arch9wavefront6targetE0EEEvT1_.has_recursion, 0
	.set _ZN7rocprim17ROCPRIM_400000_NS6detail17trampoline_kernelINS0_14default_configENS1_20scan_config_selectorIN3c108BFloat16EEEZZNS1_9scan_implILNS1_25lookback_scan_determinismE0ELb0ELb0ES3_PKS6_PS6_S6_ZZZN2at6native31launch_logcumsumexp_cuda_kernelERKNSD_10TensorBaseESH_lENKUlvE_clEvENKUlvE4_clEvEUlS6_S6_E_S6_EEDaPvRmT3_T4_T5_mT6_P12ihipStream_tbENKUlT_T0_E_clISt17integral_constantIbLb0EESY_EEDaST_SU_EUlST_E0_NS1_11comp_targetILNS1_3genE8ELNS1_11target_archE1030ELNS1_3gpuE2ELNS1_3repE0EEENS1_30default_config_static_selectorELNS0_4arch9wavefront6targetE0EEEvT1_.has_indirect_call, 0
	.section	.AMDGPU.csdata,"",@progbits
; Kernel info:
; codeLenInByte = 24260
; TotalNumSgprs: 33
; NumVgprs: 49
; ScratchSize: 0
; MemoryBound: 0
; FloatMode: 240
; IeeeMode: 1
; LDSByteSize: 1536 bytes/workgroup (compile time only)
; SGPRBlocks: 0
; VGPRBlocks: 6
; NumSGPRsForWavesPerEU: 33
; NumVGPRsForWavesPerEU: 49
; Occupancy: 16
; WaveLimiterHint : 0
; COMPUTE_PGM_RSRC2:SCRATCH_EN: 0
; COMPUTE_PGM_RSRC2:USER_SGPR: 6
; COMPUTE_PGM_RSRC2:TRAP_HANDLER: 0
; COMPUTE_PGM_RSRC2:TGID_X_EN: 1
; COMPUTE_PGM_RSRC2:TGID_Y_EN: 0
; COMPUTE_PGM_RSRC2:TGID_Z_EN: 0
; COMPUTE_PGM_RSRC2:TIDIG_COMP_CNT: 0
	.section	.text._ZN7rocprim17ROCPRIM_400000_NS6detail31init_lookback_scan_state_kernelINS1_19lookback_scan_stateIN3c108BFloat16ELb1ELb1EEENS1_16block_id_wrapperIjLb1EEEEEvT_jT0_jPNS9_10value_typeE,"axG",@progbits,_ZN7rocprim17ROCPRIM_400000_NS6detail31init_lookback_scan_state_kernelINS1_19lookback_scan_stateIN3c108BFloat16ELb1ELb1EEENS1_16block_id_wrapperIjLb1EEEEEvT_jT0_jPNS9_10value_typeE,comdat
	.protected	_ZN7rocprim17ROCPRIM_400000_NS6detail31init_lookback_scan_state_kernelINS1_19lookback_scan_stateIN3c108BFloat16ELb1ELb1EEENS1_16block_id_wrapperIjLb1EEEEEvT_jT0_jPNS9_10value_typeE ; -- Begin function _ZN7rocprim17ROCPRIM_400000_NS6detail31init_lookback_scan_state_kernelINS1_19lookback_scan_stateIN3c108BFloat16ELb1ELb1EEENS1_16block_id_wrapperIjLb1EEEEEvT_jT0_jPNS9_10value_typeE
	.globl	_ZN7rocprim17ROCPRIM_400000_NS6detail31init_lookback_scan_state_kernelINS1_19lookback_scan_stateIN3c108BFloat16ELb1ELb1EEENS1_16block_id_wrapperIjLb1EEEEEvT_jT0_jPNS9_10value_typeE
	.p2align	8
	.type	_ZN7rocprim17ROCPRIM_400000_NS6detail31init_lookback_scan_state_kernelINS1_19lookback_scan_stateIN3c108BFloat16ELb1ELb1EEENS1_16block_id_wrapperIjLb1EEEEEvT_jT0_jPNS9_10value_typeE,@function
_ZN7rocprim17ROCPRIM_400000_NS6detail31init_lookback_scan_state_kernelINS1_19lookback_scan_stateIN3c108BFloat16ELb1ELb1EEENS1_16block_id_wrapperIjLb1EEEEEvT_jT0_jPNS9_10value_typeE: ; @_ZN7rocprim17ROCPRIM_400000_NS6detail31init_lookback_scan_state_kernelINS1_19lookback_scan_stateIN3c108BFloat16ELb1ELb1EEENS1_16block_id_wrapperIjLb1EEEEEvT_jT0_jPNS9_10value_typeE
; %bb.0:
	s_clause 0x3
	s_load_dword s7, s[4:5], 0x34
	s_load_dwordx2 s[2:3], s[4:5], 0x20
	s_load_dwordx2 s[0:1], s[4:5], 0x0
	s_load_dword s8, s[4:5], 0x8
	s_waitcnt lgkmcnt(0)
	s_and_b32 s7, s7, 0xffff
	s_cmp_eq_u64 s[2:3], 0
	v_mad_u64_u32 v[0:1], null, s6, s7, v[0:1]
	s_cbranch_scc1 .LBB464_9
; %bb.1:
	s_load_dword s6, s[4:5], 0x18
	s_waitcnt lgkmcnt(0)
	s_cmp_lt_u32 s6, s8
	s_cselect_b32 s7, s6, 0
	v_cmp_eq_u32_e32 vcc_lo, s7, v0
	s_mov_b32 s7, 0
	s_and_saveexec_b32 s9, vcc_lo
	s_cbranch_execz .LBB464_8
; %bb.2:
	s_add_i32 s6, s6, 32
	v_mov_b32_e32 v1, 0
	s_lshl_b64 s[6:7], s[6:7], 2
	s_add_u32 s6, s0, s6
	s_addc_u32 s7, s1, s7
	global_load_dword v2, v1, s[6:7] glc dlc
	s_waitcnt vmcnt(0)
	v_and_b32_e32 v3, 0xff0000, v2
	v_cmp_ne_u32_e32 vcc_lo, 0, v3
	s_cbranch_vccnz .LBB464_7
; %bb.3:
	s_mov_b32 s10, 1
.LBB464_4:                              ; =>This Loop Header: Depth=1
                                        ;     Child Loop BB464_5 Depth 2
	s_mov_b32 s11, s10
.LBB464_5:                              ;   Parent Loop BB464_4 Depth=1
                                        ; =>  This Inner Loop Header: Depth=2
	s_add_i32 s11, s11, -1
	s_sleep 1
	s_cmp_eq_u32 s11, 0
	s_cbranch_scc0 .LBB464_5
; %bb.6:                                ;   in Loop: Header=BB464_4 Depth=1
	global_load_dword v2, v1, s[6:7] glc dlc
	s_cmp_lt_u32 s10, 32
	s_cselect_b32 s11, -1, 0
	s_cmp_lg_u32 s11, 0
	s_addc_u32 s10, s10, 0
	s_waitcnt vmcnt(0)
	v_and_b32_e32 v3, 0xff0000, v2
	v_cmp_ne_u32_e32 vcc_lo, 0, v3
	s_cbranch_vccz .LBB464_4
.LBB464_7:
	v_mov_b32_e32 v1, 0
	global_store_short v1, v2, s[2:3]
.LBB464_8:
	s_or_b32 exec_lo, exec_lo, s9
.LBB464_9:
	s_mov_b32 s2, exec_lo
	v_cmpx_eq_u32_e32 0, v0
	s_cbranch_execz .LBB464_11
; %bb.10:
	s_load_dwordx2 s[4:5], s[4:5], 0x10
	v_mov_b32_e32 v1, 0
	s_waitcnt lgkmcnt(0)
	global_store_dword v1, v1, s[4:5]
.LBB464_11:
	s_or_b32 exec_lo, exec_lo, s2
	s_mov_b32 s2, exec_lo
	v_cmpx_gt_u32_e64 s8, v0
	s_cbranch_execz .LBB464_13
; %bb.12:
	v_add_nc_u32_e32 v1, 32, v0
	v_mov_b32_e32 v2, 0
	v_lshlrev_b64 v[3:4], 2, v[1:2]
	v_add_co_u32 v3, vcc_lo, s0, v3
	v_add_co_ci_u32_e64 v4, null, s1, v4, vcc_lo
	global_store_dword v[3:4], v2, off
.LBB464_13:
	s_or_b32 exec_lo, exec_lo, s2
	s_mov_b32 s2, exec_lo
	v_cmpx_gt_u32_e32 32, v0
	s_cbranch_execz .LBB464_15
; %bb.14:
	v_mov_b32_e32 v1, 0
	v_mov_b32_e32 v2, 0xff0000
	v_lshlrev_b64 v[0:1], 2, v[0:1]
	v_add_co_u32 v0, vcc_lo, s0, v0
	v_add_co_ci_u32_e64 v1, null, s1, v1, vcc_lo
	global_store_dword v[0:1], v2, off
.LBB464_15:
	s_endpgm
	.section	.rodata,"a",@progbits
	.p2align	6, 0x0
	.amdhsa_kernel _ZN7rocprim17ROCPRIM_400000_NS6detail31init_lookback_scan_state_kernelINS1_19lookback_scan_stateIN3c108BFloat16ELb1ELb1EEENS1_16block_id_wrapperIjLb1EEEEEvT_jT0_jPNS9_10value_typeE
		.amdhsa_group_segment_fixed_size 0
		.amdhsa_private_segment_fixed_size 0
		.amdhsa_kernarg_size 296
		.amdhsa_user_sgpr_count 6
		.amdhsa_user_sgpr_private_segment_buffer 1
		.amdhsa_user_sgpr_dispatch_ptr 0
		.amdhsa_user_sgpr_queue_ptr 0
		.amdhsa_user_sgpr_kernarg_segment_ptr 1
		.amdhsa_user_sgpr_dispatch_id 0
		.amdhsa_user_sgpr_flat_scratch_init 0
		.amdhsa_user_sgpr_private_segment_size 0
		.amdhsa_wavefront_size32 1
		.amdhsa_uses_dynamic_stack 0
		.amdhsa_system_sgpr_private_segment_wavefront_offset 0
		.amdhsa_system_sgpr_workgroup_id_x 1
		.amdhsa_system_sgpr_workgroup_id_y 0
		.amdhsa_system_sgpr_workgroup_id_z 0
		.amdhsa_system_sgpr_workgroup_info 0
		.amdhsa_system_vgpr_workitem_id 0
		.amdhsa_next_free_vgpr 5
		.amdhsa_next_free_sgpr 12
		.amdhsa_reserve_vcc 1
		.amdhsa_reserve_flat_scratch 0
		.amdhsa_float_round_mode_32 0
		.amdhsa_float_round_mode_16_64 0
		.amdhsa_float_denorm_mode_32 3
		.amdhsa_float_denorm_mode_16_64 3
		.amdhsa_dx10_clamp 1
		.amdhsa_ieee_mode 1
		.amdhsa_fp16_overflow 0
		.amdhsa_workgroup_processor_mode 1
		.amdhsa_memory_ordered 1
		.amdhsa_forward_progress 1
		.amdhsa_shared_vgpr_count 0
		.amdhsa_exception_fp_ieee_invalid_op 0
		.amdhsa_exception_fp_denorm_src 0
		.amdhsa_exception_fp_ieee_div_zero 0
		.amdhsa_exception_fp_ieee_overflow 0
		.amdhsa_exception_fp_ieee_underflow 0
		.amdhsa_exception_fp_ieee_inexact 0
		.amdhsa_exception_int_div_zero 0
	.end_amdhsa_kernel
	.section	.text._ZN7rocprim17ROCPRIM_400000_NS6detail31init_lookback_scan_state_kernelINS1_19lookback_scan_stateIN3c108BFloat16ELb1ELb1EEENS1_16block_id_wrapperIjLb1EEEEEvT_jT0_jPNS9_10value_typeE,"axG",@progbits,_ZN7rocprim17ROCPRIM_400000_NS6detail31init_lookback_scan_state_kernelINS1_19lookback_scan_stateIN3c108BFloat16ELb1ELb1EEENS1_16block_id_wrapperIjLb1EEEEEvT_jT0_jPNS9_10value_typeE,comdat
.Lfunc_end464:
	.size	_ZN7rocprim17ROCPRIM_400000_NS6detail31init_lookback_scan_state_kernelINS1_19lookback_scan_stateIN3c108BFloat16ELb1ELb1EEENS1_16block_id_wrapperIjLb1EEEEEvT_jT0_jPNS9_10value_typeE, .Lfunc_end464-_ZN7rocprim17ROCPRIM_400000_NS6detail31init_lookback_scan_state_kernelINS1_19lookback_scan_stateIN3c108BFloat16ELb1ELb1EEENS1_16block_id_wrapperIjLb1EEEEEvT_jT0_jPNS9_10value_typeE
                                        ; -- End function
	.set _ZN7rocprim17ROCPRIM_400000_NS6detail31init_lookback_scan_state_kernelINS1_19lookback_scan_stateIN3c108BFloat16ELb1ELb1EEENS1_16block_id_wrapperIjLb1EEEEEvT_jT0_jPNS9_10value_typeE.num_vgpr, 5
	.set _ZN7rocprim17ROCPRIM_400000_NS6detail31init_lookback_scan_state_kernelINS1_19lookback_scan_stateIN3c108BFloat16ELb1ELb1EEENS1_16block_id_wrapperIjLb1EEEEEvT_jT0_jPNS9_10value_typeE.num_agpr, 0
	.set _ZN7rocprim17ROCPRIM_400000_NS6detail31init_lookback_scan_state_kernelINS1_19lookback_scan_stateIN3c108BFloat16ELb1ELb1EEENS1_16block_id_wrapperIjLb1EEEEEvT_jT0_jPNS9_10value_typeE.numbered_sgpr, 12
	.set _ZN7rocprim17ROCPRIM_400000_NS6detail31init_lookback_scan_state_kernelINS1_19lookback_scan_stateIN3c108BFloat16ELb1ELb1EEENS1_16block_id_wrapperIjLb1EEEEEvT_jT0_jPNS9_10value_typeE.num_named_barrier, 0
	.set _ZN7rocprim17ROCPRIM_400000_NS6detail31init_lookback_scan_state_kernelINS1_19lookback_scan_stateIN3c108BFloat16ELb1ELb1EEENS1_16block_id_wrapperIjLb1EEEEEvT_jT0_jPNS9_10value_typeE.private_seg_size, 0
	.set _ZN7rocprim17ROCPRIM_400000_NS6detail31init_lookback_scan_state_kernelINS1_19lookback_scan_stateIN3c108BFloat16ELb1ELb1EEENS1_16block_id_wrapperIjLb1EEEEEvT_jT0_jPNS9_10value_typeE.uses_vcc, 1
	.set _ZN7rocprim17ROCPRIM_400000_NS6detail31init_lookback_scan_state_kernelINS1_19lookback_scan_stateIN3c108BFloat16ELb1ELb1EEENS1_16block_id_wrapperIjLb1EEEEEvT_jT0_jPNS9_10value_typeE.uses_flat_scratch, 0
	.set _ZN7rocprim17ROCPRIM_400000_NS6detail31init_lookback_scan_state_kernelINS1_19lookback_scan_stateIN3c108BFloat16ELb1ELb1EEENS1_16block_id_wrapperIjLb1EEEEEvT_jT0_jPNS9_10value_typeE.has_dyn_sized_stack, 0
	.set _ZN7rocprim17ROCPRIM_400000_NS6detail31init_lookback_scan_state_kernelINS1_19lookback_scan_stateIN3c108BFloat16ELb1ELb1EEENS1_16block_id_wrapperIjLb1EEEEEvT_jT0_jPNS9_10value_typeE.has_recursion, 0
	.set _ZN7rocprim17ROCPRIM_400000_NS6detail31init_lookback_scan_state_kernelINS1_19lookback_scan_stateIN3c108BFloat16ELb1ELb1EEENS1_16block_id_wrapperIjLb1EEEEEvT_jT0_jPNS9_10value_typeE.has_indirect_call, 0
	.section	.AMDGPU.csdata,"",@progbits
; Kernel info:
; codeLenInByte = 392
; TotalNumSgprs: 14
; NumVgprs: 5
; ScratchSize: 0
; MemoryBound: 0
; FloatMode: 240
; IeeeMode: 1
; LDSByteSize: 0 bytes/workgroup (compile time only)
; SGPRBlocks: 0
; VGPRBlocks: 0
; NumSGPRsForWavesPerEU: 14
; NumVGPRsForWavesPerEU: 5
; Occupancy: 16
; WaveLimiterHint : 0
; COMPUTE_PGM_RSRC2:SCRATCH_EN: 0
; COMPUTE_PGM_RSRC2:USER_SGPR: 6
; COMPUTE_PGM_RSRC2:TRAP_HANDLER: 0
; COMPUTE_PGM_RSRC2:TGID_X_EN: 1
; COMPUTE_PGM_RSRC2:TGID_Y_EN: 0
; COMPUTE_PGM_RSRC2:TGID_Z_EN: 0
; COMPUTE_PGM_RSRC2:TIDIG_COMP_CNT: 0
	.section	.text._ZN7rocprim17ROCPRIM_400000_NS6detail17trampoline_kernelINS0_14default_configENS1_20scan_config_selectorIN3c108BFloat16EEEZZNS1_9scan_implILNS1_25lookback_scan_determinismE0ELb0ELb0ES3_PKS6_PS6_S6_ZZZN2at6native31launch_logcumsumexp_cuda_kernelERKNSD_10TensorBaseESH_lENKUlvE_clEvENKUlvE4_clEvEUlS6_S6_E_S6_EEDaPvRmT3_T4_T5_mT6_P12ihipStream_tbENKUlT_T0_E_clISt17integral_constantIbLb1EESY_EEDaST_SU_EUlST_E_NS1_11comp_targetILNS1_3genE0ELNS1_11target_archE4294967295ELNS1_3gpuE0ELNS1_3repE0EEENS1_30default_config_static_selectorELNS0_4arch9wavefront6targetE0EEEvT1_,"axG",@progbits,_ZN7rocprim17ROCPRIM_400000_NS6detail17trampoline_kernelINS0_14default_configENS1_20scan_config_selectorIN3c108BFloat16EEEZZNS1_9scan_implILNS1_25lookback_scan_determinismE0ELb0ELb0ES3_PKS6_PS6_S6_ZZZN2at6native31launch_logcumsumexp_cuda_kernelERKNSD_10TensorBaseESH_lENKUlvE_clEvENKUlvE4_clEvEUlS6_S6_E_S6_EEDaPvRmT3_T4_T5_mT6_P12ihipStream_tbENKUlT_T0_E_clISt17integral_constantIbLb1EESY_EEDaST_SU_EUlST_E_NS1_11comp_targetILNS1_3genE0ELNS1_11target_archE4294967295ELNS1_3gpuE0ELNS1_3repE0EEENS1_30default_config_static_selectorELNS0_4arch9wavefront6targetE0EEEvT1_,comdat
	.globl	_ZN7rocprim17ROCPRIM_400000_NS6detail17trampoline_kernelINS0_14default_configENS1_20scan_config_selectorIN3c108BFloat16EEEZZNS1_9scan_implILNS1_25lookback_scan_determinismE0ELb0ELb0ES3_PKS6_PS6_S6_ZZZN2at6native31launch_logcumsumexp_cuda_kernelERKNSD_10TensorBaseESH_lENKUlvE_clEvENKUlvE4_clEvEUlS6_S6_E_S6_EEDaPvRmT3_T4_T5_mT6_P12ihipStream_tbENKUlT_T0_E_clISt17integral_constantIbLb1EESY_EEDaST_SU_EUlST_E_NS1_11comp_targetILNS1_3genE0ELNS1_11target_archE4294967295ELNS1_3gpuE0ELNS1_3repE0EEENS1_30default_config_static_selectorELNS0_4arch9wavefront6targetE0EEEvT1_ ; -- Begin function _ZN7rocprim17ROCPRIM_400000_NS6detail17trampoline_kernelINS0_14default_configENS1_20scan_config_selectorIN3c108BFloat16EEEZZNS1_9scan_implILNS1_25lookback_scan_determinismE0ELb0ELb0ES3_PKS6_PS6_S6_ZZZN2at6native31launch_logcumsumexp_cuda_kernelERKNSD_10TensorBaseESH_lENKUlvE_clEvENKUlvE4_clEvEUlS6_S6_E_S6_EEDaPvRmT3_T4_T5_mT6_P12ihipStream_tbENKUlT_T0_E_clISt17integral_constantIbLb1EESY_EEDaST_SU_EUlST_E_NS1_11comp_targetILNS1_3genE0ELNS1_11target_archE4294967295ELNS1_3gpuE0ELNS1_3repE0EEENS1_30default_config_static_selectorELNS0_4arch9wavefront6targetE0EEEvT1_
	.p2align	8
	.type	_ZN7rocprim17ROCPRIM_400000_NS6detail17trampoline_kernelINS0_14default_configENS1_20scan_config_selectorIN3c108BFloat16EEEZZNS1_9scan_implILNS1_25lookback_scan_determinismE0ELb0ELb0ES3_PKS6_PS6_S6_ZZZN2at6native31launch_logcumsumexp_cuda_kernelERKNSD_10TensorBaseESH_lENKUlvE_clEvENKUlvE4_clEvEUlS6_S6_E_S6_EEDaPvRmT3_T4_T5_mT6_P12ihipStream_tbENKUlT_T0_E_clISt17integral_constantIbLb1EESY_EEDaST_SU_EUlST_E_NS1_11comp_targetILNS1_3genE0ELNS1_11target_archE4294967295ELNS1_3gpuE0ELNS1_3repE0EEENS1_30default_config_static_selectorELNS0_4arch9wavefront6targetE0EEEvT1_,@function
_ZN7rocprim17ROCPRIM_400000_NS6detail17trampoline_kernelINS0_14default_configENS1_20scan_config_selectorIN3c108BFloat16EEEZZNS1_9scan_implILNS1_25lookback_scan_determinismE0ELb0ELb0ES3_PKS6_PS6_S6_ZZZN2at6native31launch_logcumsumexp_cuda_kernelERKNSD_10TensorBaseESH_lENKUlvE_clEvENKUlvE4_clEvEUlS6_S6_E_S6_EEDaPvRmT3_T4_T5_mT6_P12ihipStream_tbENKUlT_T0_E_clISt17integral_constantIbLb1EESY_EEDaST_SU_EUlST_E_NS1_11comp_targetILNS1_3genE0ELNS1_11target_archE4294967295ELNS1_3gpuE0ELNS1_3repE0EEENS1_30default_config_static_selectorELNS0_4arch9wavefront6targetE0EEEvT1_: ; @_ZN7rocprim17ROCPRIM_400000_NS6detail17trampoline_kernelINS0_14default_configENS1_20scan_config_selectorIN3c108BFloat16EEEZZNS1_9scan_implILNS1_25lookback_scan_determinismE0ELb0ELb0ES3_PKS6_PS6_S6_ZZZN2at6native31launch_logcumsumexp_cuda_kernelERKNSD_10TensorBaseESH_lENKUlvE_clEvENKUlvE4_clEvEUlS6_S6_E_S6_EEDaPvRmT3_T4_T5_mT6_P12ihipStream_tbENKUlT_T0_E_clISt17integral_constantIbLb1EESY_EEDaST_SU_EUlST_E_NS1_11comp_targetILNS1_3genE0ELNS1_11target_archE4294967295ELNS1_3gpuE0ELNS1_3repE0EEENS1_30default_config_static_selectorELNS0_4arch9wavefront6targetE0EEEvT1_
; %bb.0:
	.section	.rodata,"a",@progbits
	.p2align	6, 0x0
	.amdhsa_kernel _ZN7rocprim17ROCPRIM_400000_NS6detail17trampoline_kernelINS0_14default_configENS1_20scan_config_selectorIN3c108BFloat16EEEZZNS1_9scan_implILNS1_25lookback_scan_determinismE0ELb0ELb0ES3_PKS6_PS6_S6_ZZZN2at6native31launch_logcumsumexp_cuda_kernelERKNSD_10TensorBaseESH_lENKUlvE_clEvENKUlvE4_clEvEUlS6_S6_E_S6_EEDaPvRmT3_T4_T5_mT6_P12ihipStream_tbENKUlT_T0_E_clISt17integral_constantIbLb1EESY_EEDaST_SU_EUlST_E_NS1_11comp_targetILNS1_3genE0ELNS1_11target_archE4294967295ELNS1_3gpuE0ELNS1_3repE0EEENS1_30default_config_static_selectorELNS0_4arch9wavefront6targetE0EEEvT1_
		.amdhsa_group_segment_fixed_size 0
		.amdhsa_private_segment_fixed_size 0
		.amdhsa_kernarg_size 96
		.amdhsa_user_sgpr_count 6
		.amdhsa_user_sgpr_private_segment_buffer 1
		.amdhsa_user_sgpr_dispatch_ptr 0
		.amdhsa_user_sgpr_queue_ptr 0
		.amdhsa_user_sgpr_kernarg_segment_ptr 1
		.amdhsa_user_sgpr_dispatch_id 0
		.amdhsa_user_sgpr_flat_scratch_init 0
		.amdhsa_user_sgpr_private_segment_size 0
		.amdhsa_wavefront_size32 1
		.amdhsa_uses_dynamic_stack 0
		.amdhsa_system_sgpr_private_segment_wavefront_offset 0
		.amdhsa_system_sgpr_workgroup_id_x 1
		.amdhsa_system_sgpr_workgroup_id_y 0
		.amdhsa_system_sgpr_workgroup_id_z 0
		.amdhsa_system_sgpr_workgroup_info 0
		.amdhsa_system_vgpr_workitem_id 0
		.amdhsa_next_free_vgpr 1
		.amdhsa_next_free_sgpr 1
		.amdhsa_reserve_vcc 0
		.amdhsa_reserve_flat_scratch 0
		.amdhsa_float_round_mode_32 0
		.amdhsa_float_round_mode_16_64 0
		.amdhsa_float_denorm_mode_32 3
		.amdhsa_float_denorm_mode_16_64 3
		.amdhsa_dx10_clamp 1
		.amdhsa_ieee_mode 1
		.amdhsa_fp16_overflow 0
		.amdhsa_workgroup_processor_mode 1
		.amdhsa_memory_ordered 1
		.amdhsa_forward_progress 1
		.amdhsa_shared_vgpr_count 0
		.amdhsa_exception_fp_ieee_invalid_op 0
		.amdhsa_exception_fp_denorm_src 0
		.amdhsa_exception_fp_ieee_div_zero 0
		.amdhsa_exception_fp_ieee_overflow 0
		.amdhsa_exception_fp_ieee_underflow 0
		.amdhsa_exception_fp_ieee_inexact 0
		.amdhsa_exception_int_div_zero 0
	.end_amdhsa_kernel
	.section	.text._ZN7rocprim17ROCPRIM_400000_NS6detail17trampoline_kernelINS0_14default_configENS1_20scan_config_selectorIN3c108BFloat16EEEZZNS1_9scan_implILNS1_25lookback_scan_determinismE0ELb0ELb0ES3_PKS6_PS6_S6_ZZZN2at6native31launch_logcumsumexp_cuda_kernelERKNSD_10TensorBaseESH_lENKUlvE_clEvENKUlvE4_clEvEUlS6_S6_E_S6_EEDaPvRmT3_T4_T5_mT6_P12ihipStream_tbENKUlT_T0_E_clISt17integral_constantIbLb1EESY_EEDaST_SU_EUlST_E_NS1_11comp_targetILNS1_3genE0ELNS1_11target_archE4294967295ELNS1_3gpuE0ELNS1_3repE0EEENS1_30default_config_static_selectorELNS0_4arch9wavefront6targetE0EEEvT1_,"axG",@progbits,_ZN7rocprim17ROCPRIM_400000_NS6detail17trampoline_kernelINS0_14default_configENS1_20scan_config_selectorIN3c108BFloat16EEEZZNS1_9scan_implILNS1_25lookback_scan_determinismE0ELb0ELb0ES3_PKS6_PS6_S6_ZZZN2at6native31launch_logcumsumexp_cuda_kernelERKNSD_10TensorBaseESH_lENKUlvE_clEvENKUlvE4_clEvEUlS6_S6_E_S6_EEDaPvRmT3_T4_T5_mT6_P12ihipStream_tbENKUlT_T0_E_clISt17integral_constantIbLb1EESY_EEDaST_SU_EUlST_E_NS1_11comp_targetILNS1_3genE0ELNS1_11target_archE4294967295ELNS1_3gpuE0ELNS1_3repE0EEENS1_30default_config_static_selectorELNS0_4arch9wavefront6targetE0EEEvT1_,comdat
.Lfunc_end465:
	.size	_ZN7rocprim17ROCPRIM_400000_NS6detail17trampoline_kernelINS0_14default_configENS1_20scan_config_selectorIN3c108BFloat16EEEZZNS1_9scan_implILNS1_25lookback_scan_determinismE0ELb0ELb0ES3_PKS6_PS6_S6_ZZZN2at6native31launch_logcumsumexp_cuda_kernelERKNSD_10TensorBaseESH_lENKUlvE_clEvENKUlvE4_clEvEUlS6_S6_E_S6_EEDaPvRmT3_T4_T5_mT6_P12ihipStream_tbENKUlT_T0_E_clISt17integral_constantIbLb1EESY_EEDaST_SU_EUlST_E_NS1_11comp_targetILNS1_3genE0ELNS1_11target_archE4294967295ELNS1_3gpuE0ELNS1_3repE0EEENS1_30default_config_static_selectorELNS0_4arch9wavefront6targetE0EEEvT1_, .Lfunc_end465-_ZN7rocprim17ROCPRIM_400000_NS6detail17trampoline_kernelINS0_14default_configENS1_20scan_config_selectorIN3c108BFloat16EEEZZNS1_9scan_implILNS1_25lookback_scan_determinismE0ELb0ELb0ES3_PKS6_PS6_S6_ZZZN2at6native31launch_logcumsumexp_cuda_kernelERKNSD_10TensorBaseESH_lENKUlvE_clEvENKUlvE4_clEvEUlS6_S6_E_S6_EEDaPvRmT3_T4_T5_mT6_P12ihipStream_tbENKUlT_T0_E_clISt17integral_constantIbLb1EESY_EEDaST_SU_EUlST_E_NS1_11comp_targetILNS1_3genE0ELNS1_11target_archE4294967295ELNS1_3gpuE0ELNS1_3repE0EEENS1_30default_config_static_selectorELNS0_4arch9wavefront6targetE0EEEvT1_
                                        ; -- End function
	.set _ZN7rocprim17ROCPRIM_400000_NS6detail17trampoline_kernelINS0_14default_configENS1_20scan_config_selectorIN3c108BFloat16EEEZZNS1_9scan_implILNS1_25lookback_scan_determinismE0ELb0ELb0ES3_PKS6_PS6_S6_ZZZN2at6native31launch_logcumsumexp_cuda_kernelERKNSD_10TensorBaseESH_lENKUlvE_clEvENKUlvE4_clEvEUlS6_S6_E_S6_EEDaPvRmT3_T4_T5_mT6_P12ihipStream_tbENKUlT_T0_E_clISt17integral_constantIbLb1EESY_EEDaST_SU_EUlST_E_NS1_11comp_targetILNS1_3genE0ELNS1_11target_archE4294967295ELNS1_3gpuE0ELNS1_3repE0EEENS1_30default_config_static_selectorELNS0_4arch9wavefront6targetE0EEEvT1_.num_vgpr, 0
	.set _ZN7rocprim17ROCPRIM_400000_NS6detail17trampoline_kernelINS0_14default_configENS1_20scan_config_selectorIN3c108BFloat16EEEZZNS1_9scan_implILNS1_25lookback_scan_determinismE0ELb0ELb0ES3_PKS6_PS6_S6_ZZZN2at6native31launch_logcumsumexp_cuda_kernelERKNSD_10TensorBaseESH_lENKUlvE_clEvENKUlvE4_clEvEUlS6_S6_E_S6_EEDaPvRmT3_T4_T5_mT6_P12ihipStream_tbENKUlT_T0_E_clISt17integral_constantIbLb1EESY_EEDaST_SU_EUlST_E_NS1_11comp_targetILNS1_3genE0ELNS1_11target_archE4294967295ELNS1_3gpuE0ELNS1_3repE0EEENS1_30default_config_static_selectorELNS0_4arch9wavefront6targetE0EEEvT1_.num_agpr, 0
	.set _ZN7rocprim17ROCPRIM_400000_NS6detail17trampoline_kernelINS0_14default_configENS1_20scan_config_selectorIN3c108BFloat16EEEZZNS1_9scan_implILNS1_25lookback_scan_determinismE0ELb0ELb0ES3_PKS6_PS6_S6_ZZZN2at6native31launch_logcumsumexp_cuda_kernelERKNSD_10TensorBaseESH_lENKUlvE_clEvENKUlvE4_clEvEUlS6_S6_E_S6_EEDaPvRmT3_T4_T5_mT6_P12ihipStream_tbENKUlT_T0_E_clISt17integral_constantIbLb1EESY_EEDaST_SU_EUlST_E_NS1_11comp_targetILNS1_3genE0ELNS1_11target_archE4294967295ELNS1_3gpuE0ELNS1_3repE0EEENS1_30default_config_static_selectorELNS0_4arch9wavefront6targetE0EEEvT1_.numbered_sgpr, 0
	.set _ZN7rocprim17ROCPRIM_400000_NS6detail17trampoline_kernelINS0_14default_configENS1_20scan_config_selectorIN3c108BFloat16EEEZZNS1_9scan_implILNS1_25lookback_scan_determinismE0ELb0ELb0ES3_PKS6_PS6_S6_ZZZN2at6native31launch_logcumsumexp_cuda_kernelERKNSD_10TensorBaseESH_lENKUlvE_clEvENKUlvE4_clEvEUlS6_S6_E_S6_EEDaPvRmT3_T4_T5_mT6_P12ihipStream_tbENKUlT_T0_E_clISt17integral_constantIbLb1EESY_EEDaST_SU_EUlST_E_NS1_11comp_targetILNS1_3genE0ELNS1_11target_archE4294967295ELNS1_3gpuE0ELNS1_3repE0EEENS1_30default_config_static_selectorELNS0_4arch9wavefront6targetE0EEEvT1_.num_named_barrier, 0
	.set _ZN7rocprim17ROCPRIM_400000_NS6detail17trampoline_kernelINS0_14default_configENS1_20scan_config_selectorIN3c108BFloat16EEEZZNS1_9scan_implILNS1_25lookback_scan_determinismE0ELb0ELb0ES3_PKS6_PS6_S6_ZZZN2at6native31launch_logcumsumexp_cuda_kernelERKNSD_10TensorBaseESH_lENKUlvE_clEvENKUlvE4_clEvEUlS6_S6_E_S6_EEDaPvRmT3_T4_T5_mT6_P12ihipStream_tbENKUlT_T0_E_clISt17integral_constantIbLb1EESY_EEDaST_SU_EUlST_E_NS1_11comp_targetILNS1_3genE0ELNS1_11target_archE4294967295ELNS1_3gpuE0ELNS1_3repE0EEENS1_30default_config_static_selectorELNS0_4arch9wavefront6targetE0EEEvT1_.private_seg_size, 0
	.set _ZN7rocprim17ROCPRIM_400000_NS6detail17trampoline_kernelINS0_14default_configENS1_20scan_config_selectorIN3c108BFloat16EEEZZNS1_9scan_implILNS1_25lookback_scan_determinismE0ELb0ELb0ES3_PKS6_PS6_S6_ZZZN2at6native31launch_logcumsumexp_cuda_kernelERKNSD_10TensorBaseESH_lENKUlvE_clEvENKUlvE4_clEvEUlS6_S6_E_S6_EEDaPvRmT3_T4_T5_mT6_P12ihipStream_tbENKUlT_T0_E_clISt17integral_constantIbLb1EESY_EEDaST_SU_EUlST_E_NS1_11comp_targetILNS1_3genE0ELNS1_11target_archE4294967295ELNS1_3gpuE0ELNS1_3repE0EEENS1_30default_config_static_selectorELNS0_4arch9wavefront6targetE0EEEvT1_.uses_vcc, 0
	.set _ZN7rocprim17ROCPRIM_400000_NS6detail17trampoline_kernelINS0_14default_configENS1_20scan_config_selectorIN3c108BFloat16EEEZZNS1_9scan_implILNS1_25lookback_scan_determinismE0ELb0ELb0ES3_PKS6_PS6_S6_ZZZN2at6native31launch_logcumsumexp_cuda_kernelERKNSD_10TensorBaseESH_lENKUlvE_clEvENKUlvE4_clEvEUlS6_S6_E_S6_EEDaPvRmT3_T4_T5_mT6_P12ihipStream_tbENKUlT_T0_E_clISt17integral_constantIbLb1EESY_EEDaST_SU_EUlST_E_NS1_11comp_targetILNS1_3genE0ELNS1_11target_archE4294967295ELNS1_3gpuE0ELNS1_3repE0EEENS1_30default_config_static_selectorELNS0_4arch9wavefront6targetE0EEEvT1_.uses_flat_scratch, 0
	.set _ZN7rocprim17ROCPRIM_400000_NS6detail17trampoline_kernelINS0_14default_configENS1_20scan_config_selectorIN3c108BFloat16EEEZZNS1_9scan_implILNS1_25lookback_scan_determinismE0ELb0ELb0ES3_PKS6_PS6_S6_ZZZN2at6native31launch_logcumsumexp_cuda_kernelERKNSD_10TensorBaseESH_lENKUlvE_clEvENKUlvE4_clEvEUlS6_S6_E_S6_EEDaPvRmT3_T4_T5_mT6_P12ihipStream_tbENKUlT_T0_E_clISt17integral_constantIbLb1EESY_EEDaST_SU_EUlST_E_NS1_11comp_targetILNS1_3genE0ELNS1_11target_archE4294967295ELNS1_3gpuE0ELNS1_3repE0EEENS1_30default_config_static_selectorELNS0_4arch9wavefront6targetE0EEEvT1_.has_dyn_sized_stack, 0
	.set _ZN7rocprim17ROCPRIM_400000_NS6detail17trampoline_kernelINS0_14default_configENS1_20scan_config_selectorIN3c108BFloat16EEEZZNS1_9scan_implILNS1_25lookback_scan_determinismE0ELb0ELb0ES3_PKS6_PS6_S6_ZZZN2at6native31launch_logcumsumexp_cuda_kernelERKNSD_10TensorBaseESH_lENKUlvE_clEvENKUlvE4_clEvEUlS6_S6_E_S6_EEDaPvRmT3_T4_T5_mT6_P12ihipStream_tbENKUlT_T0_E_clISt17integral_constantIbLb1EESY_EEDaST_SU_EUlST_E_NS1_11comp_targetILNS1_3genE0ELNS1_11target_archE4294967295ELNS1_3gpuE0ELNS1_3repE0EEENS1_30default_config_static_selectorELNS0_4arch9wavefront6targetE0EEEvT1_.has_recursion, 0
	.set _ZN7rocprim17ROCPRIM_400000_NS6detail17trampoline_kernelINS0_14default_configENS1_20scan_config_selectorIN3c108BFloat16EEEZZNS1_9scan_implILNS1_25lookback_scan_determinismE0ELb0ELb0ES3_PKS6_PS6_S6_ZZZN2at6native31launch_logcumsumexp_cuda_kernelERKNSD_10TensorBaseESH_lENKUlvE_clEvENKUlvE4_clEvEUlS6_S6_E_S6_EEDaPvRmT3_T4_T5_mT6_P12ihipStream_tbENKUlT_T0_E_clISt17integral_constantIbLb1EESY_EEDaST_SU_EUlST_E_NS1_11comp_targetILNS1_3genE0ELNS1_11target_archE4294967295ELNS1_3gpuE0ELNS1_3repE0EEENS1_30default_config_static_selectorELNS0_4arch9wavefront6targetE0EEEvT1_.has_indirect_call, 0
	.section	.AMDGPU.csdata,"",@progbits
; Kernel info:
; codeLenInByte = 0
; TotalNumSgprs: 0
; NumVgprs: 0
; ScratchSize: 0
; MemoryBound: 0
; FloatMode: 240
; IeeeMode: 1
; LDSByteSize: 0 bytes/workgroup (compile time only)
; SGPRBlocks: 0
; VGPRBlocks: 0
; NumSGPRsForWavesPerEU: 1
; NumVGPRsForWavesPerEU: 1
; Occupancy: 16
; WaveLimiterHint : 0
; COMPUTE_PGM_RSRC2:SCRATCH_EN: 0
; COMPUTE_PGM_RSRC2:USER_SGPR: 6
; COMPUTE_PGM_RSRC2:TRAP_HANDLER: 0
; COMPUTE_PGM_RSRC2:TGID_X_EN: 1
; COMPUTE_PGM_RSRC2:TGID_Y_EN: 0
; COMPUTE_PGM_RSRC2:TGID_Z_EN: 0
; COMPUTE_PGM_RSRC2:TIDIG_COMP_CNT: 0
	.section	.text._ZN7rocprim17ROCPRIM_400000_NS6detail17trampoline_kernelINS0_14default_configENS1_20scan_config_selectorIN3c108BFloat16EEEZZNS1_9scan_implILNS1_25lookback_scan_determinismE0ELb0ELb0ES3_PKS6_PS6_S6_ZZZN2at6native31launch_logcumsumexp_cuda_kernelERKNSD_10TensorBaseESH_lENKUlvE_clEvENKUlvE4_clEvEUlS6_S6_E_S6_EEDaPvRmT3_T4_T5_mT6_P12ihipStream_tbENKUlT_T0_E_clISt17integral_constantIbLb1EESY_EEDaST_SU_EUlST_E_NS1_11comp_targetILNS1_3genE5ELNS1_11target_archE942ELNS1_3gpuE9ELNS1_3repE0EEENS1_30default_config_static_selectorELNS0_4arch9wavefront6targetE0EEEvT1_,"axG",@progbits,_ZN7rocprim17ROCPRIM_400000_NS6detail17trampoline_kernelINS0_14default_configENS1_20scan_config_selectorIN3c108BFloat16EEEZZNS1_9scan_implILNS1_25lookback_scan_determinismE0ELb0ELb0ES3_PKS6_PS6_S6_ZZZN2at6native31launch_logcumsumexp_cuda_kernelERKNSD_10TensorBaseESH_lENKUlvE_clEvENKUlvE4_clEvEUlS6_S6_E_S6_EEDaPvRmT3_T4_T5_mT6_P12ihipStream_tbENKUlT_T0_E_clISt17integral_constantIbLb1EESY_EEDaST_SU_EUlST_E_NS1_11comp_targetILNS1_3genE5ELNS1_11target_archE942ELNS1_3gpuE9ELNS1_3repE0EEENS1_30default_config_static_selectorELNS0_4arch9wavefront6targetE0EEEvT1_,comdat
	.globl	_ZN7rocprim17ROCPRIM_400000_NS6detail17trampoline_kernelINS0_14default_configENS1_20scan_config_selectorIN3c108BFloat16EEEZZNS1_9scan_implILNS1_25lookback_scan_determinismE0ELb0ELb0ES3_PKS6_PS6_S6_ZZZN2at6native31launch_logcumsumexp_cuda_kernelERKNSD_10TensorBaseESH_lENKUlvE_clEvENKUlvE4_clEvEUlS6_S6_E_S6_EEDaPvRmT3_T4_T5_mT6_P12ihipStream_tbENKUlT_T0_E_clISt17integral_constantIbLb1EESY_EEDaST_SU_EUlST_E_NS1_11comp_targetILNS1_3genE5ELNS1_11target_archE942ELNS1_3gpuE9ELNS1_3repE0EEENS1_30default_config_static_selectorELNS0_4arch9wavefront6targetE0EEEvT1_ ; -- Begin function _ZN7rocprim17ROCPRIM_400000_NS6detail17trampoline_kernelINS0_14default_configENS1_20scan_config_selectorIN3c108BFloat16EEEZZNS1_9scan_implILNS1_25lookback_scan_determinismE0ELb0ELb0ES3_PKS6_PS6_S6_ZZZN2at6native31launch_logcumsumexp_cuda_kernelERKNSD_10TensorBaseESH_lENKUlvE_clEvENKUlvE4_clEvEUlS6_S6_E_S6_EEDaPvRmT3_T4_T5_mT6_P12ihipStream_tbENKUlT_T0_E_clISt17integral_constantIbLb1EESY_EEDaST_SU_EUlST_E_NS1_11comp_targetILNS1_3genE5ELNS1_11target_archE942ELNS1_3gpuE9ELNS1_3repE0EEENS1_30default_config_static_selectorELNS0_4arch9wavefront6targetE0EEEvT1_
	.p2align	8
	.type	_ZN7rocprim17ROCPRIM_400000_NS6detail17trampoline_kernelINS0_14default_configENS1_20scan_config_selectorIN3c108BFloat16EEEZZNS1_9scan_implILNS1_25lookback_scan_determinismE0ELb0ELb0ES3_PKS6_PS6_S6_ZZZN2at6native31launch_logcumsumexp_cuda_kernelERKNSD_10TensorBaseESH_lENKUlvE_clEvENKUlvE4_clEvEUlS6_S6_E_S6_EEDaPvRmT3_T4_T5_mT6_P12ihipStream_tbENKUlT_T0_E_clISt17integral_constantIbLb1EESY_EEDaST_SU_EUlST_E_NS1_11comp_targetILNS1_3genE5ELNS1_11target_archE942ELNS1_3gpuE9ELNS1_3repE0EEENS1_30default_config_static_selectorELNS0_4arch9wavefront6targetE0EEEvT1_,@function
_ZN7rocprim17ROCPRIM_400000_NS6detail17trampoline_kernelINS0_14default_configENS1_20scan_config_selectorIN3c108BFloat16EEEZZNS1_9scan_implILNS1_25lookback_scan_determinismE0ELb0ELb0ES3_PKS6_PS6_S6_ZZZN2at6native31launch_logcumsumexp_cuda_kernelERKNSD_10TensorBaseESH_lENKUlvE_clEvENKUlvE4_clEvEUlS6_S6_E_S6_EEDaPvRmT3_T4_T5_mT6_P12ihipStream_tbENKUlT_T0_E_clISt17integral_constantIbLb1EESY_EEDaST_SU_EUlST_E_NS1_11comp_targetILNS1_3genE5ELNS1_11target_archE942ELNS1_3gpuE9ELNS1_3repE0EEENS1_30default_config_static_selectorELNS0_4arch9wavefront6targetE0EEEvT1_: ; @_ZN7rocprim17ROCPRIM_400000_NS6detail17trampoline_kernelINS0_14default_configENS1_20scan_config_selectorIN3c108BFloat16EEEZZNS1_9scan_implILNS1_25lookback_scan_determinismE0ELb0ELb0ES3_PKS6_PS6_S6_ZZZN2at6native31launch_logcumsumexp_cuda_kernelERKNSD_10TensorBaseESH_lENKUlvE_clEvENKUlvE4_clEvEUlS6_S6_E_S6_EEDaPvRmT3_T4_T5_mT6_P12ihipStream_tbENKUlT_T0_E_clISt17integral_constantIbLb1EESY_EEDaST_SU_EUlST_E_NS1_11comp_targetILNS1_3genE5ELNS1_11target_archE942ELNS1_3gpuE9ELNS1_3repE0EEENS1_30default_config_static_selectorELNS0_4arch9wavefront6targetE0EEEvT1_
; %bb.0:
	.section	.rodata,"a",@progbits
	.p2align	6, 0x0
	.amdhsa_kernel _ZN7rocprim17ROCPRIM_400000_NS6detail17trampoline_kernelINS0_14default_configENS1_20scan_config_selectorIN3c108BFloat16EEEZZNS1_9scan_implILNS1_25lookback_scan_determinismE0ELb0ELb0ES3_PKS6_PS6_S6_ZZZN2at6native31launch_logcumsumexp_cuda_kernelERKNSD_10TensorBaseESH_lENKUlvE_clEvENKUlvE4_clEvEUlS6_S6_E_S6_EEDaPvRmT3_T4_T5_mT6_P12ihipStream_tbENKUlT_T0_E_clISt17integral_constantIbLb1EESY_EEDaST_SU_EUlST_E_NS1_11comp_targetILNS1_3genE5ELNS1_11target_archE942ELNS1_3gpuE9ELNS1_3repE0EEENS1_30default_config_static_selectorELNS0_4arch9wavefront6targetE0EEEvT1_
		.amdhsa_group_segment_fixed_size 0
		.amdhsa_private_segment_fixed_size 0
		.amdhsa_kernarg_size 96
		.amdhsa_user_sgpr_count 6
		.amdhsa_user_sgpr_private_segment_buffer 1
		.amdhsa_user_sgpr_dispatch_ptr 0
		.amdhsa_user_sgpr_queue_ptr 0
		.amdhsa_user_sgpr_kernarg_segment_ptr 1
		.amdhsa_user_sgpr_dispatch_id 0
		.amdhsa_user_sgpr_flat_scratch_init 0
		.amdhsa_user_sgpr_private_segment_size 0
		.amdhsa_wavefront_size32 1
		.amdhsa_uses_dynamic_stack 0
		.amdhsa_system_sgpr_private_segment_wavefront_offset 0
		.amdhsa_system_sgpr_workgroup_id_x 1
		.amdhsa_system_sgpr_workgroup_id_y 0
		.amdhsa_system_sgpr_workgroup_id_z 0
		.amdhsa_system_sgpr_workgroup_info 0
		.amdhsa_system_vgpr_workitem_id 0
		.amdhsa_next_free_vgpr 1
		.amdhsa_next_free_sgpr 1
		.amdhsa_reserve_vcc 0
		.amdhsa_reserve_flat_scratch 0
		.amdhsa_float_round_mode_32 0
		.amdhsa_float_round_mode_16_64 0
		.amdhsa_float_denorm_mode_32 3
		.amdhsa_float_denorm_mode_16_64 3
		.amdhsa_dx10_clamp 1
		.amdhsa_ieee_mode 1
		.amdhsa_fp16_overflow 0
		.amdhsa_workgroup_processor_mode 1
		.amdhsa_memory_ordered 1
		.amdhsa_forward_progress 1
		.amdhsa_shared_vgpr_count 0
		.amdhsa_exception_fp_ieee_invalid_op 0
		.amdhsa_exception_fp_denorm_src 0
		.amdhsa_exception_fp_ieee_div_zero 0
		.amdhsa_exception_fp_ieee_overflow 0
		.amdhsa_exception_fp_ieee_underflow 0
		.amdhsa_exception_fp_ieee_inexact 0
		.amdhsa_exception_int_div_zero 0
	.end_amdhsa_kernel
	.section	.text._ZN7rocprim17ROCPRIM_400000_NS6detail17trampoline_kernelINS0_14default_configENS1_20scan_config_selectorIN3c108BFloat16EEEZZNS1_9scan_implILNS1_25lookback_scan_determinismE0ELb0ELb0ES3_PKS6_PS6_S6_ZZZN2at6native31launch_logcumsumexp_cuda_kernelERKNSD_10TensorBaseESH_lENKUlvE_clEvENKUlvE4_clEvEUlS6_S6_E_S6_EEDaPvRmT3_T4_T5_mT6_P12ihipStream_tbENKUlT_T0_E_clISt17integral_constantIbLb1EESY_EEDaST_SU_EUlST_E_NS1_11comp_targetILNS1_3genE5ELNS1_11target_archE942ELNS1_3gpuE9ELNS1_3repE0EEENS1_30default_config_static_selectorELNS0_4arch9wavefront6targetE0EEEvT1_,"axG",@progbits,_ZN7rocprim17ROCPRIM_400000_NS6detail17trampoline_kernelINS0_14default_configENS1_20scan_config_selectorIN3c108BFloat16EEEZZNS1_9scan_implILNS1_25lookback_scan_determinismE0ELb0ELb0ES3_PKS6_PS6_S6_ZZZN2at6native31launch_logcumsumexp_cuda_kernelERKNSD_10TensorBaseESH_lENKUlvE_clEvENKUlvE4_clEvEUlS6_S6_E_S6_EEDaPvRmT3_T4_T5_mT6_P12ihipStream_tbENKUlT_T0_E_clISt17integral_constantIbLb1EESY_EEDaST_SU_EUlST_E_NS1_11comp_targetILNS1_3genE5ELNS1_11target_archE942ELNS1_3gpuE9ELNS1_3repE0EEENS1_30default_config_static_selectorELNS0_4arch9wavefront6targetE0EEEvT1_,comdat
.Lfunc_end466:
	.size	_ZN7rocprim17ROCPRIM_400000_NS6detail17trampoline_kernelINS0_14default_configENS1_20scan_config_selectorIN3c108BFloat16EEEZZNS1_9scan_implILNS1_25lookback_scan_determinismE0ELb0ELb0ES3_PKS6_PS6_S6_ZZZN2at6native31launch_logcumsumexp_cuda_kernelERKNSD_10TensorBaseESH_lENKUlvE_clEvENKUlvE4_clEvEUlS6_S6_E_S6_EEDaPvRmT3_T4_T5_mT6_P12ihipStream_tbENKUlT_T0_E_clISt17integral_constantIbLb1EESY_EEDaST_SU_EUlST_E_NS1_11comp_targetILNS1_3genE5ELNS1_11target_archE942ELNS1_3gpuE9ELNS1_3repE0EEENS1_30default_config_static_selectorELNS0_4arch9wavefront6targetE0EEEvT1_, .Lfunc_end466-_ZN7rocprim17ROCPRIM_400000_NS6detail17trampoline_kernelINS0_14default_configENS1_20scan_config_selectorIN3c108BFloat16EEEZZNS1_9scan_implILNS1_25lookback_scan_determinismE0ELb0ELb0ES3_PKS6_PS6_S6_ZZZN2at6native31launch_logcumsumexp_cuda_kernelERKNSD_10TensorBaseESH_lENKUlvE_clEvENKUlvE4_clEvEUlS6_S6_E_S6_EEDaPvRmT3_T4_T5_mT6_P12ihipStream_tbENKUlT_T0_E_clISt17integral_constantIbLb1EESY_EEDaST_SU_EUlST_E_NS1_11comp_targetILNS1_3genE5ELNS1_11target_archE942ELNS1_3gpuE9ELNS1_3repE0EEENS1_30default_config_static_selectorELNS0_4arch9wavefront6targetE0EEEvT1_
                                        ; -- End function
	.set _ZN7rocprim17ROCPRIM_400000_NS6detail17trampoline_kernelINS0_14default_configENS1_20scan_config_selectorIN3c108BFloat16EEEZZNS1_9scan_implILNS1_25lookback_scan_determinismE0ELb0ELb0ES3_PKS6_PS6_S6_ZZZN2at6native31launch_logcumsumexp_cuda_kernelERKNSD_10TensorBaseESH_lENKUlvE_clEvENKUlvE4_clEvEUlS6_S6_E_S6_EEDaPvRmT3_T4_T5_mT6_P12ihipStream_tbENKUlT_T0_E_clISt17integral_constantIbLb1EESY_EEDaST_SU_EUlST_E_NS1_11comp_targetILNS1_3genE5ELNS1_11target_archE942ELNS1_3gpuE9ELNS1_3repE0EEENS1_30default_config_static_selectorELNS0_4arch9wavefront6targetE0EEEvT1_.num_vgpr, 0
	.set _ZN7rocprim17ROCPRIM_400000_NS6detail17trampoline_kernelINS0_14default_configENS1_20scan_config_selectorIN3c108BFloat16EEEZZNS1_9scan_implILNS1_25lookback_scan_determinismE0ELb0ELb0ES3_PKS6_PS6_S6_ZZZN2at6native31launch_logcumsumexp_cuda_kernelERKNSD_10TensorBaseESH_lENKUlvE_clEvENKUlvE4_clEvEUlS6_S6_E_S6_EEDaPvRmT3_T4_T5_mT6_P12ihipStream_tbENKUlT_T0_E_clISt17integral_constantIbLb1EESY_EEDaST_SU_EUlST_E_NS1_11comp_targetILNS1_3genE5ELNS1_11target_archE942ELNS1_3gpuE9ELNS1_3repE0EEENS1_30default_config_static_selectorELNS0_4arch9wavefront6targetE0EEEvT1_.num_agpr, 0
	.set _ZN7rocprim17ROCPRIM_400000_NS6detail17trampoline_kernelINS0_14default_configENS1_20scan_config_selectorIN3c108BFloat16EEEZZNS1_9scan_implILNS1_25lookback_scan_determinismE0ELb0ELb0ES3_PKS6_PS6_S6_ZZZN2at6native31launch_logcumsumexp_cuda_kernelERKNSD_10TensorBaseESH_lENKUlvE_clEvENKUlvE4_clEvEUlS6_S6_E_S6_EEDaPvRmT3_T4_T5_mT6_P12ihipStream_tbENKUlT_T0_E_clISt17integral_constantIbLb1EESY_EEDaST_SU_EUlST_E_NS1_11comp_targetILNS1_3genE5ELNS1_11target_archE942ELNS1_3gpuE9ELNS1_3repE0EEENS1_30default_config_static_selectorELNS0_4arch9wavefront6targetE0EEEvT1_.numbered_sgpr, 0
	.set _ZN7rocprim17ROCPRIM_400000_NS6detail17trampoline_kernelINS0_14default_configENS1_20scan_config_selectorIN3c108BFloat16EEEZZNS1_9scan_implILNS1_25lookback_scan_determinismE0ELb0ELb0ES3_PKS6_PS6_S6_ZZZN2at6native31launch_logcumsumexp_cuda_kernelERKNSD_10TensorBaseESH_lENKUlvE_clEvENKUlvE4_clEvEUlS6_S6_E_S6_EEDaPvRmT3_T4_T5_mT6_P12ihipStream_tbENKUlT_T0_E_clISt17integral_constantIbLb1EESY_EEDaST_SU_EUlST_E_NS1_11comp_targetILNS1_3genE5ELNS1_11target_archE942ELNS1_3gpuE9ELNS1_3repE0EEENS1_30default_config_static_selectorELNS0_4arch9wavefront6targetE0EEEvT1_.num_named_barrier, 0
	.set _ZN7rocprim17ROCPRIM_400000_NS6detail17trampoline_kernelINS0_14default_configENS1_20scan_config_selectorIN3c108BFloat16EEEZZNS1_9scan_implILNS1_25lookback_scan_determinismE0ELb0ELb0ES3_PKS6_PS6_S6_ZZZN2at6native31launch_logcumsumexp_cuda_kernelERKNSD_10TensorBaseESH_lENKUlvE_clEvENKUlvE4_clEvEUlS6_S6_E_S6_EEDaPvRmT3_T4_T5_mT6_P12ihipStream_tbENKUlT_T0_E_clISt17integral_constantIbLb1EESY_EEDaST_SU_EUlST_E_NS1_11comp_targetILNS1_3genE5ELNS1_11target_archE942ELNS1_3gpuE9ELNS1_3repE0EEENS1_30default_config_static_selectorELNS0_4arch9wavefront6targetE0EEEvT1_.private_seg_size, 0
	.set _ZN7rocprim17ROCPRIM_400000_NS6detail17trampoline_kernelINS0_14default_configENS1_20scan_config_selectorIN3c108BFloat16EEEZZNS1_9scan_implILNS1_25lookback_scan_determinismE0ELb0ELb0ES3_PKS6_PS6_S6_ZZZN2at6native31launch_logcumsumexp_cuda_kernelERKNSD_10TensorBaseESH_lENKUlvE_clEvENKUlvE4_clEvEUlS6_S6_E_S6_EEDaPvRmT3_T4_T5_mT6_P12ihipStream_tbENKUlT_T0_E_clISt17integral_constantIbLb1EESY_EEDaST_SU_EUlST_E_NS1_11comp_targetILNS1_3genE5ELNS1_11target_archE942ELNS1_3gpuE9ELNS1_3repE0EEENS1_30default_config_static_selectorELNS0_4arch9wavefront6targetE0EEEvT1_.uses_vcc, 0
	.set _ZN7rocprim17ROCPRIM_400000_NS6detail17trampoline_kernelINS0_14default_configENS1_20scan_config_selectorIN3c108BFloat16EEEZZNS1_9scan_implILNS1_25lookback_scan_determinismE0ELb0ELb0ES3_PKS6_PS6_S6_ZZZN2at6native31launch_logcumsumexp_cuda_kernelERKNSD_10TensorBaseESH_lENKUlvE_clEvENKUlvE4_clEvEUlS6_S6_E_S6_EEDaPvRmT3_T4_T5_mT6_P12ihipStream_tbENKUlT_T0_E_clISt17integral_constantIbLb1EESY_EEDaST_SU_EUlST_E_NS1_11comp_targetILNS1_3genE5ELNS1_11target_archE942ELNS1_3gpuE9ELNS1_3repE0EEENS1_30default_config_static_selectorELNS0_4arch9wavefront6targetE0EEEvT1_.uses_flat_scratch, 0
	.set _ZN7rocprim17ROCPRIM_400000_NS6detail17trampoline_kernelINS0_14default_configENS1_20scan_config_selectorIN3c108BFloat16EEEZZNS1_9scan_implILNS1_25lookback_scan_determinismE0ELb0ELb0ES3_PKS6_PS6_S6_ZZZN2at6native31launch_logcumsumexp_cuda_kernelERKNSD_10TensorBaseESH_lENKUlvE_clEvENKUlvE4_clEvEUlS6_S6_E_S6_EEDaPvRmT3_T4_T5_mT6_P12ihipStream_tbENKUlT_T0_E_clISt17integral_constantIbLb1EESY_EEDaST_SU_EUlST_E_NS1_11comp_targetILNS1_3genE5ELNS1_11target_archE942ELNS1_3gpuE9ELNS1_3repE0EEENS1_30default_config_static_selectorELNS0_4arch9wavefront6targetE0EEEvT1_.has_dyn_sized_stack, 0
	.set _ZN7rocprim17ROCPRIM_400000_NS6detail17trampoline_kernelINS0_14default_configENS1_20scan_config_selectorIN3c108BFloat16EEEZZNS1_9scan_implILNS1_25lookback_scan_determinismE0ELb0ELb0ES3_PKS6_PS6_S6_ZZZN2at6native31launch_logcumsumexp_cuda_kernelERKNSD_10TensorBaseESH_lENKUlvE_clEvENKUlvE4_clEvEUlS6_S6_E_S6_EEDaPvRmT3_T4_T5_mT6_P12ihipStream_tbENKUlT_T0_E_clISt17integral_constantIbLb1EESY_EEDaST_SU_EUlST_E_NS1_11comp_targetILNS1_3genE5ELNS1_11target_archE942ELNS1_3gpuE9ELNS1_3repE0EEENS1_30default_config_static_selectorELNS0_4arch9wavefront6targetE0EEEvT1_.has_recursion, 0
	.set _ZN7rocprim17ROCPRIM_400000_NS6detail17trampoline_kernelINS0_14default_configENS1_20scan_config_selectorIN3c108BFloat16EEEZZNS1_9scan_implILNS1_25lookback_scan_determinismE0ELb0ELb0ES3_PKS6_PS6_S6_ZZZN2at6native31launch_logcumsumexp_cuda_kernelERKNSD_10TensorBaseESH_lENKUlvE_clEvENKUlvE4_clEvEUlS6_S6_E_S6_EEDaPvRmT3_T4_T5_mT6_P12ihipStream_tbENKUlT_T0_E_clISt17integral_constantIbLb1EESY_EEDaST_SU_EUlST_E_NS1_11comp_targetILNS1_3genE5ELNS1_11target_archE942ELNS1_3gpuE9ELNS1_3repE0EEENS1_30default_config_static_selectorELNS0_4arch9wavefront6targetE0EEEvT1_.has_indirect_call, 0
	.section	.AMDGPU.csdata,"",@progbits
; Kernel info:
; codeLenInByte = 0
; TotalNumSgprs: 0
; NumVgprs: 0
; ScratchSize: 0
; MemoryBound: 0
; FloatMode: 240
; IeeeMode: 1
; LDSByteSize: 0 bytes/workgroup (compile time only)
; SGPRBlocks: 0
; VGPRBlocks: 0
; NumSGPRsForWavesPerEU: 1
; NumVGPRsForWavesPerEU: 1
; Occupancy: 16
; WaveLimiterHint : 0
; COMPUTE_PGM_RSRC2:SCRATCH_EN: 0
; COMPUTE_PGM_RSRC2:USER_SGPR: 6
; COMPUTE_PGM_RSRC2:TRAP_HANDLER: 0
; COMPUTE_PGM_RSRC2:TGID_X_EN: 1
; COMPUTE_PGM_RSRC2:TGID_Y_EN: 0
; COMPUTE_PGM_RSRC2:TGID_Z_EN: 0
; COMPUTE_PGM_RSRC2:TIDIG_COMP_CNT: 0
	.section	.text._ZN7rocprim17ROCPRIM_400000_NS6detail17trampoline_kernelINS0_14default_configENS1_20scan_config_selectorIN3c108BFloat16EEEZZNS1_9scan_implILNS1_25lookback_scan_determinismE0ELb0ELb0ES3_PKS6_PS6_S6_ZZZN2at6native31launch_logcumsumexp_cuda_kernelERKNSD_10TensorBaseESH_lENKUlvE_clEvENKUlvE4_clEvEUlS6_S6_E_S6_EEDaPvRmT3_T4_T5_mT6_P12ihipStream_tbENKUlT_T0_E_clISt17integral_constantIbLb1EESY_EEDaST_SU_EUlST_E_NS1_11comp_targetILNS1_3genE4ELNS1_11target_archE910ELNS1_3gpuE8ELNS1_3repE0EEENS1_30default_config_static_selectorELNS0_4arch9wavefront6targetE0EEEvT1_,"axG",@progbits,_ZN7rocprim17ROCPRIM_400000_NS6detail17trampoline_kernelINS0_14default_configENS1_20scan_config_selectorIN3c108BFloat16EEEZZNS1_9scan_implILNS1_25lookback_scan_determinismE0ELb0ELb0ES3_PKS6_PS6_S6_ZZZN2at6native31launch_logcumsumexp_cuda_kernelERKNSD_10TensorBaseESH_lENKUlvE_clEvENKUlvE4_clEvEUlS6_S6_E_S6_EEDaPvRmT3_T4_T5_mT6_P12ihipStream_tbENKUlT_T0_E_clISt17integral_constantIbLb1EESY_EEDaST_SU_EUlST_E_NS1_11comp_targetILNS1_3genE4ELNS1_11target_archE910ELNS1_3gpuE8ELNS1_3repE0EEENS1_30default_config_static_selectorELNS0_4arch9wavefront6targetE0EEEvT1_,comdat
	.globl	_ZN7rocprim17ROCPRIM_400000_NS6detail17trampoline_kernelINS0_14default_configENS1_20scan_config_selectorIN3c108BFloat16EEEZZNS1_9scan_implILNS1_25lookback_scan_determinismE0ELb0ELb0ES3_PKS6_PS6_S6_ZZZN2at6native31launch_logcumsumexp_cuda_kernelERKNSD_10TensorBaseESH_lENKUlvE_clEvENKUlvE4_clEvEUlS6_S6_E_S6_EEDaPvRmT3_T4_T5_mT6_P12ihipStream_tbENKUlT_T0_E_clISt17integral_constantIbLb1EESY_EEDaST_SU_EUlST_E_NS1_11comp_targetILNS1_3genE4ELNS1_11target_archE910ELNS1_3gpuE8ELNS1_3repE0EEENS1_30default_config_static_selectorELNS0_4arch9wavefront6targetE0EEEvT1_ ; -- Begin function _ZN7rocprim17ROCPRIM_400000_NS6detail17trampoline_kernelINS0_14default_configENS1_20scan_config_selectorIN3c108BFloat16EEEZZNS1_9scan_implILNS1_25lookback_scan_determinismE0ELb0ELb0ES3_PKS6_PS6_S6_ZZZN2at6native31launch_logcumsumexp_cuda_kernelERKNSD_10TensorBaseESH_lENKUlvE_clEvENKUlvE4_clEvEUlS6_S6_E_S6_EEDaPvRmT3_T4_T5_mT6_P12ihipStream_tbENKUlT_T0_E_clISt17integral_constantIbLb1EESY_EEDaST_SU_EUlST_E_NS1_11comp_targetILNS1_3genE4ELNS1_11target_archE910ELNS1_3gpuE8ELNS1_3repE0EEENS1_30default_config_static_selectorELNS0_4arch9wavefront6targetE0EEEvT1_
	.p2align	8
	.type	_ZN7rocprim17ROCPRIM_400000_NS6detail17trampoline_kernelINS0_14default_configENS1_20scan_config_selectorIN3c108BFloat16EEEZZNS1_9scan_implILNS1_25lookback_scan_determinismE0ELb0ELb0ES3_PKS6_PS6_S6_ZZZN2at6native31launch_logcumsumexp_cuda_kernelERKNSD_10TensorBaseESH_lENKUlvE_clEvENKUlvE4_clEvEUlS6_S6_E_S6_EEDaPvRmT3_T4_T5_mT6_P12ihipStream_tbENKUlT_T0_E_clISt17integral_constantIbLb1EESY_EEDaST_SU_EUlST_E_NS1_11comp_targetILNS1_3genE4ELNS1_11target_archE910ELNS1_3gpuE8ELNS1_3repE0EEENS1_30default_config_static_selectorELNS0_4arch9wavefront6targetE0EEEvT1_,@function
_ZN7rocprim17ROCPRIM_400000_NS6detail17trampoline_kernelINS0_14default_configENS1_20scan_config_selectorIN3c108BFloat16EEEZZNS1_9scan_implILNS1_25lookback_scan_determinismE0ELb0ELb0ES3_PKS6_PS6_S6_ZZZN2at6native31launch_logcumsumexp_cuda_kernelERKNSD_10TensorBaseESH_lENKUlvE_clEvENKUlvE4_clEvEUlS6_S6_E_S6_EEDaPvRmT3_T4_T5_mT6_P12ihipStream_tbENKUlT_T0_E_clISt17integral_constantIbLb1EESY_EEDaST_SU_EUlST_E_NS1_11comp_targetILNS1_3genE4ELNS1_11target_archE910ELNS1_3gpuE8ELNS1_3repE0EEENS1_30default_config_static_selectorELNS0_4arch9wavefront6targetE0EEEvT1_: ; @_ZN7rocprim17ROCPRIM_400000_NS6detail17trampoline_kernelINS0_14default_configENS1_20scan_config_selectorIN3c108BFloat16EEEZZNS1_9scan_implILNS1_25lookback_scan_determinismE0ELb0ELb0ES3_PKS6_PS6_S6_ZZZN2at6native31launch_logcumsumexp_cuda_kernelERKNSD_10TensorBaseESH_lENKUlvE_clEvENKUlvE4_clEvEUlS6_S6_E_S6_EEDaPvRmT3_T4_T5_mT6_P12ihipStream_tbENKUlT_T0_E_clISt17integral_constantIbLb1EESY_EEDaST_SU_EUlST_E_NS1_11comp_targetILNS1_3genE4ELNS1_11target_archE910ELNS1_3gpuE8ELNS1_3repE0EEENS1_30default_config_static_selectorELNS0_4arch9wavefront6targetE0EEEvT1_
; %bb.0:
	.section	.rodata,"a",@progbits
	.p2align	6, 0x0
	.amdhsa_kernel _ZN7rocprim17ROCPRIM_400000_NS6detail17trampoline_kernelINS0_14default_configENS1_20scan_config_selectorIN3c108BFloat16EEEZZNS1_9scan_implILNS1_25lookback_scan_determinismE0ELb0ELb0ES3_PKS6_PS6_S6_ZZZN2at6native31launch_logcumsumexp_cuda_kernelERKNSD_10TensorBaseESH_lENKUlvE_clEvENKUlvE4_clEvEUlS6_S6_E_S6_EEDaPvRmT3_T4_T5_mT6_P12ihipStream_tbENKUlT_T0_E_clISt17integral_constantIbLb1EESY_EEDaST_SU_EUlST_E_NS1_11comp_targetILNS1_3genE4ELNS1_11target_archE910ELNS1_3gpuE8ELNS1_3repE0EEENS1_30default_config_static_selectorELNS0_4arch9wavefront6targetE0EEEvT1_
		.amdhsa_group_segment_fixed_size 0
		.amdhsa_private_segment_fixed_size 0
		.amdhsa_kernarg_size 96
		.amdhsa_user_sgpr_count 6
		.amdhsa_user_sgpr_private_segment_buffer 1
		.amdhsa_user_sgpr_dispatch_ptr 0
		.amdhsa_user_sgpr_queue_ptr 0
		.amdhsa_user_sgpr_kernarg_segment_ptr 1
		.amdhsa_user_sgpr_dispatch_id 0
		.amdhsa_user_sgpr_flat_scratch_init 0
		.amdhsa_user_sgpr_private_segment_size 0
		.amdhsa_wavefront_size32 1
		.amdhsa_uses_dynamic_stack 0
		.amdhsa_system_sgpr_private_segment_wavefront_offset 0
		.amdhsa_system_sgpr_workgroup_id_x 1
		.amdhsa_system_sgpr_workgroup_id_y 0
		.amdhsa_system_sgpr_workgroup_id_z 0
		.amdhsa_system_sgpr_workgroup_info 0
		.amdhsa_system_vgpr_workitem_id 0
		.amdhsa_next_free_vgpr 1
		.amdhsa_next_free_sgpr 1
		.amdhsa_reserve_vcc 0
		.amdhsa_reserve_flat_scratch 0
		.amdhsa_float_round_mode_32 0
		.amdhsa_float_round_mode_16_64 0
		.amdhsa_float_denorm_mode_32 3
		.amdhsa_float_denorm_mode_16_64 3
		.amdhsa_dx10_clamp 1
		.amdhsa_ieee_mode 1
		.amdhsa_fp16_overflow 0
		.amdhsa_workgroup_processor_mode 1
		.amdhsa_memory_ordered 1
		.amdhsa_forward_progress 1
		.amdhsa_shared_vgpr_count 0
		.amdhsa_exception_fp_ieee_invalid_op 0
		.amdhsa_exception_fp_denorm_src 0
		.amdhsa_exception_fp_ieee_div_zero 0
		.amdhsa_exception_fp_ieee_overflow 0
		.amdhsa_exception_fp_ieee_underflow 0
		.amdhsa_exception_fp_ieee_inexact 0
		.amdhsa_exception_int_div_zero 0
	.end_amdhsa_kernel
	.section	.text._ZN7rocprim17ROCPRIM_400000_NS6detail17trampoline_kernelINS0_14default_configENS1_20scan_config_selectorIN3c108BFloat16EEEZZNS1_9scan_implILNS1_25lookback_scan_determinismE0ELb0ELb0ES3_PKS6_PS6_S6_ZZZN2at6native31launch_logcumsumexp_cuda_kernelERKNSD_10TensorBaseESH_lENKUlvE_clEvENKUlvE4_clEvEUlS6_S6_E_S6_EEDaPvRmT3_T4_T5_mT6_P12ihipStream_tbENKUlT_T0_E_clISt17integral_constantIbLb1EESY_EEDaST_SU_EUlST_E_NS1_11comp_targetILNS1_3genE4ELNS1_11target_archE910ELNS1_3gpuE8ELNS1_3repE0EEENS1_30default_config_static_selectorELNS0_4arch9wavefront6targetE0EEEvT1_,"axG",@progbits,_ZN7rocprim17ROCPRIM_400000_NS6detail17trampoline_kernelINS0_14default_configENS1_20scan_config_selectorIN3c108BFloat16EEEZZNS1_9scan_implILNS1_25lookback_scan_determinismE0ELb0ELb0ES3_PKS6_PS6_S6_ZZZN2at6native31launch_logcumsumexp_cuda_kernelERKNSD_10TensorBaseESH_lENKUlvE_clEvENKUlvE4_clEvEUlS6_S6_E_S6_EEDaPvRmT3_T4_T5_mT6_P12ihipStream_tbENKUlT_T0_E_clISt17integral_constantIbLb1EESY_EEDaST_SU_EUlST_E_NS1_11comp_targetILNS1_3genE4ELNS1_11target_archE910ELNS1_3gpuE8ELNS1_3repE0EEENS1_30default_config_static_selectorELNS0_4arch9wavefront6targetE0EEEvT1_,comdat
.Lfunc_end467:
	.size	_ZN7rocprim17ROCPRIM_400000_NS6detail17trampoline_kernelINS0_14default_configENS1_20scan_config_selectorIN3c108BFloat16EEEZZNS1_9scan_implILNS1_25lookback_scan_determinismE0ELb0ELb0ES3_PKS6_PS6_S6_ZZZN2at6native31launch_logcumsumexp_cuda_kernelERKNSD_10TensorBaseESH_lENKUlvE_clEvENKUlvE4_clEvEUlS6_S6_E_S6_EEDaPvRmT3_T4_T5_mT6_P12ihipStream_tbENKUlT_T0_E_clISt17integral_constantIbLb1EESY_EEDaST_SU_EUlST_E_NS1_11comp_targetILNS1_3genE4ELNS1_11target_archE910ELNS1_3gpuE8ELNS1_3repE0EEENS1_30default_config_static_selectorELNS0_4arch9wavefront6targetE0EEEvT1_, .Lfunc_end467-_ZN7rocprim17ROCPRIM_400000_NS6detail17trampoline_kernelINS0_14default_configENS1_20scan_config_selectorIN3c108BFloat16EEEZZNS1_9scan_implILNS1_25lookback_scan_determinismE0ELb0ELb0ES3_PKS6_PS6_S6_ZZZN2at6native31launch_logcumsumexp_cuda_kernelERKNSD_10TensorBaseESH_lENKUlvE_clEvENKUlvE4_clEvEUlS6_S6_E_S6_EEDaPvRmT3_T4_T5_mT6_P12ihipStream_tbENKUlT_T0_E_clISt17integral_constantIbLb1EESY_EEDaST_SU_EUlST_E_NS1_11comp_targetILNS1_3genE4ELNS1_11target_archE910ELNS1_3gpuE8ELNS1_3repE0EEENS1_30default_config_static_selectorELNS0_4arch9wavefront6targetE0EEEvT1_
                                        ; -- End function
	.set _ZN7rocprim17ROCPRIM_400000_NS6detail17trampoline_kernelINS0_14default_configENS1_20scan_config_selectorIN3c108BFloat16EEEZZNS1_9scan_implILNS1_25lookback_scan_determinismE0ELb0ELb0ES3_PKS6_PS6_S6_ZZZN2at6native31launch_logcumsumexp_cuda_kernelERKNSD_10TensorBaseESH_lENKUlvE_clEvENKUlvE4_clEvEUlS6_S6_E_S6_EEDaPvRmT3_T4_T5_mT6_P12ihipStream_tbENKUlT_T0_E_clISt17integral_constantIbLb1EESY_EEDaST_SU_EUlST_E_NS1_11comp_targetILNS1_3genE4ELNS1_11target_archE910ELNS1_3gpuE8ELNS1_3repE0EEENS1_30default_config_static_selectorELNS0_4arch9wavefront6targetE0EEEvT1_.num_vgpr, 0
	.set _ZN7rocprim17ROCPRIM_400000_NS6detail17trampoline_kernelINS0_14default_configENS1_20scan_config_selectorIN3c108BFloat16EEEZZNS1_9scan_implILNS1_25lookback_scan_determinismE0ELb0ELb0ES3_PKS6_PS6_S6_ZZZN2at6native31launch_logcumsumexp_cuda_kernelERKNSD_10TensorBaseESH_lENKUlvE_clEvENKUlvE4_clEvEUlS6_S6_E_S6_EEDaPvRmT3_T4_T5_mT6_P12ihipStream_tbENKUlT_T0_E_clISt17integral_constantIbLb1EESY_EEDaST_SU_EUlST_E_NS1_11comp_targetILNS1_3genE4ELNS1_11target_archE910ELNS1_3gpuE8ELNS1_3repE0EEENS1_30default_config_static_selectorELNS0_4arch9wavefront6targetE0EEEvT1_.num_agpr, 0
	.set _ZN7rocprim17ROCPRIM_400000_NS6detail17trampoline_kernelINS0_14default_configENS1_20scan_config_selectorIN3c108BFloat16EEEZZNS1_9scan_implILNS1_25lookback_scan_determinismE0ELb0ELb0ES3_PKS6_PS6_S6_ZZZN2at6native31launch_logcumsumexp_cuda_kernelERKNSD_10TensorBaseESH_lENKUlvE_clEvENKUlvE4_clEvEUlS6_S6_E_S6_EEDaPvRmT3_T4_T5_mT6_P12ihipStream_tbENKUlT_T0_E_clISt17integral_constantIbLb1EESY_EEDaST_SU_EUlST_E_NS1_11comp_targetILNS1_3genE4ELNS1_11target_archE910ELNS1_3gpuE8ELNS1_3repE0EEENS1_30default_config_static_selectorELNS0_4arch9wavefront6targetE0EEEvT1_.numbered_sgpr, 0
	.set _ZN7rocprim17ROCPRIM_400000_NS6detail17trampoline_kernelINS0_14default_configENS1_20scan_config_selectorIN3c108BFloat16EEEZZNS1_9scan_implILNS1_25lookback_scan_determinismE0ELb0ELb0ES3_PKS6_PS6_S6_ZZZN2at6native31launch_logcumsumexp_cuda_kernelERKNSD_10TensorBaseESH_lENKUlvE_clEvENKUlvE4_clEvEUlS6_S6_E_S6_EEDaPvRmT3_T4_T5_mT6_P12ihipStream_tbENKUlT_T0_E_clISt17integral_constantIbLb1EESY_EEDaST_SU_EUlST_E_NS1_11comp_targetILNS1_3genE4ELNS1_11target_archE910ELNS1_3gpuE8ELNS1_3repE0EEENS1_30default_config_static_selectorELNS0_4arch9wavefront6targetE0EEEvT1_.num_named_barrier, 0
	.set _ZN7rocprim17ROCPRIM_400000_NS6detail17trampoline_kernelINS0_14default_configENS1_20scan_config_selectorIN3c108BFloat16EEEZZNS1_9scan_implILNS1_25lookback_scan_determinismE0ELb0ELb0ES3_PKS6_PS6_S6_ZZZN2at6native31launch_logcumsumexp_cuda_kernelERKNSD_10TensorBaseESH_lENKUlvE_clEvENKUlvE4_clEvEUlS6_S6_E_S6_EEDaPvRmT3_T4_T5_mT6_P12ihipStream_tbENKUlT_T0_E_clISt17integral_constantIbLb1EESY_EEDaST_SU_EUlST_E_NS1_11comp_targetILNS1_3genE4ELNS1_11target_archE910ELNS1_3gpuE8ELNS1_3repE0EEENS1_30default_config_static_selectorELNS0_4arch9wavefront6targetE0EEEvT1_.private_seg_size, 0
	.set _ZN7rocprim17ROCPRIM_400000_NS6detail17trampoline_kernelINS0_14default_configENS1_20scan_config_selectorIN3c108BFloat16EEEZZNS1_9scan_implILNS1_25lookback_scan_determinismE0ELb0ELb0ES3_PKS6_PS6_S6_ZZZN2at6native31launch_logcumsumexp_cuda_kernelERKNSD_10TensorBaseESH_lENKUlvE_clEvENKUlvE4_clEvEUlS6_S6_E_S6_EEDaPvRmT3_T4_T5_mT6_P12ihipStream_tbENKUlT_T0_E_clISt17integral_constantIbLb1EESY_EEDaST_SU_EUlST_E_NS1_11comp_targetILNS1_3genE4ELNS1_11target_archE910ELNS1_3gpuE8ELNS1_3repE0EEENS1_30default_config_static_selectorELNS0_4arch9wavefront6targetE0EEEvT1_.uses_vcc, 0
	.set _ZN7rocprim17ROCPRIM_400000_NS6detail17trampoline_kernelINS0_14default_configENS1_20scan_config_selectorIN3c108BFloat16EEEZZNS1_9scan_implILNS1_25lookback_scan_determinismE0ELb0ELb0ES3_PKS6_PS6_S6_ZZZN2at6native31launch_logcumsumexp_cuda_kernelERKNSD_10TensorBaseESH_lENKUlvE_clEvENKUlvE4_clEvEUlS6_S6_E_S6_EEDaPvRmT3_T4_T5_mT6_P12ihipStream_tbENKUlT_T0_E_clISt17integral_constantIbLb1EESY_EEDaST_SU_EUlST_E_NS1_11comp_targetILNS1_3genE4ELNS1_11target_archE910ELNS1_3gpuE8ELNS1_3repE0EEENS1_30default_config_static_selectorELNS0_4arch9wavefront6targetE0EEEvT1_.uses_flat_scratch, 0
	.set _ZN7rocprim17ROCPRIM_400000_NS6detail17trampoline_kernelINS0_14default_configENS1_20scan_config_selectorIN3c108BFloat16EEEZZNS1_9scan_implILNS1_25lookback_scan_determinismE0ELb0ELb0ES3_PKS6_PS6_S6_ZZZN2at6native31launch_logcumsumexp_cuda_kernelERKNSD_10TensorBaseESH_lENKUlvE_clEvENKUlvE4_clEvEUlS6_S6_E_S6_EEDaPvRmT3_T4_T5_mT6_P12ihipStream_tbENKUlT_T0_E_clISt17integral_constantIbLb1EESY_EEDaST_SU_EUlST_E_NS1_11comp_targetILNS1_3genE4ELNS1_11target_archE910ELNS1_3gpuE8ELNS1_3repE0EEENS1_30default_config_static_selectorELNS0_4arch9wavefront6targetE0EEEvT1_.has_dyn_sized_stack, 0
	.set _ZN7rocprim17ROCPRIM_400000_NS6detail17trampoline_kernelINS0_14default_configENS1_20scan_config_selectorIN3c108BFloat16EEEZZNS1_9scan_implILNS1_25lookback_scan_determinismE0ELb0ELb0ES3_PKS6_PS6_S6_ZZZN2at6native31launch_logcumsumexp_cuda_kernelERKNSD_10TensorBaseESH_lENKUlvE_clEvENKUlvE4_clEvEUlS6_S6_E_S6_EEDaPvRmT3_T4_T5_mT6_P12ihipStream_tbENKUlT_T0_E_clISt17integral_constantIbLb1EESY_EEDaST_SU_EUlST_E_NS1_11comp_targetILNS1_3genE4ELNS1_11target_archE910ELNS1_3gpuE8ELNS1_3repE0EEENS1_30default_config_static_selectorELNS0_4arch9wavefront6targetE0EEEvT1_.has_recursion, 0
	.set _ZN7rocprim17ROCPRIM_400000_NS6detail17trampoline_kernelINS0_14default_configENS1_20scan_config_selectorIN3c108BFloat16EEEZZNS1_9scan_implILNS1_25lookback_scan_determinismE0ELb0ELb0ES3_PKS6_PS6_S6_ZZZN2at6native31launch_logcumsumexp_cuda_kernelERKNSD_10TensorBaseESH_lENKUlvE_clEvENKUlvE4_clEvEUlS6_S6_E_S6_EEDaPvRmT3_T4_T5_mT6_P12ihipStream_tbENKUlT_T0_E_clISt17integral_constantIbLb1EESY_EEDaST_SU_EUlST_E_NS1_11comp_targetILNS1_3genE4ELNS1_11target_archE910ELNS1_3gpuE8ELNS1_3repE0EEENS1_30default_config_static_selectorELNS0_4arch9wavefront6targetE0EEEvT1_.has_indirect_call, 0
	.section	.AMDGPU.csdata,"",@progbits
; Kernel info:
; codeLenInByte = 0
; TotalNumSgprs: 0
; NumVgprs: 0
; ScratchSize: 0
; MemoryBound: 0
; FloatMode: 240
; IeeeMode: 1
; LDSByteSize: 0 bytes/workgroup (compile time only)
; SGPRBlocks: 0
; VGPRBlocks: 0
; NumSGPRsForWavesPerEU: 1
; NumVGPRsForWavesPerEU: 1
; Occupancy: 16
; WaveLimiterHint : 0
; COMPUTE_PGM_RSRC2:SCRATCH_EN: 0
; COMPUTE_PGM_RSRC2:USER_SGPR: 6
; COMPUTE_PGM_RSRC2:TRAP_HANDLER: 0
; COMPUTE_PGM_RSRC2:TGID_X_EN: 1
; COMPUTE_PGM_RSRC2:TGID_Y_EN: 0
; COMPUTE_PGM_RSRC2:TGID_Z_EN: 0
; COMPUTE_PGM_RSRC2:TIDIG_COMP_CNT: 0
	.section	.text._ZN7rocprim17ROCPRIM_400000_NS6detail17trampoline_kernelINS0_14default_configENS1_20scan_config_selectorIN3c108BFloat16EEEZZNS1_9scan_implILNS1_25lookback_scan_determinismE0ELb0ELb0ES3_PKS6_PS6_S6_ZZZN2at6native31launch_logcumsumexp_cuda_kernelERKNSD_10TensorBaseESH_lENKUlvE_clEvENKUlvE4_clEvEUlS6_S6_E_S6_EEDaPvRmT3_T4_T5_mT6_P12ihipStream_tbENKUlT_T0_E_clISt17integral_constantIbLb1EESY_EEDaST_SU_EUlST_E_NS1_11comp_targetILNS1_3genE3ELNS1_11target_archE908ELNS1_3gpuE7ELNS1_3repE0EEENS1_30default_config_static_selectorELNS0_4arch9wavefront6targetE0EEEvT1_,"axG",@progbits,_ZN7rocprim17ROCPRIM_400000_NS6detail17trampoline_kernelINS0_14default_configENS1_20scan_config_selectorIN3c108BFloat16EEEZZNS1_9scan_implILNS1_25lookback_scan_determinismE0ELb0ELb0ES3_PKS6_PS6_S6_ZZZN2at6native31launch_logcumsumexp_cuda_kernelERKNSD_10TensorBaseESH_lENKUlvE_clEvENKUlvE4_clEvEUlS6_S6_E_S6_EEDaPvRmT3_T4_T5_mT6_P12ihipStream_tbENKUlT_T0_E_clISt17integral_constantIbLb1EESY_EEDaST_SU_EUlST_E_NS1_11comp_targetILNS1_3genE3ELNS1_11target_archE908ELNS1_3gpuE7ELNS1_3repE0EEENS1_30default_config_static_selectorELNS0_4arch9wavefront6targetE0EEEvT1_,comdat
	.globl	_ZN7rocprim17ROCPRIM_400000_NS6detail17trampoline_kernelINS0_14default_configENS1_20scan_config_selectorIN3c108BFloat16EEEZZNS1_9scan_implILNS1_25lookback_scan_determinismE0ELb0ELb0ES3_PKS6_PS6_S6_ZZZN2at6native31launch_logcumsumexp_cuda_kernelERKNSD_10TensorBaseESH_lENKUlvE_clEvENKUlvE4_clEvEUlS6_S6_E_S6_EEDaPvRmT3_T4_T5_mT6_P12ihipStream_tbENKUlT_T0_E_clISt17integral_constantIbLb1EESY_EEDaST_SU_EUlST_E_NS1_11comp_targetILNS1_3genE3ELNS1_11target_archE908ELNS1_3gpuE7ELNS1_3repE0EEENS1_30default_config_static_selectorELNS0_4arch9wavefront6targetE0EEEvT1_ ; -- Begin function _ZN7rocprim17ROCPRIM_400000_NS6detail17trampoline_kernelINS0_14default_configENS1_20scan_config_selectorIN3c108BFloat16EEEZZNS1_9scan_implILNS1_25lookback_scan_determinismE0ELb0ELb0ES3_PKS6_PS6_S6_ZZZN2at6native31launch_logcumsumexp_cuda_kernelERKNSD_10TensorBaseESH_lENKUlvE_clEvENKUlvE4_clEvEUlS6_S6_E_S6_EEDaPvRmT3_T4_T5_mT6_P12ihipStream_tbENKUlT_T0_E_clISt17integral_constantIbLb1EESY_EEDaST_SU_EUlST_E_NS1_11comp_targetILNS1_3genE3ELNS1_11target_archE908ELNS1_3gpuE7ELNS1_3repE0EEENS1_30default_config_static_selectorELNS0_4arch9wavefront6targetE0EEEvT1_
	.p2align	8
	.type	_ZN7rocprim17ROCPRIM_400000_NS6detail17trampoline_kernelINS0_14default_configENS1_20scan_config_selectorIN3c108BFloat16EEEZZNS1_9scan_implILNS1_25lookback_scan_determinismE0ELb0ELb0ES3_PKS6_PS6_S6_ZZZN2at6native31launch_logcumsumexp_cuda_kernelERKNSD_10TensorBaseESH_lENKUlvE_clEvENKUlvE4_clEvEUlS6_S6_E_S6_EEDaPvRmT3_T4_T5_mT6_P12ihipStream_tbENKUlT_T0_E_clISt17integral_constantIbLb1EESY_EEDaST_SU_EUlST_E_NS1_11comp_targetILNS1_3genE3ELNS1_11target_archE908ELNS1_3gpuE7ELNS1_3repE0EEENS1_30default_config_static_selectorELNS0_4arch9wavefront6targetE0EEEvT1_,@function
_ZN7rocprim17ROCPRIM_400000_NS6detail17trampoline_kernelINS0_14default_configENS1_20scan_config_selectorIN3c108BFloat16EEEZZNS1_9scan_implILNS1_25lookback_scan_determinismE0ELb0ELb0ES3_PKS6_PS6_S6_ZZZN2at6native31launch_logcumsumexp_cuda_kernelERKNSD_10TensorBaseESH_lENKUlvE_clEvENKUlvE4_clEvEUlS6_S6_E_S6_EEDaPvRmT3_T4_T5_mT6_P12ihipStream_tbENKUlT_T0_E_clISt17integral_constantIbLb1EESY_EEDaST_SU_EUlST_E_NS1_11comp_targetILNS1_3genE3ELNS1_11target_archE908ELNS1_3gpuE7ELNS1_3repE0EEENS1_30default_config_static_selectorELNS0_4arch9wavefront6targetE0EEEvT1_: ; @_ZN7rocprim17ROCPRIM_400000_NS6detail17trampoline_kernelINS0_14default_configENS1_20scan_config_selectorIN3c108BFloat16EEEZZNS1_9scan_implILNS1_25lookback_scan_determinismE0ELb0ELb0ES3_PKS6_PS6_S6_ZZZN2at6native31launch_logcumsumexp_cuda_kernelERKNSD_10TensorBaseESH_lENKUlvE_clEvENKUlvE4_clEvEUlS6_S6_E_S6_EEDaPvRmT3_T4_T5_mT6_P12ihipStream_tbENKUlT_T0_E_clISt17integral_constantIbLb1EESY_EEDaST_SU_EUlST_E_NS1_11comp_targetILNS1_3genE3ELNS1_11target_archE908ELNS1_3gpuE7ELNS1_3repE0EEENS1_30default_config_static_selectorELNS0_4arch9wavefront6targetE0EEEvT1_
; %bb.0:
	.section	.rodata,"a",@progbits
	.p2align	6, 0x0
	.amdhsa_kernel _ZN7rocprim17ROCPRIM_400000_NS6detail17trampoline_kernelINS0_14default_configENS1_20scan_config_selectorIN3c108BFloat16EEEZZNS1_9scan_implILNS1_25lookback_scan_determinismE0ELb0ELb0ES3_PKS6_PS6_S6_ZZZN2at6native31launch_logcumsumexp_cuda_kernelERKNSD_10TensorBaseESH_lENKUlvE_clEvENKUlvE4_clEvEUlS6_S6_E_S6_EEDaPvRmT3_T4_T5_mT6_P12ihipStream_tbENKUlT_T0_E_clISt17integral_constantIbLb1EESY_EEDaST_SU_EUlST_E_NS1_11comp_targetILNS1_3genE3ELNS1_11target_archE908ELNS1_3gpuE7ELNS1_3repE0EEENS1_30default_config_static_selectorELNS0_4arch9wavefront6targetE0EEEvT1_
		.amdhsa_group_segment_fixed_size 0
		.amdhsa_private_segment_fixed_size 0
		.amdhsa_kernarg_size 96
		.amdhsa_user_sgpr_count 6
		.amdhsa_user_sgpr_private_segment_buffer 1
		.amdhsa_user_sgpr_dispatch_ptr 0
		.amdhsa_user_sgpr_queue_ptr 0
		.amdhsa_user_sgpr_kernarg_segment_ptr 1
		.amdhsa_user_sgpr_dispatch_id 0
		.amdhsa_user_sgpr_flat_scratch_init 0
		.amdhsa_user_sgpr_private_segment_size 0
		.amdhsa_wavefront_size32 1
		.amdhsa_uses_dynamic_stack 0
		.amdhsa_system_sgpr_private_segment_wavefront_offset 0
		.amdhsa_system_sgpr_workgroup_id_x 1
		.amdhsa_system_sgpr_workgroup_id_y 0
		.amdhsa_system_sgpr_workgroup_id_z 0
		.amdhsa_system_sgpr_workgroup_info 0
		.amdhsa_system_vgpr_workitem_id 0
		.amdhsa_next_free_vgpr 1
		.amdhsa_next_free_sgpr 1
		.amdhsa_reserve_vcc 0
		.amdhsa_reserve_flat_scratch 0
		.amdhsa_float_round_mode_32 0
		.amdhsa_float_round_mode_16_64 0
		.amdhsa_float_denorm_mode_32 3
		.amdhsa_float_denorm_mode_16_64 3
		.amdhsa_dx10_clamp 1
		.amdhsa_ieee_mode 1
		.amdhsa_fp16_overflow 0
		.amdhsa_workgroup_processor_mode 1
		.amdhsa_memory_ordered 1
		.amdhsa_forward_progress 1
		.amdhsa_shared_vgpr_count 0
		.amdhsa_exception_fp_ieee_invalid_op 0
		.amdhsa_exception_fp_denorm_src 0
		.amdhsa_exception_fp_ieee_div_zero 0
		.amdhsa_exception_fp_ieee_overflow 0
		.amdhsa_exception_fp_ieee_underflow 0
		.amdhsa_exception_fp_ieee_inexact 0
		.amdhsa_exception_int_div_zero 0
	.end_amdhsa_kernel
	.section	.text._ZN7rocprim17ROCPRIM_400000_NS6detail17trampoline_kernelINS0_14default_configENS1_20scan_config_selectorIN3c108BFloat16EEEZZNS1_9scan_implILNS1_25lookback_scan_determinismE0ELb0ELb0ES3_PKS6_PS6_S6_ZZZN2at6native31launch_logcumsumexp_cuda_kernelERKNSD_10TensorBaseESH_lENKUlvE_clEvENKUlvE4_clEvEUlS6_S6_E_S6_EEDaPvRmT3_T4_T5_mT6_P12ihipStream_tbENKUlT_T0_E_clISt17integral_constantIbLb1EESY_EEDaST_SU_EUlST_E_NS1_11comp_targetILNS1_3genE3ELNS1_11target_archE908ELNS1_3gpuE7ELNS1_3repE0EEENS1_30default_config_static_selectorELNS0_4arch9wavefront6targetE0EEEvT1_,"axG",@progbits,_ZN7rocprim17ROCPRIM_400000_NS6detail17trampoline_kernelINS0_14default_configENS1_20scan_config_selectorIN3c108BFloat16EEEZZNS1_9scan_implILNS1_25lookback_scan_determinismE0ELb0ELb0ES3_PKS6_PS6_S6_ZZZN2at6native31launch_logcumsumexp_cuda_kernelERKNSD_10TensorBaseESH_lENKUlvE_clEvENKUlvE4_clEvEUlS6_S6_E_S6_EEDaPvRmT3_T4_T5_mT6_P12ihipStream_tbENKUlT_T0_E_clISt17integral_constantIbLb1EESY_EEDaST_SU_EUlST_E_NS1_11comp_targetILNS1_3genE3ELNS1_11target_archE908ELNS1_3gpuE7ELNS1_3repE0EEENS1_30default_config_static_selectorELNS0_4arch9wavefront6targetE0EEEvT1_,comdat
.Lfunc_end468:
	.size	_ZN7rocprim17ROCPRIM_400000_NS6detail17trampoline_kernelINS0_14default_configENS1_20scan_config_selectorIN3c108BFloat16EEEZZNS1_9scan_implILNS1_25lookback_scan_determinismE0ELb0ELb0ES3_PKS6_PS6_S6_ZZZN2at6native31launch_logcumsumexp_cuda_kernelERKNSD_10TensorBaseESH_lENKUlvE_clEvENKUlvE4_clEvEUlS6_S6_E_S6_EEDaPvRmT3_T4_T5_mT6_P12ihipStream_tbENKUlT_T0_E_clISt17integral_constantIbLb1EESY_EEDaST_SU_EUlST_E_NS1_11comp_targetILNS1_3genE3ELNS1_11target_archE908ELNS1_3gpuE7ELNS1_3repE0EEENS1_30default_config_static_selectorELNS0_4arch9wavefront6targetE0EEEvT1_, .Lfunc_end468-_ZN7rocprim17ROCPRIM_400000_NS6detail17trampoline_kernelINS0_14default_configENS1_20scan_config_selectorIN3c108BFloat16EEEZZNS1_9scan_implILNS1_25lookback_scan_determinismE0ELb0ELb0ES3_PKS6_PS6_S6_ZZZN2at6native31launch_logcumsumexp_cuda_kernelERKNSD_10TensorBaseESH_lENKUlvE_clEvENKUlvE4_clEvEUlS6_S6_E_S6_EEDaPvRmT3_T4_T5_mT6_P12ihipStream_tbENKUlT_T0_E_clISt17integral_constantIbLb1EESY_EEDaST_SU_EUlST_E_NS1_11comp_targetILNS1_3genE3ELNS1_11target_archE908ELNS1_3gpuE7ELNS1_3repE0EEENS1_30default_config_static_selectorELNS0_4arch9wavefront6targetE0EEEvT1_
                                        ; -- End function
	.set _ZN7rocprim17ROCPRIM_400000_NS6detail17trampoline_kernelINS0_14default_configENS1_20scan_config_selectorIN3c108BFloat16EEEZZNS1_9scan_implILNS1_25lookback_scan_determinismE0ELb0ELb0ES3_PKS6_PS6_S6_ZZZN2at6native31launch_logcumsumexp_cuda_kernelERKNSD_10TensorBaseESH_lENKUlvE_clEvENKUlvE4_clEvEUlS6_S6_E_S6_EEDaPvRmT3_T4_T5_mT6_P12ihipStream_tbENKUlT_T0_E_clISt17integral_constantIbLb1EESY_EEDaST_SU_EUlST_E_NS1_11comp_targetILNS1_3genE3ELNS1_11target_archE908ELNS1_3gpuE7ELNS1_3repE0EEENS1_30default_config_static_selectorELNS0_4arch9wavefront6targetE0EEEvT1_.num_vgpr, 0
	.set _ZN7rocprim17ROCPRIM_400000_NS6detail17trampoline_kernelINS0_14default_configENS1_20scan_config_selectorIN3c108BFloat16EEEZZNS1_9scan_implILNS1_25lookback_scan_determinismE0ELb0ELb0ES3_PKS6_PS6_S6_ZZZN2at6native31launch_logcumsumexp_cuda_kernelERKNSD_10TensorBaseESH_lENKUlvE_clEvENKUlvE4_clEvEUlS6_S6_E_S6_EEDaPvRmT3_T4_T5_mT6_P12ihipStream_tbENKUlT_T0_E_clISt17integral_constantIbLb1EESY_EEDaST_SU_EUlST_E_NS1_11comp_targetILNS1_3genE3ELNS1_11target_archE908ELNS1_3gpuE7ELNS1_3repE0EEENS1_30default_config_static_selectorELNS0_4arch9wavefront6targetE0EEEvT1_.num_agpr, 0
	.set _ZN7rocprim17ROCPRIM_400000_NS6detail17trampoline_kernelINS0_14default_configENS1_20scan_config_selectorIN3c108BFloat16EEEZZNS1_9scan_implILNS1_25lookback_scan_determinismE0ELb0ELb0ES3_PKS6_PS6_S6_ZZZN2at6native31launch_logcumsumexp_cuda_kernelERKNSD_10TensorBaseESH_lENKUlvE_clEvENKUlvE4_clEvEUlS6_S6_E_S6_EEDaPvRmT3_T4_T5_mT6_P12ihipStream_tbENKUlT_T0_E_clISt17integral_constantIbLb1EESY_EEDaST_SU_EUlST_E_NS1_11comp_targetILNS1_3genE3ELNS1_11target_archE908ELNS1_3gpuE7ELNS1_3repE0EEENS1_30default_config_static_selectorELNS0_4arch9wavefront6targetE0EEEvT1_.numbered_sgpr, 0
	.set _ZN7rocprim17ROCPRIM_400000_NS6detail17trampoline_kernelINS0_14default_configENS1_20scan_config_selectorIN3c108BFloat16EEEZZNS1_9scan_implILNS1_25lookback_scan_determinismE0ELb0ELb0ES3_PKS6_PS6_S6_ZZZN2at6native31launch_logcumsumexp_cuda_kernelERKNSD_10TensorBaseESH_lENKUlvE_clEvENKUlvE4_clEvEUlS6_S6_E_S6_EEDaPvRmT3_T4_T5_mT6_P12ihipStream_tbENKUlT_T0_E_clISt17integral_constantIbLb1EESY_EEDaST_SU_EUlST_E_NS1_11comp_targetILNS1_3genE3ELNS1_11target_archE908ELNS1_3gpuE7ELNS1_3repE0EEENS1_30default_config_static_selectorELNS0_4arch9wavefront6targetE0EEEvT1_.num_named_barrier, 0
	.set _ZN7rocprim17ROCPRIM_400000_NS6detail17trampoline_kernelINS0_14default_configENS1_20scan_config_selectorIN3c108BFloat16EEEZZNS1_9scan_implILNS1_25lookback_scan_determinismE0ELb0ELb0ES3_PKS6_PS6_S6_ZZZN2at6native31launch_logcumsumexp_cuda_kernelERKNSD_10TensorBaseESH_lENKUlvE_clEvENKUlvE4_clEvEUlS6_S6_E_S6_EEDaPvRmT3_T4_T5_mT6_P12ihipStream_tbENKUlT_T0_E_clISt17integral_constantIbLb1EESY_EEDaST_SU_EUlST_E_NS1_11comp_targetILNS1_3genE3ELNS1_11target_archE908ELNS1_3gpuE7ELNS1_3repE0EEENS1_30default_config_static_selectorELNS0_4arch9wavefront6targetE0EEEvT1_.private_seg_size, 0
	.set _ZN7rocprim17ROCPRIM_400000_NS6detail17trampoline_kernelINS0_14default_configENS1_20scan_config_selectorIN3c108BFloat16EEEZZNS1_9scan_implILNS1_25lookback_scan_determinismE0ELb0ELb0ES3_PKS6_PS6_S6_ZZZN2at6native31launch_logcumsumexp_cuda_kernelERKNSD_10TensorBaseESH_lENKUlvE_clEvENKUlvE4_clEvEUlS6_S6_E_S6_EEDaPvRmT3_T4_T5_mT6_P12ihipStream_tbENKUlT_T0_E_clISt17integral_constantIbLb1EESY_EEDaST_SU_EUlST_E_NS1_11comp_targetILNS1_3genE3ELNS1_11target_archE908ELNS1_3gpuE7ELNS1_3repE0EEENS1_30default_config_static_selectorELNS0_4arch9wavefront6targetE0EEEvT1_.uses_vcc, 0
	.set _ZN7rocprim17ROCPRIM_400000_NS6detail17trampoline_kernelINS0_14default_configENS1_20scan_config_selectorIN3c108BFloat16EEEZZNS1_9scan_implILNS1_25lookback_scan_determinismE0ELb0ELb0ES3_PKS6_PS6_S6_ZZZN2at6native31launch_logcumsumexp_cuda_kernelERKNSD_10TensorBaseESH_lENKUlvE_clEvENKUlvE4_clEvEUlS6_S6_E_S6_EEDaPvRmT3_T4_T5_mT6_P12ihipStream_tbENKUlT_T0_E_clISt17integral_constantIbLb1EESY_EEDaST_SU_EUlST_E_NS1_11comp_targetILNS1_3genE3ELNS1_11target_archE908ELNS1_3gpuE7ELNS1_3repE0EEENS1_30default_config_static_selectorELNS0_4arch9wavefront6targetE0EEEvT1_.uses_flat_scratch, 0
	.set _ZN7rocprim17ROCPRIM_400000_NS6detail17trampoline_kernelINS0_14default_configENS1_20scan_config_selectorIN3c108BFloat16EEEZZNS1_9scan_implILNS1_25lookback_scan_determinismE0ELb0ELb0ES3_PKS6_PS6_S6_ZZZN2at6native31launch_logcumsumexp_cuda_kernelERKNSD_10TensorBaseESH_lENKUlvE_clEvENKUlvE4_clEvEUlS6_S6_E_S6_EEDaPvRmT3_T4_T5_mT6_P12ihipStream_tbENKUlT_T0_E_clISt17integral_constantIbLb1EESY_EEDaST_SU_EUlST_E_NS1_11comp_targetILNS1_3genE3ELNS1_11target_archE908ELNS1_3gpuE7ELNS1_3repE0EEENS1_30default_config_static_selectorELNS0_4arch9wavefront6targetE0EEEvT1_.has_dyn_sized_stack, 0
	.set _ZN7rocprim17ROCPRIM_400000_NS6detail17trampoline_kernelINS0_14default_configENS1_20scan_config_selectorIN3c108BFloat16EEEZZNS1_9scan_implILNS1_25lookback_scan_determinismE0ELb0ELb0ES3_PKS6_PS6_S6_ZZZN2at6native31launch_logcumsumexp_cuda_kernelERKNSD_10TensorBaseESH_lENKUlvE_clEvENKUlvE4_clEvEUlS6_S6_E_S6_EEDaPvRmT3_T4_T5_mT6_P12ihipStream_tbENKUlT_T0_E_clISt17integral_constantIbLb1EESY_EEDaST_SU_EUlST_E_NS1_11comp_targetILNS1_3genE3ELNS1_11target_archE908ELNS1_3gpuE7ELNS1_3repE0EEENS1_30default_config_static_selectorELNS0_4arch9wavefront6targetE0EEEvT1_.has_recursion, 0
	.set _ZN7rocprim17ROCPRIM_400000_NS6detail17trampoline_kernelINS0_14default_configENS1_20scan_config_selectorIN3c108BFloat16EEEZZNS1_9scan_implILNS1_25lookback_scan_determinismE0ELb0ELb0ES3_PKS6_PS6_S6_ZZZN2at6native31launch_logcumsumexp_cuda_kernelERKNSD_10TensorBaseESH_lENKUlvE_clEvENKUlvE4_clEvEUlS6_S6_E_S6_EEDaPvRmT3_T4_T5_mT6_P12ihipStream_tbENKUlT_T0_E_clISt17integral_constantIbLb1EESY_EEDaST_SU_EUlST_E_NS1_11comp_targetILNS1_3genE3ELNS1_11target_archE908ELNS1_3gpuE7ELNS1_3repE0EEENS1_30default_config_static_selectorELNS0_4arch9wavefront6targetE0EEEvT1_.has_indirect_call, 0
	.section	.AMDGPU.csdata,"",@progbits
; Kernel info:
; codeLenInByte = 0
; TotalNumSgprs: 0
; NumVgprs: 0
; ScratchSize: 0
; MemoryBound: 0
; FloatMode: 240
; IeeeMode: 1
; LDSByteSize: 0 bytes/workgroup (compile time only)
; SGPRBlocks: 0
; VGPRBlocks: 0
; NumSGPRsForWavesPerEU: 1
; NumVGPRsForWavesPerEU: 1
; Occupancy: 16
; WaveLimiterHint : 0
; COMPUTE_PGM_RSRC2:SCRATCH_EN: 0
; COMPUTE_PGM_RSRC2:USER_SGPR: 6
; COMPUTE_PGM_RSRC2:TRAP_HANDLER: 0
; COMPUTE_PGM_RSRC2:TGID_X_EN: 1
; COMPUTE_PGM_RSRC2:TGID_Y_EN: 0
; COMPUTE_PGM_RSRC2:TGID_Z_EN: 0
; COMPUTE_PGM_RSRC2:TIDIG_COMP_CNT: 0
	.section	.text._ZN7rocprim17ROCPRIM_400000_NS6detail17trampoline_kernelINS0_14default_configENS1_20scan_config_selectorIN3c108BFloat16EEEZZNS1_9scan_implILNS1_25lookback_scan_determinismE0ELb0ELb0ES3_PKS6_PS6_S6_ZZZN2at6native31launch_logcumsumexp_cuda_kernelERKNSD_10TensorBaseESH_lENKUlvE_clEvENKUlvE4_clEvEUlS6_S6_E_S6_EEDaPvRmT3_T4_T5_mT6_P12ihipStream_tbENKUlT_T0_E_clISt17integral_constantIbLb1EESY_EEDaST_SU_EUlST_E_NS1_11comp_targetILNS1_3genE2ELNS1_11target_archE906ELNS1_3gpuE6ELNS1_3repE0EEENS1_30default_config_static_selectorELNS0_4arch9wavefront6targetE0EEEvT1_,"axG",@progbits,_ZN7rocprim17ROCPRIM_400000_NS6detail17trampoline_kernelINS0_14default_configENS1_20scan_config_selectorIN3c108BFloat16EEEZZNS1_9scan_implILNS1_25lookback_scan_determinismE0ELb0ELb0ES3_PKS6_PS6_S6_ZZZN2at6native31launch_logcumsumexp_cuda_kernelERKNSD_10TensorBaseESH_lENKUlvE_clEvENKUlvE4_clEvEUlS6_S6_E_S6_EEDaPvRmT3_T4_T5_mT6_P12ihipStream_tbENKUlT_T0_E_clISt17integral_constantIbLb1EESY_EEDaST_SU_EUlST_E_NS1_11comp_targetILNS1_3genE2ELNS1_11target_archE906ELNS1_3gpuE6ELNS1_3repE0EEENS1_30default_config_static_selectorELNS0_4arch9wavefront6targetE0EEEvT1_,comdat
	.globl	_ZN7rocprim17ROCPRIM_400000_NS6detail17trampoline_kernelINS0_14default_configENS1_20scan_config_selectorIN3c108BFloat16EEEZZNS1_9scan_implILNS1_25lookback_scan_determinismE0ELb0ELb0ES3_PKS6_PS6_S6_ZZZN2at6native31launch_logcumsumexp_cuda_kernelERKNSD_10TensorBaseESH_lENKUlvE_clEvENKUlvE4_clEvEUlS6_S6_E_S6_EEDaPvRmT3_T4_T5_mT6_P12ihipStream_tbENKUlT_T0_E_clISt17integral_constantIbLb1EESY_EEDaST_SU_EUlST_E_NS1_11comp_targetILNS1_3genE2ELNS1_11target_archE906ELNS1_3gpuE6ELNS1_3repE0EEENS1_30default_config_static_selectorELNS0_4arch9wavefront6targetE0EEEvT1_ ; -- Begin function _ZN7rocprim17ROCPRIM_400000_NS6detail17trampoline_kernelINS0_14default_configENS1_20scan_config_selectorIN3c108BFloat16EEEZZNS1_9scan_implILNS1_25lookback_scan_determinismE0ELb0ELb0ES3_PKS6_PS6_S6_ZZZN2at6native31launch_logcumsumexp_cuda_kernelERKNSD_10TensorBaseESH_lENKUlvE_clEvENKUlvE4_clEvEUlS6_S6_E_S6_EEDaPvRmT3_T4_T5_mT6_P12ihipStream_tbENKUlT_T0_E_clISt17integral_constantIbLb1EESY_EEDaST_SU_EUlST_E_NS1_11comp_targetILNS1_3genE2ELNS1_11target_archE906ELNS1_3gpuE6ELNS1_3repE0EEENS1_30default_config_static_selectorELNS0_4arch9wavefront6targetE0EEEvT1_
	.p2align	8
	.type	_ZN7rocprim17ROCPRIM_400000_NS6detail17trampoline_kernelINS0_14default_configENS1_20scan_config_selectorIN3c108BFloat16EEEZZNS1_9scan_implILNS1_25lookback_scan_determinismE0ELb0ELb0ES3_PKS6_PS6_S6_ZZZN2at6native31launch_logcumsumexp_cuda_kernelERKNSD_10TensorBaseESH_lENKUlvE_clEvENKUlvE4_clEvEUlS6_S6_E_S6_EEDaPvRmT3_T4_T5_mT6_P12ihipStream_tbENKUlT_T0_E_clISt17integral_constantIbLb1EESY_EEDaST_SU_EUlST_E_NS1_11comp_targetILNS1_3genE2ELNS1_11target_archE906ELNS1_3gpuE6ELNS1_3repE0EEENS1_30default_config_static_selectorELNS0_4arch9wavefront6targetE0EEEvT1_,@function
_ZN7rocprim17ROCPRIM_400000_NS6detail17trampoline_kernelINS0_14default_configENS1_20scan_config_selectorIN3c108BFloat16EEEZZNS1_9scan_implILNS1_25lookback_scan_determinismE0ELb0ELb0ES3_PKS6_PS6_S6_ZZZN2at6native31launch_logcumsumexp_cuda_kernelERKNSD_10TensorBaseESH_lENKUlvE_clEvENKUlvE4_clEvEUlS6_S6_E_S6_EEDaPvRmT3_T4_T5_mT6_P12ihipStream_tbENKUlT_T0_E_clISt17integral_constantIbLb1EESY_EEDaST_SU_EUlST_E_NS1_11comp_targetILNS1_3genE2ELNS1_11target_archE906ELNS1_3gpuE6ELNS1_3repE0EEENS1_30default_config_static_selectorELNS0_4arch9wavefront6targetE0EEEvT1_: ; @_ZN7rocprim17ROCPRIM_400000_NS6detail17trampoline_kernelINS0_14default_configENS1_20scan_config_selectorIN3c108BFloat16EEEZZNS1_9scan_implILNS1_25lookback_scan_determinismE0ELb0ELb0ES3_PKS6_PS6_S6_ZZZN2at6native31launch_logcumsumexp_cuda_kernelERKNSD_10TensorBaseESH_lENKUlvE_clEvENKUlvE4_clEvEUlS6_S6_E_S6_EEDaPvRmT3_T4_T5_mT6_P12ihipStream_tbENKUlT_T0_E_clISt17integral_constantIbLb1EESY_EEDaST_SU_EUlST_E_NS1_11comp_targetILNS1_3genE2ELNS1_11target_archE906ELNS1_3gpuE6ELNS1_3repE0EEENS1_30default_config_static_selectorELNS0_4arch9wavefront6targetE0EEEvT1_
; %bb.0:
	.section	.rodata,"a",@progbits
	.p2align	6, 0x0
	.amdhsa_kernel _ZN7rocprim17ROCPRIM_400000_NS6detail17trampoline_kernelINS0_14default_configENS1_20scan_config_selectorIN3c108BFloat16EEEZZNS1_9scan_implILNS1_25lookback_scan_determinismE0ELb0ELb0ES3_PKS6_PS6_S6_ZZZN2at6native31launch_logcumsumexp_cuda_kernelERKNSD_10TensorBaseESH_lENKUlvE_clEvENKUlvE4_clEvEUlS6_S6_E_S6_EEDaPvRmT3_T4_T5_mT6_P12ihipStream_tbENKUlT_T0_E_clISt17integral_constantIbLb1EESY_EEDaST_SU_EUlST_E_NS1_11comp_targetILNS1_3genE2ELNS1_11target_archE906ELNS1_3gpuE6ELNS1_3repE0EEENS1_30default_config_static_selectorELNS0_4arch9wavefront6targetE0EEEvT1_
		.amdhsa_group_segment_fixed_size 0
		.amdhsa_private_segment_fixed_size 0
		.amdhsa_kernarg_size 96
		.amdhsa_user_sgpr_count 6
		.amdhsa_user_sgpr_private_segment_buffer 1
		.amdhsa_user_sgpr_dispatch_ptr 0
		.amdhsa_user_sgpr_queue_ptr 0
		.amdhsa_user_sgpr_kernarg_segment_ptr 1
		.amdhsa_user_sgpr_dispatch_id 0
		.amdhsa_user_sgpr_flat_scratch_init 0
		.amdhsa_user_sgpr_private_segment_size 0
		.amdhsa_wavefront_size32 1
		.amdhsa_uses_dynamic_stack 0
		.amdhsa_system_sgpr_private_segment_wavefront_offset 0
		.amdhsa_system_sgpr_workgroup_id_x 1
		.amdhsa_system_sgpr_workgroup_id_y 0
		.amdhsa_system_sgpr_workgroup_id_z 0
		.amdhsa_system_sgpr_workgroup_info 0
		.amdhsa_system_vgpr_workitem_id 0
		.amdhsa_next_free_vgpr 1
		.amdhsa_next_free_sgpr 1
		.amdhsa_reserve_vcc 0
		.amdhsa_reserve_flat_scratch 0
		.amdhsa_float_round_mode_32 0
		.amdhsa_float_round_mode_16_64 0
		.amdhsa_float_denorm_mode_32 3
		.amdhsa_float_denorm_mode_16_64 3
		.amdhsa_dx10_clamp 1
		.amdhsa_ieee_mode 1
		.amdhsa_fp16_overflow 0
		.amdhsa_workgroup_processor_mode 1
		.amdhsa_memory_ordered 1
		.amdhsa_forward_progress 1
		.amdhsa_shared_vgpr_count 0
		.amdhsa_exception_fp_ieee_invalid_op 0
		.amdhsa_exception_fp_denorm_src 0
		.amdhsa_exception_fp_ieee_div_zero 0
		.amdhsa_exception_fp_ieee_overflow 0
		.amdhsa_exception_fp_ieee_underflow 0
		.amdhsa_exception_fp_ieee_inexact 0
		.amdhsa_exception_int_div_zero 0
	.end_amdhsa_kernel
	.section	.text._ZN7rocprim17ROCPRIM_400000_NS6detail17trampoline_kernelINS0_14default_configENS1_20scan_config_selectorIN3c108BFloat16EEEZZNS1_9scan_implILNS1_25lookback_scan_determinismE0ELb0ELb0ES3_PKS6_PS6_S6_ZZZN2at6native31launch_logcumsumexp_cuda_kernelERKNSD_10TensorBaseESH_lENKUlvE_clEvENKUlvE4_clEvEUlS6_S6_E_S6_EEDaPvRmT3_T4_T5_mT6_P12ihipStream_tbENKUlT_T0_E_clISt17integral_constantIbLb1EESY_EEDaST_SU_EUlST_E_NS1_11comp_targetILNS1_3genE2ELNS1_11target_archE906ELNS1_3gpuE6ELNS1_3repE0EEENS1_30default_config_static_selectorELNS0_4arch9wavefront6targetE0EEEvT1_,"axG",@progbits,_ZN7rocprim17ROCPRIM_400000_NS6detail17trampoline_kernelINS0_14default_configENS1_20scan_config_selectorIN3c108BFloat16EEEZZNS1_9scan_implILNS1_25lookback_scan_determinismE0ELb0ELb0ES3_PKS6_PS6_S6_ZZZN2at6native31launch_logcumsumexp_cuda_kernelERKNSD_10TensorBaseESH_lENKUlvE_clEvENKUlvE4_clEvEUlS6_S6_E_S6_EEDaPvRmT3_T4_T5_mT6_P12ihipStream_tbENKUlT_T0_E_clISt17integral_constantIbLb1EESY_EEDaST_SU_EUlST_E_NS1_11comp_targetILNS1_3genE2ELNS1_11target_archE906ELNS1_3gpuE6ELNS1_3repE0EEENS1_30default_config_static_selectorELNS0_4arch9wavefront6targetE0EEEvT1_,comdat
.Lfunc_end469:
	.size	_ZN7rocprim17ROCPRIM_400000_NS6detail17trampoline_kernelINS0_14default_configENS1_20scan_config_selectorIN3c108BFloat16EEEZZNS1_9scan_implILNS1_25lookback_scan_determinismE0ELb0ELb0ES3_PKS6_PS6_S6_ZZZN2at6native31launch_logcumsumexp_cuda_kernelERKNSD_10TensorBaseESH_lENKUlvE_clEvENKUlvE4_clEvEUlS6_S6_E_S6_EEDaPvRmT3_T4_T5_mT6_P12ihipStream_tbENKUlT_T0_E_clISt17integral_constantIbLb1EESY_EEDaST_SU_EUlST_E_NS1_11comp_targetILNS1_3genE2ELNS1_11target_archE906ELNS1_3gpuE6ELNS1_3repE0EEENS1_30default_config_static_selectorELNS0_4arch9wavefront6targetE0EEEvT1_, .Lfunc_end469-_ZN7rocprim17ROCPRIM_400000_NS6detail17trampoline_kernelINS0_14default_configENS1_20scan_config_selectorIN3c108BFloat16EEEZZNS1_9scan_implILNS1_25lookback_scan_determinismE0ELb0ELb0ES3_PKS6_PS6_S6_ZZZN2at6native31launch_logcumsumexp_cuda_kernelERKNSD_10TensorBaseESH_lENKUlvE_clEvENKUlvE4_clEvEUlS6_S6_E_S6_EEDaPvRmT3_T4_T5_mT6_P12ihipStream_tbENKUlT_T0_E_clISt17integral_constantIbLb1EESY_EEDaST_SU_EUlST_E_NS1_11comp_targetILNS1_3genE2ELNS1_11target_archE906ELNS1_3gpuE6ELNS1_3repE0EEENS1_30default_config_static_selectorELNS0_4arch9wavefront6targetE0EEEvT1_
                                        ; -- End function
	.set _ZN7rocprim17ROCPRIM_400000_NS6detail17trampoline_kernelINS0_14default_configENS1_20scan_config_selectorIN3c108BFloat16EEEZZNS1_9scan_implILNS1_25lookback_scan_determinismE0ELb0ELb0ES3_PKS6_PS6_S6_ZZZN2at6native31launch_logcumsumexp_cuda_kernelERKNSD_10TensorBaseESH_lENKUlvE_clEvENKUlvE4_clEvEUlS6_S6_E_S6_EEDaPvRmT3_T4_T5_mT6_P12ihipStream_tbENKUlT_T0_E_clISt17integral_constantIbLb1EESY_EEDaST_SU_EUlST_E_NS1_11comp_targetILNS1_3genE2ELNS1_11target_archE906ELNS1_3gpuE6ELNS1_3repE0EEENS1_30default_config_static_selectorELNS0_4arch9wavefront6targetE0EEEvT1_.num_vgpr, 0
	.set _ZN7rocprim17ROCPRIM_400000_NS6detail17trampoline_kernelINS0_14default_configENS1_20scan_config_selectorIN3c108BFloat16EEEZZNS1_9scan_implILNS1_25lookback_scan_determinismE0ELb0ELb0ES3_PKS6_PS6_S6_ZZZN2at6native31launch_logcumsumexp_cuda_kernelERKNSD_10TensorBaseESH_lENKUlvE_clEvENKUlvE4_clEvEUlS6_S6_E_S6_EEDaPvRmT3_T4_T5_mT6_P12ihipStream_tbENKUlT_T0_E_clISt17integral_constantIbLb1EESY_EEDaST_SU_EUlST_E_NS1_11comp_targetILNS1_3genE2ELNS1_11target_archE906ELNS1_3gpuE6ELNS1_3repE0EEENS1_30default_config_static_selectorELNS0_4arch9wavefront6targetE0EEEvT1_.num_agpr, 0
	.set _ZN7rocprim17ROCPRIM_400000_NS6detail17trampoline_kernelINS0_14default_configENS1_20scan_config_selectorIN3c108BFloat16EEEZZNS1_9scan_implILNS1_25lookback_scan_determinismE0ELb0ELb0ES3_PKS6_PS6_S6_ZZZN2at6native31launch_logcumsumexp_cuda_kernelERKNSD_10TensorBaseESH_lENKUlvE_clEvENKUlvE4_clEvEUlS6_S6_E_S6_EEDaPvRmT3_T4_T5_mT6_P12ihipStream_tbENKUlT_T0_E_clISt17integral_constantIbLb1EESY_EEDaST_SU_EUlST_E_NS1_11comp_targetILNS1_3genE2ELNS1_11target_archE906ELNS1_3gpuE6ELNS1_3repE0EEENS1_30default_config_static_selectorELNS0_4arch9wavefront6targetE0EEEvT1_.numbered_sgpr, 0
	.set _ZN7rocprim17ROCPRIM_400000_NS6detail17trampoline_kernelINS0_14default_configENS1_20scan_config_selectorIN3c108BFloat16EEEZZNS1_9scan_implILNS1_25lookback_scan_determinismE0ELb0ELb0ES3_PKS6_PS6_S6_ZZZN2at6native31launch_logcumsumexp_cuda_kernelERKNSD_10TensorBaseESH_lENKUlvE_clEvENKUlvE4_clEvEUlS6_S6_E_S6_EEDaPvRmT3_T4_T5_mT6_P12ihipStream_tbENKUlT_T0_E_clISt17integral_constantIbLb1EESY_EEDaST_SU_EUlST_E_NS1_11comp_targetILNS1_3genE2ELNS1_11target_archE906ELNS1_3gpuE6ELNS1_3repE0EEENS1_30default_config_static_selectorELNS0_4arch9wavefront6targetE0EEEvT1_.num_named_barrier, 0
	.set _ZN7rocprim17ROCPRIM_400000_NS6detail17trampoline_kernelINS0_14default_configENS1_20scan_config_selectorIN3c108BFloat16EEEZZNS1_9scan_implILNS1_25lookback_scan_determinismE0ELb0ELb0ES3_PKS6_PS6_S6_ZZZN2at6native31launch_logcumsumexp_cuda_kernelERKNSD_10TensorBaseESH_lENKUlvE_clEvENKUlvE4_clEvEUlS6_S6_E_S6_EEDaPvRmT3_T4_T5_mT6_P12ihipStream_tbENKUlT_T0_E_clISt17integral_constantIbLb1EESY_EEDaST_SU_EUlST_E_NS1_11comp_targetILNS1_3genE2ELNS1_11target_archE906ELNS1_3gpuE6ELNS1_3repE0EEENS1_30default_config_static_selectorELNS0_4arch9wavefront6targetE0EEEvT1_.private_seg_size, 0
	.set _ZN7rocprim17ROCPRIM_400000_NS6detail17trampoline_kernelINS0_14default_configENS1_20scan_config_selectorIN3c108BFloat16EEEZZNS1_9scan_implILNS1_25lookback_scan_determinismE0ELb0ELb0ES3_PKS6_PS6_S6_ZZZN2at6native31launch_logcumsumexp_cuda_kernelERKNSD_10TensorBaseESH_lENKUlvE_clEvENKUlvE4_clEvEUlS6_S6_E_S6_EEDaPvRmT3_T4_T5_mT6_P12ihipStream_tbENKUlT_T0_E_clISt17integral_constantIbLb1EESY_EEDaST_SU_EUlST_E_NS1_11comp_targetILNS1_3genE2ELNS1_11target_archE906ELNS1_3gpuE6ELNS1_3repE0EEENS1_30default_config_static_selectorELNS0_4arch9wavefront6targetE0EEEvT1_.uses_vcc, 0
	.set _ZN7rocprim17ROCPRIM_400000_NS6detail17trampoline_kernelINS0_14default_configENS1_20scan_config_selectorIN3c108BFloat16EEEZZNS1_9scan_implILNS1_25lookback_scan_determinismE0ELb0ELb0ES3_PKS6_PS6_S6_ZZZN2at6native31launch_logcumsumexp_cuda_kernelERKNSD_10TensorBaseESH_lENKUlvE_clEvENKUlvE4_clEvEUlS6_S6_E_S6_EEDaPvRmT3_T4_T5_mT6_P12ihipStream_tbENKUlT_T0_E_clISt17integral_constantIbLb1EESY_EEDaST_SU_EUlST_E_NS1_11comp_targetILNS1_3genE2ELNS1_11target_archE906ELNS1_3gpuE6ELNS1_3repE0EEENS1_30default_config_static_selectorELNS0_4arch9wavefront6targetE0EEEvT1_.uses_flat_scratch, 0
	.set _ZN7rocprim17ROCPRIM_400000_NS6detail17trampoline_kernelINS0_14default_configENS1_20scan_config_selectorIN3c108BFloat16EEEZZNS1_9scan_implILNS1_25lookback_scan_determinismE0ELb0ELb0ES3_PKS6_PS6_S6_ZZZN2at6native31launch_logcumsumexp_cuda_kernelERKNSD_10TensorBaseESH_lENKUlvE_clEvENKUlvE4_clEvEUlS6_S6_E_S6_EEDaPvRmT3_T4_T5_mT6_P12ihipStream_tbENKUlT_T0_E_clISt17integral_constantIbLb1EESY_EEDaST_SU_EUlST_E_NS1_11comp_targetILNS1_3genE2ELNS1_11target_archE906ELNS1_3gpuE6ELNS1_3repE0EEENS1_30default_config_static_selectorELNS0_4arch9wavefront6targetE0EEEvT1_.has_dyn_sized_stack, 0
	.set _ZN7rocprim17ROCPRIM_400000_NS6detail17trampoline_kernelINS0_14default_configENS1_20scan_config_selectorIN3c108BFloat16EEEZZNS1_9scan_implILNS1_25lookback_scan_determinismE0ELb0ELb0ES3_PKS6_PS6_S6_ZZZN2at6native31launch_logcumsumexp_cuda_kernelERKNSD_10TensorBaseESH_lENKUlvE_clEvENKUlvE4_clEvEUlS6_S6_E_S6_EEDaPvRmT3_T4_T5_mT6_P12ihipStream_tbENKUlT_T0_E_clISt17integral_constantIbLb1EESY_EEDaST_SU_EUlST_E_NS1_11comp_targetILNS1_3genE2ELNS1_11target_archE906ELNS1_3gpuE6ELNS1_3repE0EEENS1_30default_config_static_selectorELNS0_4arch9wavefront6targetE0EEEvT1_.has_recursion, 0
	.set _ZN7rocprim17ROCPRIM_400000_NS6detail17trampoline_kernelINS0_14default_configENS1_20scan_config_selectorIN3c108BFloat16EEEZZNS1_9scan_implILNS1_25lookback_scan_determinismE0ELb0ELb0ES3_PKS6_PS6_S6_ZZZN2at6native31launch_logcumsumexp_cuda_kernelERKNSD_10TensorBaseESH_lENKUlvE_clEvENKUlvE4_clEvEUlS6_S6_E_S6_EEDaPvRmT3_T4_T5_mT6_P12ihipStream_tbENKUlT_T0_E_clISt17integral_constantIbLb1EESY_EEDaST_SU_EUlST_E_NS1_11comp_targetILNS1_3genE2ELNS1_11target_archE906ELNS1_3gpuE6ELNS1_3repE0EEENS1_30default_config_static_selectorELNS0_4arch9wavefront6targetE0EEEvT1_.has_indirect_call, 0
	.section	.AMDGPU.csdata,"",@progbits
; Kernel info:
; codeLenInByte = 0
; TotalNumSgprs: 0
; NumVgprs: 0
; ScratchSize: 0
; MemoryBound: 0
; FloatMode: 240
; IeeeMode: 1
; LDSByteSize: 0 bytes/workgroup (compile time only)
; SGPRBlocks: 0
; VGPRBlocks: 0
; NumSGPRsForWavesPerEU: 1
; NumVGPRsForWavesPerEU: 1
; Occupancy: 16
; WaveLimiterHint : 0
; COMPUTE_PGM_RSRC2:SCRATCH_EN: 0
; COMPUTE_PGM_RSRC2:USER_SGPR: 6
; COMPUTE_PGM_RSRC2:TRAP_HANDLER: 0
; COMPUTE_PGM_RSRC2:TGID_X_EN: 1
; COMPUTE_PGM_RSRC2:TGID_Y_EN: 0
; COMPUTE_PGM_RSRC2:TGID_Z_EN: 0
; COMPUTE_PGM_RSRC2:TIDIG_COMP_CNT: 0
	.section	.text._ZN7rocprim17ROCPRIM_400000_NS6detail17trampoline_kernelINS0_14default_configENS1_20scan_config_selectorIN3c108BFloat16EEEZZNS1_9scan_implILNS1_25lookback_scan_determinismE0ELb0ELb0ES3_PKS6_PS6_S6_ZZZN2at6native31launch_logcumsumexp_cuda_kernelERKNSD_10TensorBaseESH_lENKUlvE_clEvENKUlvE4_clEvEUlS6_S6_E_S6_EEDaPvRmT3_T4_T5_mT6_P12ihipStream_tbENKUlT_T0_E_clISt17integral_constantIbLb1EESY_EEDaST_SU_EUlST_E_NS1_11comp_targetILNS1_3genE10ELNS1_11target_archE1201ELNS1_3gpuE5ELNS1_3repE0EEENS1_30default_config_static_selectorELNS0_4arch9wavefront6targetE0EEEvT1_,"axG",@progbits,_ZN7rocprim17ROCPRIM_400000_NS6detail17trampoline_kernelINS0_14default_configENS1_20scan_config_selectorIN3c108BFloat16EEEZZNS1_9scan_implILNS1_25lookback_scan_determinismE0ELb0ELb0ES3_PKS6_PS6_S6_ZZZN2at6native31launch_logcumsumexp_cuda_kernelERKNSD_10TensorBaseESH_lENKUlvE_clEvENKUlvE4_clEvEUlS6_S6_E_S6_EEDaPvRmT3_T4_T5_mT6_P12ihipStream_tbENKUlT_T0_E_clISt17integral_constantIbLb1EESY_EEDaST_SU_EUlST_E_NS1_11comp_targetILNS1_3genE10ELNS1_11target_archE1201ELNS1_3gpuE5ELNS1_3repE0EEENS1_30default_config_static_selectorELNS0_4arch9wavefront6targetE0EEEvT1_,comdat
	.globl	_ZN7rocprim17ROCPRIM_400000_NS6detail17trampoline_kernelINS0_14default_configENS1_20scan_config_selectorIN3c108BFloat16EEEZZNS1_9scan_implILNS1_25lookback_scan_determinismE0ELb0ELb0ES3_PKS6_PS6_S6_ZZZN2at6native31launch_logcumsumexp_cuda_kernelERKNSD_10TensorBaseESH_lENKUlvE_clEvENKUlvE4_clEvEUlS6_S6_E_S6_EEDaPvRmT3_T4_T5_mT6_P12ihipStream_tbENKUlT_T0_E_clISt17integral_constantIbLb1EESY_EEDaST_SU_EUlST_E_NS1_11comp_targetILNS1_3genE10ELNS1_11target_archE1201ELNS1_3gpuE5ELNS1_3repE0EEENS1_30default_config_static_selectorELNS0_4arch9wavefront6targetE0EEEvT1_ ; -- Begin function _ZN7rocprim17ROCPRIM_400000_NS6detail17trampoline_kernelINS0_14default_configENS1_20scan_config_selectorIN3c108BFloat16EEEZZNS1_9scan_implILNS1_25lookback_scan_determinismE0ELb0ELb0ES3_PKS6_PS6_S6_ZZZN2at6native31launch_logcumsumexp_cuda_kernelERKNSD_10TensorBaseESH_lENKUlvE_clEvENKUlvE4_clEvEUlS6_S6_E_S6_EEDaPvRmT3_T4_T5_mT6_P12ihipStream_tbENKUlT_T0_E_clISt17integral_constantIbLb1EESY_EEDaST_SU_EUlST_E_NS1_11comp_targetILNS1_3genE10ELNS1_11target_archE1201ELNS1_3gpuE5ELNS1_3repE0EEENS1_30default_config_static_selectorELNS0_4arch9wavefront6targetE0EEEvT1_
	.p2align	8
	.type	_ZN7rocprim17ROCPRIM_400000_NS6detail17trampoline_kernelINS0_14default_configENS1_20scan_config_selectorIN3c108BFloat16EEEZZNS1_9scan_implILNS1_25lookback_scan_determinismE0ELb0ELb0ES3_PKS6_PS6_S6_ZZZN2at6native31launch_logcumsumexp_cuda_kernelERKNSD_10TensorBaseESH_lENKUlvE_clEvENKUlvE4_clEvEUlS6_S6_E_S6_EEDaPvRmT3_T4_T5_mT6_P12ihipStream_tbENKUlT_T0_E_clISt17integral_constantIbLb1EESY_EEDaST_SU_EUlST_E_NS1_11comp_targetILNS1_3genE10ELNS1_11target_archE1201ELNS1_3gpuE5ELNS1_3repE0EEENS1_30default_config_static_selectorELNS0_4arch9wavefront6targetE0EEEvT1_,@function
_ZN7rocprim17ROCPRIM_400000_NS6detail17trampoline_kernelINS0_14default_configENS1_20scan_config_selectorIN3c108BFloat16EEEZZNS1_9scan_implILNS1_25lookback_scan_determinismE0ELb0ELb0ES3_PKS6_PS6_S6_ZZZN2at6native31launch_logcumsumexp_cuda_kernelERKNSD_10TensorBaseESH_lENKUlvE_clEvENKUlvE4_clEvEUlS6_S6_E_S6_EEDaPvRmT3_T4_T5_mT6_P12ihipStream_tbENKUlT_T0_E_clISt17integral_constantIbLb1EESY_EEDaST_SU_EUlST_E_NS1_11comp_targetILNS1_3genE10ELNS1_11target_archE1201ELNS1_3gpuE5ELNS1_3repE0EEENS1_30default_config_static_selectorELNS0_4arch9wavefront6targetE0EEEvT1_: ; @_ZN7rocprim17ROCPRIM_400000_NS6detail17trampoline_kernelINS0_14default_configENS1_20scan_config_selectorIN3c108BFloat16EEEZZNS1_9scan_implILNS1_25lookback_scan_determinismE0ELb0ELb0ES3_PKS6_PS6_S6_ZZZN2at6native31launch_logcumsumexp_cuda_kernelERKNSD_10TensorBaseESH_lENKUlvE_clEvENKUlvE4_clEvEUlS6_S6_E_S6_EEDaPvRmT3_T4_T5_mT6_P12ihipStream_tbENKUlT_T0_E_clISt17integral_constantIbLb1EESY_EEDaST_SU_EUlST_E_NS1_11comp_targetILNS1_3genE10ELNS1_11target_archE1201ELNS1_3gpuE5ELNS1_3repE0EEENS1_30default_config_static_selectorELNS0_4arch9wavefront6targetE0EEEvT1_
; %bb.0:
	.section	.rodata,"a",@progbits
	.p2align	6, 0x0
	.amdhsa_kernel _ZN7rocprim17ROCPRIM_400000_NS6detail17trampoline_kernelINS0_14default_configENS1_20scan_config_selectorIN3c108BFloat16EEEZZNS1_9scan_implILNS1_25lookback_scan_determinismE0ELb0ELb0ES3_PKS6_PS6_S6_ZZZN2at6native31launch_logcumsumexp_cuda_kernelERKNSD_10TensorBaseESH_lENKUlvE_clEvENKUlvE4_clEvEUlS6_S6_E_S6_EEDaPvRmT3_T4_T5_mT6_P12ihipStream_tbENKUlT_T0_E_clISt17integral_constantIbLb1EESY_EEDaST_SU_EUlST_E_NS1_11comp_targetILNS1_3genE10ELNS1_11target_archE1201ELNS1_3gpuE5ELNS1_3repE0EEENS1_30default_config_static_selectorELNS0_4arch9wavefront6targetE0EEEvT1_
		.amdhsa_group_segment_fixed_size 0
		.amdhsa_private_segment_fixed_size 0
		.amdhsa_kernarg_size 96
		.amdhsa_user_sgpr_count 6
		.amdhsa_user_sgpr_private_segment_buffer 1
		.amdhsa_user_sgpr_dispatch_ptr 0
		.amdhsa_user_sgpr_queue_ptr 0
		.amdhsa_user_sgpr_kernarg_segment_ptr 1
		.amdhsa_user_sgpr_dispatch_id 0
		.amdhsa_user_sgpr_flat_scratch_init 0
		.amdhsa_user_sgpr_private_segment_size 0
		.amdhsa_wavefront_size32 1
		.amdhsa_uses_dynamic_stack 0
		.amdhsa_system_sgpr_private_segment_wavefront_offset 0
		.amdhsa_system_sgpr_workgroup_id_x 1
		.amdhsa_system_sgpr_workgroup_id_y 0
		.amdhsa_system_sgpr_workgroup_id_z 0
		.amdhsa_system_sgpr_workgroup_info 0
		.amdhsa_system_vgpr_workitem_id 0
		.amdhsa_next_free_vgpr 1
		.amdhsa_next_free_sgpr 1
		.amdhsa_reserve_vcc 0
		.amdhsa_reserve_flat_scratch 0
		.amdhsa_float_round_mode_32 0
		.amdhsa_float_round_mode_16_64 0
		.amdhsa_float_denorm_mode_32 3
		.amdhsa_float_denorm_mode_16_64 3
		.amdhsa_dx10_clamp 1
		.amdhsa_ieee_mode 1
		.amdhsa_fp16_overflow 0
		.amdhsa_workgroup_processor_mode 1
		.amdhsa_memory_ordered 1
		.amdhsa_forward_progress 1
		.amdhsa_shared_vgpr_count 0
		.amdhsa_exception_fp_ieee_invalid_op 0
		.amdhsa_exception_fp_denorm_src 0
		.amdhsa_exception_fp_ieee_div_zero 0
		.amdhsa_exception_fp_ieee_overflow 0
		.amdhsa_exception_fp_ieee_underflow 0
		.amdhsa_exception_fp_ieee_inexact 0
		.amdhsa_exception_int_div_zero 0
	.end_amdhsa_kernel
	.section	.text._ZN7rocprim17ROCPRIM_400000_NS6detail17trampoline_kernelINS0_14default_configENS1_20scan_config_selectorIN3c108BFloat16EEEZZNS1_9scan_implILNS1_25lookback_scan_determinismE0ELb0ELb0ES3_PKS6_PS6_S6_ZZZN2at6native31launch_logcumsumexp_cuda_kernelERKNSD_10TensorBaseESH_lENKUlvE_clEvENKUlvE4_clEvEUlS6_S6_E_S6_EEDaPvRmT3_T4_T5_mT6_P12ihipStream_tbENKUlT_T0_E_clISt17integral_constantIbLb1EESY_EEDaST_SU_EUlST_E_NS1_11comp_targetILNS1_3genE10ELNS1_11target_archE1201ELNS1_3gpuE5ELNS1_3repE0EEENS1_30default_config_static_selectorELNS0_4arch9wavefront6targetE0EEEvT1_,"axG",@progbits,_ZN7rocprim17ROCPRIM_400000_NS6detail17trampoline_kernelINS0_14default_configENS1_20scan_config_selectorIN3c108BFloat16EEEZZNS1_9scan_implILNS1_25lookback_scan_determinismE0ELb0ELb0ES3_PKS6_PS6_S6_ZZZN2at6native31launch_logcumsumexp_cuda_kernelERKNSD_10TensorBaseESH_lENKUlvE_clEvENKUlvE4_clEvEUlS6_S6_E_S6_EEDaPvRmT3_T4_T5_mT6_P12ihipStream_tbENKUlT_T0_E_clISt17integral_constantIbLb1EESY_EEDaST_SU_EUlST_E_NS1_11comp_targetILNS1_3genE10ELNS1_11target_archE1201ELNS1_3gpuE5ELNS1_3repE0EEENS1_30default_config_static_selectorELNS0_4arch9wavefront6targetE0EEEvT1_,comdat
.Lfunc_end470:
	.size	_ZN7rocprim17ROCPRIM_400000_NS6detail17trampoline_kernelINS0_14default_configENS1_20scan_config_selectorIN3c108BFloat16EEEZZNS1_9scan_implILNS1_25lookback_scan_determinismE0ELb0ELb0ES3_PKS6_PS6_S6_ZZZN2at6native31launch_logcumsumexp_cuda_kernelERKNSD_10TensorBaseESH_lENKUlvE_clEvENKUlvE4_clEvEUlS6_S6_E_S6_EEDaPvRmT3_T4_T5_mT6_P12ihipStream_tbENKUlT_T0_E_clISt17integral_constantIbLb1EESY_EEDaST_SU_EUlST_E_NS1_11comp_targetILNS1_3genE10ELNS1_11target_archE1201ELNS1_3gpuE5ELNS1_3repE0EEENS1_30default_config_static_selectorELNS0_4arch9wavefront6targetE0EEEvT1_, .Lfunc_end470-_ZN7rocprim17ROCPRIM_400000_NS6detail17trampoline_kernelINS0_14default_configENS1_20scan_config_selectorIN3c108BFloat16EEEZZNS1_9scan_implILNS1_25lookback_scan_determinismE0ELb0ELb0ES3_PKS6_PS6_S6_ZZZN2at6native31launch_logcumsumexp_cuda_kernelERKNSD_10TensorBaseESH_lENKUlvE_clEvENKUlvE4_clEvEUlS6_S6_E_S6_EEDaPvRmT3_T4_T5_mT6_P12ihipStream_tbENKUlT_T0_E_clISt17integral_constantIbLb1EESY_EEDaST_SU_EUlST_E_NS1_11comp_targetILNS1_3genE10ELNS1_11target_archE1201ELNS1_3gpuE5ELNS1_3repE0EEENS1_30default_config_static_selectorELNS0_4arch9wavefront6targetE0EEEvT1_
                                        ; -- End function
	.set _ZN7rocprim17ROCPRIM_400000_NS6detail17trampoline_kernelINS0_14default_configENS1_20scan_config_selectorIN3c108BFloat16EEEZZNS1_9scan_implILNS1_25lookback_scan_determinismE0ELb0ELb0ES3_PKS6_PS6_S6_ZZZN2at6native31launch_logcumsumexp_cuda_kernelERKNSD_10TensorBaseESH_lENKUlvE_clEvENKUlvE4_clEvEUlS6_S6_E_S6_EEDaPvRmT3_T4_T5_mT6_P12ihipStream_tbENKUlT_T0_E_clISt17integral_constantIbLb1EESY_EEDaST_SU_EUlST_E_NS1_11comp_targetILNS1_3genE10ELNS1_11target_archE1201ELNS1_3gpuE5ELNS1_3repE0EEENS1_30default_config_static_selectorELNS0_4arch9wavefront6targetE0EEEvT1_.num_vgpr, 0
	.set _ZN7rocprim17ROCPRIM_400000_NS6detail17trampoline_kernelINS0_14default_configENS1_20scan_config_selectorIN3c108BFloat16EEEZZNS1_9scan_implILNS1_25lookback_scan_determinismE0ELb0ELb0ES3_PKS6_PS6_S6_ZZZN2at6native31launch_logcumsumexp_cuda_kernelERKNSD_10TensorBaseESH_lENKUlvE_clEvENKUlvE4_clEvEUlS6_S6_E_S6_EEDaPvRmT3_T4_T5_mT6_P12ihipStream_tbENKUlT_T0_E_clISt17integral_constantIbLb1EESY_EEDaST_SU_EUlST_E_NS1_11comp_targetILNS1_3genE10ELNS1_11target_archE1201ELNS1_3gpuE5ELNS1_3repE0EEENS1_30default_config_static_selectorELNS0_4arch9wavefront6targetE0EEEvT1_.num_agpr, 0
	.set _ZN7rocprim17ROCPRIM_400000_NS6detail17trampoline_kernelINS0_14default_configENS1_20scan_config_selectorIN3c108BFloat16EEEZZNS1_9scan_implILNS1_25lookback_scan_determinismE0ELb0ELb0ES3_PKS6_PS6_S6_ZZZN2at6native31launch_logcumsumexp_cuda_kernelERKNSD_10TensorBaseESH_lENKUlvE_clEvENKUlvE4_clEvEUlS6_S6_E_S6_EEDaPvRmT3_T4_T5_mT6_P12ihipStream_tbENKUlT_T0_E_clISt17integral_constantIbLb1EESY_EEDaST_SU_EUlST_E_NS1_11comp_targetILNS1_3genE10ELNS1_11target_archE1201ELNS1_3gpuE5ELNS1_3repE0EEENS1_30default_config_static_selectorELNS0_4arch9wavefront6targetE0EEEvT1_.numbered_sgpr, 0
	.set _ZN7rocprim17ROCPRIM_400000_NS6detail17trampoline_kernelINS0_14default_configENS1_20scan_config_selectorIN3c108BFloat16EEEZZNS1_9scan_implILNS1_25lookback_scan_determinismE0ELb0ELb0ES3_PKS6_PS6_S6_ZZZN2at6native31launch_logcumsumexp_cuda_kernelERKNSD_10TensorBaseESH_lENKUlvE_clEvENKUlvE4_clEvEUlS6_S6_E_S6_EEDaPvRmT3_T4_T5_mT6_P12ihipStream_tbENKUlT_T0_E_clISt17integral_constantIbLb1EESY_EEDaST_SU_EUlST_E_NS1_11comp_targetILNS1_3genE10ELNS1_11target_archE1201ELNS1_3gpuE5ELNS1_3repE0EEENS1_30default_config_static_selectorELNS0_4arch9wavefront6targetE0EEEvT1_.num_named_barrier, 0
	.set _ZN7rocprim17ROCPRIM_400000_NS6detail17trampoline_kernelINS0_14default_configENS1_20scan_config_selectorIN3c108BFloat16EEEZZNS1_9scan_implILNS1_25lookback_scan_determinismE0ELb0ELb0ES3_PKS6_PS6_S6_ZZZN2at6native31launch_logcumsumexp_cuda_kernelERKNSD_10TensorBaseESH_lENKUlvE_clEvENKUlvE4_clEvEUlS6_S6_E_S6_EEDaPvRmT3_T4_T5_mT6_P12ihipStream_tbENKUlT_T0_E_clISt17integral_constantIbLb1EESY_EEDaST_SU_EUlST_E_NS1_11comp_targetILNS1_3genE10ELNS1_11target_archE1201ELNS1_3gpuE5ELNS1_3repE0EEENS1_30default_config_static_selectorELNS0_4arch9wavefront6targetE0EEEvT1_.private_seg_size, 0
	.set _ZN7rocprim17ROCPRIM_400000_NS6detail17trampoline_kernelINS0_14default_configENS1_20scan_config_selectorIN3c108BFloat16EEEZZNS1_9scan_implILNS1_25lookback_scan_determinismE0ELb0ELb0ES3_PKS6_PS6_S6_ZZZN2at6native31launch_logcumsumexp_cuda_kernelERKNSD_10TensorBaseESH_lENKUlvE_clEvENKUlvE4_clEvEUlS6_S6_E_S6_EEDaPvRmT3_T4_T5_mT6_P12ihipStream_tbENKUlT_T0_E_clISt17integral_constantIbLb1EESY_EEDaST_SU_EUlST_E_NS1_11comp_targetILNS1_3genE10ELNS1_11target_archE1201ELNS1_3gpuE5ELNS1_3repE0EEENS1_30default_config_static_selectorELNS0_4arch9wavefront6targetE0EEEvT1_.uses_vcc, 0
	.set _ZN7rocprim17ROCPRIM_400000_NS6detail17trampoline_kernelINS0_14default_configENS1_20scan_config_selectorIN3c108BFloat16EEEZZNS1_9scan_implILNS1_25lookback_scan_determinismE0ELb0ELb0ES3_PKS6_PS6_S6_ZZZN2at6native31launch_logcumsumexp_cuda_kernelERKNSD_10TensorBaseESH_lENKUlvE_clEvENKUlvE4_clEvEUlS6_S6_E_S6_EEDaPvRmT3_T4_T5_mT6_P12ihipStream_tbENKUlT_T0_E_clISt17integral_constantIbLb1EESY_EEDaST_SU_EUlST_E_NS1_11comp_targetILNS1_3genE10ELNS1_11target_archE1201ELNS1_3gpuE5ELNS1_3repE0EEENS1_30default_config_static_selectorELNS0_4arch9wavefront6targetE0EEEvT1_.uses_flat_scratch, 0
	.set _ZN7rocprim17ROCPRIM_400000_NS6detail17trampoline_kernelINS0_14default_configENS1_20scan_config_selectorIN3c108BFloat16EEEZZNS1_9scan_implILNS1_25lookback_scan_determinismE0ELb0ELb0ES3_PKS6_PS6_S6_ZZZN2at6native31launch_logcumsumexp_cuda_kernelERKNSD_10TensorBaseESH_lENKUlvE_clEvENKUlvE4_clEvEUlS6_S6_E_S6_EEDaPvRmT3_T4_T5_mT6_P12ihipStream_tbENKUlT_T0_E_clISt17integral_constantIbLb1EESY_EEDaST_SU_EUlST_E_NS1_11comp_targetILNS1_3genE10ELNS1_11target_archE1201ELNS1_3gpuE5ELNS1_3repE0EEENS1_30default_config_static_selectorELNS0_4arch9wavefront6targetE0EEEvT1_.has_dyn_sized_stack, 0
	.set _ZN7rocprim17ROCPRIM_400000_NS6detail17trampoline_kernelINS0_14default_configENS1_20scan_config_selectorIN3c108BFloat16EEEZZNS1_9scan_implILNS1_25lookback_scan_determinismE0ELb0ELb0ES3_PKS6_PS6_S6_ZZZN2at6native31launch_logcumsumexp_cuda_kernelERKNSD_10TensorBaseESH_lENKUlvE_clEvENKUlvE4_clEvEUlS6_S6_E_S6_EEDaPvRmT3_T4_T5_mT6_P12ihipStream_tbENKUlT_T0_E_clISt17integral_constantIbLb1EESY_EEDaST_SU_EUlST_E_NS1_11comp_targetILNS1_3genE10ELNS1_11target_archE1201ELNS1_3gpuE5ELNS1_3repE0EEENS1_30default_config_static_selectorELNS0_4arch9wavefront6targetE0EEEvT1_.has_recursion, 0
	.set _ZN7rocprim17ROCPRIM_400000_NS6detail17trampoline_kernelINS0_14default_configENS1_20scan_config_selectorIN3c108BFloat16EEEZZNS1_9scan_implILNS1_25lookback_scan_determinismE0ELb0ELb0ES3_PKS6_PS6_S6_ZZZN2at6native31launch_logcumsumexp_cuda_kernelERKNSD_10TensorBaseESH_lENKUlvE_clEvENKUlvE4_clEvEUlS6_S6_E_S6_EEDaPvRmT3_T4_T5_mT6_P12ihipStream_tbENKUlT_T0_E_clISt17integral_constantIbLb1EESY_EEDaST_SU_EUlST_E_NS1_11comp_targetILNS1_3genE10ELNS1_11target_archE1201ELNS1_3gpuE5ELNS1_3repE0EEENS1_30default_config_static_selectorELNS0_4arch9wavefront6targetE0EEEvT1_.has_indirect_call, 0
	.section	.AMDGPU.csdata,"",@progbits
; Kernel info:
; codeLenInByte = 0
; TotalNumSgprs: 0
; NumVgprs: 0
; ScratchSize: 0
; MemoryBound: 0
; FloatMode: 240
; IeeeMode: 1
; LDSByteSize: 0 bytes/workgroup (compile time only)
; SGPRBlocks: 0
; VGPRBlocks: 0
; NumSGPRsForWavesPerEU: 1
; NumVGPRsForWavesPerEU: 1
; Occupancy: 16
; WaveLimiterHint : 0
; COMPUTE_PGM_RSRC2:SCRATCH_EN: 0
; COMPUTE_PGM_RSRC2:USER_SGPR: 6
; COMPUTE_PGM_RSRC2:TRAP_HANDLER: 0
; COMPUTE_PGM_RSRC2:TGID_X_EN: 1
; COMPUTE_PGM_RSRC2:TGID_Y_EN: 0
; COMPUTE_PGM_RSRC2:TGID_Z_EN: 0
; COMPUTE_PGM_RSRC2:TIDIG_COMP_CNT: 0
	.section	.text._ZN7rocprim17ROCPRIM_400000_NS6detail17trampoline_kernelINS0_14default_configENS1_20scan_config_selectorIN3c108BFloat16EEEZZNS1_9scan_implILNS1_25lookback_scan_determinismE0ELb0ELb0ES3_PKS6_PS6_S6_ZZZN2at6native31launch_logcumsumexp_cuda_kernelERKNSD_10TensorBaseESH_lENKUlvE_clEvENKUlvE4_clEvEUlS6_S6_E_S6_EEDaPvRmT3_T4_T5_mT6_P12ihipStream_tbENKUlT_T0_E_clISt17integral_constantIbLb1EESY_EEDaST_SU_EUlST_E_NS1_11comp_targetILNS1_3genE10ELNS1_11target_archE1200ELNS1_3gpuE4ELNS1_3repE0EEENS1_30default_config_static_selectorELNS0_4arch9wavefront6targetE0EEEvT1_,"axG",@progbits,_ZN7rocprim17ROCPRIM_400000_NS6detail17trampoline_kernelINS0_14default_configENS1_20scan_config_selectorIN3c108BFloat16EEEZZNS1_9scan_implILNS1_25lookback_scan_determinismE0ELb0ELb0ES3_PKS6_PS6_S6_ZZZN2at6native31launch_logcumsumexp_cuda_kernelERKNSD_10TensorBaseESH_lENKUlvE_clEvENKUlvE4_clEvEUlS6_S6_E_S6_EEDaPvRmT3_T4_T5_mT6_P12ihipStream_tbENKUlT_T0_E_clISt17integral_constantIbLb1EESY_EEDaST_SU_EUlST_E_NS1_11comp_targetILNS1_3genE10ELNS1_11target_archE1200ELNS1_3gpuE4ELNS1_3repE0EEENS1_30default_config_static_selectorELNS0_4arch9wavefront6targetE0EEEvT1_,comdat
	.globl	_ZN7rocprim17ROCPRIM_400000_NS6detail17trampoline_kernelINS0_14default_configENS1_20scan_config_selectorIN3c108BFloat16EEEZZNS1_9scan_implILNS1_25lookback_scan_determinismE0ELb0ELb0ES3_PKS6_PS6_S6_ZZZN2at6native31launch_logcumsumexp_cuda_kernelERKNSD_10TensorBaseESH_lENKUlvE_clEvENKUlvE4_clEvEUlS6_S6_E_S6_EEDaPvRmT3_T4_T5_mT6_P12ihipStream_tbENKUlT_T0_E_clISt17integral_constantIbLb1EESY_EEDaST_SU_EUlST_E_NS1_11comp_targetILNS1_3genE10ELNS1_11target_archE1200ELNS1_3gpuE4ELNS1_3repE0EEENS1_30default_config_static_selectorELNS0_4arch9wavefront6targetE0EEEvT1_ ; -- Begin function _ZN7rocprim17ROCPRIM_400000_NS6detail17trampoline_kernelINS0_14default_configENS1_20scan_config_selectorIN3c108BFloat16EEEZZNS1_9scan_implILNS1_25lookback_scan_determinismE0ELb0ELb0ES3_PKS6_PS6_S6_ZZZN2at6native31launch_logcumsumexp_cuda_kernelERKNSD_10TensorBaseESH_lENKUlvE_clEvENKUlvE4_clEvEUlS6_S6_E_S6_EEDaPvRmT3_T4_T5_mT6_P12ihipStream_tbENKUlT_T0_E_clISt17integral_constantIbLb1EESY_EEDaST_SU_EUlST_E_NS1_11comp_targetILNS1_3genE10ELNS1_11target_archE1200ELNS1_3gpuE4ELNS1_3repE0EEENS1_30default_config_static_selectorELNS0_4arch9wavefront6targetE0EEEvT1_
	.p2align	8
	.type	_ZN7rocprim17ROCPRIM_400000_NS6detail17trampoline_kernelINS0_14default_configENS1_20scan_config_selectorIN3c108BFloat16EEEZZNS1_9scan_implILNS1_25lookback_scan_determinismE0ELb0ELb0ES3_PKS6_PS6_S6_ZZZN2at6native31launch_logcumsumexp_cuda_kernelERKNSD_10TensorBaseESH_lENKUlvE_clEvENKUlvE4_clEvEUlS6_S6_E_S6_EEDaPvRmT3_T4_T5_mT6_P12ihipStream_tbENKUlT_T0_E_clISt17integral_constantIbLb1EESY_EEDaST_SU_EUlST_E_NS1_11comp_targetILNS1_3genE10ELNS1_11target_archE1200ELNS1_3gpuE4ELNS1_3repE0EEENS1_30default_config_static_selectorELNS0_4arch9wavefront6targetE0EEEvT1_,@function
_ZN7rocprim17ROCPRIM_400000_NS6detail17trampoline_kernelINS0_14default_configENS1_20scan_config_selectorIN3c108BFloat16EEEZZNS1_9scan_implILNS1_25lookback_scan_determinismE0ELb0ELb0ES3_PKS6_PS6_S6_ZZZN2at6native31launch_logcumsumexp_cuda_kernelERKNSD_10TensorBaseESH_lENKUlvE_clEvENKUlvE4_clEvEUlS6_S6_E_S6_EEDaPvRmT3_T4_T5_mT6_P12ihipStream_tbENKUlT_T0_E_clISt17integral_constantIbLb1EESY_EEDaST_SU_EUlST_E_NS1_11comp_targetILNS1_3genE10ELNS1_11target_archE1200ELNS1_3gpuE4ELNS1_3repE0EEENS1_30default_config_static_selectorELNS0_4arch9wavefront6targetE0EEEvT1_: ; @_ZN7rocprim17ROCPRIM_400000_NS6detail17trampoline_kernelINS0_14default_configENS1_20scan_config_selectorIN3c108BFloat16EEEZZNS1_9scan_implILNS1_25lookback_scan_determinismE0ELb0ELb0ES3_PKS6_PS6_S6_ZZZN2at6native31launch_logcumsumexp_cuda_kernelERKNSD_10TensorBaseESH_lENKUlvE_clEvENKUlvE4_clEvEUlS6_S6_E_S6_EEDaPvRmT3_T4_T5_mT6_P12ihipStream_tbENKUlT_T0_E_clISt17integral_constantIbLb1EESY_EEDaST_SU_EUlST_E_NS1_11comp_targetILNS1_3genE10ELNS1_11target_archE1200ELNS1_3gpuE4ELNS1_3repE0EEENS1_30default_config_static_selectorELNS0_4arch9wavefront6targetE0EEEvT1_
; %bb.0:
	.section	.rodata,"a",@progbits
	.p2align	6, 0x0
	.amdhsa_kernel _ZN7rocprim17ROCPRIM_400000_NS6detail17trampoline_kernelINS0_14default_configENS1_20scan_config_selectorIN3c108BFloat16EEEZZNS1_9scan_implILNS1_25lookback_scan_determinismE0ELb0ELb0ES3_PKS6_PS6_S6_ZZZN2at6native31launch_logcumsumexp_cuda_kernelERKNSD_10TensorBaseESH_lENKUlvE_clEvENKUlvE4_clEvEUlS6_S6_E_S6_EEDaPvRmT3_T4_T5_mT6_P12ihipStream_tbENKUlT_T0_E_clISt17integral_constantIbLb1EESY_EEDaST_SU_EUlST_E_NS1_11comp_targetILNS1_3genE10ELNS1_11target_archE1200ELNS1_3gpuE4ELNS1_3repE0EEENS1_30default_config_static_selectorELNS0_4arch9wavefront6targetE0EEEvT1_
		.amdhsa_group_segment_fixed_size 0
		.amdhsa_private_segment_fixed_size 0
		.amdhsa_kernarg_size 96
		.amdhsa_user_sgpr_count 6
		.amdhsa_user_sgpr_private_segment_buffer 1
		.amdhsa_user_sgpr_dispatch_ptr 0
		.amdhsa_user_sgpr_queue_ptr 0
		.amdhsa_user_sgpr_kernarg_segment_ptr 1
		.amdhsa_user_sgpr_dispatch_id 0
		.amdhsa_user_sgpr_flat_scratch_init 0
		.amdhsa_user_sgpr_private_segment_size 0
		.amdhsa_wavefront_size32 1
		.amdhsa_uses_dynamic_stack 0
		.amdhsa_system_sgpr_private_segment_wavefront_offset 0
		.amdhsa_system_sgpr_workgroup_id_x 1
		.amdhsa_system_sgpr_workgroup_id_y 0
		.amdhsa_system_sgpr_workgroup_id_z 0
		.amdhsa_system_sgpr_workgroup_info 0
		.amdhsa_system_vgpr_workitem_id 0
		.amdhsa_next_free_vgpr 1
		.amdhsa_next_free_sgpr 1
		.amdhsa_reserve_vcc 0
		.amdhsa_reserve_flat_scratch 0
		.amdhsa_float_round_mode_32 0
		.amdhsa_float_round_mode_16_64 0
		.amdhsa_float_denorm_mode_32 3
		.amdhsa_float_denorm_mode_16_64 3
		.amdhsa_dx10_clamp 1
		.amdhsa_ieee_mode 1
		.amdhsa_fp16_overflow 0
		.amdhsa_workgroup_processor_mode 1
		.amdhsa_memory_ordered 1
		.amdhsa_forward_progress 1
		.amdhsa_shared_vgpr_count 0
		.amdhsa_exception_fp_ieee_invalid_op 0
		.amdhsa_exception_fp_denorm_src 0
		.amdhsa_exception_fp_ieee_div_zero 0
		.amdhsa_exception_fp_ieee_overflow 0
		.amdhsa_exception_fp_ieee_underflow 0
		.amdhsa_exception_fp_ieee_inexact 0
		.amdhsa_exception_int_div_zero 0
	.end_amdhsa_kernel
	.section	.text._ZN7rocprim17ROCPRIM_400000_NS6detail17trampoline_kernelINS0_14default_configENS1_20scan_config_selectorIN3c108BFloat16EEEZZNS1_9scan_implILNS1_25lookback_scan_determinismE0ELb0ELb0ES3_PKS6_PS6_S6_ZZZN2at6native31launch_logcumsumexp_cuda_kernelERKNSD_10TensorBaseESH_lENKUlvE_clEvENKUlvE4_clEvEUlS6_S6_E_S6_EEDaPvRmT3_T4_T5_mT6_P12ihipStream_tbENKUlT_T0_E_clISt17integral_constantIbLb1EESY_EEDaST_SU_EUlST_E_NS1_11comp_targetILNS1_3genE10ELNS1_11target_archE1200ELNS1_3gpuE4ELNS1_3repE0EEENS1_30default_config_static_selectorELNS0_4arch9wavefront6targetE0EEEvT1_,"axG",@progbits,_ZN7rocprim17ROCPRIM_400000_NS6detail17trampoline_kernelINS0_14default_configENS1_20scan_config_selectorIN3c108BFloat16EEEZZNS1_9scan_implILNS1_25lookback_scan_determinismE0ELb0ELb0ES3_PKS6_PS6_S6_ZZZN2at6native31launch_logcumsumexp_cuda_kernelERKNSD_10TensorBaseESH_lENKUlvE_clEvENKUlvE4_clEvEUlS6_S6_E_S6_EEDaPvRmT3_T4_T5_mT6_P12ihipStream_tbENKUlT_T0_E_clISt17integral_constantIbLb1EESY_EEDaST_SU_EUlST_E_NS1_11comp_targetILNS1_3genE10ELNS1_11target_archE1200ELNS1_3gpuE4ELNS1_3repE0EEENS1_30default_config_static_selectorELNS0_4arch9wavefront6targetE0EEEvT1_,comdat
.Lfunc_end471:
	.size	_ZN7rocprim17ROCPRIM_400000_NS6detail17trampoline_kernelINS0_14default_configENS1_20scan_config_selectorIN3c108BFloat16EEEZZNS1_9scan_implILNS1_25lookback_scan_determinismE0ELb0ELb0ES3_PKS6_PS6_S6_ZZZN2at6native31launch_logcumsumexp_cuda_kernelERKNSD_10TensorBaseESH_lENKUlvE_clEvENKUlvE4_clEvEUlS6_S6_E_S6_EEDaPvRmT3_T4_T5_mT6_P12ihipStream_tbENKUlT_T0_E_clISt17integral_constantIbLb1EESY_EEDaST_SU_EUlST_E_NS1_11comp_targetILNS1_3genE10ELNS1_11target_archE1200ELNS1_3gpuE4ELNS1_3repE0EEENS1_30default_config_static_selectorELNS0_4arch9wavefront6targetE0EEEvT1_, .Lfunc_end471-_ZN7rocprim17ROCPRIM_400000_NS6detail17trampoline_kernelINS0_14default_configENS1_20scan_config_selectorIN3c108BFloat16EEEZZNS1_9scan_implILNS1_25lookback_scan_determinismE0ELb0ELb0ES3_PKS6_PS6_S6_ZZZN2at6native31launch_logcumsumexp_cuda_kernelERKNSD_10TensorBaseESH_lENKUlvE_clEvENKUlvE4_clEvEUlS6_S6_E_S6_EEDaPvRmT3_T4_T5_mT6_P12ihipStream_tbENKUlT_T0_E_clISt17integral_constantIbLb1EESY_EEDaST_SU_EUlST_E_NS1_11comp_targetILNS1_3genE10ELNS1_11target_archE1200ELNS1_3gpuE4ELNS1_3repE0EEENS1_30default_config_static_selectorELNS0_4arch9wavefront6targetE0EEEvT1_
                                        ; -- End function
	.set _ZN7rocprim17ROCPRIM_400000_NS6detail17trampoline_kernelINS0_14default_configENS1_20scan_config_selectorIN3c108BFloat16EEEZZNS1_9scan_implILNS1_25lookback_scan_determinismE0ELb0ELb0ES3_PKS6_PS6_S6_ZZZN2at6native31launch_logcumsumexp_cuda_kernelERKNSD_10TensorBaseESH_lENKUlvE_clEvENKUlvE4_clEvEUlS6_S6_E_S6_EEDaPvRmT3_T4_T5_mT6_P12ihipStream_tbENKUlT_T0_E_clISt17integral_constantIbLb1EESY_EEDaST_SU_EUlST_E_NS1_11comp_targetILNS1_3genE10ELNS1_11target_archE1200ELNS1_3gpuE4ELNS1_3repE0EEENS1_30default_config_static_selectorELNS0_4arch9wavefront6targetE0EEEvT1_.num_vgpr, 0
	.set _ZN7rocprim17ROCPRIM_400000_NS6detail17trampoline_kernelINS0_14default_configENS1_20scan_config_selectorIN3c108BFloat16EEEZZNS1_9scan_implILNS1_25lookback_scan_determinismE0ELb0ELb0ES3_PKS6_PS6_S6_ZZZN2at6native31launch_logcumsumexp_cuda_kernelERKNSD_10TensorBaseESH_lENKUlvE_clEvENKUlvE4_clEvEUlS6_S6_E_S6_EEDaPvRmT3_T4_T5_mT6_P12ihipStream_tbENKUlT_T0_E_clISt17integral_constantIbLb1EESY_EEDaST_SU_EUlST_E_NS1_11comp_targetILNS1_3genE10ELNS1_11target_archE1200ELNS1_3gpuE4ELNS1_3repE0EEENS1_30default_config_static_selectorELNS0_4arch9wavefront6targetE0EEEvT1_.num_agpr, 0
	.set _ZN7rocprim17ROCPRIM_400000_NS6detail17trampoline_kernelINS0_14default_configENS1_20scan_config_selectorIN3c108BFloat16EEEZZNS1_9scan_implILNS1_25lookback_scan_determinismE0ELb0ELb0ES3_PKS6_PS6_S6_ZZZN2at6native31launch_logcumsumexp_cuda_kernelERKNSD_10TensorBaseESH_lENKUlvE_clEvENKUlvE4_clEvEUlS6_S6_E_S6_EEDaPvRmT3_T4_T5_mT6_P12ihipStream_tbENKUlT_T0_E_clISt17integral_constantIbLb1EESY_EEDaST_SU_EUlST_E_NS1_11comp_targetILNS1_3genE10ELNS1_11target_archE1200ELNS1_3gpuE4ELNS1_3repE0EEENS1_30default_config_static_selectorELNS0_4arch9wavefront6targetE0EEEvT1_.numbered_sgpr, 0
	.set _ZN7rocprim17ROCPRIM_400000_NS6detail17trampoline_kernelINS0_14default_configENS1_20scan_config_selectorIN3c108BFloat16EEEZZNS1_9scan_implILNS1_25lookback_scan_determinismE0ELb0ELb0ES3_PKS6_PS6_S6_ZZZN2at6native31launch_logcumsumexp_cuda_kernelERKNSD_10TensorBaseESH_lENKUlvE_clEvENKUlvE4_clEvEUlS6_S6_E_S6_EEDaPvRmT3_T4_T5_mT6_P12ihipStream_tbENKUlT_T0_E_clISt17integral_constantIbLb1EESY_EEDaST_SU_EUlST_E_NS1_11comp_targetILNS1_3genE10ELNS1_11target_archE1200ELNS1_3gpuE4ELNS1_3repE0EEENS1_30default_config_static_selectorELNS0_4arch9wavefront6targetE0EEEvT1_.num_named_barrier, 0
	.set _ZN7rocprim17ROCPRIM_400000_NS6detail17trampoline_kernelINS0_14default_configENS1_20scan_config_selectorIN3c108BFloat16EEEZZNS1_9scan_implILNS1_25lookback_scan_determinismE0ELb0ELb0ES3_PKS6_PS6_S6_ZZZN2at6native31launch_logcumsumexp_cuda_kernelERKNSD_10TensorBaseESH_lENKUlvE_clEvENKUlvE4_clEvEUlS6_S6_E_S6_EEDaPvRmT3_T4_T5_mT6_P12ihipStream_tbENKUlT_T0_E_clISt17integral_constantIbLb1EESY_EEDaST_SU_EUlST_E_NS1_11comp_targetILNS1_3genE10ELNS1_11target_archE1200ELNS1_3gpuE4ELNS1_3repE0EEENS1_30default_config_static_selectorELNS0_4arch9wavefront6targetE0EEEvT1_.private_seg_size, 0
	.set _ZN7rocprim17ROCPRIM_400000_NS6detail17trampoline_kernelINS0_14default_configENS1_20scan_config_selectorIN3c108BFloat16EEEZZNS1_9scan_implILNS1_25lookback_scan_determinismE0ELb0ELb0ES3_PKS6_PS6_S6_ZZZN2at6native31launch_logcumsumexp_cuda_kernelERKNSD_10TensorBaseESH_lENKUlvE_clEvENKUlvE4_clEvEUlS6_S6_E_S6_EEDaPvRmT3_T4_T5_mT6_P12ihipStream_tbENKUlT_T0_E_clISt17integral_constantIbLb1EESY_EEDaST_SU_EUlST_E_NS1_11comp_targetILNS1_3genE10ELNS1_11target_archE1200ELNS1_3gpuE4ELNS1_3repE0EEENS1_30default_config_static_selectorELNS0_4arch9wavefront6targetE0EEEvT1_.uses_vcc, 0
	.set _ZN7rocprim17ROCPRIM_400000_NS6detail17trampoline_kernelINS0_14default_configENS1_20scan_config_selectorIN3c108BFloat16EEEZZNS1_9scan_implILNS1_25lookback_scan_determinismE0ELb0ELb0ES3_PKS6_PS6_S6_ZZZN2at6native31launch_logcumsumexp_cuda_kernelERKNSD_10TensorBaseESH_lENKUlvE_clEvENKUlvE4_clEvEUlS6_S6_E_S6_EEDaPvRmT3_T4_T5_mT6_P12ihipStream_tbENKUlT_T0_E_clISt17integral_constantIbLb1EESY_EEDaST_SU_EUlST_E_NS1_11comp_targetILNS1_3genE10ELNS1_11target_archE1200ELNS1_3gpuE4ELNS1_3repE0EEENS1_30default_config_static_selectorELNS0_4arch9wavefront6targetE0EEEvT1_.uses_flat_scratch, 0
	.set _ZN7rocprim17ROCPRIM_400000_NS6detail17trampoline_kernelINS0_14default_configENS1_20scan_config_selectorIN3c108BFloat16EEEZZNS1_9scan_implILNS1_25lookback_scan_determinismE0ELb0ELb0ES3_PKS6_PS6_S6_ZZZN2at6native31launch_logcumsumexp_cuda_kernelERKNSD_10TensorBaseESH_lENKUlvE_clEvENKUlvE4_clEvEUlS6_S6_E_S6_EEDaPvRmT3_T4_T5_mT6_P12ihipStream_tbENKUlT_T0_E_clISt17integral_constantIbLb1EESY_EEDaST_SU_EUlST_E_NS1_11comp_targetILNS1_3genE10ELNS1_11target_archE1200ELNS1_3gpuE4ELNS1_3repE0EEENS1_30default_config_static_selectorELNS0_4arch9wavefront6targetE0EEEvT1_.has_dyn_sized_stack, 0
	.set _ZN7rocprim17ROCPRIM_400000_NS6detail17trampoline_kernelINS0_14default_configENS1_20scan_config_selectorIN3c108BFloat16EEEZZNS1_9scan_implILNS1_25lookback_scan_determinismE0ELb0ELb0ES3_PKS6_PS6_S6_ZZZN2at6native31launch_logcumsumexp_cuda_kernelERKNSD_10TensorBaseESH_lENKUlvE_clEvENKUlvE4_clEvEUlS6_S6_E_S6_EEDaPvRmT3_T4_T5_mT6_P12ihipStream_tbENKUlT_T0_E_clISt17integral_constantIbLb1EESY_EEDaST_SU_EUlST_E_NS1_11comp_targetILNS1_3genE10ELNS1_11target_archE1200ELNS1_3gpuE4ELNS1_3repE0EEENS1_30default_config_static_selectorELNS0_4arch9wavefront6targetE0EEEvT1_.has_recursion, 0
	.set _ZN7rocprim17ROCPRIM_400000_NS6detail17trampoline_kernelINS0_14default_configENS1_20scan_config_selectorIN3c108BFloat16EEEZZNS1_9scan_implILNS1_25lookback_scan_determinismE0ELb0ELb0ES3_PKS6_PS6_S6_ZZZN2at6native31launch_logcumsumexp_cuda_kernelERKNSD_10TensorBaseESH_lENKUlvE_clEvENKUlvE4_clEvEUlS6_S6_E_S6_EEDaPvRmT3_T4_T5_mT6_P12ihipStream_tbENKUlT_T0_E_clISt17integral_constantIbLb1EESY_EEDaST_SU_EUlST_E_NS1_11comp_targetILNS1_3genE10ELNS1_11target_archE1200ELNS1_3gpuE4ELNS1_3repE0EEENS1_30default_config_static_selectorELNS0_4arch9wavefront6targetE0EEEvT1_.has_indirect_call, 0
	.section	.AMDGPU.csdata,"",@progbits
; Kernel info:
; codeLenInByte = 0
; TotalNumSgprs: 0
; NumVgprs: 0
; ScratchSize: 0
; MemoryBound: 0
; FloatMode: 240
; IeeeMode: 1
; LDSByteSize: 0 bytes/workgroup (compile time only)
; SGPRBlocks: 0
; VGPRBlocks: 0
; NumSGPRsForWavesPerEU: 1
; NumVGPRsForWavesPerEU: 1
; Occupancy: 16
; WaveLimiterHint : 0
; COMPUTE_PGM_RSRC2:SCRATCH_EN: 0
; COMPUTE_PGM_RSRC2:USER_SGPR: 6
; COMPUTE_PGM_RSRC2:TRAP_HANDLER: 0
; COMPUTE_PGM_RSRC2:TGID_X_EN: 1
; COMPUTE_PGM_RSRC2:TGID_Y_EN: 0
; COMPUTE_PGM_RSRC2:TGID_Z_EN: 0
; COMPUTE_PGM_RSRC2:TIDIG_COMP_CNT: 0
	.section	.text._ZN7rocprim17ROCPRIM_400000_NS6detail17trampoline_kernelINS0_14default_configENS1_20scan_config_selectorIN3c108BFloat16EEEZZNS1_9scan_implILNS1_25lookback_scan_determinismE0ELb0ELb0ES3_PKS6_PS6_S6_ZZZN2at6native31launch_logcumsumexp_cuda_kernelERKNSD_10TensorBaseESH_lENKUlvE_clEvENKUlvE4_clEvEUlS6_S6_E_S6_EEDaPvRmT3_T4_T5_mT6_P12ihipStream_tbENKUlT_T0_E_clISt17integral_constantIbLb1EESY_EEDaST_SU_EUlST_E_NS1_11comp_targetILNS1_3genE9ELNS1_11target_archE1100ELNS1_3gpuE3ELNS1_3repE0EEENS1_30default_config_static_selectorELNS0_4arch9wavefront6targetE0EEEvT1_,"axG",@progbits,_ZN7rocprim17ROCPRIM_400000_NS6detail17trampoline_kernelINS0_14default_configENS1_20scan_config_selectorIN3c108BFloat16EEEZZNS1_9scan_implILNS1_25lookback_scan_determinismE0ELb0ELb0ES3_PKS6_PS6_S6_ZZZN2at6native31launch_logcumsumexp_cuda_kernelERKNSD_10TensorBaseESH_lENKUlvE_clEvENKUlvE4_clEvEUlS6_S6_E_S6_EEDaPvRmT3_T4_T5_mT6_P12ihipStream_tbENKUlT_T0_E_clISt17integral_constantIbLb1EESY_EEDaST_SU_EUlST_E_NS1_11comp_targetILNS1_3genE9ELNS1_11target_archE1100ELNS1_3gpuE3ELNS1_3repE0EEENS1_30default_config_static_selectorELNS0_4arch9wavefront6targetE0EEEvT1_,comdat
	.globl	_ZN7rocprim17ROCPRIM_400000_NS6detail17trampoline_kernelINS0_14default_configENS1_20scan_config_selectorIN3c108BFloat16EEEZZNS1_9scan_implILNS1_25lookback_scan_determinismE0ELb0ELb0ES3_PKS6_PS6_S6_ZZZN2at6native31launch_logcumsumexp_cuda_kernelERKNSD_10TensorBaseESH_lENKUlvE_clEvENKUlvE4_clEvEUlS6_S6_E_S6_EEDaPvRmT3_T4_T5_mT6_P12ihipStream_tbENKUlT_T0_E_clISt17integral_constantIbLb1EESY_EEDaST_SU_EUlST_E_NS1_11comp_targetILNS1_3genE9ELNS1_11target_archE1100ELNS1_3gpuE3ELNS1_3repE0EEENS1_30default_config_static_selectorELNS0_4arch9wavefront6targetE0EEEvT1_ ; -- Begin function _ZN7rocprim17ROCPRIM_400000_NS6detail17trampoline_kernelINS0_14default_configENS1_20scan_config_selectorIN3c108BFloat16EEEZZNS1_9scan_implILNS1_25lookback_scan_determinismE0ELb0ELb0ES3_PKS6_PS6_S6_ZZZN2at6native31launch_logcumsumexp_cuda_kernelERKNSD_10TensorBaseESH_lENKUlvE_clEvENKUlvE4_clEvEUlS6_S6_E_S6_EEDaPvRmT3_T4_T5_mT6_P12ihipStream_tbENKUlT_T0_E_clISt17integral_constantIbLb1EESY_EEDaST_SU_EUlST_E_NS1_11comp_targetILNS1_3genE9ELNS1_11target_archE1100ELNS1_3gpuE3ELNS1_3repE0EEENS1_30default_config_static_selectorELNS0_4arch9wavefront6targetE0EEEvT1_
	.p2align	8
	.type	_ZN7rocprim17ROCPRIM_400000_NS6detail17trampoline_kernelINS0_14default_configENS1_20scan_config_selectorIN3c108BFloat16EEEZZNS1_9scan_implILNS1_25lookback_scan_determinismE0ELb0ELb0ES3_PKS6_PS6_S6_ZZZN2at6native31launch_logcumsumexp_cuda_kernelERKNSD_10TensorBaseESH_lENKUlvE_clEvENKUlvE4_clEvEUlS6_S6_E_S6_EEDaPvRmT3_T4_T5_mT6_P12ihipStream_tbENKUlT_T0_E_clISt17integral_constantIbLb1EESY_EEDaST_SU_EUlST_E_NS1_11comp_targetILNS1_3genE9ELNS1_11target_archE1100ELNS1_3gpuE3ELNS1_3repE0EEENS1_30default_config_static_selectorELNS0_4arch9wavefront6targetE0EEEvT1_,@function
_ZN7rocprim17ROCPRIM_400000_NS6detail17trampoline_kernelINS0_14default_configENS1_20scan_config_selectorIN3c108BFloat16EEEZZNS1_9scan_implILNS1_25lookback_scan_determinismE0ELb0ELb0ES3_PKS6_PS6_S6_ZZZN2at6native31launch_logcumsumexp_cuda_kernelERKNSD_10TensorBaseESH_lENKUlvE_clEvENKUlvE4_clEvEUlS6_S6_E_S6_EEDaPvRmT3_T4_T5_mT6_P12ihipStream_tbENKUlT_T0_E_clISt17integral_constantIbLb1EESY_EEDaST_SU_EUlST_E_NS1_11comp_targetILNS1_3genE9ELNS1_11target_archE1100ELNS1_3gpuE3ELNS1_3repE0EEENS1_30default_config_static_selectorELNS0_4arch9wavefront6targetE0EEEvT1_: ; @_ZN7rocprim17ROCPRIM_400000_NS6detail17trampoline_kernelINS0_14default_configENS1_20scan_config_selectorIN3c108BFloat16EEEZZNS1_9scan_implILNS1_25lookback_scan_determinismE0ELb0ELb0ES3_PKS6_PS6_S6_ZZZN2at6native31launch_logcumsumexp_cuda_kernelERKNSD_10TensorBaseESH_lENKUlvE_clEvENKUlvE4_clEvEUlS6_S6_E_S6_EEDaPvRmT3_T4_T5_mT6_P12ihipStream_tbENKUlT_T0_E_clISt17integral_constantIbLb1EESY_EEDaST_SU_EUlST_E_NS1_11comp_targetILNS1_3genE9ELNS1_11target_archE1100ELNS1_3gpuE3ELNS1_3repE0EEENS1_30default_config_static_selectorELNS0_4arch9wavefront6targetE0EEEvT1_
; %bb.0:
	.section	.rodata,"a",@progbits
	.p2align	6, 0x0
	.amdhsa_kernel _ZN7rocprim17ROCPRIM_400000_NS6detail17trampoline_kernelINS0_14default_configENS1_20scan_config_selectorIN3c108BFloat16EEEZZNS1_9scan_implILNS1_25lookback_scan_determinismE0ELb0ELb0ES3_PKS6_PS6_S6_ZZZN2at6native31launch_logcumsumexp_cuda_kernelERKNSD_10TensorBaseESH_lENKUlvE_clEvENKUlvE4_clEvEUlS6_S6_E_S6_EEDaPvRmT3_T4_T5_mT6_P12ihipStream_tbENKUlT_T0_E_clISt17integral_constantIbLb1EESY_EEDaST_SU_EUlST_E_NS1_11comp_targetILNS1_3genE9ELNS1_11target_archE1100ELNS1_3gpuE3ELNS1_3repE0EEENS1_30default_config_static_selectorELNS0_4arch9wavefront6targetE0EEEvT1_
		.amdhsa_group_segment_fixed_size 0
		.amdhsa_private_segment_fixed_size 0
		.amdhsa_kernarg_size 96
		.amdhsa_user_sgpr_count 6
		.amdhsa_user_sgpr_private_segment_buffer 1
		.amdhsa_user_sgpr_dispatch_ptr 0
		.amdhsa_user_sgpr_queue_ptr 0
		.amdhsa_user_sgpr_kernarg_segment_ptr 1
		.amdhsa_user_sgpr_dispatch_id 0
		.amdhsa_user_sgpr_flat_scratch_init 0
		.amdhsa_user_sgpr_private_segment_size 0
		.amdhsa_wavefront_size32 1
		.amdhsa_uses_dynamic_stack 0
		.amdhsa_system_sgpr_private_segment_wavefront_offset 0
		.amdhsa_system_sgpr_workgroup_id_x 1
		.amdhsa_system_sgpr_workgroup_id_y 0
		.amdhsa_system_sgpr_workgroup_id_z 0
		.amdhsa_system_sgpr_workgroup_info 0
		.amdhsa_system_vgpr_workitem_id 0
		.amdhsa_next_free_vgpr 1
		.amdhsa_next_free_sgpr 1
		.amdhsa_reserve_vcc 0
		.amdhsa_reserve_flat_scratch 0
		.amdhsa_float_round_mode_32 0
		.amdhsa_float_round_mode_16_64 0
		.amdhsa_float_denorm_mode_32 3
		.amdhsa_float_denorm_mode_16_64 3
		.amdhsa_dx10_clamp 1
		.amdhsa_ieee_mode 1
		.amdhsa_fp16_overflow 0
		.amdhsa_workgroup_processor_mode 1
		.amdhsa_memory_ordered 1
		.amdhsa_forward_progress 1
		.amdhsa_shared_vgpr_count 0
		.amdhsa_exception_fp_ieee_invalid_op 0
		.amdhsa_exception_fp_denorm_src 0
		.amdhsa_exception_fp_ieee_div_zero 0
		.amdhsa_exception_fp_ieee_overflow 0
		.amdhsa_exception_fp_ieee_underflow 0
		.amdhsa_exception_fp_ieee_inexact 0
		.amdhsa_exception_int_div_zero 0
	.end_amdhsa_kernel
	.section	.text._ZN7rocprim17ROCPRIM_400000_NS6detail17trampoline_kernelINS0_14default_configENS1_20scan_config_selectorIN3c108BFloat16EEEZZNS1_9scan_implILNS1_25lookback_scan_determinismE0ELb0ELb0ES3_PKS6_PS6_S6_ZZZN2at6native31launch_logcumsumexp_cuda_kernelERKNSD_10TensorBaseESH_lENKUlvE_clEvENKUlvE4_clEvEUlS6_S6_E_S6_EEDaPvRmT3_T4_T5_mT6_P12ihipStream_tbENKUlT_T0_E_clISt17integral_constantIbLb1EESY_EEDaST_SU_EUlST_E_NS1_11comp_targetILNS1_3genE9ELNS1_11target_archE1100ELNS1_3gpuE3ELNS1_3repE0EEENS1_30default_config_static_selectorELNS0_4arch9wavefront6targetE0EEEvT1_,"axG",@progbits,_ZN7rocprim17ROCPRIM_400000_NS6detail17trampoline_kernelINS0_14default_configENS1_20scan_config_selectorIN3c108BFloat16EEEZZNS1_9scan_implILNS1_25lookback_scan_determinismE0ELb0ELb0ES3_PKS6_PS6_S6_ZZZN2at6native31launch_logcumsumexp_cuda_kernelERKNSD_10TensorBaseESH_lENKUlvE_clEvENKUlvE4_clEvEUlS6_S6_E_S6_EEDaPvRmT3_T4_T5_mT6_P12ihipStream_tbENKUlT_T0_E_clISt17integral_constantIbLb1EESY_EEDaST_SU_EUlST_E_NS1_11comp_targetILNS1_3genE9ELNS1_11target_archE1100ELNS1_3gpuE3ELNS1_3repE0EEENS1_30default_config_static_selectorELNS0_4arch9wavefront6targetE0EEEvT1_,comdat
.Lfunc_end472:
	.size	_ZN7rocprim17ROCPRIM_400000_NS6detail17trampoline_kernelINS0_14default_configENS1_20scan_config_selectorIN3c108BFloat16EEEZZNS1_9scan_implILNS1_25lookback_scan_determinismE0ELb0ELb0ES3_PKS6_PS6_S6_ZZZN2at6native31launch_logcumsumexp_cuda_kernelERKNSD_10TensorBaseESH_lENKUlvE_clEvENKUlvE4_clEvEUlS6_S6_E_S6_EEDaPvRmT3_T4_T5_mT6_P12ihipStream_tbENKUlT_T0_E_clISt17integral_constantIbLb1EESY_EEDaST_SU_EUlST_E_NS1_11comp_targetILNS1_3genE9ELNS1_11target_archE1100ELNS1_3gpuE3ELNS1_3repE0EEENS1_30default_config_static_selectorELNS0_4arch9wavefront6targetE0EEEvT1_, .Lfunc_end472-_ZN7rocprim17ROCPRIM_400000_NS6detail17trampoline_kernelINS0_14default_configENS1_20scan_config_selectorIN3c108BFloat16EEEZZNS1_9scan_implILNS1_25lookback_scan_determinismE0ELb0ELb0ES3_PKS6_PS6_S6_ZZZN2at6native31launch_logcumsumexp_cuda_kernelERKNSD_10TensorBaseESH_lENKUlvE_clEvENKUlvE4_clEvEUlS6_S6_E_S6_EEDaPvRmT3_T4_T5_mT6_P12ihipStream_tbENKUlT_T0_E_clISt17integral_constantIbLb1EESY_EEDaST_SU_EUlST_E_NS1_11comp_targetILNS1_3genE9ELNS1_11target_archE1100ELNS1_3gpuE3ELNS1_3repE0EEENS1_30default_config_static_selectorELNS0_4arch9wavefront6targetE0EEEvT1_
                                        ; -- End function
	.set _ZN7rocprim17ROCPRIM_400000_NS6detail17trampoline_kernelINS0_14default_configENS1_20scan_config_selectorIN3c108BFloat16EEEZZNS1_9scan_implILNS1_25lookback_scan_determinismE0ELb0ELb0ES3_PKS6_PS6_S6_ZZZN2at6native31launch_logcumsumexp_cuda_kernelERKNSD_10TensorBaseESH_lENKUlvE_clEvENKUlvE4_clEvEUlS6_S6_E_S6_EEDaPvRmT3_T4_T5_mT6_P12ihipStream_tbENKUlT_T0_E_clISt17integral_constantIbLb1EESY_EEDaST_SU_EUlST_E_NS1_11comp_targetILNS1_3genE9ELNS1_11target_archE1100ELNS1_3gpuE3ELNS1_3repE0EEENS1_30default_config_static_selectorELNS0_4arch9wavefront6targetE0EEEvT1_.num_vgpr, 0
	.set _ZN7rocprim17ROCPRIM_400000_NS6detail17trampoline_kernelINS0_14default_configENS1_20scan_config_selectorIN3c108BFloat16EEEZZNS1_9scan_implILNS1_25lookback_scan_determinismE0ELb0ELb0ES3_PKS6_PS6_S6_ZZZN2at6native31launch_logcumsumexp_cuda_kernelERKNSD_10TensorBaseESH_lENKUlvE_clEvENKUlvE4_clEvEUlS6_S6_E_S6_EEDaPvRmT3_T4_T5_mT6_P12ihipStream_tbENKUlT_T0_E_clISt17integral_constantIbLb1EESY_EEDaST_SU_EUlST_E_NS1_11comp_targetILNS1_3genE9ELNS1_11target_archE1100ELNS1_3gpuE3ELNS1_3repE0EEENS1_30default_config_static_selectorELNS0_4arch9wavefront6targetE0EEEvT1_.num_agpr, 0
	.set _ZN7rocprim17ROCPRIM_400000_NS6detail17trampoline_kernelINS0_14default_configENS1_20scan_config_selectorIN3c108BFloat16EEEZZNS1_9scan_implILNS1_25lookback_scan_determinismE0ELb0ELb0ES3_PKS6_PS6_S6_ZZZN2at6native31launch_logcumsumexp_cuda_kernelERKNSD_10TensorBaseESH_lENKUlvE_clEvENKUlvE4_clEvEUlS6_S6_E_S6_EEDaPvRmT3_T4_T5_mT6_P12ihipStream_tbENKUlT_T0_E_clISt17integral_constantIbLb1EESY_EEDaST_SU_EUlST_E_NS1_11comp_targetILNS1_3genE9ELNS1_11target_archE1100ELNS1_3gpuE3ELNS1_3repE0EEENS1_30default_config_static_selectorELNS0_4arch9wavefront6targetE0EEEvT1_.numbered_sgpr, 0
	.set _ZN7rocprim17ROCPRIM_400000_NS6detail17trampoline_kernelINS0_14default_configENS1_20scan_config_selectorIN3c108BFloat16EEEZZNS1_9scan_implILNS1_25lookback_scan_determinismE0ELb0ELb0ES3_PKS6_PS6_S6_ZZZN2at6native31launch_logcumsumexp_cuda_kernelERKNSD_10TensorBaseESH_lENKUlvE_clEvENKUlvE4_clEvEUlS6_S6_E_S6_EEDaPvRmT3_T4_T5_mT6_P12ihipStream_tbENKUlT_T0_E_clISt17integral_constantIbLb1EESY_EEDaST_SU_EUlST_E_NS1_11comp_targetILNS1_3genE9ELNS1_11target_archE1100ELNS1_3gpuE3ELNS1_3repE0EEENS1_30default_config_static_selectorELNS0_4arch9wavefront6targetE0EEEvT1_.num_named_barrier, 0
	.set _ZN7rocprim17ROCPRIM_400000_NS6detail17trampoline_kernelINS0_14default_configENS1_20scan_config_selectorIN3c108BFloat16EEEZZNS1_9scan_implILNS1_25lookback_scan_determinismE0ELb0ELb0ES3_PKS6_PS6_S6_ZZZN2at6native31launch_logcumsumexp_cuda_kernelERKNSD_10TensorBaseESH_lENKUlvE_clEvENKUlvE4_clEvEUlS6_S6_E_S6_EEDaPvRmT3_T4_T5_mT6_P12ihipStream_tbENKUlT_T0_E_clISt17integral_constantIbLb1EESY_EEDaST_SU_EUlST_E_NS1_11comp_targetILNS1_3genE9ELNS1_11target_archE1100ELNS1_3gpuE3ELNS1_3repE0EEENS1_30default_config_static_selectorELNS0_4arch9wavefront6targetE0EEEvT1_.private_seg_size, 0
	.set _ZN7rocprim17ROCPRIM_400000_NS6detail17trampoline_kernelINS0_14default_configENS1_20scan_config_selectorIN3c108BFloat16EEEZZNS1_9scan_implILNS1_25lookback_scan_determinismE0ELb0ELb0ES3_PKS6_PS6_S6_ZZZN2at6native31launch_logcumsumexp_cuda_kernelERKNSD_10TensorBaseESH_lENKUlvE_clEvENKUlvE4_clEvEUlS6_S6_E_S6_EEDaPvRmT3_T4_T5_mT6_P12ihipStream_tbENKUlT_T0_E_clISt17integral_constantIbLb1EESY_EEDaST_SU_EUlST_E_NS1_11comp_targetILNS1_3genE9ELNS1_11target_archE1100ELNS1_3gpuE3ELNS1_3repE0EEENS1_30default_config_static_selectorELNS0_4arch9wavefront6targetE0EEEvT1_.uses_vcc, 0
	.set _ZN7rocprim17ROCPRIM_400000_NS6detail17trampoline_kernelINS0_14default_configENS1_20scan_config_selectorIN3c108BFloat16EEEZZNS1_9scan_implILNS1_25lookback_scan_determinismE0ELb0ELb0ES3_PKS6_PS6_S6_ZZZN2at6native31launch_logcumsumexp_cuda_kernelERKNSD_10TensorBaseESH_lENKUlvE_clEvENKUlvE4_clEvEUlS6_S6_E_S6_EEDaPvRmT3_T4_T5_mT6_P12ihipStream_tbENKUlT_T0_E_clISt17integral_constantIbLb1EESY_EEDaST_SU_EUlST_E_NS1_11comp_targetILNS1_3genE9ELNS1_11target_archE1100ELNS1_3gpuE3ELNS1_3repE0EEENS1_30default_config_static_selectorELNS0_4arch9wavefront6targetE0EEEvT1_.uses_flat_scratch, 0
	.set _ZN7rocprim17ROCPRIM_400000_NS6detail17trampoline_kernelINS0_14default_configENS1_20scan_config_selectorIN3c108BFloat16EEEZZNS1_9scan_implILNS1_25lookback_scan_determinismE0ELb0ELb0ES3_PKS6_PS6_S6_ZZZN2at6native31launch_logcumsumexp_cuda_kernelERKNSD_10TensorBaseESH_lENKUlvE_clEvENKUlvE4_clEvEUlS6_S6_E_S6_EEDaPvRmT3_T4_T5_mT6_P12ihipStream_tbENKUlT_T0_E_clISt17integral_constantIbLb1EESY_EEDaST_SU_EUlST_E_NS1_11comp_targetILNS1_3genE9ELNS1_11target_archE1100ELNS1_3gpuE3ELNS1_3repE0EEENS1_30default_config_static_selectorELNS0_4arch9wavefront6targetE0EEEvT1_.has_dyn_sized_stack, 0
	.set _ZN7rocprim17ROCPRIM_400000_NS6detail17trampoline_kernelINS0_14default_configENS1_20scan_config_selectorIN3c108BFloat16EEEZZNS1_9scan_implILNS1_25lookback_scan_determinismE0ELb0ELb0ES3_PKS6_PS6_S6_ZZZN2at6native31launch_logcumsumexp_cuda_kernelERKNSD_10TensorBaseESH_lENKUlvE_clEvENKUlvE4_clEvEUlS6_S6_E_S6_EEDaPvRmT3_T4_T5_mT6_P12ihipStream_tbENKUlT_T0_E_clISt17integral_constantIbLb1EESY_EEDaST_SU_EUlST_E_NS1_11comp_targetILNS1_3genE9ELNS1_11target_archE1100ELNS1_3gpuE3ELNS1_3repE0EEENS1_30default_config_static_selectorELNS0_4arch9wavefront6targetE0EEEvT1_.has_recursion, 0
	.set _ZN7rocprim17ROCPRIM_400000_NS6detail17trampoline_kernelINS0_14default_configENS1_20scan_config_selectorIN3c108BFloat16EEEZZNS1_9scan_implILNS1_25lookback_scan_determinismE0ELb0ELb0ES3_PKS6_PS6_S6_ZZZN2at6native31launch_logcumsumexp_cuda_kernelERKNSD_10TensorBaseESH_lENKUlvE_clEvENKUlvE4_clEvEUlS6_S6_E_S6_EEDaPvRmT3_T4_T5_mT6_P12ihipStream_tbENKUlT_T0_E_clISt17integral_constantIbLb1EESY_EEDaST_SU_EUlST_E_NS1_11comp_targetILNS1_3genE9ELNS1_11target_archE1100ELNS1_3gpuE3ELNS1_3repE0EEENS1_30default_config_static_selectorELNS0_4arch9wavefront6targetE0EEEvT1_.has_indirect_call, 0
	.section	.AMDGPU.csdata,"",@progbits
; Kernel info:
; codeLenInByte = 0
; TotalNumSgprs: 0
; NumVgprs: 0
; ScratchSize: 0
; MemoryBound: 0
; FloatMode: 240
; IeeeMode: 1
; LDSByteSize: 0 bytes/workgroup (compile time only)
; SGPRBlocks: 0
; VGPRBlocks: 0
; NumSGPRsForWavesPerEU: 1
; NumVGPRsForWavesPerEU: 1
; Occupancy: 16
; WaveLimiterHint : 0
; COMPUTE_PGM_RSRC2:SCRATCH_EN: 0
; COMPUTE_PGM_RSRC2:USER_SGPR: 6
; COMPUTE_PGM_RSRC2:TRAP_HANDLER: 0
; COMPUTE_PGM_RSRC2:TGID_X_EN: 1
; COMPUTE_PGM_RSRC2:TGID_Y_EN: 0
; COMPUTE_PGM_RSRC2:TGID_Z_EN: 0
; COMPUTE_PGM_RSRC2:TIDIG_COMP_CNT: 0
	.section	.text._ZN7rocprim17ROCPRIM_400000_NS6detail17trampoline_kernelINS0_14default_configENS1_20scan_config_selectorIN3c108BFloat16EEEZZNS1_9scan_implILNS1_25lookback_scan_determinismE0ELb0ELb0ES3_PKS6_PS6_S6_ZZZN2at6native31launch_logcumsumexp_cuda_kernelERKNSD_10TensorBaseESH_lENKUlvE_clEvENKUlvE4_clEvEUlS6_S6_E_S6_EEDaPvRmT3_T4_T5_mT6_P12ihipStream_tbENKUlT_T0_E_clISt17integral_constantIbLb1EESY_EEDaST_SU_EUlST_E_NS1_11comp_targetILNS1_3genE8ELNS1_11target_archE1030ELNS1_3gpuE2ELNS1_3repE0EEENS1_30default_config_static_selectorELNS0_4arch9wavefront6targetE0EEEvT1_,"axG",@progbits,_ZN7rocprim17ROCPRIM_400000_NS6detail17trampoline_kernelINS0_14default_configENS1_20scan_config_selectorIN3c108BFloat16EEEZZNS1_9scan_implILNS1_25lookback_scan_determinismE0ELb0ELb0ES3_PKS6_PS6_S6_ZZZN2at6native31launch_logcumsumexp_cuda_kernelERKNSD_10TensorBaseESH_lENKUlvE_clEvENKUlvE4_clEvEUlS6_S6_E_S6_EEDaPvRmT3_T4_T5_mT6_P12ihipStream_tbENKUlT_T0_E_clISt17integral_constantIbLb1EESY_EEDaST_SU_EUlST_E_NS1_11comp_targetILNS1_3genE8ELNS1_11target_archE1030ELNS1_3gpuE2ELNS1_3repE0EEENS1_30default_config_static_selectorELNS0_4arch9wavefront6targetE0EEEvT1_,comdat
	.globl	_ZN7rocprim17ROCPRIM_400000_NS6detail17trampoline_kernelINS0_14default_configENS1_20scan_config_selectorIN3c108BFloat16EEEZZNS1_9scan_implILNS1_25lookback_scan_determinismE0ELb0ELb0ES3_PKS6_PS6_S6_ZZZN2at6native31launch_logcumsumexp_cuda_kernelERKNSD_10TensorBaseESH_lENKUlvE_clEvENKUlvE4_clEvEUlS6_S6_E_S6_EEDaPvRmT3_T4_T5_mT6_P12ihipStream_tbENKUlT_T0_E_clISt17integral_constantIbLb1EESY_EEDaST_SU_EUlST_E_NS1_11comp_targetILNS1_3genE8ELNS1_11target_archE1030ELNS1_3gpuE2ELNS1_3repE0EEENS1_30default_config_static_selectorELNS0_4arch9wavefront6targetE0EEEvT1_ ; -- Begin function _ZN7rocprim17ROCPRIM_400000_NS6detail17trampoline_kernelINS0_14default_configENS1_20scan_config_selectorIN3c108BFloat16EEEZZNS1_9scan_implILNS1_25lookback_scan_determinismE0ELb0ELb0ES3_PKS6_PS6_S6_ZZZN2at6native31launch_logcumsumexp_cuda_kernelERKNSD_10TensorBaseESH_lENKUlvE_clEvENKUlvE4_clEvEUlS6_S6_E_S6_EEDaPvRmT3_T4_T5_mT6_P12ihipStream_tbENKUlT_T0_E_clISt17integral_constantIbLb1EESY_EEDaST_SU_EUlST_E_NS1_11comp_targetILNS1_3genE8ELNS1_11target_archE1030ELNS1_3gpuE2ELNS1_3repE0EEENS1_30default_config_static_selectorELNS0_4arch9wavefront6targetE0EEEvT1_
	.p2align	8
	.type	_ZN7rocprim17ROCPRIM_400000_NS6detail17trampoline_kernelINS0_14default_configENS1_20scan_config_selectorIN3c108BFloat16EEEZZNS1_9scan_implILNS1_25lookback_scan_determinismE0ELb0ELb0ES3_PKS6_PS6_S6_ZZZN2at6native31launch_logcumsumexp_cuda_kernelERKNSD_10TensorBaseESH_lENKUlvE_clEvENKUlvE4_clEvEUlS6_S6_E_S6_EEDaPvRmT3_T4_T5_mT6_P12ihipStream_tbENKUlT_T0_E_clISt17integral_constantIbLb1EESY_EEDaST_SU_EUlST_E_NS1_11comp_targetILNS1_3genE8ELNS1_11target_archE1030ELNS1_3gpuE2ELNS1_3repE0EEENS1_30default_config_static_selectorELNS0_4arch9wavefront6targetE0EEEvT1_,@function
_ZN7rocprim17ROCPRIM_400000_NS6detail17trampoline_kernelINS0_14default_configENS1_20scan_config_selectorIN3c108BFloat16EEEZZNS1_9scan_implILNS1_25lookback_scan_determinismE0ELb0ELb0ES3_PKS6_PS6_S6_ZZZN2at6native31launch_logcumsumexp_cuda_kernelERKNSD_10TensorBaseESH_lENKUlvE_clEvENKUlvE4_clEvEUlS6_S6_E_S6_EEDaPvRmT3_T4_T5_mT6_P12ihipStream_tbENKUlT_T0_E_clISt17integral_constantIbLb1EESY_EEDaST_SU_EUlST_E_NS1_11comp_targetILNS1_3genE8ELNS1_11target_archE1030ELNS1_3gpuE2ELNS1_3repE0EEENS1_30default_config_static_selectorELNS0_4arch9wavefront6targetE0EEEvT1_: ; @_ZN7rocprim17ROCPRIM_400000_NS6detail17trampoline_kernelINS0_14default_configENS1_20scan_config_selectorIN3c108BFloat16EEEZZNS1_9scan_implILNS1_25lookback_scan_determinismE0ELb0ELb0ES3_PKS6_PS6_S6_ZZZN2at6native31launch_logcumsumexp_cuda_kernelERKNSD_10TensorBaseESH_lENKUlvE_clEvENKUlvE4_clEvEUlS6_S6_E_S6_EEDaPvRmT3_T4_T5_mT6_P12ihipStream_tbENKUlT_T0_E_clISt17integral_constantIbLb1EESY_EEDaST_SU_EUlST_E_NS1_11comp_targetILNS1_3genE8ELNS1_11target_archE1030ELNS1_3gpuE2ELNS1_3repE0EEENS1_30default_config_static_selectorELNS0_4arch9wavefront6targetE0EEEvT1_
; %bb.0:
	s_endpgm
	.section	.rodata,"a",@progbits
	.p2align	6, 0x0
	.amdhsa_kernel _ZN7rocprim17ROCPRIM_400000_NS6detail17trampoline_kernelINS0_14default_configENS1_20scan_config_selectorIN3c108BFloat16EEEZZNS1_9scan_implILNS1_25lookback_scan_determinismE0ELb0ELb0ES3_PKS6_PS6_S6_ZZZN2at6native31launch_logcumsumexp_cuda_kernelERKNSD_10TensorBaseESH_lENKUlvE_clEvENKUlvE4_clEvEUlS6_S6_E_S6_EEDaPvRmT3_T4_T5_mT6_P12ihipStream_tbENKUlT_T0_E_clISt17integral_constantIbLb1EESY_EEDaST_SU_EUlST_E_NS1_11comp_targetILNS1_3genE8ELNS1_11target_archE1030ELNS1_3gpuE2ELNS1_3repE0EEENS1_30default_config_static_selectorELNS0_4arch9wavefront6targetE0EEEvT1_
		.amdhsa_group_segment_fixed_size 0
		.amdhsa_private_segment_fixed_size 0
		.amdhsa_kernarg_size 96
		.amdhsa_user_sgpr_count 6
		.amdhsa_user_sgpr_private_segment_buffer 1
		.amdhsa_user_sgpr_dispatch_ptr 0
		.amdhsa_user_sgpr_queue_ptr 0
		.amdhsa_user_sgpr_kernarg_segment_ptr 1
		.amdhsa_user_sgpr_dispatch_id 0
		.amdhsa_user_sgpr_flat_scratch_init 0
		.amdhsa_user_sgpr_private_segment_size 0
		.amdhsa_wavefront_size32 1
		.amdhsa_uses_dynamic_stack 0
		.amdhsa_system_sgpr_private_segment_wavefront_offset 0
		.amdhsa_system_sgpr_workgroup_id_x 1
		.amdhsa_system_sgpr_workgroup_id_y 0
		.amdhsa_system_sgpr_workgroup_id_z 0
		.amdhsa_system_sgpr_workgroup_info 0
		.amdhsa_system_vgpr_workitem_id 0
		.amdhsa_next_free_vgpr 1
		.amdhsa_next_free_sgpr 1
		.amdhsa_reserve_vcc 0
		.amdhsa_reserve_flat_scratch 0
		.amdhsa_float_round_mode_32 0
		.amdhsa_float_round_mode_16_64 0
		.amdhsa_float_denorm_mode_32 3
		.amdhsa_float_denorm_mode_16_64 3
		.amdhsa_dx10_clamp 1
		.amdhsa_ieee_mode 1
		.amdhsa_fp16_overflow 0
		.amdhsa_workgroup_processor_mode 1
		.amdhsa_memory_ordered 1
		.amdhsa_forward_progress 1
		.amdhsa_shared_vgpr_count 0
		.amdhsa_exception_fp_ieee_invalid_op 0
		.amdhsa_exception_fp_denorm_src 0
		.amdhsa_exception_fp_ieee_div_zero 0
		.amdhsa_exception_fp_ieee_overflow 0
		.amdhsa_exception_fp_ieee_underflow 0
		.amdhsa_exception_fp_ieee_inexact 0
		.amdhsa_exception_int_div_zero 0
	.end_amdhsa_kernel
	.section	.text._ZN7rocprim17ROCPRIM_400000_NS6detail17trampoline_kernelINS0_14default_configENS1_20scan_config_selectorIN3c108BFloat16EEEZZNS1_9scan_implILNS1_25lookback_scan_determinismE0ELb0ELb0ES3_PKS6_PS6_S6_ZZZN2at6native31launch_logcumsumexp_cuda_kernelERKNSD_10TensorBaseESH_lENKUlvE_clEvENKUlvE4_clEvEUlS6_S6_E_S6_EEDaPvRmT3_T4_T5_mT6_P12ihipStream_tbENKUlT_T0_E_clISt17integral_constantIbLb1EESY_EEDaST_SU_EUlST_E_NS1_11comp_targetILNS1_3genE8ELNS1_11target_archE1030ELNS1_3gpuE2ELNS1_3repE0EEENS1_30default_config_static_selectorELNS0_4arch9wavefront6targetE0EEEvT1_,"axG",@progbits,_ZN7rocprim17ROCPRIM_400000_NS6detail17trampoline_kernelINS0_14default_configENS1_20scan_config_selectorIN3c108BFloat16EEEZZNS1_9scan_implILNS1_25lookback_scan_determinismE0ELb0ELb0ES3_PKS6_PS6_S6_ZZZN2at6native31launch_logcumsumexp_cuda_kernelERKNSD_10TensorBaseESH_lENKUlvE_clEvENKUlvE4_clEvEUlS6_S6_E_S6_EEDaPvRmT3_T4_T5_mT6_P12ihipStream_tbENKUlT_T0_E_clISt17integral_constantIbLb1EESY_EEDaST_SU_EUlST_E_NS1_11comp_targetILNS1_3genE8ELNS1_11target_archE1030ELNS1_3gpuE2ELNS1_3repE0EEENS1_30default_config_static_selectorELNS0_4arch9wavefront6targetE0EEEvT1_,comdat
.Lfunc_end473:
	.size	_ZN7rocprim17ROCPRIM_400000_NS6detail17trampoline_kernelINS0_14default_configENS1_20scan_config_selectorIN3c108BFloat16EEEZZNS1_9scan_implILNS1_25lookback_scan_determinismE0ELb0ELb0ES3_PKS6_PS6_S6_ZZZN2at6native31launch_logcumsumexp_cuda_kernelERKNSD_10TensorBaseESH_lENKUlvE_clEvENKUlvE4_clEvEUlS6_S6_E_S6_EEDaPvRmT3_T4_T5_mT6_P12ihipStream_tbENKUlT_T0_E_clISt17integral_constantIbLb1EESY_EEDaST_SU_EUlST_E_NS1_11comp_targetILNS1_3genE8ELNS1_11target_archE1030ELNS1_3gpuE2ELNS1_3repE0EEENS1_30default_config_static_selectorELNS0_4arch9wavefront6targetE0EEEvT1_, .Lfunc_end473-_ZN7rocprim17ROCPRIM_400000_NS6detail17trampoline_kernelINS0_14default_configENS1_20scan_config_selectorIN3c108BFloat16EEEZZNS1_9scan_implILNS1_25lookback_scan_determinismE0ELb0ELb0ES3_PKS6_PS6_S6_ZZZN2at6native31launch_logcumsumexp_cuda_kernelERKNSD_10TensorBaseESH_lENKUlvE_clEvENKUlvE4_clEvEUlS6_S6_E_S6_EEDaPvRmT3_T4_T5_mT6_P12ihipStream_tbENKUlT_T0_E_clISt17integral_constantIbLb1EESY_EEDaST_SU_EUlST_E_NS1_11comp_targetILNS1_3genE8ELNS1_11target_archE1030ELNS1_3gpuE2ELNS1_3repE0EEENS1_30default_config_static_selectorELNS0_4arch9wavefront6targetE0EEEvT1_
                                        ; -- End function
	.set _ZN7rocprim17ROCPRIM_400000_NS6detail17trampoline_kernelINS0_14default_configENS1_20scan_config_selectorIN3c108BFloat16EEEZZNS1_9scan_implILNS1_25lookback_scan_determinismE0ELb0ELb0ES3_PKS6_PS6_S6_ZZZN2at6native31launch_logcumsumexp_cuda_kernelERKNSD_10TensorBaseESH_lENKUlvE_clEvENKUlvE4_clEvEUlS6_S6_E_S6_EEDaPvRmT3_T4_T5_mT6_P12ihipStream_tbENKUlT_T0_E_clISt17integral_constantIbLb1EESY_EEDaST_SU_EUlST_E_NS1_11comp_targetILNS1_3genE8ELNS1_11target_archE1030ELNS1_3gpuE2ELNS1_3repE0EEENS1_30default_config_static_selectorELNS0_4arch9wavefront6targetE0EEEvT1_.num_vgpr, 0
	.set _ZN7rocprim17ROCPRIM_400000_NS6detail17trampoline_kernelINS0_14default_configENS1_20scan_config_selectorIN3c108BFloat16EEEZZNS1_9scan_implILNS1_25lookback_scan_determinismE0ELb0ELb0ES3_PKS6_PS6_S6_ZZZN2at6native31launch_logcumsumexp_cuda_kernelERKNSD_10TensorBaseESH_lENKUlvE_clEvENKUlvE4_clEvEUlS6_S6_E_S6_EEDaPvRmT3_T4_T5_mT6_P12ihipStream_tbENKUlT_T0_E_clISt17integral_constantIbLb1EESY_EEDaST_SU_EUlST_E_NS1_11comp_targetILNS1_3genE8ELNS1_11target_archE1030ELNS1_3gpuE2ELNS1_3repE0EEENS1_30default_config_static_selectorELNS0_4arch9wavefront6targetE0EEEvT1_.num_agpr, 0
	.set _ZN7rocprim17ROCPRIM_400000_NS6detail17trampoline_kernelINS0_14default_configENS1_20scan_config_selectorIN3c108BFloat16EEEZZNS1_9scan_implILNS1_25lookback_scan_determinismE0ELb0ELb0ES3_PKS6_PS6_S6_ZZZN2at6native31launch_logcumsumexp_cuda_kernelERKNSD_10TensorBaseESH_lENKUlvE_clEvENKUlvE4_clEvEUlS6_S6_E_S6_EEDaPvRmT3_T4_T5_mT6_P12ihipStream_tbENKUlT_T0_E_clISt17integral_constantIbLb1EESY_EEDaST_SU_EUlST_E_NS1_11comp_targetILNS1_3genE8ELNS1_11target_archE1030ELNS1_3gpuE2ELNS1_3repE0EEENS1_30default_config_static_selectorELNS0_4arch9wavefront6targetE0EEEvT1_.numbered_sgpr, 0
	.set _ZN7rocprim17ROCPRIM_400000_NS6detail17trampoline_kernelINS0_14default_configENS1_20scan_config_selectorIN3c108BFloat16EEEZZNS1_9scan_implILNS1_25lookback_scan_determinismE0ELb0ELb0ES3_PKS6_PS6_S6_ZZZN2at6native31launch_logcumsumexp_cuda_kernelERKNSD_10TensorBaseESH_lENKUlvE_clEvENKUlvE4_clEvEUlS6_S6_E_S6_EEDaPvRmT3_T4_T5_mT6_P12ihipStream_tbENKUlT_T0_E_clISt17integral_constantIbLb1EESY_EEDaST_SU_EUlST_E_NS1_11comp_targetILNS1_3genE8ELNS1_11target_archE1030ELNS1_3gpuE2ELNS1_3repE0EEENS1_30default_config_static_selectorELNS0_4arch9wavefront6targetE0EEEvT1_.num_named_barrier, 0
	.set _ZN7rocprim17ROCPRIM_400000_NS6detail17trampoline_kernelINS0_14default_configENS1_20scan_config_selectorIN3c108BFloat16EEEZZNS1_9scan_implILNS1_25lookback_scan_determinismE0ELb0ELb0ES3_PKS6_PS6_S6_ZZZN2at6native31launch_logcumsumexp_cuda_kernelERKNSD_10TensorBaseESH_lENKUlvE_clEvENKUlvE4_clEvEUlS6_S6_E_S6_EEDaPvRmT3_T4_T5_mT6_P12ihipStream_tbENKUlT_T0_E_clISt17integral_constantIbLb1EESY_EEDaST_SU_EUlST_E_NS1_11comp_targetILNS1_3genE8ELNS1_11target_archE1030ELNS1_3gpuE2ELNS1_3repE0EEENS1_30default_config_static_selectorELNS0_4arch9wavefront6targetE0EEEvT1_.private_seg_size, 0
	.set _ZN7rocprim17ROCPRIM_400000_NS6detail17trampoline_kernelINS0_14default_configENS1_20scan_config_selectorIN3c108BFloat16EEEZZNS1_9scan_implILNS1_25lookback_scan_determinismE0ELb0ELb0ES3_PKS6_PS6_S6_ZZZN2at6native31launch_logcumsumexp_cuda_kernelERKNSD_10TensorBaseESH_lENKUlvE_clEvENKUlvE4_clEvEUlS6_S6_E_S6_EEDaPvRmT3_T4_T5_mT6_P12ihipStream_tbENKUlT_T0_E_clISt17integral_constantIbLb1EESY_EEDaST_SU_EUlST_E_NS1_11comp_targetILNS1_3genE8ELNS1_11target_archE1030ELNS1_3gpuE2ELNS1_3repE0EEENS1_30default_config_static_selectorELNS0_4arch9wavefront6targetE0EEEvT1_.uses_vcc, 0
	.set _ZN7rocprim17ROCPRIM_400000_NS6detail17trampoline_kernelINS0_14default_configENS1_20scan_config_selectorIN3c108BFloat16EEEZZNS1_9scan_implILNS1_25lookback_scan_determinismE0ELb0ELb0ES3_PKS6_PS6_S6_ZZZN2at6native31launch_logcumsumexp_cuda_kernelERKNSD_10TensorBaseESH_lENKUlvE_clEvENKUlvE4_clEvEUlS6_S6_E_S6_EEDaPvRmT3_T4_T5_mT6_P12ihipStream_tbENKUlT_T0_E_clISt17integral_constantIbLb1EESY_EEDaST_SU_EUlST_E_NS1_11comp_targetILNS1_3genE8ELNS1_11target_archE1030ELNS1_3gpuE2ELNS1_3repE0EEENS1_30default_config_static_selectorELNS0_4arch9wavefront6targetE0EEEvT1_.uses_flat_scratch, 0
	.set _ZN7rocprim17ROCPRIM_400000_NS6detail17trampoline_kernelINS0_14default_configENS1_20scan_config_selectorIN3c108BFloat16EEEZZNS1_9scan_implILNS1_25lookback_scan_determinismE0ELb0ELb0ES3_PKS6_PS6_S6_ZZZN2at6native31launch_logcumsumexp_cuda_kernelERKNSD_10TensorBaseESH_lENKUlvE_clEvENKUlvE4_clEvEUlS6_S6_E_S6_EEDaPvRmT3_T4_T5_mT6_P12ihipStream_tbENKUlT_T0_E_clISt17integral_constantIbLb1EESY_EEDaST_SU_EUlST_E_NS1_11comp_targetILNS1_3genE8ELNS1_11target_archE1030ELNS1_3gpuE2ELNS1_3repE0EEENS1_30default_config_static_selectorELNS0_4arch9wavefront6targetE0EEEvT1_.has_dyn_sized_stack, 0
	.set _ZN7rocprim17ROCPRIM_400000_NS6detail17trampoline_kernelINS0_14default_configENS1_20scan_config_selectorIN3c108BFloat16EEEZZNS1_9scan_implILNS1_25lookback_scan_determinismE0ELb0ELb0ES3_PKS6_PS6_S6_ZZZN2at6native31launch_logcumsumexp_cuda_kernelERKNSD_10TensorBaseESH_lENKUlvE_clEvENKUlvE4_clEvEUlS6_S6_E_S6_EEDaPvRmT3_T4_T5_mT6_P12ihipStream_tbENKUlT_T0_E_clISt17integral_constantIbLb1EESY_EEDaST_SU_EUlST_E_NS1_11comp_targetILNS1_3genE8ELNS1_11target_archE1030ELNS1_3gpuE2ELNS1_3repE0EEENS1_30default_config_static_selectorELNS0_4arch9wavefront6targetE0EEEvT1_.has_recursion, 0
	.set _ZN7rocprim17ROCPRIM_400000_NS6detail17trampoline_kernelINS0_14default_configENS1_20scan_config_selectorIN3c108BFloat16EEEZZNS1_9scan_implILNS1_25lookback_scan_determinismE0ELb0ELb0ES3_PKS6_PS6_S6_ZZZN2at6native31launch_logcumsumexp_cuda_kernelERKNSD_10TensorBaseESH_lENKUlvE_clEvENKUlvE4_clEvEUlS6_S6_E_S6_EEDaPvRmT3_T4_T5_mT6_P12ihipStream_tbENKUlT_T0_E_clISt17integral_constantIbLb1EESY_EEDaST_SU_EUlST_E_NS1_11comp_targetILNS1_3genE8ELNS1_11target_archE1030ELNS1_3gpuE2ELNS1_3repE0EEENS1_30default_config_static_selectorELNS0_4arch9wavefront6targetE0EEEvT1_.has_indirect_call, 0
	.section	.AMDGPU.csdata,"",@progbits
; Kernel info:
; codeLenInByte = 4
; TotalNumSgprs: 0
; NumVgprs: 0
; ScratchSize: 0
; MemoryBound: 0
; FloatMode: 240
; IeeeMode: 1
; LDSByteSize: 0 bytes/workgroup (compile time only)
; SGPRBlocks: 0
; VGPRBlocks: 0
; NumSGPRsForWavesPerEU: 1
; NumVGPRsForWavesPerEU: 1
; Occupancy: 16
; WaveLimiterHint : 0
; COMPUTE_PGM_RSRC2:SCRATCH_EN: 0
; COMPUTE_PGM_RSRC2:USER_SGPR: 6
; COMPUTE_PGM_RSRC2:TRAP_HANDLER: 0
; COMPUTE_PGM_RSRC2:TGID_X_EN: 1
; COMPUTE_PGM_RSRC2:TGID_Y_EN: 0
; COMPUTE_PGM_RSRC2:TGID_Z_EN: 0
; COMPUTE_PGM_RSRC2:TIDIG_COMP_CNT: 0
	.section	.text._ZN7rocprim17ROCPRIM_400000_NS6detail17trampoline_kernelINS0_14default_configENS1_20scan_config_selectorIN3c108BFloat16EEEZZNS1_9scan_implILNS1_25lookback_scan_determinismE0ELb0ELb0ES3_PKS6_PS6_S6_ZZZN2at6native31launch_logcumsumexp_cuda_kernelERKNSD_10TensorBaseESH_lENKUlvE_clEvENKUlvE4_clEvEUlS6_S6_E_S6_EEDaPvRmT3_T4_T5_mT6_P12ihipStream_tbENKUlT_T0_E_clISt17integral_constantIbLb1EESY_EEDaST_SU_EUlST_E0_NS1_11comp_targetILNS1_3genE0ELNS1_11target_archE4294967295ELNS1_3gpuE0ELNS1_3repE0EEENS1_30default_config_static_selectorELNS0_4arch9wavefront6targetE0EEEvT1_,"axG",@progbits,_ZN7rocprim17ROCPRIM_400000_NS6detail17trampoline_kernelINS0_14default_configENS1_20scan_config_selectorIN3c108BFloat16EEEZZNS1_9scan_implILNS1_25lookback_scan_determinismE0ELb0ELb0ES3_PKS6_PS6_S6_ZZZN2at6native31launch_logcumsumexp_cuda_kernelERKNSD_10TensorBaseESH_lENKUlvE_clEvENKUlvE4_clEvEUlS6_S6_E_S6_EEDaPvRmT3_T4_T5_mT6_P12ihipStream_tbENKUlT_T0_E_clISt17integral_constantIbLb1EESY_EEDaST_SU_EUlST_E0_NS1_11comp_targetILNS1_3genE0ELNS1_11target_archE4294967295ELNS1_3gpuE0ELNS1_3repE0EEENS1_30default_config_static_selectorELNS0_4arch9wavefront6targetE0EEEvT1_,comdat
	.globl	_ZN7rocprim17ROCPRIM_400000_NS6detail17trampoline_kernelINS0_14default_configENS1_20scan_config_selectorIN3c108BFloat16EEEZZNS1_9scan_implILNS1_25lookback_scan_determinismE0ELb0ELb0ES3_PKS6_PS6_S6_ZZZN2at6native31launch_logcumsumexp_cuda_kernelERKNSD_10TensorBaseESH_lENKUlvE_clEvENKUlvE4_clEvEUlS6_S6_E_S6_EEDaPvRmT3_T4_T5_mT6_P12ihipStream_tbENKUlT_T0_E_clISt17integral_constantIbLb1EESY_EEDaST_SU_EUlST_E0_NS1_11comp_targetILNS1_3genE0ELNS1_11target_archE4294967295ELNS1_3gpuE0ELNS1_3repE0EEENS1_30default_config_static_selectorELNS0_4arch9wavefront6targetE0EEEvT1_ ; -- Begin function _ZN7rocprim17ROCPRIM_400000_NS6detail17trampoline_kernelINS0_14default_configENS1_20scan_config_selectorIN3c108BFloat16EEEZZNS1_9scan_implILNS1_25lookback_scan_determinismE0ELb0ELb0ES3_PKS6_PS6_S6_ZZZN2at6native31launch_logcumsumexp_cuda_kernelERKNSD_10TensorBaseESH_lENKUlvE_clEvENKUlvE4_clEvEUlS6_S6_E_S6_EEDaPvRmT3_T4_T5_mT6_P12ihipStream_tbENKUlT_T0_E_clISt17integral_constantIbLb1EESY_EEDaST_SU_EUlST_E0_NS1_11comp_targetILNS1_3genE0ELNS1_11target_archE4294967295ELNS1_3gpuE0ELNS1_3repE0EEENS1_30default_config_static_selectorELNS0_4arch9wavefront6targetE0EEEvT1_
	.p2align	8
	.type	_ZN7rocprim17ROCPRIM_400000_NS6detail17trampoline_kernelINS0_14default_configENS1_20scan_config_selectorIN3c108BFloat16EEEZZNS1_9scan_implILNS1_25lookback_scan_determinismE0ELb0ELb0ES3_PKS6_PS6_S6_ZZZN2at6native31launch_logcumsumexp_cuda_kernelERKNSD_10TensorBaseESH_lENKUlvE_clEvENKUlvE4_clEvEUlS6_S6_E_S6_EEDaPvRmT3_T4_T5_mT6_P12ihipStream_tbENKUlT_T0_E_clISt17integral_constantIbLb1EESY_EEDaST_SU_EUlST_E0_NS1_11comp_targetILNS1_3genE0ELNS1_11target_archE4294967295ELNS1_3gpuE0ELNS1_3repE0EEENS1_30default_config_static_selectorELNS0_4arch9wavefront6targetE0EEEvT1_,@function
_ZN7rocprim17ROCPRIM_400000_NS6detail17trampoline_kernelINS0_14default_configENS1_20scan_config_selectorIN3c108BFloat16EEEZZNS1_9scan_implILNS1_25lookback_scan_determinismE0ELb0ELb0ES3_PKS6_PS6_S6_ZZZN2at6native31launch_logcumsumexp_cuda_kernelERKNSD_10TensorBaseESH_lENKUlvE_clEvENKUlvE4_clEvEUlS6_S6_E_S6_EEDaPvRmT3_T4_T5_mT6_P12ihipStream_tbENKUlT_T0_E_clISt17integral_constantIbLb1EESY_EEDaST_SU_EUlST_E0_NS1_11comp_targetILNS1_3genE0ELNS1_11target_archE4294967295ELNS1_3gpuE0ELNS1_3repE0EEENS1_30default_config_static_selectorELNS0_4arch9wavefront6targetE0EEEvT1_: ; @_ZN7rocprim17ROCPRIM_400000_NS6detail17trampoline_kernelINS0_14default_configENS1_20scan_config_selectorIN3c108BFloat16EEEZZNS1_9scan_implILNS1_25lookback_scan_determinismE0ELb0ELb0ES3_PKS6_PS6_S6_ZZZN2at6native31launch_logcumsumexp_cuda_kernelERKNSD_10TensorBaseESH_lENKUlvE_clEvENKUlvE4_clEvEUlS6_S6_E_S6_EEDaPvRmT3_T4_T5_mT6_P12ihipStream_tbENKUlT_T0_E_clISt17integral_constantIbLb1EESY_EEDaST_SU_EUlST_E0_NS1_11comp_targetILNS1_3genE0ELNS1_11target_archE4294967295ELNS1_3gpuE0ELNS1_3repE0EEENS1_30default_config_static_selectorELNS0_4arch9wavefront6targetE0EEEvT1_
; %bb.0:
	.section	.rodata,"a",@progbits
	.p2align	6, 0x0
	.amdhsa_kernel _ZN7rocprim17ROCPRIM_400000_NS6detail17trampoline_kernelINS0_14default_configENS1_20scan_config_selectorIN3c108BFloat16EEEZZNS1_9scan_implILNS1_25lookback_scan_determinismE0ELb0ELb0ES3_PKS6_PS6_S6_ZZZN2at6native31launch_logcumsumexp_cuda_kernelERKNSD_10TensorBaseESH_lENKUlvE_clEvENKUlvE4_clEvEUlS6_S6_E_S6_EEDaPvRmT3_T4_T5_mT6_P12ihipStream_tbENKUlT_T0_E_clISt17integral_constantIbLb1EESY_EEDaST_SU_EUlST_E0_NS1_11comp_targetILNS1_3genE0ELNS1_11target_archE4294967295ELNS1_3gpuE0ELNS1_3repE0EEENS1_30default_config_static_selectorELNS0_4arch9wavefront6targetE0EEEvT1_
		.amdhsa_group_segment_fixed_size 0
		.amdhsa_private_segment_fixed_size 0
		.amdhsa_kernarg_size 32
		.amdhsa_user_sgpr_count 6
		.amdhsa_user_sgpr_private_segment_buffer 1
		.amdhsa_user_sgpr_dispatch_ptr 0
		.amdhsa_user_sgpr_queue_ptr 0
		.amdhsa_user_sgpr_kernarg_segment_ptr 1
		.amdhsa_user_sgpr_dispatch_id 0
		.amdhsa_user_sgpr_flat_scratch_init 0
		.amdhsa_user_sgpr_private_segment_size 0
		.amdhsa_wavefront_size32 1
		.amdhsa_uses_dynamic_stack 0
		.amdhsa_system_sgpr_private_segment_wavefront_offset 0
		.amdhsa_system_sgpr_workgroup_id_x 1
		.amdhsa_system_sgpr_workgroup_id_y 0
		.amdhsa_system_sgpr_workgroup_id_z 0
		.amdhsa_system_sgpr_workgroup_info 0
		.amdhsa_system_vgpr_workitem_id 0
		.amdhsa_next_free_vgpr 1
		.amdhsa_next_free_sgpr 1
		.amdhsa_reserve_vcc 0
		.amdhsa_reserve_flat_scratch 0
		.amdhsa_float_round_mode_32 0
		.amdhsa_float_round_mode_16_64 0
		.amdhsa_float_denorm_mode_32 3
		.amdhsa_float_denorm_mode_16_64 3
		.amdhsa_dx10_clamp 1
		.amdhsa_ieee_mode 1
		.amdhsa_fp16_overflow 0
		.amdhsa_workgroup_processor_mode 1
		.amdhsa_memory_ordered 1
		.amdhsa_forward_progress 1
		.amdhsa_shared_vgpr_count 0
		.amdhsa_exception_fp_ieee_invalid_op 0
		.amdhsa_exception_fp_denorm_src 0
		.amdhsa_exception_fp_ieee_div_zero 0
		.amdhsa_exception_fp_ieee_overflow 0
		.amdhsa_exception_fp_ieee_underflow 0
		.amdhsa_exception_fp_ieee_inexact 0
		.amdhsa_exception_int_div_zero 0
	.end_amdhsa_kernel
	.section	.text._ZN7rocprim17ROCPRIM_400000_NS6detail17trampoline_kernelINS0_14default_configENS1_20scan_config_selectorIN3c108BFloat16EEEZZNS1_9scan_implILNS1_25lookback_scan_determinismE0ELb0ELb0ES3_PKS6_PS6_S6_ZZZN2at6native31launch_logcumsumexp_cuda_kernelERKNSD_10TensorBaseESH_lENKUlvE_clEvENKUlvE4_clEvEUlS6_S6_E_S6_EEDaPvRmT3_T4_T5_mT6_P12ihipStream_tbENKUlT_T0_E_clISt17integral_constantIbLb1EESY_EEDaST_SU_EUlST_E0_NS1_11comp_targetILNS1_3genE0ELNS1_11target_archE4294967295ELNS1_3gpuE0ELNS1_3repE0EEENS1_30default_config_static_selectorELNS0_4arch9wavefront6targetE0EEEvT1_,"axG",@progbits,_ZN7rocprim17ROCPRIM_400000_NS6detail17trampoline_kernelINS0_14default_configENS1_20scan_config_selectorIN3c108BFloat16EEEZZNS1_9scan_implILNS1_25lookback_scan_determinismE0ELb0ELb0ES3_PKS6_PS6_S6_ZZZN2at6native31launch_logcumsumexp_cuda_kernelERKNSD_10TensorBaseESH_lENKUlvE_clEvENKUlvE4_clEvEUlS6_S6_E_S6_EEDaPvRmT3_T4_T5_mT6_P12ihipStream_tbENKUlT_T0_E_clISt17integral_constantIbLb1EESY_EEDaST_SU_EUlST_E0_NS1_11comp_targetILNS1_3genE0ELNS1_11target_archE4294967295ELNS1_3gpuE0ELNS1_3repE0EEENS1_30default_config_static_selectorELNS0_4arch9wavefront6targetE0EEEvT1_,comdat
.Lfunc_end474:
	.size	_ZN7rocprim17ROCPRIM_400000_NS6detail17trampoline_kernelINS0_14default_configENS1_20scan_config_selectorIN3c108BFloat16EEEZZNS1_9scan_implILNS1_25lookback_scan_determinismE0ELb0ELb0ES3_PKS6_PS6_S6_ZZZN2at6native31launch_logcumsumexp_cuda_kernelERKNSD_10TensorBaseESH_lENKUlvE_clEvENKUlvE4_clEvEUlS6_S6_E_S6_EEDaPvRmT3_T4_T5_mT6_P12ihipStream_tbENKUlT_T0_E_clISt17integral_constantIbLb1EESY_EEDaST_SU_EUlST_E0_NS1_11comp_targetILNS1_3genE0ELNS1_11target_archE4294967295ELNS1_3gpuE0ELNS1_3repE0EEENS1_30default_config_static_selectorELNS0_4arch9wavefront6targetE0EEEvT1_, .Lfunc_end474-_ZN7rocprim17ROCPRIM_400000_NS6detail17trampoline_kernelINS0_14default_configENS1_20scan_config_selectorIN3c108BFloat16EEEZZNS1_9scan_implILNS1_25lookback_scan_determinismE0ELb0ELb0ES3_PKS6_PS6_S6_ZZZN2at6native31launch_logcumsumexp_cuda_kernelERKNSD_10TensorBaseESH_lENKUlvE_clEvENKUlvE4_clEvEUlS6_S6_E_S6_EEDaPvRmT3_T4_T5_mT6_P12ihipStream_tbENKUlT_T0_E_clISt17integral_constantIbLb1EESY_EEDaST_SU_EUlST_E0_NS1_11comp_targetILNS1_3genE0ELNS1_11target_archE4294967295ELNS1_3gpuE0ELNS1_3repE0EEENS1_30default_config_static_selectorELNS0_4arch9wavefront6targetE0EEEvT1_
                                        ; -- End function
	.set _ZN7rocprim17ROCPRIM_400000_NS6detail17trampoline_kernelINS0_14default_configENS1_20scan_config_selectorIN3c108BFloat16EEEZZNS1_9scan_implILNS1_25lookback_scan_determinismE0ELb0ELb0ES3_PKS6_PS6_S6_ZZZN2at6native31launch_logcumsumexp_cuda_kernelERKNSD_10TensorBaseESH_lENKUlvE_clEvENKUlvE4_clEvEUlS6_S6_E_S6_EEDaPvRmT3_T4_T5_mT6_P12ihipStream_tbENKUlT_T0_E_clISt17integral_constantIbLb1EESY_EEDaST_SU_EUlST_E0_NS1_11comp_targetILNS1_3genE0ELNS1_11target_archE4294967295ELNS1_3gpuE0ELNS1_3repE0EEENS1_30default_config_static_selectorELNS0_4arch9wavefront6targetE0EEEvT1_.num_vgpr, 0
	.set _ZN7rocprim17ROCPRIM_400000_NS6detail17trampoline_kernelINS0_14default_configENS1_20scan_config_selectorIN3c108BFloat16EEEZZNS1_9scan_implILNS1_25lookback_scan_determinismE0ELb0ELb0ES3_PKS6_PS6_S6_ZZZN2at6native31launch_logcumsumexp_cuda_kernelERKNSD_10TensorBaseESH_lENKUlvE_clEvENKUlvE4_clEvEUlS6_S6_E_S6_EEDaPvRmT3_T4_T5_mT6_P12ihipStream_tbENKUlT_T0_E_clISt17integral_constantIbLb1EESY_EEDaST_SU_EUlST_E0_NS1_11comp_targetILNS1_3genE0ELNS1_11target_archE4294967295ELNS1_3gpuE0ELNS1_3repE0EEENS1_30default_config_static_selectorELNS0_4arch9wavefront6targetE0EEEvT1_.num_agpr, 0
	.set _ZN7rocprim17ROCPRIM_400000_NS6detail17trampoline_kernelINS0_14default_configENS1_20scan_config_selectorIN3c108BFloat16EEEZZNS1_9scan_implILNS1_25lookback_scan_determinismE0ELb0ELb0ES3_PKS6_PS6_S6_ZZZN2at6native31launch_logcumsumexp_cuda_kernelERKNSD_10TensorBaseESH_lENKUlvE_clEvENKUlvE4_clEvEUlS6_S6_E_S6_EEDaPvRmT3_T4_T5_mT6_P12ihipStream_tbENKUlT_T0_E_clISt17integral_constantIbLb1EESY_EEDaST_SU_EUlST_E0_NS1_11comp_targetILNS1_3genE0ELNS1_11target_archE4294967295ELNS1_3gpuE0ELNS1_3repE0EEENS1_30default_config_static_selectorELNS0_4arch9wavefront6targetE0EEEvT1_.numbered_sgpr, 0
	.set _ZN7rocprim17ROCPRIM_400000_NS6detail17trampoline_kernelINS0_14default_configENS1_20scan_config_selectorIN3c108BFloat16EEEZZNS1_9scan_implILNS1_25lookback_scan_determinismE0ELb0ELb0ES3_PKS6_PS6_S6_ZZZN2at6native31launch_logcumsumexp_cuda_kernelERKNSD_10TensorBaseESH_lENKUlvE_clEvENKUlvE4_clEvEUlS6_S6_E_S6_EEDaPvRmT3_T4_T5_mT6_P12ihipStream_tbENKUlT_T0_E_clISt17integral_constantIbLb1EESY_EEDaST_SU_EUlST_E0_NS1_11comp_targetILNS1_3genE0ELNS1_11target_archE4294967295ELNS1_3gpuE0ELNS1_3repE0EEENS1_30default_config_static_selectorELNS0_4arch9wavefront6targetE0EEEvT1_.num_named_barrier, 0
	.set _ZN7rocprim17ROCPRIM_400000_NS6detail17trampoline_kernelINS0_14default_configENS1_20scan_config_selectorIN3c108BFloat16EEEZZNS1_9scan_implILNS1_25lookback_scan_determinismE0ELb0ELb0ES3_PKS6_PS6_S6_ZZZN2at6native31launch_logcumsumexp_cuda_kernelERKNSD_10TensorBaseESH_lENKUlvE_clEvENKUlvE4_clEvEUlS6_S6_E_S6_EEDaPvRmT3_T4_T5_mT6_P12ihipStream_tbENKUlT_T0_E_clISt17integral_constantIbLb1EESY_EEDaST_SU_EUlST_E0_NS1_11comp_targetILNS1_3genE0ELNS1_11target_archE4294967295ELNS1_3gpuE0ELNS1_3repE0EEENS1_30default_config_static_selectorELNS0_4arch9wavefront6targetE0EEEvT1_.private_seg_size, 0
	.set _ZN7rocprim17ROCPRIM_400000_NS6detail17trampoline_kernelINS0_14default_configENS1_20scan_config_selectorIN3c108BFloat16EEEZZNS1_9scan_implILNS1_25lookback_scan_determinismE0ELb0ELb0ES3_PKS6_PS6_S6_ZZZN2at6native31launch_logcumsumexp_cuda_kernelERKNSD_10TensorBaseESH_lENKUlvE_clEvENKUlvE4_clEvEUlS6_S6_E_S6_EEDaPvRmT3_T4_T5_mT6_P12ihipStream_tbENKUlT_T0_E_clISt17integral_constantIbLb1EESY_EEDaST_SU_EUlST_E0_NS1_11comp_targetILNS1_3genE0ELNS1_11target_archE4294967295ELNS1_3gpuE0ELNS1_3repE0EEENS1_30default_config_static_selectorELNS0_4arch9wavefront6targetE0EEEvT1_.uses_vcc, 0
	.set _ZN7rocprim17ROCPRIM_400000_NS6detail17trampoline_kernelINS0_14default_configENS1_20scan_config_selectorIN3c108BFloat16EEEZZNS1_9scan_implILNS1_25lookback_scan_determinismE0ELb0ELb0ES3_PKS6_PS6_S6_ZZZN2at6native31launch_logcumsumexp_cuda_kernelERKNSD_10TensorBaseESH_lENKUlvE_clEvENKUlvE4_clEvEUlS6_S6_E_S6_EEDaPvRmT3_T4_T5_mT6_P12ihipStream_tbENKUlT_T0_E_clISt17integral_constantIbLb1EESY_EEDaST_SU_EUlST_E0_NS1_11comp_targetILNS1_3genE0ELNS1_11target_archE4294967295ELNS1_3gpuE0ELNS1_3repE0EEENS1_30default_config_static_selectorELNS0_4arch9wavefront6targetE0EEEvT1_.uses_flat_scratch, 0
	.set _ZN7rocprim17ROCPRIM_400000_NS6detail17trampoline_kernelINS0_14default_configENS1_20scan_config_selectorIN3c108BFloat16EEEZZNS1_9scan_implILNS1_25lookback_scan_determinismE0ELb0ELb0ES3_PKS6_PS6_S6_ZZZN2at6native31launch_logcumsumexp_cuda_kernelERKNSD_10TensorBaseESH_lENKUlvE_clEvENKUlvE4_clEvEUlS6_S6_E_S6_EEDaPvRmT3_T4_T5_mT6_P12ihipStream_tbENKUlT_T0_E_clISt17integral_constantIbLb1EESY_EEDaST_SU_EUlST_E0_NS1_11comp_targetILNS1_3genE0ELNS1_11target_archE4294967295ELNS1_3gpuE0ELNS1_3repE0EEENS1_30default_config_static_selectorELNS0_4arch9wavefront6targetE0EEEvT1_.has_dyn_sized_stack, 0
	.set _ZN7rocprim17ROCPRIM_400000_NS6detail17trampoline_kernelINS0_14default_configENS1_20scan_config_selectorIN3c108BFloat16EEEZZNS1_9scan_implILNS1_25lookback_scan_determinismE0ELb0ELb0ES3_PKS6_PS6_S6_ZZZN2at6native31launch_logcumsumexp_cuda_kernelERKNSD_10TensorBaseESH_lENKUlvE_clEvENKUlvE4_clEvEUlS6_S6_E_S6_EEDaPvRmT3_T4_T5_mT6_P12ihipStream_tbENKUlT_T0_E_clISt17integral_constantIbLb1EESY_EEDaST_SU_EUlST_E0_NS1_11comp_targetILNS1_3genE0ELNS1_11target_archE4294967295ELNS1_3gpuE0ELNS1_3repE0EEENS1_30default_config_static_selectorELNS0_4arch9wavefront6targetE0EEEvT1_.has_recursion, 0
	.set _ZN7rocprim17ROCPRIM_400000_NS6detail17trampoline_kernelINS0_14default_configENS1_20scan_config_selectorIN3c108BFloat16EEEZZNS1_9scan_implILNS1_25lookback_scan_determinismE0ELb0ELb0ES3_PKS6_PS6_S6_ZZZN2at6native31launch_logcumsumexp_cuda_kernelERKNSD_10TensorBaseESH_lENKUlvE_clEvENKUlvE4_clEvEUlS6_S6_E_S6_EEDaPvRmT3_T4_T5_mT6_P12ihipStream_tbENKUlT_T0_E_clISt17integral_constantIbLb1EESY_EEDaST_SU_EUlST_E0_NS1_11comp_targetILNS1_3genE0ELNS1_11target_archE4294967295ELNS1_3gpuE0ELNS1_3repE0EEENS1_30default_config_static_selectorELNS0_4arch9wavefront6targetE0EEEvT1_.has_indirect_call, 0
	.section	.AMDGPU.csdata,"",@progbits
; Kernel info:
; codeLenInByte = 0
; TotalNumSgprs: 0
; NumVgprs: 0
; ScratchSize: 0
; MemoryBound: 0
; FloatMode: 240
; IeeeMode: 1
; LDSByteSize: 0 bytes/workgroup (compile time only)
; SGPRBlocks: 0
; VGPRBlocks: 0
; NumSGPRsForWavesPerEU: 1
; NumVGPRsForWavesPerEU: 1
; Occupancy: 16
; WaveLimiterHint : 0
; COMPUTE_PGM_RSRC2:SCRATCH_EN: 0
; COMPUTE_PGM_RSRC2:USER_SGPR: 6
; COMPUTE_PGM_RSRC2:TRAP_HANDLER: 0
; COMPUTE_PGM_RSRC2:TGID_X_EN: 1
; COMPUTE_PGM_RSRC2:TGID_Y_EN: 0
; COMPUTE_PGM_RSRC2:TGID_Z_EN: 0
; COMPUTE_PGM_RSRC2:TIDIG_COMP_CNT: 0
	.section	.text._ZN7rocprim17ROCPRIM_400000_NS6detail17trampoline_kernelINS0_14default_configENS1_20scan_config_selectorIN3c108BFloat16EEEZZNS1_9scan_implILNS1_25lookback_scan_determinismE0ELb0ELb0ES3_PKS6_PS6_S6_ZZZN2at6native31launch_logcumsumexp_cuda_kernelERKNSD_10TensorBaseESH_lENKUlvE_clEvENKUlvE4_clEvEUlS6_S6_E_S6_EEDaPvRmT3_T4_T5_mT6_P12ihipStream_tbENKUlT_T0_E_clISt17integral_constantIbLb1EESY_EEDaST_SU_EUlST_E0_NS1_11comp_targetILNS1_3genE5ELNS1_11target_archE942ELNS1_3gpuE9ELNS1_3repE0EEENS1_30default_config_static_selectorELNS0_4arch9wavefront6targetE0EEEvT1_,"axG",@progbits,_ZN7rocprim17ROCPRIM_400000_NS6detail17trampoline_kernelINS0_14default_configENS1_20scan_config_selectorIN3c108BFloat16EEEZZNS1_9scan_implILNS1_25lookback_scan_determinismE0ELb0ELb0ES3_PKS6_PS6_S6_ZZZN2at6native31launch_logcumsumexp_cuda_kernelERKNSD_10TensorBaseESH_lENKUlvE_clEvENKUlvE4_clEvEUlS6_S6_E_S6_EEDaPvRmT3_T4_T5_mT6_P12ihipStream_tbENKUlT_T0_E_clISt17integral_constantIbLb1EESY_EEDaST_SU_EUlST_E0_NS1_11comp_targetILNS1_3genE5ELNS1_11target_archE942ELNS1_3gpuE9ELNS1_3repE0EEENS1_30default_config_static_selectorELNS0_4arch9wavefront6targetE0EEEvT1_,comdat
	.globl	_ZN7rocprim17ROCPRIM_400000_NS6detail17trampoline_kernelINS0_14default_configENS1_20scan_config_selectorIN3c108BFloat16EEEZZNS1_9scan_implILNS1_25lookback_scan_determinismE0ELb0ELb0ES3_PKS6_PS6_S6_ZZZN2at6native31launch_logcumsumexp_cuda_kernelERKNSD_10TensorBaseESH_lENKUlvE_clEvENKUlvE4_clEvEUlS6_S6_E_S6_EEDaPvRmT3_T4_T5_mT6_P12ihipStream_tbENKUlT_T0_E_clISt17integral_constantIbLb1EESY_EEDaST_SU_EUlST_E0_NS1_11comp_targetILNS1_3genE5ELNS1_11target_archE942ELNS1_3gpuE9ELNS1_3repE0EEENS1_30default_config_static_selectorELNS0_4arch9wavefront6targetE0EEEvT1_ ; -- Begin function _ZN7rocprim17ROCPRIM_400000_NS6detail17trampoline_kernelINS0_14default_configENS1_20scan_config_selectorIN3c108BFloat16EEEZZNS1_9scan_implILNS1_25lookback_scan_determinismE0ELb0ELb0ES3_PKS6_PS6_S6_ZZZN2at6native31launch_logcumsumexp_cuda_kernelERKNSD_10TensorBaseESH_lENKUlvE_clEvENKUlvE4_clEvEUlS6_S6_E_S6_EEDaPvRmT3_T4_T5_mT6_P12ihipStream_tbENKUlT_T0_E_clISt17integral_constantIbLb1EESY_EEDaST_SU_EUlST_E0_NS1_11comp_targetILNS1_3genE5ELNS1_11target_archE942ELNS1_3gpuE9ELNS1_3repE0EEENS1_30default_config_static_selectorELNS0_4arch9wavefront6targetE0EEEvT1_
	.p2align	8
	.type	_ZN7rocprim17ROCPRIM_400000_NS6detail17trampoline_kernelINS0_14default_configENS1_20scan_config_selectorIN3c108BFloat16EEEZZNS1_9scan_implILNS1_25lookback_scan_determinismE0ELb0ELb0ES3_PKS6_PS6_S6_ZZZN2at6native31launch_logcumsumexp_cuda_kernelERKNSD_10TensorBaseESH_lENKUlvE_clEvENKUlvE4_clEvEUlS6_S6_E_S6_EEDaPvRmT3_T4_T5_mT6_P12ihipStream_tbENKUlT_T0_E_clISt17integral_constantIbLb1EESY_EEDaST_SU_EUlST_E0_NS1_11comp_targetILNS1_3genE5ELNS1_11target_archE942ELNS1_3gpuE9ELNS1_3repE0EEENS1_30default_config_static_selectorELNS0_4arch9wavefront6targetE0EEEvT1_,@function
_ZN7rocprim17ROCPRIM_400000_NS6detail17trampoline_kernelINS0_14default_configENS1_20scan_config_selectorIN3c108BFloat16EEEZZNS1_9scan_implILNS1_25lookback_scan_determinismE0ELb0ELb0ES3_PKS6_PS6_S6_ZZZN2at6native31launch_logcumsumexp_cuda_kernelERKNSD_10TensorBaseESH_lENKUlvE_clEvENKUlvE4_clEvEUlS6_S6_E_S6_EEDaPvRmT3_T4_T5_mT6_P12ihipStream_tbENKUlT_T0_E_clISt17integral_constantIbLb1EESY_EEDaST_SU_EUlST_E0_NS1_11comp_targetILNS1_3genE5ELNS1_11target_archE942ELNS1_3gpuE9ELNS1_3repE0EEENS1_30default_config_static_selectorELNS0_4arch9wavefront6targetE0EEEvT1_: ; @_ZN7rocprim17ROCPRIM_400000_NS6detail17trampoline_kernelINS0_14default_configENS1_20scan_config_selectorIN3c108BFloat16EEEZZNS1_9scan_implILNS1_25lookback_scan_determinismE0ELb0ELb0ES3_PKS6_PS6_S6_ZZZN2at6native31launch_logcumsumexp_cuda_kernelERKNSD_10TensorBaseESH_lENKUlvE_clEvENKUlvE4_clEvEUlS6_S6_E_S6_EEDaPvRmT3_T4_T5_mT6_P12ihipStream_tbENKUlT_T0_E_clISt17integral_constantIbLb1EESY_EEDaST_SU_EUlST_E0_NS1_11comp_targetILNS1_3genE5ELNS1_11target_archE942ELNS1_3gpuE9ELNS1_3repE0EEENS1_30default_config_static_selectorELNS0_4arch9wavefront6targetE0EEEvT1_
; %bb.0:
	.section	.rodata,"a",@progbits
	.p2align	6, 0x0
	.amdhsa_kernel _ZN7rocprim17ROCPRIM_400000_NS6detail17trampoline_kernelINS0_14default_configENS1_20scan_config_selectorIN3c108BFloat16EEEZZNS1_9scan_implILNS1_25lookback_scan_determinismE0ELb0ELb0ES3_PKS6_PS6_S6_ZZZN2at6native31launch_logcumsumexp_cuda_kernelERKNSD_10TensorBaseESH_lENKUlvE_clEvENKUlvE4_clEvEUlS6_S6_E_S6_EEDaPvRmT3_T4_T5_mT6_P12ihipStream_tbENKUlT_T0_E_clISt17integral_constantIbLb1EESY_EEDaST_SU_EUlST_E0_NS1_11comp_targetILNS1_3genE5ELNS1_11target_archE942ELNS1_3gpuE9ELNS1_3repE0EEENS1_30default_config_static_selectorELNS0_4arch9wavefront6targetE0EEEvT1_
		.amdhsa_group_segment_fixed_size 0
		.amdhsa_private_segment_fixed_size 0
		.amdhsa_kernarg_size 32
		.amdhsa_user_sgpr_count 6
		.amdhsa_user_sgpr_private_segment_buffer 1
		.amdhsa_user_sgpr_dispatch_ptr 0
		.amdhsa_user_sgpr_queue_ptr 0
		.amdhsa_user_sgpr_kernarg_segment_ptr 1
		.amdhsa_user_sgpr_dispatch_id 0
		.amdhsa_user_sgpr_flat_scratch_init 0
		.amdhsa_user_sgpr_private_segment_size 0
		.amdhsa_wavefront_size32 1
		.amdhsa_uses_dynamic_stack 0
		.amdhsa_system_sgpr_private_segment_wavefront_offset 0
		.amdhsa_system_sgpr_workgroup_id_x 1
		.amdhsa_system_sgpr_workgroup_id_y 0
		.amdhsa_system_sgpr_workgroup_id_z 0
		.amdhsa_system_sgpr_workgroup_info 0
		.amdhsa_system_vgpr_workitem_id 0
		.amdhsa_next_free_vgpr 1
		.amdhsa_next_free_sgpr 1
		.amdhsa_reserve_vcc 0
		.amdhsa_reserve_flat_scratch 0
		.amdhsa_float_round_mode_32 0
		.amdhsa_float_round_mode_16_64 0
		.amdhsa_float_denorm_mode_32 3
		.amdhsa_float_denorm_mode_16_64 3
		.amdhsa_dx10_clamp 1
		.amdhsa_ieee_mode 1
		.amdhsa_fp16_overflow 0
		.amdhsa_workgroup_processor_mode 1
		.amdhsa_memory_ordered 1
		.amdhsa_forward_progress 1
		.amdhsa_shared_vgpr_count 0
		.amdhsa_exception_fp_ieee_invalid_op 0
		.amdhsa_exception_fp_denorm_src 0
		.amdhsa_exception_fp_ieee_div_zero 0
		.amdhsa_exception_fp_ieee_overflow 0
		.amdhsa_exception_fp_ieee_underflow 0
		.amdhsa_exception_fp_ieee_inexact 0
		.amdhsa_exception_int_div_zero 0
	.end_amdhsa_kernel
	.section	.text._ZN7rocprim17ROCPRIM_400000_NS6detail17trampoline_kernelINS0_14default_configENS1_20scan_config_selectorIN3c108BFloat16EEEZZNS1_9scan_implILNS1_25lookback_scan_determinismE0ELb0ELb0ES3_PKS6_PS6_S6_ZZZN2at6native31launch_logcumsumexp_cuda_kernelERKNSD_10TensorBaseESH_lENKUlvE_clEvENKUlvE4_clEvEUlS6_S6_E_S6_EEDaPvRmT3_T4_T5_mT6_P12ihipStream_tbENKUlT_T0_E_clISt17integral_constantIbLb1EESY_EEDaST_SU_EUlST_E0_NS1_11comp_targetILNS1_3genE5ELNS1_11target_archE942ELNS1_3gpuE9ELNS1_3repE0EEENS1_30default_config_static_selectorELNS0_4arch9wavefront6targetE0EEEvT1_,"axG",@progbits,_ZN7rocprim17ROCPRIM_400000_NS6detail17trampoline_kernelINS0_14default_configENS1_20scan_config_selectorIN3c108BFloat16EEEZZNS1_9scan_implILNS1_25lookback_scan_determinismE0ELb0ELb0ES3_PKS6_PS6_S6_ZZZN2at6native31launch_logcumsumexp_cuda_kernelERKNSD_10TensorBaseESH_lENKUlvE_clEvENKUlvE4_clEvEUlS6_S6_E_S6_EEDaPvRmT3_T4_T5_mT6_P12ihipStream_tbENKUlT_T0_E_clISt17integral_constantIbLb1EESY_EEDaST_SU_EUlST_E0_NS1_11comp_targetILNS1_3genE5ELNS1_11target_archE942ELNS1_3gpuE9ELNS1_3repE0EEENS1_30default_config_static_selectorELNS0_4arch9wavefront6targetE0EEEvT1_,comdat
.Lfunc_end475:
	.size	_ZN7rocprim17ROCPRIM_400000_NS6detail17trampoline_kernelINS0_14default_configENS1_20scan_config_selectorIN3c108BFloat16EEEZZNS1_9scan_implILNS1_25lookback_scan_determinismE0ELb0ELb0ES3_PKS6_PS6_S6_ZZZN2at6native31launch_logcumsumexp_cuda_kernelERKNSD_10TensorBaseESH_lENKUlvE_clEvENKUlvE4_clEvEUlS6_S6_E_S6_EEDaPvRmT3_T4_T5_mT6_P12ihipStream_tbENKUlT_T0_E_clISt17integral_constantIbLb1EESY_EEDaST_SU_EUlST_E0_NS1_11comp_targetILNS1_3genE5ELNS1_11target_archE942ELNS1_3gpuE9ELNS1_3repE0EEENS1_30default_config_static_selectorELNS0_4arch9wavefront6targetE0EEEvT1_, .Lfunc_end475-_ZN7rocprim17ROCPRIM_400000_NS6detail17trampoline_kernelINS0_14default_configENS1_20scan_config_selectorIN3c108BFloat16EEEZZNS1_9scan_implILNS1_25lookback_scan_determinismE0ELb0ELb0ES3_PKS6_PS6_S6_ZZZN2at6native31launch_logcumsumexp_cuda_kernelERKNSD_10TensorBaseESH_lENKUlvE_clEvENKUlvE4_clEvEUlS6_S6_E_S6_EEDaPvRmT3_T4_T5_mT6_P12ihipStream_tbENKUlT_T0_E_clISt17integral_constantIbLb1EESY_EEDaST_SU_EUlST_E0_NS1_11comp_targetILNS1_3genE5ELNS1_11target_archE942ELNS1_3gpuE9ELNS1_3repE0EEENS1_30default_config_static_selectorELNS0_4arch9wavefront6targetE0EEEvT1_
                                        ; -- End function
	.set _ZN7rocprim17ROCPRIM_400000_NS6detail17trampoline_kernelINS0_14default_configENS1_20scan_config_selectorIN3c108BFloat16EEEZZNS1_9scan_implILNS1_25lookback_scan_determinismE0ELb0ELb0ES3_PKS6_PS6_S6_ZZZN2at6native31launch_logcumsumexp_cuda_kernelERKNSD_10TensorBaseESH_lENKUlvE_clEvENKUlvE4_clEvEUlS6_S6_E_S6_EEDaPvRmT3_T4_T5_mT6_P12ihipStream_tbENKUlT_T0_E_clISt17integral_constantIbLb1EESY_EEDaST_SU_EUlST_E0_NS1_11comp_targetILNS1_3genE5ELNS1_11target_archE942ELNS1_3gpuE9ELNS1_3repE0EEENS1_30default_config_static_selectorELNS0_4arch9wavefront6targetE0EEEvT1_.num_vgpr, 0
	.set _ZN7rocprim17ROCPRIM_400000_NS6detail17trampoline_kernelINS0_14default_configENS1_20scan_config_selectorIN3c108BFloat16EEEZZNS1_9scan_implILNS1_25lookback_scan_determinismE0ELb0ELb0ES3_PKS6_PS6_S6_ZZZN2at6native31launch_logcumsumexp_cuda_kernelERKNSD_10TensorBaseESH_lENKUlvE_clEvENKUlvE4_clEvEUlS6_S6_E_S6_EEDaPvRmT3_T4_T5_mT6_P12ihipStream_tbENKUlT_T0_E_clISt17integral_constantIbLb1EESY_EEDaST_SU_EUlST_E0_NS1_11comp_targetILNS1_3genE5ELNS1_11target_archE942ELNS1_3gpuE9ELNS1_3repE0EEENS1_30default_config_static_selectorELNS0_4arch9wavefront6targetE0EEEvT1_.num_agpr, 0
	.set _ZN7rocprim17ROCPRIM_400000_NS6detail17trampoline_kernelINS0_14default_configENS1_20scan_config_selectorIN3c108BFloat16EEEZZNS1_9scan_implILNS1_25lookback_scan_determinismE0ELb0ELb0ES3_PKS6_PS6_S6_ZZZN2at6native31launch_logcumsumexp_cuda_kernelERKNSD_10TensorBaseESH_lENKUlvE_clEvENKUlvE4_clEvEUlS6_S6_E_S6_EEDaPvRmT3_T4_T5_mT6_P12ihipStream_tbENKUlT_T0_E_clISt17integral_constantIbLb1EESY_EEDaST_SU_EUlST_E0_NS1_11comp_targetILNS1_3genE5ELNS1_11target_archE942ELNS1_3gpuE9ELNS1_3repE0EEENS1_30default_config_static_selectorELNS0_4arch9wavefront6targetE0EEEvT1_.numbered_sgpr, 0
	.set _ZN7rocprim17ROCPRIM_400000_NS6detail17trampoline_kernelINS0_14default_configENS1_20scan_config_selectorIN3c108BFloat16EEEZZNS1_9scan_implILNS1_25lookback_scan_determinismE0ELb0ELb0ES3_PKS6_PS6_S6_ZZZN2at6native31launch_logcumsumexp_cuda_kernelERKNSD_10TensorBaseESH_lENKUlvE_clEvENKUlvE4_clEvEUlS6_S6_E_S6_EEDaPvRmT3_T4_T5_mT6_P12ihipStream_tbENKUlT_T0_E_clISt17integral_constantIbLb1EESY_EEDaST_SU_EUlST_E0_NS1_11comp_targetILNS1_3genE5ELNS1_11target_archE942ELNS1_3gpuE9ELNS1_3repE0EEENS1_30default_config_static_selectorELNS0_4arch9wavefront6targetE0EEEvT1_.num_named_barrier, 0
	.set _ZN7rocprim17ROCPRIM_400000_NS6detail17trampoline_kernelINS0_14default_configENS1_20scan_config_selectorIN3c108BFloat16EEEZZNS1_9scan_implILNS1_25lookback_scan_determinismE0ELb0ELb0ES3_PKS6_PS6_S6_ZZZN2at6native31launch_logcumsumexp_cuda_kernelERKNSD_10TensorBaseESH_lENKUlvE_clEvENKUlvE4_clEvEUlS6_S6_E_S6_EEDaPvRmT3_T4_T5_mT6_P12ihipStream_tbENKUlT_T0_E_clISt17integral_constantIbLb1EESY_EEDaST_SU_EUlST_E0_NS1_11comp_targetILNS1_3genE5ELNS1_11target_archE942ELNS1_3gpuE9ELNS1_3repE0EEENS1_30default_config_static_selectorELNS0_4arch9wavefront6targetE0EEEvT1_.private_seg_size, 0
	.set _ZN7rocprim17ROCPRIM_400000_NS6detail17trampoline_kernelINS0_14default_configENS1_20scan_config_selectorIN3c108BFloat16EEEZZNS1_9scan_implILNS1_25lookback_scan_determinismE0ELb0ELb0ES3_PKS6_PS6_S6_ZZZN2at6native31launch_logcumsumexp_cuda_kernelERKNSD_10TensorBaseESH_lENKUlvE_clEvENKUlvE4_clEvEUlS6_S6_E_S6_EEDaPvRmT3_T4_T5_mT6_P12ihipStream_tbENKUlT_T0_E_clISt17integral_constantIbLb1EESY_EEDaST_SU_EUlST_E0_NS1_11comp_targetILNS1_3genE5ELNS1_11target_archE942ELNS1_3gpuE9ELNS1_3repE0EEENS1_30default_config_static_selectorELNS0_4arch9wavefront6targetE0EEEvT1_.uses_vcc, 0
	.set _ZN7rocprim17ROCPRIM_400000_NS6detail17trampoline_kernelINS0_14default_configENS1_20scan_config_selectorIN3c108BFloat16EEEZZNS1_9scan_implILNS1_25lookback_scan_determinismE0ELb0ELb0ES3_PKS6_PS6_S6_ZZZN2at6native31launch_logcumsumexp_cuda_kernelERKNSD_10TensorBaseESH_lENKUlvE_clEvENKUlvE4_clEvEUlS6_S6_E_S6_EEDaPvRmT3_T4_T5_mT6_P12ihipStream_tbENKUlT_T0_E_clISt17integral_constantIbLb1EESY_EEDaST_SU_EUlST_E0_NS1_11comp_targetILNS1_3genE5ELNS1_11target_archE942ELNS1_3gpuE9ELNS1_3repE0EEENS1_30default_config_static_selectorELNS0_4arch9wavefront6targetE0EEEvT1_.uses_flat_scratch, 0
	.set _ZN7rocprim17ROCPRIM_400000_NS6detail17trampoline_kernelINS0_14default_configENS1_20scan_config_selectorIN3c108BFloat16EEEZZNS1_9scan_implILNS1_25lookback_scan_determinismE0ELb0ELb0ES3_PKS6_PS6_S6_ZZZN2at6native31launch_logcumsumexp_cuda_kernelERKNSD_10TensorBaseESH_lENKUlvE_clEvENKUlvE4_clEvEUlS6_S6_E_S6_EEDaPvRmT3_T4_T5_mT6_P12ihipStream_tbENKUlT_T0_E_clISt17integral_constantIbLb1EESY_EEDaST_SU_EUlST_E0_NS1_11comp_targetILNS1_3genE5ELNS1_11target_archE942ELNS1_3gpuE9ELNS1_3repE0EEENS1_30default_config_static_selectorELNS0_4arch9wavefront6targetE0EEEvT1_.has_dyn_sized_stack, 0
	.set _ZN7rocprim17ROCPRIM_400000_NS6detail17trampoline_kernelINS0_14default_configENS1_20scan_config_selectorIN3c108BFloat16EEEZZNS1_9scan_implILNS1_25lookback_scan_determinismE0ELb0ELb0ES3_PKS6_PS6_S6_ZZZN2at6native31launch_logcumsumexp_cuda_kernelERKNSD_10TensorBaseESH_lENKUlvE_clEvENKUlvE4_clEvEUlS6_S6_E_S6_EEDaPvRmT3_T4_T5_mT6_P12ihipStream_tbENKUlT_T0_E_clISt17integral_constantIbLb1EESY_EEDaST_SU_EUlST_E0_NS1_11comp_targetILNS1_3genE5ELNS1_11target_archE942ELNS1_3gpuE9ELNS1_3repE0EEENS1_30default_config_static_selectorELNS0_4arch9wavefront6targetE0EEEvT1_.has_recursion, 0
	.set _ZN7rocprim17ROCPRIM_400000_NS6detail17trampoline_kernelINS0_14default_configENS1_20scan_config_selectorIN3c108BFloat16EEEZZNS1_9scan_implILNS1_25lookback_scan_determinismE0ELb0ELb0ES3_PKS6_PS6_S6_ZZZN2at6native31launch_logcumsumexp_cuda_kernelERKNSD_10TensorBaseESH_lENKUlvE_clEvENKUlvE4_clEvEUlS6_S6_E_S6_EEDaPvRmT3_T4_T5_mT6_P12ihipStream_tbENKUlT_T0_E_clISt17integral_constantIbLb1EESY_EEDaST_SU_EUlST_E0_NS1_11comp_targetILNS1_3genE5ELNS1_11target_archE942ELNS1_3gpuE9ELNS1_3repE0EEENS1_30default_config_static_selectorELNS0_4arch9wavefront6targetE0EEEvT1_.has_indirect_call, 0
	.section	.AMDGPU.csdata,"",@progbits
; Kernel info:
; codeLenInByte = 0
; TotalNumSgprs: 0
; NumVgprs: 0
; ScratchSize: 0
; MemoryBound: 0
; FloatMode: 240
; IeeeMode: 1
; LDSByteSize: 0 bytes/workgroup (compile time only)
; SGPRBlocks: 0
; VGPRBlocks: 0
; NumSGPRsForWavesPerEU: 1
; NumVGPRsForWavesPerEU: 1
; Occupancy: 16
; WaveLimiterHint : 0
; COMPUTE_PGM_RSRC2:SCRATCH_EN: 0
; COMPUTE_PGM_RSRC2:USER_SGPR: 6
; COMPUTE_PGM_RSRC2:TRAP_HANDLER: 0
; COMPUTE_PGM_RSRC2:TGID_X_EN: 1
; COMPUTE_PGM_RSRC2:TGID_Y_EN: 0
; COMPUTE_PGM_RSRC2:TGID_Z_EN: 0
; COMPUTE_PGM_RSRC2:TIDIG_COMP_CNT: 0
	.section	.text._ZN7rocprim17ROCPRIM_400000_NS6detail17trampoline_kernelINS0_14default_configENS1_20scan_config_selectorIN3c108BFloat16EEEZZNS1_9scan_implILNS1_25lookback_scan_determinismE0ELb0ELb0ES3_PKS6_PS6_S6_ZZZN2at6native31launch_logcumsumexp_cuda_kernelERKNSD_10TensorBaseESH_lENKUlvE_clEvENKUlvE4_clEvEUlS6_S6_E_S6_EEDaPvRmT3_T4_T5_mT6_P12ihipStream_tbENKUlT_T0_E_clISt17integral_constantIbLb1EESY_EEDaST_SU_EUlST_E0_NS1_11comp_targetILNS1_3genE4ELNS1_11target_archE910ELNS1_3gpuE8ELNS1_3repE0EEENS1_30default_config_static_selectorELNS0_4arch9wavefront6targetE0EEEvT1_,"axG",@progbits,_ZN7rocprim17ROCPRIM_400000_NS6detail17trampoline_kernelINS0_14default_configENS1_20scan_config_selectorIN3c108BFloat16EEEZZNS1_9scan_implILNS1_25lookback_scan_determinismE0ELb0ELb0ES3_PKS6_PS6_S6_ZZZN2at6native31launch_logcumsumexp_cuda_kernelERKNSD_10TensorBaseESH_lENKUlvE_clEvENKUlvE4_clEvEUlS6_S6_E_S6_EEDaPvRmT3_T4_T5_mT6_P12ihipStream_tbENKUlT_T0_E_clISt17integral_constantIbLb1EESY_EEDaST_SU_EUlST_E0_NS1_11comp_targetILNS1_3genE4ELNS1_11target_archE910ELNS1_3gpuE8ELNS1_3repE0EEENS1_30default_config_static_selectorELNS0_4arch9wavefront6targetE0EEEvT1_,comdat
	.globl	_ZN7rocprim17ROCPRIM_400000_NS6detail17trampoline_kernelINS0_14default_configENS1_20scan_config_selectorIN3c108BFloat16EEEZZNS1_9scan_implILNS1_25lookback_scan_determinismE0ELb0ELb0ES3_PKS6_PS6_S6_ZZZN2at6native31launch_logcumsumexp_cuda_kernelERKNSD_10TensorBaseESH_lENKUlvE_clEvENKUlvE4_clEvEUlS6_S6_E_S6_EEDaPvRmT3_T4_T5_mT6_P12ihipStream_tbENKUlT_T0_E_clISt17integral_constantIbLb1EESY_EEDaST_SU_EUlST_E0_NS1_11comp_targetILNS1_3genE4ELNS1_11target_archE910ELNS1_3gpuE8ELNS1_3repE0EEENS1_30default_config_static_selectorELNS0_4arch9wavefront6targetE0EEEvT1_ ; -- Begin function _ZN7rocprim17ROCPRIM_400000_NS6detail17trampoline_kernelINS0_14default_configENS1_20scan_config_selectorIN3c108BFloat16EEEZZNS1_9scan_implILNS1_25lookback_scan_determinismE0ELb0ELb0ES3_PKS6_PS6_S6_ZZZN2at6native31launch_logcumsumexp_cuda_kernelERKNSD_10TensorBaseESH_lENKUlvE_clEvENKUlvE4_clEvEUlS6_S6_E_S6_EEDaPvRmT3_T4_T5_mT6_P12ihipStream_tbENKUlT_T0_E_clISt17integral_constantIbLb1EESY_EEDaST_SU_EUlST_E0_NS1_11comp_targetILNS1_3genE4ELNS1_11target_archE910ELNS1_3gpuE8ELNS1_3repE0EEENS1_30default_config_static_selectorELNS0_4arch9wavefront6targetE0EEEvT1_
	.p2align	8
	.type	_ZN7rocprim17ROCPRIM_400000_NS6detail17trampoline_kernelINS0_14default_configENS1_20scan_config_selectorIN3c108BFloat16EEEZZNS1_9scan_implILNS1_25lookback_scan_determinismE0ELb0ELb0ES3_PKS6_PS6_S6_ZZZN2at6native31launch_logcumsumexp_cuda_kernelERKNSD_10TensorBaseESH_lENKUlvE_clEvENKUlvE4_clEvEUlS6_S6_E_S6_EEDaPvRmT3_T4_T5_mT6_P12ihipStream_tbENKUlT_T0_E_clISt17integral_constantIbLb1EESY_EEDaST_SU_EUlST_E0_NS1_11comp_targetILNS1_3genE4ELNS1_11target_archE910ELNS1_3gpuE8ELNS1_3repE0EEENS1_30default_config_static_selectorELNS0_4arch9wavefront6targetE0EEEvT1_,@function
_ZN7rocprim17ROCPRIM_400000_NS6detail17trampoline_kernelINS0_14default_configENS1_20scan_config_selectorIN3c108BFloat16EEEZZNS1_9scan_implILNS1_25lookback_scan_determinismE0ELb0ELb0ES3_PKS6_PS6_S6_ZZZN2at6native31launch_logcumsumexp_cuda_kernelERKNSD_10TensorBaseESH_lENKUlvE_clEvENKUlvE4_clEvEUlS6_S6_E_S6_EEDaPvRmT3_T4_T5_mT6_P12ihipStream_tbENKUlT_T0_E_clISt17integral_constantIbLb1EESY_EEDaST_SU_EUlST_E0_NS1_11comp_targetILNS1_3genE4ELNS1_11target_archE910ELNS1_3gpuE8ELNS1_3repE0EEENS1_30default_config_static_selectorELNS0_4arch9wavefront6targetE0EEEvT1_: ; @_ZN7rocprim17ROCPRIM_400000_NS6detail17trampoline_kernelINS0_14default_configENS1_20scan_config_selectorIN3c108BFloat16EEEZZNS1_9scan_implILNS1_25lookback_scan_determinismE0ELb0ELb0ES3_PKS6_PS6_S6_ZZZN2at6native31launch_logcumsumexp_cuda_kernelERKNSD_10TensorBaseESH_lENKUlvE_clEvENKUlvE4_clEvEUlS6_S6_E_S6_EEDaPvRmT3_T4_T5_mT6_P12ihipStream_tbENKUlT_T0_E_clISt17integral_constantIbLb1EESY_EEDaST_SU_EUlST_E0_NS1_11comp_targetILNS1_3genE4ELNS1_11target_archE910ELNS1_3gpuE8ELNS1_3repE0EEENS1_30default_config_static_selectorELNS0_4arch9wavefront6targetE0EEEvT1_
; %bb.0:
	.section	.rodata,"a",@progbits
	.p2align	6, 0x0
	.amdhsa_kernel _ZN7rocprim17ROCPRIM_400000_NS6detail17trampoline_kernelINS0_14default_configENS1_20scan_config_selectorIN3c108BFloat16EEEZZNS1_9scan_implILNS1_25lookback_scan_determinismE0ELb0ELb0ES3_PKS6_PS6_S6_ZZZN2at6native31launch_logcumsumexp_cuda_kernelERKNSD_10TensorBaseESH_lENKUlvE_clEvENKUlvE4_clEvEUlS6_S6_E_S6_EEDaPvRmT3_T4_T5_mT6_P12ihipStream_tbENKUlT_T0_E_clISt17integral_constantIbLb1EESY_EEDaST_SU_EUlST_E0_NS1_11comp_targetILNS1_3genE4ELNS1_11target_archE910ELNS1_3gpuE8ELNS1_3repE0EEENS1_30default_config_static_selectorELNS0_4arch9wavefront6targetE0EEEvT1_
		.amdhsa_group_segment_fixed_size 0
		.amdhsa_private_segment_fixed_size 0
		.amdhsa_kernarg_size 32
		.amdhsa_user_sgpr_count 6
		.amdhsa_user_sgpr_private_segment_buffer 1
		.amdhsa_user_sgpr_dispatch_ptr 0
		.amdhsa_user_sgpr_queue_ptr 0
		.amdhsa_user_sgpr_kernarg_segment_ptr 1
		.amdhsa_user_sgpr_dispatch_id 0
		.amdhsa_user_sgpr_flat_scratch_init 0
		.amdhsa_user_sgpr_private_segment_size 0
		.amdhsa_wavefront_size32 1
		.amdhsa_uses_dynamic_stack 0
		.amdhsa_system_sgpr_private_segment_wavefront_offset 0
		.amdhsa_system_sgpr_workgroup_id_x 1
		.amdhsa_system_sgpr_workgroup_id_y 0
		.amdhsa_system_sgpr_workgroup_id_z 0
		.amdhsa_system_sgpr_workgroup_info 0
		.amdhsa_system_vgpr_workitem_id 0
		.amdhsa_next_free_vgpr 1
		.amdhsa_next_free_sgpr 1
		.amdhsa_reserve_vcc 0
		.amdhsa_reserve_flat_scratch 0
		.amdhsa_float_round_mode_32 0
		.amdhsa_float_round_mode_16_64 0
		.amdhsa_float_denorm_mode_32 3
		.amdhsa_float_denorm_mode_16_64 3
		.amdhsa_dx10_clamp 1
		.amdhsa_ieee_mode 1
		.amdhsa_fp16_overflow 0
		.amdhsa_workgroup_processor_mode 1
		.amdhsa_memory_ordered 1
		.amdhsa_forward_progress 1
		.amdhsa_shared_vgpr_count 0
		.amdhsa_exception_fp_ieee_invalid_op 0
		.amdhsa_exception_fp_denorm_src 0
		.amdhsa_exception_fp_ieee_div_zero 0
		.amdhsa_exception_fp_ieee_overflow 0
		.amdhsa_exception_fp_ieee_underflow 0
		.amdhsa_exception_fp_ieee_inexact 0
		.amdhsa_exception_int_div_zero 0
	.end_amdhsa_kernel
	.section	.text._ZN7rocprim17ROCPRIM_400000_NS6detail17trampoline_kernelINS0_14default_configENS1_20scan_config_selectorIN3c108BFloat16EEEZZNS1_9scan_implILNS1_25lookback_scan_determinismE0ELb0ELb0ES3_PKS6_PS6_S6_ZZZN2at6native31launch_logcumsumexp_cuda_kernelERKNSD_10TensorBaseESH_lENKUlvE_clEvENKUlvE4_clEvEUlS6_S6_E_S6_EEDaPvRmT3_T4_T5_mT6_P12ihipStream_tbENKUlT_T0_E_clISt17integral_constantIbLb1EESY_EEDaST_SU_EUlST_E0_NS1_11comp_targetILNS1_3genE4ELNS1_11target_archE910ELNS1_3gpuE8ELNS1_3repE0EEENS1_30default_config_static_selectorELNS0_4arch9wavefront6targetE0EEEvT1_,"axG",@progbits,_ZN7rocprim17ROCPRIM_400000_NS6detail17trampoline_kernelINS0_14default_configENS1_20scan_config_selectorIN3c108BFloat16EEEZZNS1_9scan_implILNS1_25lookback_scan_determinismE0ELb0ELb0ES3_PKS6_PS6_S6_ZZZN2at6native31launch_logcumsumexp_cuda_kernelERKNSD_10TensorBaseESH_lENKUlvE_clEvENKUlvE4_clEvEUlS6_S6_E_S6_EEDaPvRmT3_T4_T5_mT6_P12ihipStream_tbENKUlT_T0_E_clISt17integral_constantIbLb1EESY_EEDaST_SU_EUlST_E0_NS1_11comp_targetILNS1_3genE4ELNS1_11target_archE910ELNS1_3gpuE8ELNS1_3repE0EEENS1_30default_config_static_selectorELNS0_4arch9wavefront6targetE0EEEvT1_,comdat
.Lfunc_end476:
	.size	_ZN7rocprim17ROCPRIM_400000_NS6detail17trampoline_kernelINS0_14default_configENS1_20scan_config_selectorIN3c108BFloat16EEEZZNS1_9scan_implILNS1_25lookback_scan_determinismE0ELb0ELb0ES3_PKS6_PS6_S6_ZZZN2at6native31launch_logcumsumexp_cuda_kernelERKNSD_10TensorBaseESH_lENKUlvE_clEvENKUlvE4_clEvEUlS6_S6_E_S6_EEDaPvRmT3_T4_T5_mT6_P12ihipStream_tbENKUlT_T0_E_clISt17integral_constantIbLb1EESY_EEDaST_SU_EUlST_E0_NS1_11comp_targetILNS1_3genE4ELNS1_11target_archE910ELNS1_3gpuE8ELNS1_3repE0EEENS1_30default_config_static_selectorELNS0_4arch9wavefront6targetE0EEEvT1_, .Lfunc_end476-_ZN7rocprim17ROCPRIM_400000_NS6detail17trampoline_kernelINS0_14default_configENS1_20scan_config_selectorIN3c108BFloat16EEEZZNS1_9scan_implILNS1_25lookback_scan_determinismE0ELb0ELb0ES3_PKS6_PS6_S6_ZZZN2at6native31launch_logcumsumexp_cuda_kernelERKNSD_10TensorBaseESH_lENKUlvE_clEvENKUlvE4_clEvEUlS6_S6_E_S6_EEDaPvRmT3_T4_T5_mT6_P12ihipStream_tbENKUlT_T0_E_clISt17integral_constantIbLb1EESY_EEDaST_SU_EUlST_E0_NS1_11comp_targetILNS1_3genE4ELNS1_11target_archE910ELNS1_3gpuE8ELNS1_3repE0EEENS1_30default_config_static_selectorELNS0_4arch9wavefront6targetE0EEEvT1_
                                        ; -- End function
	.set _ZN7rocprim17ROCPRIM_400000_NS6detail17trampoline_kernelINS0_14default_configENS1_20scan_config_selectorIN3c108BFloat16EEEZZNS1_9scan_implILNS1_25lookback_scan_determinismE0ELb0ELb0ES3_PKS6_PS6_S6_ZZZN2at6native31launch_logcumsumexp_cuda_kernelERKNSD_10TensorBaseESH_lENKUlvE_clEvENKUlvE4_clEvEUlS6_S6_E_S6_EEDaPvRmT3_T4_T5_mT6_P12ihipStream_tbENKUlT_T0_E_clISt17integral_constantIbLb1EESY_EEDaST_SU_EUlST_E0_NS1_11comp_targetILNS1_3genE4ELNS1_11target_archE910ELNS1_3gpuE8ELNS1_3repE0EEENS1_30default_config_static_selectorELNS0_4arch9wavefront6targetE0EEEvT1_.num_vgpr, 0
	.set _ZN7rocprim17ROCPRIM_400000_NS6detail17trampoline_kernelINS0_14default_configENS1_20scan_config_selectorIN3c108BFloat16EEEZZNS1_9scan_implILNS1_25lookback_scan_determinismE0ELb0ELb0ES3_PKS6_PS6_S6_ZZZN2at6native31launch_logcumsumexp_cuda_kernelERKNSD_10TensorBaseESH_lENKUlvE_clEvENKUlvE4_clEvEUlS6_S6_E_S6_EEDaPvRmT3_T4_T5_mT6_P12ihipStream_tbENKUlT_T0_E_clISt17integral_constantIbLb1EESY_EEDaST_SU_EUlST_E0_NS1_11comp_targetILNS1_3genE4ELNS1_11target_archE910ELNS1_3gpuE8ELNS1_3repE0EEENS1_30default_config_static_selectorELNS0_4arch9wavefront6targetE0EEEvT1_.num_agpr, 0
	.set _ZN7rocprim17ROCPRIM_400000_NS6detail17trampoline_kernelINS0_14default_configENS1_20scan_config_selectorIN3c108BFloat16EEEZZNS1_9scan_implILNS1_25lookback_scan_determinismE0ELb0ELb0ES3_PKS6_PS6_S6_ZZZN2at6native31launch_logcumsumexp_cuda_kernelERKNSD_10TensorBaseESH_lENKUlvE_clEvENKUlvE4_clEvEUlS6_S6_E_S6_EEDaPvRmT3_T4_T5_mT6_P12ihipStream_tbENKUlT_T0_E_clISt17integral_constantIbLb1EESY_EEDaST_SU_EUlST_E0_NS1_11comp_targetILNS1_3genE4ELNS1_11target_archE910ELNS1_3gpuE8ELNS1_3repE0EEENS1_30default_config_static_selectorELNS0_4arch9wavefront6targetE0EEEvT1_.numbered_sgpr, 0
	.set _ZN7rocprim17ROCPRIM_400000_NS6detail17trampoline_kernelINS0_14default_configENS1_20scan_config_selectorIN3c108BFloat16EEEZZNS1_9scan_implILNS1_25lookback_scan_determinismE0ELb0ELb0ES3_PKS6_PS6_S6_ZZZN2at6native31launch_logcumsumexp_cuda_kernelERKNSD_10TensorBaseESH_lENKUlvE_clEvENKUlvE4_clEvEUlS6_S6_E_S6_EEDaPvRmT3_T4_T5_mT6_P12ihipStream_tbENKUlT_T0_E_clISt17integral_constantIbLb1EESY_EEDaST_SU_EUlST_E0_NS1_11comp_targetILNS1_3genE4ELNS1_11target_archE910ELNS1_3gpuE8ELNS1_3repE0EEENS1_30default_config_static_selectorELNS0_4arch9wavefront6targetE0EEEvT1_.num_named_barrier, 0
	.set _ZN7rocprim17ROCPRIM_400000_NS6detail17trampoline_kernelINS0_14default_configENS1_20scan_config_selectorIN3c108BFloat16EEEZZNS1_9scan_implILNS1_25lookback_scan_determinismE0ELb0ELb0ES3_PKS6_PS6_S6_ZZZN2at6native31launch_logcumsumexp_cuda_kernelERKNSD_10TensorBaseESH_lENKUlvE_clEvENKUlvE4_clEvEUlS6_S6_E_S6_EEDaPvRmT3_T4_T5_mT6_P12ihipStream_tbENKUlT_T0_E_clISt17integral_constantIbLb1EESY_EEDaST_SU_EUlST_E0_NS1_11comp_targetILNS1_3genE4ELNS1_11target_archE910ELNS1_3gpuE8ELNS1_3repE0EEENS1_30default_config_static_selectorELNS0_4arch9wavefront6targetE0EEEvT1_.private_seg_size, 0
	.set _ZN7rocprim17ROCPRIM_400000_NS6detail17trampoline_kernelINS0_14default_configENS1_20scan_config_selectorIN3c108BFloat16EEEZZNS1_9scan_implILNS1_25lookback_scan_determinismE0ELb0ELb0ES3_PKS6_PS6_S6_ZZZN2at6native31launch_logcumsumexp_cuda_kernelERKNSD_10TensorBaseESH_lENKUlvE_clEvENKUlvE4_clEvEUlS6_S6_E_S6_EEDaPvRmT3_T4_T5_mT6_P12ihipStream_tbENKUlT_T0_E_clISt17integral_constantIbLb1EESY_EEDaST_SU_EUlST_E0_NS1_11comp_targetILNS1_3genE4ELNS1_11target_archE910ELNS1_3gpuE8ELNS1_3repE0EEENS1_30default_config_static_selectorELNS0_4arch9wavefront6targetE0EEEvT1_.uses_vcc, 0
	.set _ZN7rocprim17ROCPRIM_400000_NS6detail17trampoline_kernelINS0_14default_configENS1_20scan_config_selectorIN3c108BFloat16EEEZZNS1_9scan_implILNS1_25lookback_scan_determinismE0ELb0ELb0ES3_PKS6_PS6_S6_ZZZN2at6native31launch_logcumsumexp_cuda_kernelERKNSD_10TensorBaseESH_lENKUlvE_clEvENKUlvE4_clEvEUlS6_S6_E_S6_EEDaPvRmT3_T4_T5_mT6_P12ihipStream_tbENKUlT_T0_E_clISt17integral_constantIbLb1EESY_EEDaST_SU_EUlST_E0_NS1_11comp_targetILNS1_3genE4ELNS1_11target_archE910ELNS1_3gpuE8ELNS1_3repE0EEENS1_30default_config_static_selectorELNS0_4arch9wavefront6targetE0EEEvT1_.uses_flat_scratch, 0
	.set _ZN7rocprim17ROCPRIM_400000_NS6detail17trampoline_kernelINS0_14default_configENS1_20scan_config_selectorIN3c108BFloat16EEEZZNS1_9scan_implILNS1_25lookback_scan_determinismE0ELb0ELb0ES3_PKS6_PS6_S6_ZZZN2at6native31launch_logcumsumexp_cuda_kernelERKNSD_10TensorBaseESH_lENKUlvE_clEvENKUlvE4_clEvEUlS6_S6_E_S6_EEDaPvRmT3_T4_T5_mT6_P12ihipStream_tbENKUlT_T0_E_clISt17integral_constantIbLb1EESY_EEDaST_SU_EUlST_E0_NS1_11comp_targetILNS1_3genE4ELNS1_11target_archE910ELNS1_3gpuE8ELNS1_3repE0EEENS1_30default_config_static_selectorELNS0_4arch9wavefront6targetE0EEEvT1_.has_dyn_sized_stack, 0
	.set _ZN7rocprim17ROCPRIM_400000_NS6detail17trampoline_kernelINS0_14default_configENS1_20scan_config_selectorIN3c108BFloat16EEEZZNS1_9scan_implILNS1_25lookback_scan_determinismE0ELb0ELb0ES3_PKS6_PS6_S6_ZZZN2at6native31launch_logcumsumexp_cuda_kernelERKNSD_10TensorBaseESH_lENKUlvE_clEvENKUlvE4_clEvEUlS6_S6_E_S6_EEDaPvRmT3_T4_T5_mT6_P12ihipStream_tbENKUlT_T0_E_clISt17integral_constantIbLb1EESY_EEDaST_SU_EUlST_E0_NS1_11comp_targetILNS1_3genE4ELNS1_11target_archE910ELNS1_3gpuE8ELNS1_3repE0EEENS1_30default_config_static_selectorELNS0_4arch9wavefront6targetE0EEEvT1_.has_recursion, 0
	.set _ZN7rocprim17ROCPRIM_400000_NS6detail17trampoline_kernelINS0_14default_configENS1_20scan_config_selectorIN3c108BFloat16EEEZZNS1_9scan_implILNS1_25lookback_scan_determinismE0ELb0ELb0ES3_PKS6_PS6_S6_ZZZN2at6native31launch_logcumsumexp_cuda_kernelERKNSD_10TensorBaseESH_lENKUlvE_clEvENKUlvE4_clEvEUlS6_S6_E_S6_EEDaPvRmT3_T4_T5_mT6_P12ihipStream_tbENKUlT_T0_E_clISt17integral_constantIbLb1EESY_EEDaST_SU_EUlST_E0_NS1_11comp_targetILNS1_3genE4ELNS1_11target_archE910ELNS1_3gpuE8ELNS1_3repE0EEENS1_30default_config_static_selectorELNS0_4arch9wavefront6targetE0EEEvT1_.has_indirect_call, 0
	.section	.AMDGPU.csdata,"",@progbits
; Kernel info:
; codeLenInByte = 0
; TotalNumSgprs: 0
; NumVgprs: 0
; ScratchSize: 0
; MemoryBound: 0
; FloatMode: 240
; IeeeMode: 1
; LDSByteSize: 0 bytes/workgroup (compile time only)
; SGPRBlocks: 0
; VGPRBlocks: 0
; NumSGPRsForWavesPerEU: 1
; NumVGPRsForWavesPerEU: 1
; Occupancy: 16
; WaveLimiterHint : 0
; COMPUTE_PGM_RSRC2:SCRATCH_EN: 0
; COMPUTE_PGM_RSRC2:USER_SGPR: 6
; COMPUTE_PGM_RSRC2:TRAP_HANDLER: 0
; COMPUTE_PGM_RSRC2:TGID_X_EN: 1
; COMPUTE_PGM_RSRC2:TGID_Y_EN: 0
; COMPUTE_PGM_RSRC2:TGID_Z_EN: 0
; COMPUTE_PGM_RSRC2:TIDIG_COMP_CNT: 0
	.section	.text._ZN7rocprim17ROCPRIM_400000_NS6detail17trampoline_kernelINS0_14default_configENS1_20scan_config_selectorIN3c108BFloat16EEEZZNS1_9scan_implILNS1_25lookback_scan_determinismE0ELb0ELb0ES3_PKS6_PS6_S6_ZZZN2at6native31launch_logcumsumexp_cuda_kernelERKNSD_10TensorBaseESH_lENKUlvE_clEvENKUlvE4_clEvEUlS6_S6_E_S6_EEDaPvRmT3_T4_T5_mT6_P12ihipStream_tbENKUlT_T0_E_clISt17integral_constantIbLb1EESY_EEDaST_SU_EUlST_E0_NS1_11comp_targetILNS1_3genE3ELNS1_11target_archE908ELNS1_3gpuE7ELNS1_3repE0EEENS1_30default_config_static_selectorELNS0_4arch9wavefront6targetE0EEEvT1_,"axG",@progbits,_ZN7rocprim17ROCPRIM_400000_NS6detail17trampoline_kernelINS0_14default_configENS1_20scan_config_selectorIN3c108BFloat16EEEZZNS1_9scan_implILNS1_25lookback_scan_determinismE0ELb0ELb0ES3_PKS6_PS6_S6_ZZZN2at6native31launch_logcumsumexp_cuda_kernelERKNSD_10TensorBaseESH_lENKUlvE_clEvENKUlvE4_clEvEUlS6_S6_E_S6_EEDaPvRmT3_T4_T5_mT6_P12ihipStream_tbENKUlT_T0_E_clISt17integral_constantIbLb1EESY_EEDaST_SU_EUlST_E0_NS1_11comp_targetILNS1_3genE3ELNS1_11target_archE908ELNS1_3gpuE7ELNS1_3repE0EEENS1_30default_config_static_selectorELNS0_4arch9wavefront6targetE0EEEvT1_,comdat
	.globl	_ZN7rocprim17ROCPRIM_400000_NS6detail17trampoline_kernelINS0_14default_configENS1_20scan_config_selectorIN3c108BFloat16EEEZZNS1_9scan_implILNS1_25lookback_scan_determinismE0ELb0ELb0ES3_PKS6_PS6_S6_ZZZN2at6native31launch_logcumsumexp_cuda_kernelERKNSD_10TensorBaseESH_lENKUlvE_clEvENKUlvE4_clEvEUlS6_S6_E_S6_EEDaPvRmT3_T4_T5_mT6_P12ihipStream_tbENKUlT_T0_E_clISt17integral_constantIbLb1EESY_EEDaST_SU_EUlST_E0_NS1_11comp_targetILNS1_3genE3ELNS1_11target_archE908ELNS1_3gpuE7ELNS1_3repE0EEENS1_30default_config_static_selectorELNS0_4arch9wavefront6targetE0EEEvT1_ ; -- Begin function _ZN7rocprim17ROCPRIM_400000_NS6detail17trampoline_kernelINS0_14default_configENS1_20scan_config_selectorIN3c108BFloat16EEEZZNS1_9scan_implILNS1_25lookback_scan_determinismE0ELb0ELb0ES3_PKS6_PS6_S6_ZZZN2at6native31launch_logcumsumexp_cuda_kernelERKNSD_10TensorBaseESH_lENKUlvE_clEvENKUlvE4_clEvEUlS6_S6_E_S6_EEDaPvRmT3_T4_T5_mT6_P12ihipStream_tbENKUlT_T0_E_clISt17integral_constantIbLb1EESY_EEDaST_SU_EUlST_E0_NS1_11comp_targetILNS1_3genE3ELNS1_11target_archE908ELNS1_3gpuE7ELNS1_3repE0EEENS1_30default_config_static_selectorELNS0_4arch9wavefront6targetE0EEEvT1_
	.p2align	8
	.type	_ZN7rocprim17ROCPRIM_400000_NS6detail17trampoline_kernelINS0_14default_configENS1_20scan_config_selectorIN3c108BFloat16EEEZZNS1_9scan_implILNS1_25lookback_scan_determinismE0ELb0ELb0ES3_PKS6_PS6_S6_ZZZN2at6native31launch_logcumsumexp_cuda_kernelERKNSD_10TensorBaseESH_lENKUlvE_clEvENKUlvE4_clEvEUlS6_S6_E_S6_EEDaPvRmT3_T4_T5_mT6_P12ihipStream_tbENKUlT_T0_E_clISt17integral_constantIbLb1EESY_EEDaST_SU_EUlST_E0_NS1_11comp_targetILNS1_3genE3ELNS1_11target_archE908ELNS1_3gpuE7ELNS1_3repE0EEENS1_30default_config_static_selectorELNS0_4arch9wavefront6targetE0EEEvT1_,@function
_ZN7rocprim17ROCPRIM_400000_NS6detail17trampoline_kernelINS0_14default_configENS1_20scan_config_selectorIN3c108BFloat16EEEZZNS1_9scan_implILNS1_25lookback_scan_determinismE0ELb0ELb0ES3_PKS6_PS6_S6_ZZZN2at6native31launch_logcumsumexp_cuda_kernelERKNSD_10TensorBaseESH_lENKUlvE_clEvENKUlvE4_clEvEUlS6_S6_E_S6_EEDaPvRmT3_T4_T5_mT6_P12ihipStream_tbENKUlT_T0_E_clISt17integral_constantIbLb1EESY_EEDaST_SU_EUlST_E0_NS1_11comp_targetILNS1_3genE3ELNS1_11target_archE908ELNS1_3gpuE7ELNS1_3repE0EEENS1_30default_config_static_selectorELNS0_4arch9wavefront6targetE0EEEvT1_: ; @_ZN7rocprim17ROCPRIM_400000_NS6detail17trampoline_kernelINS0_14default_configENS1_20scan_config_selectorIN3c108BFloat16EEEZZNS1_9scan_implILNS1_25lookback_scan_determinismE0ELb0ELb0ES3_PKS6_PS6_S6_ZZZN2at6native31launch_logcumsumexp_cuda_kernelERKNSD_10TensorBaseESH_lENKUlvE_clEvENKUlvE4_clEvEUlS6_S6_E_S6_EEDaPvRmT3_T4_T5_mT6_P12ihipStream_tbENKUlT_T0_E_clISt17integral_constantIbLb1EESY_EEDaST_SU_EUlST_E0_NS1_11comp_targetILNS1_3genE3ELNS1_11target_archE908ELNS1_3gpuE7ELNS1_3repE0EEENS1_30default_config_static_selectorELNS0_4arch9wavefront6targetE0EEEvT1_
; %bb.0:
	.section	.rodata,"a",@progbits
	.p2align	6, 0x0
	.amdhsa_kernel _ZN7rocprim17ROCPRIM_400000_NS6detail17trampoline_kernelINS0_14default_configENS1_20scan_config_selectorIN3c108BFloat16EEEZZNS1_9scan_implILNS1_25lookback_scan_determinismE0ELb0ELb0ES3_PKS6_PS6_S6_ZZZN2at6native31launch_logcumsumexp_cuda_kernelERKNSD_10TensorBaseESH_lENKUlvE_clEvENKUlvE4_clEvEUlS6_S6_E_S6_EEDaPvRmT3_T4_T5_mT6_P12ihipStream_tbENKUlT_T0_E_clISt17integral_constantIbLb1EESY_EEDaST_SU_EUlST_E0_NS1_11comp_targetILNS1_3genE3ELNS1_11target_archE908ELNS1_3gpuE7ELNS1_3repE0EEENS1_30default_config_static_selectorELNS0_4arch9wavefront6targetE0EEEvT1_
		.amdhsa_group_segment_fixed_size 0
		.amdhsa_private_segment_fixed_size 0
		.amdhsa_kernarg_size 32
		.amdhsa_user_sgpr_count 6
		.amdhsa_user_sgpr_private_segment_buffer 1
		.amdhsa_user_sgpr_dispatch_ptr 0
		.amdhsa_user_sgpr_queue_ptr 0
		.amdhsa_user_sgpr_kernarg_segment_ptr 1
		.amdhsa_user_sgpr_dispatch_id 0
		.amdhsa_user_sgpr_flat_scratch_init 0
		.amdhsa_user_sgpr_private_segment_size 0
		.amdhsa_wavefront_size32 1
		.amdhsa_uses_dynamic_stack 0
		.amdhsa_system_sgpr_private_segment_wavefront_offset 0
		.amdhsa_system_sgpr_workgroup_id_x 1
		.amdhsa_system_sgpr_workgroup_id_y 0
		.amdhsa_system_sgpr_workgroup_id_z 0
		.amdhsa_system_sgpr_workgroup_info 0
		.amdhsa_system_vgpr_workitem_id 0
		.amdhsa_next_free_vgpr 1
		.amdhsa_next_free_sgpr 1
		.amdhsa_reserve_vcc 0
		.amdhsa_reserve_flat_scratch 0
		.amdhsa_float_round_mode_32 0
		.amdhsa_float_round_mode_16_64 0
		.amdhsa_float_denorm_mode_32 3
		.amdhsa_float_denorm_mode_16_64 3
		.amdhsa_dx10_clamp 1
		.amdhsa_ieee_mode 1
		.amdhsa_fp16_overflow 0
		.amdhsa_workgroup_processor_mode 1
		.amdhsa_memory_ordered 1
		.amdhsa_forward_progress 1
		.amdhsa_shared_vgpr_count 0
		.amdhsa_exception_fp_ieee_invalid_op 0
		.amdhsa_exception_fp_denorm_src 0
		.amdhsa_exception_fp_ieee_div_zero 0
		.amdhsa_exception_fp_ieee_overflow 0
		.amdhsa_exception_fp_ieee_underflow 0
		.amdhsa_exception_fp_ieee_inexact 0
		.amdhsa_exception_int_div_zero 0
	.end_amdhsa_kernel
	.section	.text._ZN7rocprim17ROCPRIM_400000_NS6detail17trampoline_kernelINS0_14default_configENS1_20scan_config_selectorIN3c108BFloat16EEEZZNS1_9scan_implILNS1_25lookback_scan_determinismE0ELb0ELb0ES3_PKS6_PS6_S6_ZZZN2at6native31launch_logcumsumexp_cuda_kernelERKNSD_10TensorBaseESH_lENKUlvE_clEvENKUlvE4_clEvEUlS6_S6_E_S6_EEDaPvRmT3_T4_T5_mT6_P12ihipStream_tbENKUlT_T0_E_clISt17integral_constantIbLb1EESY_EEDaST_SU_EUlST_E0_NS1_11comp_targetILNS1_3genE3ELNS1_11target_archE908ELNS1_3gpuE7ELNS1_3repE0EEENS1_30default_config_static_selectorELNS0_4arch9wavefront6targetE0EEEvT1_,"axG",@progbits,_ZN7rocprim17ROCPRIM_400000_NS6detail17trampoline_kernelINS0_14default_configENS1_20scan_config_selectorIN3c108BFloat16EEEZZNS1_9scan_implILNS1_25lookback_scan_determinismE0ELb0ELb0ES3_PKS6_PS6_S6_ZZZN2at6native31launch_logcumsumexp_cuda_kernelERKNSD_10TensorBaseESH_lENKUlvE_clEvENKUlvE4_clEvEUlS6_S6_E_S6_EEDaPvRmT3_T4_T5_mT6_P12ihipStream_tbENKUlT_T0_E_clISt17integral_constantIbLb1EESY_EEDaST_SU_EUlST_E0_NS1_11comp_targetILNS1_3genE3ELNS1_11target_archE908ELNS1_3gpuE7ELNS1_3repE0EEENS1_30default_config_static_selectorELNS0_4arch9wavefront6targetE0EEEvT1_,comdat
.Lfunc_end477:
	.size	_ZN7rocprim17ROCPRIM_400000_NS6detail17trampoline_kernelINS0_14default_configENS1_20scan_config_selectorIN3c108BFloat16EEEZZNS1_9scan_implILNS1_25lookback_scan_determinismE0ELb0ELb0ES3_PKS6_PS6_S6_ZZZN2at6native31launch_logcumsumexp_cuda_kernelERKNSD_10TensorBaseESH_lENKUlvE_clEvENKUlvE4_clEvEUlS6_S6_E_S6_EEDaPvRmT3_T4_T5_mT6_P12ihipStream_tbENKUlT_T0_E_clISt17integral_constantIbLb1EESY_EEDaST_SU_EUlST_E0_NS1_11comp_targetILNS1_3genE3ELNS1_11target_archE908ELNS1_3gpuE7ELNS1_3repE0EEENS1_30default_config_static_selectorELNS0_4arch9wavefront6targetE0EEEvT1_, .Lfunc_end477-_ZN7rocprim17ROCPRIM_400000_NS6detail17trampoline_kernelINS0_14default_configENS1_20scan_config_selectorIN3c108BFloat16EEEZZNS1_9scan_implILNS1_25lookback_scan_determinismE0ELb0ELb0ES3_PKS6_PS6_S6_ZZZN2at6native31launch_logcumsumexp_cuda_kernelERKNSD_10TensorBaseESH_lENKUlvE_clEvENKUlvE4_clEvEUlS6_S6_E_S6_EEDaPvRmT3_T4_T5_mT6_P12ihipStream_tbENKUlT_T0_E_clISt17integral_constantIbLb1EESY_EEDaST_SU_EUlST_E0_NS1_11comp_targetILNS1_3genE3ELNS1_11target_archE908ELNS1_3gpuE7ELNS1_3repE0EEENS1_30default_config_static_selectorELNS0_4arch9wavefront6targetE0EEEvT1_
                                        ; -- End function
	.set _ZN7rocprim17ROCPRIM_400000_NS6detail17trampoline_kernelINS0_14default_configENS1_20scan_config_selectorIN3c108BFloat16EEEZZNS1_9scan_implILNS1_25lookback_scan_determinismE0ELb0ELb0ES3_PKS6_PS6_S6_ZZZN2at6native31launch_logcumsumexp_cuda_kernelERKNSD_10TensorBaseESH_lENKUlvE_clEvENKUlvE4_clEvEUlS6_S6_E_S6_EEDaPvRmT3_T4_T5_mT6_P12ihipStream_tbENKUlT_T0_E_clISt17integral_constantIbLb1EESY_EEDaST_SU_EUlST_E0_NS1_11comp_targetILNS1_3genE3ELNS1_11target_archE908ELNS1_3gpuE7ELNS1_3repE0EEENS1_30default_config_static_selectorELNS0_4arch9wavefront6targetE0EEEvT1_.num_vgpr, 0
	.set _ZN7rocprim17ROCPRIM_400000_NS6detail17trampoline_kernelINS0_14default_configENS1_20scan_config_selectorIN3c108BFloat16EEEZZNS1_9scan_implILNS1_25lookback_scan_determinismE0ELb0ELb0ES3_PKS6_PS6_S6_ZZZN2at6native31launch_logcumsumexp_cuda_kernelERKNSD_10TensorBaseESH_lENKUlvE_clEvENKUlvE4_clEvEUlS6_S6_E_S6_EEDaPvRmT3_T4_T5_mT6_P12ihipStream_tbENKUlT_T0_E_clISt17integral_constantIbLb1EESY_EEDaST_SU_EUlST_E0_NS1_11comp_targetILNS1_3genE3ELNS1_11target_archE908ELNS1_3gpuE7ELNS1_3repE0EEENS1_30default_config_static_selectorELNS0_4arch9wavefront6targetE0EEEvT1_.num_agpr, 0
	.set _ZN7rocprim17ROCPRIM_400000_NS6detail17trampoline_kernelINS0_14default_configENS1_20scan_config_selectorIN3c108BFloat16EEEZZNS1_9scan_implILNS1_25lookback_scan_determinismE0ELb0ELb0ES3_PKS6_PS6_S6_ZZZN2at6native31launch_logcumsumexp_cuda_kernelERKNSD_10TensorBaseESH_lENKUlvE_clEvENKUlvE4_clEvEUlS6_S6_E_S6_EEDaPvRmT3_T4_T5_mT6_P12ihipStream_tbENKUlT_T0_E_clISt17integral_constantIbLb1EESY_EEDaST_SU_EUlST_E0_NS1_11comp_targetILNS1_3genE3ELNS1_11target_archE908ELNS1_3gpuE7ELNS1_3repE0EEENS1_30default_config_static_selectorELNS0_4arch9wavefront6targetE0EEEvT1_.numbered_sgpr, 0
	.set _ZN7rocprim17ROCPRIM_400000_NS6detail17trampoline_kernelINS0_14default_configENS1_20scan_config_selectorIN3c108BFloat16EEEZZNS1_9scan_implILNS1_25lookback_scan_determinismE0ELb0ELb0ES3_PKS6_PS6_S6_ZZZN2at6native31launch_logcumsumexp_cuda_kernelERKNSD_10TensorBaseESH_lENKUlvE_clEvENKUlvE4_clEvEUlS6_S6_E_S6_EEDaPvRmT3_T4_T5_mT6_P12ihipStream_tbENKUlT_T0_E_clISt17integral_constantIbLb1EESY_EEDaST_SU_EUlST_E0_NS1_11comp_targetILNS1_3genE3ELNS1_11target_archE908ELNS1_3gpuE7ELNS1_3repE0EEENS1_30default_config_static_selectorELNS0_4arch9wavefront6targetE0EEEvT1_.num_named_barrier, 0
	.set _ZN7rocprim17ROCPRIM_400000_NS6detail17trampoline_kernelINS0_14default_configENS1_20scan_config_selectorIN3c108BFloat16EEEZZNS1_9scan_implILNS1_25lookback_scan_determinismE0ELb0ELb0ES3_PKS6_PS6_S6_ZZZN2at6native31launch_logcumsumexp_cuda_kernelERKNSD_10TensorBaseESH_lENKUlvE_clEvENKUlvE4_clEvEUlS6_S6_E_S6_EEDaPvRmT3_T4_T5_mT6_P12ihipStream_tbENKUlT_T0_E_clISt17integral_constantIbLb1EESY_EEDaST_SU_EUlST_E0_NS1_11comp_targetILNS1_3genE3ELNS1_11target_archE908ELNS1_3gpuE7ELNS1_3repE0EEENS1_30default_config_static_selectorELNS0_4arch9wavefront6targetE0EEEvT1_.private_seg_size, 0
	.set _ZN7rocprim17ROCPRIM_400000_NS6detail17trampoline_kernelINS0_14default_configENS1_20scan_config_selectorIN3c108BFloat16EEEZZNS1_9scan_implILNS1_25lookback_scan_determinismE0ELb0ELb0ES3_PKS6_PS6_S6_ZZZN2at6native31launch_logcumsumexp_cuda_kernelERKNSD_10TensorBaseESH_lENKUlvE_clEvENKUlvE4_clEvEUlS6_S6_E_S6_EEDaPvRmT3_T4_T5_mT6_P12ihipStream_tbENKUlT_T0_E_clISt17integral_constantIbLb1EESY_EEDaST_SU_EUlST_E0_NS1_11comp_targetILNS1_3genE3ELNS1_11target_archE908ELNS1_3gpuE7ELNS1_3repE0EEENS1_30default_config_static_selectorELNS0_4arch9wavefront6targetE0EEEvT1_.uses_vcc, 0
	.set _ZN7rocprim17ROCPRIM_400000_NS6detail17trampoline_kernelINS0_14default_configENS1_20scan_config_selectorIN3c108BFloat16EEEZZNS1_9scan_implILNS1_25lookback_scan_determinismE0ELb0ELb0ES3_PKS6_PS6_S6_ZZZN2at6native31launch_logcumsumexp_cuda_kernelERKNSD_10TensorBaseESH_lENKUlvE_clEvENKUlvE4_clEvEUlS6_S6_E_S6_EEDaPvRmT3_T4_T5_mT6_P12ihipStream_tbENKUlT_T0_E_clISt17integral_constantIbLb1EESY_EEDaST_SU_EUlST_E0_NS1_11comp_targetILNS1_3genE3ELNS1_11target_archE908ELNS1_3gpuE7ELNS1_3repE0EEENS1_30default_config_static_selectorELNS0_4arch9wavefront6targetE0EEEvT1_.uses_flat_scratch, 0
	.set _ZN7rocprim17ROCPRIM_400000_NS6detail17trampoline_kernelINS0_14default_configENS1_20scan_config_selectorIN3c108BFloat16EEEZZNS1_9scan_implILNS1_25lookback_scan_determinismE0ELb0ELb0ES3_PKS6_PS6_S6_ZZZN2at6native31launch_logcumsumexp_cuda_kernelERKNSD_10TensorBaseESH_lENKUlvE_clEvENKUlvE4_clEvEUlS6_S6_E_S6_EEDaPvRmT3_T4_T5_mT6_P12ihipStream_tbENKUlT_T0_E_clISt17integral_constantIbLb1EESY_EEDaST_SU_EUlST_E0_NS1_11comp_targetILNS1_3genE3ELNS1_11target_archE908ELNS1_3gpuE7ELNS1_3repE0EEENS1_30default_config_static_selectorELNS0_4arch9wavefront6targetE0EEEvT1_.has_dyn_sized_stack, 0
	.set _ZN7rocprim17ROCPRIM_400000_NS6detail17trampoline_kernelINS0_14default_configENS1_20scan_config_selectorIN3c108BFloat16EEEZZNS1_9scan_implILNS1_25lookback_scan_determinismE0ELb0ELb0ES3_PKS6_PS6_S6_ZZZN2at6native31launch_logcumsumexp_cuda_kernelERKNSD_10TensorBaseESH_lENKUlvE_clEvENKUlvE4_clEvEUlS6_S6_E_S6_EEDaPvRmT3_T4_T5_mT6_P12ihipStream_tbENKUlT_T0_E_clISt17integral_constantIbLb1EESY_EEDaST_SU_EUlST_E0_NS1_11comp_targetILNS1_3genE3ELNS1_11target_archE908ELNS1_3gpuE7ELNS1_3repE0EEENS1_30default_config_static_selectorELNS0_4arch9wavefront6targetE0EEEvT1_.has_recursion, 0
	.set _ZN7rocprim17ROCPRIM_400000_NS6detail17trampoline_kernelINS0_14default_configENS1_20scan_config_selectorIN3c108BFloat16EEEZZNS1_9scan_implILNS1_25lookback_scan_determinismE0ELb0ELb0ES3_PKS6_PS6_S6_ZZZN2at6native31launch_logcumsumexp_cuda_kernelERKNSD_10TensorBaseESH_lENKUlvE_clEvENKUlvE4_clEvEUlS6_S6_E_S6_EEDaPvRmT3_T4_T5_mT6_P12ihipStream_tbENKUlT_T0_E_clISt17integral_constantIbLb1EESY_EEDaST_SU_EUlST_E0_NS1_11comp_targetILNS1_3genE3ELNS1_11target_archE908ELNS1_3gpuE7ELNS1_3repE0EEENS1_30default_config_static_selectorELNS0_4arch9wavefront6targetE0EEEvT1_.has_indirect_call, 0
	.section	.AMDGPU.csdata,"",@progbits
; Kernel info:
; codeLenInByte = 0
; TotalNumSgprs: 0
; NumVgprs: 0
; ScratchSize: 0
; MemoryBound: 0
; FloatMode: 240
; IeeeMode: 1
; LDSByteSize: 0 bytes/workgroup (compile time only)
; SGPRBlocks: 0
; VGPRBlocks: 0
; NumSGPRsForWavesPerEU: 1
; NumVGPRsForWavesPerEU: 1
; Occupancy: 16
; WaveLimiterHint : 0
; COMPUTE_PGM_RSRC2:SCRATCH_EN: 0
; COMPUTE_PGM_RSRC2:USER_SGPR: 6
; COMPUTE_PGM_RSRC2:TRAP_HANDLER: 0
; COMPUTE_PGM_RSRC2:TGID_X_EN: 1
; COMPUTE_PGM_RSRC2:TGID_Y_EN: 0
; COMPUTE_PGM_RSRC2:TGID_Z_EN: 0
; COMPUTE_PGM_RSRC2:TIDIG_COMP_CNT: 0
	.section	.text._ZN7rocprim17ROCPRIM_400000_NS6detail17trampoline_kernelINS0_14default_configENS1_20scan_config_selectorIN3c108BFloat16EEEZZNS1_9scan_implILNS1_25lookback_scan_determinismE0ELb0ELb0ES3_PKS6_PS6_S6_ZZZN2at6native31launch_logcumsumexp_cuda_kernelERKNSD_10TensorBaseESH_lENKUlvE_clEvENKUlvE4_clEvEUlS6_S6_E_S6_EEDaPvRmT3_T4_T5_mT6_P12ihipStream_tbENKUlT_T0_E_clISt17integral_constantIbLb1EESY_EEDaST_SU_EUlST_E0_NS1_11comp_targetILNS1_3genE2ELNS1_11target_archE906ELNS1_3gpuE6ELNS1_3repE0EEENS1_30default_config_static_selectorELNS0_4arch9wavefront6targetE0EEEvT1_,"axG",@progbits,_ZN7rocprim17ROCPRIM_400000_NS6detail17trampoline_kernelINS0_14default_configENS1_20scan_config_selectorIN3c108BFloat16EEEZZNS1_9scan_implILNS1_25lookback_scan_determinismE0ELb0ELb0ES3_PKS6_PS6_S6_ZZZN2at6native31launch_logcumsumexp_cuda_kernelERKNSD_10TensorBaseESH_lENKUlvE_clEvENKUlvE4_clEvEUlS6_S6_E_S6_EEDaPvRmT3_T4_T5_mT6_P12ihipStream_tbENKUlT_T0_E_clISt17integral_constantIbLb1EESY_EEDaST_SU_EUlST_E0_NS1_11comp_targetILNS1_3genE2ELNS1_11target_archE906ELNS1_3gpuE6ELNS1_3repE0EEENS1_30default_config_static_selectorELNS0_4arch9wavefront6targetE0EEEvT1_,comdat
	.globl	_ZN7rocprim17ROCPRIM_400000_NS6detail17trampoline_kernelINS0_14default_configENS1_20scan_config_selectorIN3c108BFloat16EEEZZNS1_9scan_implILNS1_25lookback_scan_determinismE0ELb0ELb0ES3_PKS6_PS6_S6_ZZZN2at6native31launch_logcumsumexp_cuda_kernelERKNSD_10TensorBaseESH_lENKUlvE_clEvENKUlvE4_clEvEUlS6_S6_E_S6_EEDaPvRmT3_T4_T5_mT6_P12ihipStream_tbENKUlT_T0_E_clISt17integral_constantIbLb1EESY_EEDaST_SU_EUlST_E0_NS1_11comp_targetILNS1_3genE2ELNS1_11target_archE906ELNS1_3gpuE6ELNS1_3repE0EEENS1_30default_config_static_selectorELNS0_4arch9wavefront6targetE0EEEvT1_ ; -- Begin function _ZN7rocprim17ROCPRIM_400000_NS6detail17trampoline_kernelINS0_14default_configENS1_20scan_config_selectorIN3c108BFloat16EEEZZNS1_9scan_implILNS1_25lookback_scan_determinismE0ELb0ELb0ES3_PKS6_PS6_S6_ZZZN2at6native31launch_logcumsumexp_cuda_kernelERKNSD_10TensorBaseESH_lENKUlvE_clEvENKUlvE4_clEvEUlS6_S6_E_S6_EEDaPvRmT3_T4_T5_mT6_P12ihipStream_tbENKUlT_T0_E_clISt17integral_constantIbLb1EESY_EEDaST_SU_EUlST_E0_NS1_11comp_targetILNS1_3genE2ELNS1_11target_archE906ELNS1_3gpuE6ELNS1_3repE0EEENS1_30default_config_static_selectorELNS0_4arch9wavefront6targetE0EEEvT1_
	.p2align	8
	.type	_ZN7rocprim17ROCPRIM_400000_NS6detail17trampoline_kernelINS0_14default_configENS1_20scan_config_selectorIN3c108BFloat16EEEZZNS1_9scan_implILNS1_25lookback_scan_determinismE0ELb0ELb0ES3_PKS6_PS6_S6_ZZZN2at6native31launch_logcumsumexp_cuda_kernelERKNSD_10TensorBaseESH_lENKUlvE_clEvENKUlvE4_clEvEUlS6_S6_E_S6_EEDaPvRmT3_T4_T5_mT6_P12ihipStream_tbENKUlT_T0_E_clISt17integral_constantIbLb1EESY_EEDaST_SU_EUlST_E0_NS1_11comp_targetILNS1_3genE2ELNS1_11target_archE906ELNS1_3gpuE6ELNS1_3repE0EEENS1_30default_config_static_selectorELNS0_4arch9wavefront6targetE0EEEvT1_,@function
_ZN7rocprim17ROCPRIM_400000_NS6detail17trampoline_kernelINS0_14default_configENS1_20scan_config_selectorIN3c108BFloat16EEEZZNS1_9scan_implILNS1_25lookback_scan_determinismE0ELb0ELb0ES3_PKS6_PS6_S6_ZZZN2at6native31launch_logcumsumexp_cuda_kernelERKNSD_10TensorBaseESH_lENKUlvE_clEvENKUlvE4_clEvEUlS6_S6_E_S6_EEDaPvRmT3_T4_T5_mT6_P12ihipStream_tbENKUlT_T0_E_clISt17integral_constantIbLb1EESY_EEDaST_SU_EUlST_E0_NS1_11comp_targetILNS1_3genE2ELNS1_11target_archE906ELNS1_3gpuE6ELNS1_3repE0EEENS1_30default_config_static_selectorELNS0_4arch9wavefront6targetE0EEEvT1_: ; @_ZN7rocprim17ROCPRIM_400000_NS6detail17trampoline_kernelINS0_14default_configENS1_20scan_config_selectorIN3c108BFloat16EEEZZNS1_9scan_implILNS1_25lookback_scan_determinismE0ELb0ELb0ES3_PKS6_PS6_S6_ZZZN2at6native31launch_logcumsumexp_cuda_kernelERKNSD_10TensorBaseESH_lENKUlvE_clEvENKUlvE4_clEvEUlS6_S6_E_S6_EEDaPvRmT3_T4_T5_mT6_P12ihipStream_tbENKUlT_T0_E_clISt17integral_constantIbLb1EESY_EEDaST_SU_EUlST_E0_NS1_11comp_targetILNS1_3genE2ELNS1_11target_archE906ELNS1_3gpuE6ELNS1_3repE0EEENS1_30default_config_static_selectorELNS0_4arch9wavefront6targetE0EEEvT1_
; %bb.0:
	.section	.rodata,"a",@progbits
	.p2align	6, 0x0
	.amdhsa_kernel _ZN7rocprim17ROCPRIM_400000_NS6detail17trampoline_kernelINS0_14default_configENS1_20scan_config_selectorIN3c108BFloat16EEEZZNS1_9scan_implILNS1_25lookback_scan_determinismE0ELb0ELb0ES3_PKS6_PS6_S6_ZZZN2at6native31launch_logcumsumexp_cuda_kernelERKNSD_10TensorBaseESH_lENKUlvE_clEvENKUlvE4_clEvEUlS6_S6_E_S6_EEDaPvRmT3_T4_T5_mT6_P12ihipStream_tbENKUlT_T0_E_clISt17integral_constantIbLb1EESY_EEDaST_SU_EUlST_E0_NS1_11comp_targetILNS1_3genE2ELNS1_11target_archE906ELNS1_3gpuE6ELNS1_3repE0EEENS1_30default_config_static_selectorELNS0_4arch9wavefront6targetE0EEEvT1_
		.amdhsa_group_segment_fixed_size 0
		.amdhsa_private_segment_fixed_size 0
		.amdhsa_kernarg_size 32
		.amdhsa_user_sgpr_count 6
		.amdhsa_user_sgpr_private_segment_buffer 1
		.amdhsa_user_sgpr_dispatch_ptr 0
		.amdhsa_user_sgpr_queue_ptr 0
		.amdhsa_user_sgpr_kernarg_segment_ptr 1
		.amdhsa_user_sgpr_dispatch_id 0
		.amdhsa_user_sgpr_flat_scratch_init 0
		.amdhsa_user_sgpr_private_segment_size 0
		.amdhsa_wavefront_size32 1
		.amdhsa_uses_dynamic_stack 0
		.amdhsa_system_sgpr_private_segment_wavefront_offset 0
		.amdhsa_system_sgpr_workgroup_id_x 1
		.amdhsa_system_sgpr_workgroup_id_y 0
		.amdhsa_system_sgpr_workgroup_id_z 0
		.amdhsa_system_sgpr_workgroup_info 0
		.amdhsa_system_vgpr_workitem_id 0
		.amdhsa_next_free_vgpr 1
		.amdhsa_next_free_sgpr 1
		.amdhsa_reserve_vcc 0
		.amdhsa_reserve_flat_scratch 0
		.amdhsa_float_round_mode_32 0
		.amdhsa_float_round_mode_16_64 0
		.amdhsa_float_denorm_mode_32 3
		.amdhsa_float_denorm_mode_16_64 3
		.amdhsa_dx10_clamp 1
		.amdhsa_ieee_mode 1
		.amdhsa_fp16_overflow 0
		.amdhsa_workgroup_processor_mode 1
		.amdhsa_memory_ordered 1
		.amdhsa_forward_progress 1
		.amdhsa_shared_vgpr_count 0
		.amdhsa_exception_fp_ieee_invalid_op 0
		.amdhsa_exception_fp_denorm_src 0
		.amdhsa_exception_fp_ieee_div_zero 0
		.amdhsa_exception_fp_ieee_overflow 0
		.amdhsa_exception_fp_ieee_underflow 0
		.amdhsa_exception_fp_ieee_inexact 0
		.amdhsa_exception_int_div_zero 0
	.end_amdhsa_kernel
	.section	.text._ZN7rocprim17ROCPRIM_400000_NS6detail17trampoline_kernelINS0_14default_configENS1_20scan_config_selectorIN3c108BFloat16EEEZZNS1_9scan_implILNS1_25lookback_scan_determinismE0ELb0ELb0ES3_PKS6_PS6_S6_ZZZN2at6native31launch_logcumsumexp_cuda_kernelERKNSD_10TensorBaseESH_lENKUlvE_clEvENKUlvE4_clEvEUlS6_S6_E_S6_EEDaPvRmT3_T4_T5_mT6_P12ihipStream_tbENKUlT_T0_E_clISt17integral_constantIbLb1EESY_EEDaST_SU_EUlST_E0_NS1_11comp_targetILNS1_3genE2ELNS1_11target_archE906ELNS1_3gpuE6ELNS1_3repE0EEENS1_30default_config_static_selectorELNS0_4arch9wavefront6targetE0EEEvT1_,"axG",@progbits,_ZN7rocprim17ROCPRIM_400000_NS6detail17trampoline_kernelINS0_14default_configENS1_20scan_config_selectorIN3c108BFloat16EEEZZNS1_9scan_implILNS1_25lookback_scan_determinismE0ELb0ELb0ES3_PKS6_PS6_S6_ZZZN2at6native31launch_logcumsumexp_cuda_kernelERKNSD_10TensorBaseESH_lENKUlvE_clEvENKUlvE4_clEvEUlS6_S6_E_S6_EEDaPvRmT3_T4_T5_mT6_P12ihipStream_tbENKUlT_T0_E_clISt17integral_constantIbLb1EESY_EEDaST_SU_EUlST_E0_NS1_11comp_targetILNS1_3genE2ELNS1_11target_archE906ELNS1_3gpuE6ELNS1_3repE0EEENS1_30default_config_static_selectorELNS0_4arch9wavefront6targetE0EEEvT1_,comdat
.Lfunc_end478:
	.size	_ZN7rocprim17ROCPRIM_400000_NS6detail17trampoline_kernelINS0_14default_configENS1_20scan_config_selectorIN3c108BFloat16EEEZZNS1_9scan_implILNS1_25lookback_scan_determinismE0ELb0ELb0ES3_PKS6_PS6_S6_ZZZN2at6native31launch_logcumsumexp_cuda_kernelERKNSD_10TensorBaseESH_lENKUlvE_clEvENKUlvE4_clEvEUlS6_S6_E_S6_EEDaPvRmT3_T4_T5_mT6_P12ihipStream_tbENKUlT_T0_E_clISt17integral_constantIbLb1EESY_EEDaST_SU_EUlST_E0_NS1_11comp_targetILNS1_3genE2ELNS1_11target_archE906ELNS1_3gpuE6ELNS1_3repE0EEENS1_30default_config_static_selectorELNS0_4arch9wavefront6targetE0EEEvT1_, .Lfunc_end478-_ZN7rocprim17ROCPRIM_400000_NS6detail17trampoline_kernelINS0_14default_configENS1_20scan_config_selectorIN3c108BFloat16EEEZZNS1_9scan_implILNS1_25lookback_scan_determinismE0ELb0ELb0ES3_PKS6_PS6_S6_ZZZN2at6native31launch_logcumsumexp_cuda_kernelERKNSD_10TensorBaseESH_lENKUlvE_clEvENKUlvE4_clEvEUlS6_S6_E_S6_EEDaPvRmT3_T4_T5_mT6_P12ihipStream_tbENKUlT_T0_E_clISt17integral_constantIbLb1EESY_EEDaST_SU_EUlST_E0_NS1_11comp_targetILNS1_3genE2ELNS1_11target_archE906ELNS1_3gpuE6ELNS1_3repE0EEENS1_30default_config_static_selectorELNS0_4arch9wavefront6targetE0EEEvT1_
                                        ; -- End function
	.set _ZN7rocprim17ROCPRIM_400000_NS6detail17trampoline_kernelINS0_14default_configENS1_20scan_config_selectorIN3c108BFloat16EEEZZNS1_9scan_implILNS1_25lookback_scan_determinismE0ELb0ELb0ES3_PKS6_PS6_S6_ZZZN2at6native31launch_logcumsumexp_cuda_kernelERKNSD_10TensorBaseESH_lENKUlvE_clEvENKUlvE4_clEvEUlS6_S6_E_S6_EEDaPvRmT3_T4_T5_mT6_P12ihipStream_tbENKUlT_T0_E_clISt17integral_constantIbLb1EESY_EEDaST_SU_EUlST_E0_NS1_11comp_targetILNS1_3genE2ELNS1_11target_archE906ELNS1_3gpuE6ELNS1_3repE0EEENS1_30default_config_static_selectorELNS0_4arch9wavefront6targetE0EEEvT1_.num_vgpr, 0
	.set _ZN7rocprim17ROCPRIM_400000_NS6detail17trampoline_kernelINS0_14default_configENS1_20scan_config_selectorIN3c108BFloat16EEEZZNS1_9scan_implILNS1_25lookback_scan_determinismE0ELb0ELb0ES3_PKS6_PS6_S6_ZZZN2at6native31launch_logcumsumexp_cuda_kernelERKNSD_10TensorBaseESH_lENKUlvE_clEvENKUlvE4_clEvEUlS6_S6_E_S6_EEDaPvRmT3_T4_T5_mT6_P12ihipStream_tbENKUlT_T0_E_clISt17integral_constantIbLb1EESY_EEDaST_SU_EUlST_E0_NS1_11comp_targetILNS1_3genE2ELNS1_11target_archE906ELNS1_3gpuE6ELNS1_3repE0EEENS1_30default_config_static_selectorELNS0_4arch9wavefront6targetE0EEEvT1_.num_agpr, 0
	.set _ZN7rocprim17ROCPRIM_400000_NS6detail17trampoline_kernelINS0_14default_configENS1_20scan_config_selectorIN3c108BFloat16EEEZZNS1_9scan_implILNS1_25lookback_scan_determinismE0ELb0ELb0ES3_PKS6_PS6_S6_ZZZN2at6native31launch_logcumsumexp_cuda_kernelERKNSD_10TensorBaseESH_lENKUlvE_clEvENKUlvE4_clEvEUlS6_S6_E_S6_EEDaPvRmT3_T4_T5_mT6_P12ihipStream_tbENKUlT_T0_E_clISt17integral_constantIbLb1EESY_EEDaST_SU_EUlST_E0_NS1_11comp_targetILNS1_3genE2ELNS1_11target_archE906ELNS1_3gpuE6ELNS1_3repE0EEENS1_30default_config_static_selectorELNS0_4arch9wavefront6targetE0EEEvT1_.numbered_sgpr, 0
	.set _ZN7rocprim17ROCPRIM_400000_NS6detail17trampoline_kernelINS0_14default_configENS1_20scan_config_selectorIN3c108BFloat16EEEZZNS1_9scan_implILNS1_25lookback_scan_determinismE0ELb0ELb0ES3_PKS6_PS6_S6_ZZZN2at6native31launch_logcumsumexp_cuda_kernelERKNSD_10TensorBaseESH_lENKUlvE_clEvENKUlvE4_clEvEUlS6_S6_E_S6_EEDaPvRmT3_T4_T5_mT6_P12ihipStream_tbENKUlT_T0_E_clISt17integral_constantIbLb1EESY_EEDaST_SU_EUlST_E0_NS1_11comp_targetILNS1_3genE2ELNS1_11target_archE906ELNS1_3gpuE6ELNS1_3repE0EEENS1_30default_config_static_selectorELNS0_4arch9wavefront6targetE0EEEvT1_.num_named_barrier, 0
	.set _ZN7rocprim17ROCPRIM_400000_NS6detail17trampoline_kernelINS0_14default_configENS1_20scan_config_selectorIN3c108BFloat16EEEZZNS1_9scan_implILNS1_25lookback_scan_determinismE0ELb0ELb0ES3_PKS6_PS6_S6_ZZZN2at6native31launch_logcumsumexp_cuda_kernelERKNSD_10TensorBaseESH_lENKUlvE_clEvENKUlvE4_clEvEUlS6_S6_E_S6_EEDaPvRmT3_T4_T5_mT6_P12ihipStream_tbENKUlT_T0_E_clISt17integral_constantIbLb1EESY_EEDaST_SU_EUlST_E0_NS1_11comp_targetILNS1_3genE2ELNS1_11target_archE906ELNS1_3gpuE6ELNS1_3repE0EEENS1_30default_config_static_selectorELNS0_4arch9wavefront6targetE0EEEvT1_.private_seg_size, 0
	.set _ZN7rocprim17ROCPRIM_400000_NS6detail17trampoline_kernelINS0_14default_configENS1_20scan_config_selectorIN3c108BFloat16EEEZZNS1_9scan_implILNS1_25lookback_scan_determinismE0ELb0ELb0ES3_PKS6_PS6_S6_ZZZN2at6native31launch_logcumsumexp_cuda_kernelERKNSD_10TensorBaseESH_lENKUlvE_clEvENKUlvE4_clEvEUlS6_S6_E_S6_EEDaPvRmT3_T4_T5_mT6_P12ihipStream_tbENKUlT_T0_E_clISt17integral_constantIbLb1EESY_EEDaST_SU_EUlST_E0_NS1_11comp_targetILNS1_3genE2ELNS1_11target_archE906ELNS1_3gpuE6ELNS1_3repE0EEENS1_30default_config_static_selectorELNS0_4arch9wavefront6targetE0EEEvT1_.uses_vcc, 0
	.set _ZN7rocprim17ROCPRIM_400000_NS6detail17trampoline_kernelINS0_14default_configENS1_20scan_config_selectorIN3c108BFloat16EEEZZNS1_9scan_implILNS1_25lookback_scan_determinismE0ELb0ELb0ES3_PKS6_PS6_S6_ZZZN2at6native31launch_logcumsumexp_cuda_kernelERKNSD_10TensorBaseESH_lENKUlvE_clEvENKUlvE4_clEvEUlS6_S6_E_S6_EEDaPvRmT3_T4_T5_mT6_P12ihipStream_tbENKUlT_T0_E_clISt17integral_constantIbLb1EESY_EEDaST_SU_EUlST_E0_NS1_11comp_targetILNS1_3genE2ELNS1_11target_archE906ELNS1_3gpuE6ELNS1_3repE0EEENS1_30default_config_static_selectorELNS0_4arch9wavefront6targetE0EEEvT1_.uses_flat_scratch, 0
	.set _ZN7rocprim17ROCPRIM_400000_NS6detail17trampoline_kernelINS0_14default_configENS1_20scan_config_selectorIN3c108BFloat16EEEZZNS1_9scan_implILNS1_25lookback_scan_determinismE0ELb0ELb0ES3_PKS6_PS6_S6_ZZZN2at6native31launch_logcumsumexp_cuda_kernelERKNSD_10TensorBaseESH_lENKUlvE_clEvENKUlvE4_clEvEUlS6_S6_E_S6_EEDaPvRmT3_T4_T5_mT6_P12ihipStream_tbENKUlT_T0_E_clISt17integral_constantIbLb1EESY_EEDaST_SU_EUlST_E0_NS1_11comp_targetILNS1_3genE2ELNS1_11target_archE906ELNS1_3gpuE6ELNS1_3repE0EEENS1_30default_config_static_selectorELNS0_4arch9wavefront6targetE0EEEvT1_.has_dyn_sized_stack, 0
	.set _ZN7rocprim17ROCPRIM_400000_NS6detail17trampoline_kernelINS0_14default_configENS1_20scan_config_selectorIN3c108BFloat16EEEZZNS1_9scan_implILNS1_25lookback_scan_determinismE0ELb0ELb0ES3_PKS6_PS6_S6_ZZZN2at6native31launch_logcumsumexp_cuda_kernelERKNSD_10TensorBaseESH_lENKUlvE_clEvENKUlvE4_clEvEUlS6_S6_E_S6_EEDaPvRmT3_T4_T5_mT6_P12ihipStream_tbENKUlT_T0_E_clISt17integral_constantIbLb1EESY_EEDaST_SU_EUlST_E0_NS1_11comp_targetILNS1_3genE2ELNS1_11target_archE906ELNS1_3gpuE6ELNS1_3repE0EEENS1_30default_config_static_selectorELNS0_4arch9wavefront6targetE0EEEvT1_.has_recursion, 0
	.set _ZN7rocprim17ROCPRIM_400000_NS6detail17trampoline_kernelINS0_14default_configENS1_20scan_config_selectorIN3c108BFloat16EEEZZNS1_9scan_implILNS1_25lookback_scan_determinismE0ELb0ELb0ES3_PKS6_PS6_S6_ZZZN2at6native31launch_logcumsumexp_cuda_kernelERKNSD_10TensorBaseESH_lENKUlvE_clEvENKUlvE4_clEvEUlS6_S6_E_S6_EEDaPvRmT3_T4_T5_mT6_P12ihipStream_tbENKUlT_T0_E_clISt17integral_constantIbLb1EESY_EEDaST_SU_EUlST_E0_NS1_11comp_targetILNS1_3genE2ELNS1_11target_archE906ELNS1_3gpuE6ELNS1_3repE0EEENS1_30default_config_static_selectorELNS0_4arch9wavefront6targetE0EEEvT1_.has_indirect_call, 0
	.section	.AMDGPU.csdata,"",@progbits
; Kernel info:
; codeLenInByte = 0
; TotalNumSgprs: 0
; NumVgprs: 0
; ScratchSize: 0
; MemoryBound: 0
; FloatMode: 240
; IeeeMode: 1
; LDSByteSize: 0 bytes/workgroup (compile time only)
; SGPRBlocks: 0
; VGPRBlocks: 0
; NumSGPRsForWavesPerEU: 1
; NumVGPRsForWavesPerEU: 1
; Occupancy: 16
; WaveLimiterHint : 0
; COMPUTE_PGM_RSRC2:SCRATCH_EN: 0
; COMPUTE_PGM_RSRC2:USER_SGPR: 6
; COMPUTE_PGM_RSRC2:TRAP_HANDLER: 0
; COMPUTE_PGM_RSRC2:TGID_X_EN: 1
; COMPUTE_PGM_RSRC2:TGID_Y_EN: 0
; COMPUTE_PGM_RSRC2:TGID_Z_EN: 0
; COMPUTE_PGM_RSRC2:TIDIG_COMP_CNT: 0
	.section	.text._ZN7rocprim17ROCPRIM_400000_NS6detail17trampoline_kernelINS0_14default_configENS1_20scan_config_selectorIN3c108BFloat16EEEZZNS1_9scan_implILNS1_25lookback_scan_determinismE0ELb0ELb0ES3_PKS6_PS6_S6_ZZZN2at6native31launch_logcumsumexp_cuda_kernelERKNSD_10TensorBaseESH_lENKUlvE_clEvENKUlvE4_clEvEUlS6_S6_E_S6_EEDaPvRmT3_T4_T5_mT6_P12ihipStream_tbENKUlT_T0_E_clISt17integral_constantIbLb1EESY_EEDaST_SU_EUlST_E0_NS1_11comp_targetILNS1_3genE10ELNS1_11target_archE1201ELNS1_3gpuE5ELNS1_3repE0EEENS1_30default_config_static_selectorELNS0_4arch9wavefront6targetE0EEEvT1_,"axG",@progbits,_ZN7rocprim17ROCPRIM_400000_NS6detail17trampoline_kernelINS0_14default_configENS1_20scan_config_selectorIN3c108BFloat16EEEZZNS1_9scan_implILNS1_25lookback_scan_determinismE0ELb0ELb0ES3_PKS6_PS6_S6_ZZZN2at6native31launch_logcumsumexp_cuda_kernelERKNSD_10TensorBaseESH_lENKUlvE_clEvENKUlvE4_clEvEUlS6_S6_E_S6_EEDaPvRmT3_T4_T5_mT6_P12ihipStream_tbENKUlT_T0_E_clISt17integral_constantIbLb1EESY_EEDaST_SU_EUlST_E0_NS1_11comp_targetILNS1_3genE10ELNS1_11target_archE1201ELNS1_3gpuE5ELNS1_3repE0EEENS1_30default_config_static_selectorELNS0_4arch9wavefront6targetE0EEEvT1_,comdat
	.globl	_ZN7rocprim17ROCPRIM_400000_NS6detail17trampoline_kernelINS0_14default_configENS1_20scan_config_selectorIN3c108BFloat16EEEZZNS1_9scan_implILNS1_25lookback_scan_determinismE0ELb0ELb0ES3_PKS6_PS6_S6_ZZZN2at6native31launch_logcumsumexp_cuda_kernelERKNSD_10TensorBaseESH_lENKUlvE_clEvENKUlvE4_clEvEUlS6_S6_E_S6_EEDaPvRmT3_T4_T5_mT6_P12ihipStream_tbENKUlT_T0_E_clISt17integral_constantIbLb1EESY_EEDaST_SU_EUlST_E0_NS1_11comp_targetILNS1_3genE10ELNS1_11target_archE1201ELNS1_3gpuE5ELNS1_3repE0EEENS1_30default_config_static_selectorELNS0_4arch9wavefront6targetE0EEEvT1_ ; -- Begin function _ZN7rocprim17ROCPRIM_400000_NS6detail17trampoline_kernelINS0_14default_configENS1_20scan_config_selectorIN3c108BFloat16EEEZZNS1_9scan_implILNS1_25lookback_scan_determinismE0ELb0ELb0ES3_PKS6_PS6_S6_ZZZN2at6native31launch_logcumsumexp_cuda_kernelERKNSD_10TensorBaseESH_lENKUlvE_clEvENKUlvE4_clEvEUlS6_S6_E_S6_EEDaPvRmT3_T4_T5_mT6_P12ihipStream_tbENKUlT_T0_E_clISt17integral_constantIbLb1EESY_EEDaST_SU_EUlST_E0_NS1_11comp_targetILNS1_3genE10ELNS1_11target_archE1201ELNS1_3gpuE5ELNS1_3repE0EEENS1_30default_config_static_selectorELNS0_4arch9wavefront6targetE0EEEvT1_
	.p2align	8
	.type	_ZN7rocprim17ROCPRIM_400000_NS6detail17trampoline_kernelINS0_14default_configENS1_20scan_config_selectorIN3c108BFloat16EEEZZNS1_9scan_implILNS1_25lookback_scan_determinismE0ELb0ELb0ES3_PKS6_PS6_S6_ZZZN2at6native31launch_logcumsumexp_cuda_kernelERKNSD_10TensorBaseESH_lENKUlvE_clEvENKUlvE4_clEvEUlS6_S6_E_S6_EEDaPvRmT3_T4_T5_mT6_P12ihipStream_tbENKUlT_T0_E_clISt17integral_constantIbLb1EESY_EEDaST_SU_EUlST_E0_NS1_11comp_targetILNS1_3genE10ELNS1_11target_archE1201ELNS1_3gpuE5ELNS1_3repE0EEENS1_30default_config_static_selectorELNS0_4arch9wavefront6targetE0EEEvT1_,@function
_ZN7rocprim17ROCPRIM_400000_NS6detail17trampoline_kernelINS0_14default_configENS1_20scan_config_selectorIN3c108BFloat16EEEZZNS1_9scan_implILNS1_25lookback_scan_determinismE0ELb0ELb0ES3_PKS6_PS6_S6_ZZZN2at6native31launch_logcumsumexp_cuda_kernelERKNSD_10TensorBaseESH_lENKUlvE_clEvENKUlvE4_clEvEUlS6_S6_E_S6_EEDaPvRmT3_T4_T5_mT6_P12ihipStream_tbENKUlT_T0_E_clISt17integral_constantIbLb1EESY_EEDaST_SU_EUlST_E0_NS1_11comp_targetILNS1_3genE10ELNS1_11target_archE1201ELNS1_3gpuE5ELNS1_3repE0EEENS1_30default_config_static_selectorELNS0_4arch9wavefront6targetE0EEEvT1_: ; @_ZN7rocprim17ROCPRIM_400000_NS6detail17trampoline_kernelINS0_14default_configENS1_20scan_config_selectorIN3c108BFloat16EEEZZNS1_9scan_implILNS1_25lookback_scan_determinismE0ELb0ELb0ES3_PKS6_PS6_S6_ZZZN2at6native31launch_logcumsumexp_cuda_kernelERKNSD_10TensorBaseESH_lENKUlvE_clEvENKUlvE4_clEvEUlS6_S6_E_S6_EEDaPvRmT3_T4_T5_mT6_P12ihipStream_tbENKUlT_T0_E_clISt17integral_constantIbLb1EESY_EEDaST_SU_EUlST_E0_NS1_11comp_targetILNS1_3genE10ELNS1_11target_archE1201ELNS1_3gpuE5ELNS1_3repE0EEENS1_30default_config_static_selectorELNS0_4arch9wavefront6targetE0EEEvT1_
; %bb.0:
	.section	.rodata,"a",@progbits
	.p2align	6, 0x0
	.amdhsa_kernel _ZN7rocprim17ROCPRIM_400000_NS6detail17trampoline_kernelINS0_14default_configENS1_20scan_config_selectorIN3c108BFloat16EEEZZNS1_9scan_implILNS1_25lookback_scan_determinismE0ELb0ELb0ES3_PKS6_PS6_S6_ZZZN2at6native31launch_logcumsumexp_cuda_kernelERKNSD_10TensorBaseESH_lENKUlvE_clEvENKUlvE4_clEvEUlS6_S6_E_S6_EEDaPvRmT3_T4_T5_mT6_P12ihipStream_tbENKUlT_T0_E_clISt17integral_constantIbLb1EESY_EEDaST_SU_EUlST_E0_NS1_11comp_targetILNS1_3genE10ELNS1_11target_archE1201ELNS1_3gpuE5ELNS1_3repE0EEENS1_30default_config_static_selectorELNS0_4arch9wavefront6targetE0EEEvT1_
		.amdhsa_group_segment_fixed_size 0
		.amdhsa_private_segment_fixed_size 0
		.amdhsa_kernarg_size 32
		.amdhsa_user_sgpr_count 6
		.amdhsa_user_sgpr_private_segment_buffer 1
		.amdhsa_user_sgpr_dispatch_ptr 0
		.amdhsa_user_sgpr_queue_ptr 0
		.amdhsa_user_sgpr_kernarg_segment_ptr 1
		.amdhsa_user_sgpr_dispatch_id 0
		.amdhsa_user_sgpr_flat_scratch_init 0
		.amdhsa_user_sgpr_private_segment_size 0
		.amdhsa_wavefront_size32 1
		.amdhsa_uses_dynamic_stack 0
		.amdhsa_system_sgpr_private_segment_wavefront_offset 0
		.amdhsa_system_sgpr_workgroup_id_x 1
		.amdhsa_system_sgpr_workgroup_id_y 0
		.amdhsa_system_sgpr_workgroup_id_z 0
		.amdhsa_system_sgpr_workgroup_info 0
		.amdhsa_system_vgpr_workitem_id 0
		.amdhsa_next_free_vgpr 1
		.amdhsa_next_free_sgpr 1
		.amdhsa_reserve_vcc 0
		.amdhsa_reserve_flat_scratch 0
		.amdhsa_float_round_mode_32 0
		.amdhsa_float_round_mode_16_64 0
		.amdhsa_float_denorm_mode_32 3
		.amdhsa_float_denorm_mode_16_64 3
		.amdhsa_dx10_clamp 1
		.amdhsa_ieee_mode 1
		.amdhsa_fp16_overflow 0
		.amdhsa_workgroup_processor_mode 1
		.amdhsa_memory_ordered 1
		.amdhsa_forward_progress 1
		.amdhsa_shared_vgpr_count 0
		.amdhsa_exception_fp_ieee_invalid_op 0
		.amdhsa_exception_fp_denorm_src 0
		.amdhsa_exception_fp_ieee_div_zero 0
		.amdhsa_exception_fp_ieee_overflow 0
		.amdhsa_exception_fp_ieee_underflow 0
		.amdhsa_exception_fp_ieee_inexact 0
		.amdhsa_exception_int_div_zero 0
	.end_amdhsa_kernel
	.section	.text._ZN7rocprim17ROCPRIM_400000_NS6detail17trampoline_kernelINS0_14default_configENS1_20scan_config_selectorIN3c108BFloat16EEEZZNS1_9scan_implILNS1_25lookback_scan_determinismE0ELb0ELb0ES3_PKS6_PS6_S6_ZZZN2at6native31launch_logcumsumexp_cuda_kernelERKNSD_10TensorBaseESH_lENKUlvE_clEvENKUlvE4_clEvEUlS6_S6_E_S6_EEDaPvRmT3_T4_T5_mT6_P12ihipStream_tbENKUlT_T0_E_clISt17integral_constantIbLb1EESY_EEDaST_SU_EUlST_E0_NS1_11comp_targetILNS1_3genE10ELNS1_11target_archE1201ELNS1_3gpuE5ELNS1_3repE0EEENS1_30default_config_static_selectorELNS0_4arch9wavefront6targetE0EEEvT1_,"axG",@progbits,_ZN7rocprim17ROCPRIM_400000_NS6detail17trampoline_kernelINS0_14default_configENS1_20scan_config_selectorIN3c108BFloat16EEEZZNS1_9scan_implILNS1_25lookback_scan_determinismE0ELb0ELb0ES3_PKS6_PS6_S6_ZZZN2at6native31launch_logcumsumexp_cuda_kernelERKNSD_10TensorBaseESH_lENKUlvE_clEvENKUlvE4_clEvEUlS6_S6_E_S6_EEDaPvRmT3_T4_T5_mT6_P12ihipStream_tbENKUlT_T0_E_clISt17integral_constantIbLb1EESY_EEDaST_SU_EUlST_E0_NS1_11comp_targetILNS1_3genE10ELNS1_11target_archE1201ELNS1_3gpuE5ELNS1_3repE0EEENS1_30default_config_static_selectorELNS0_4arch9wavefront6targetE0EEEvT1_,comdat
.Lfunc_end479:
	.size	_ZN7rocprim17ROCPRIM_400000_NS6detail17trampoline_kernelINS0_14default_configENS1_20scan_config_selectorIN3c108BFloat16EEEZZNS1_9scan_implILNS1_25lookback_scan_determinismE0ELb0ELb0ES3_PKS6_PS6_S6_ZZZN2at6native31launch_logcumsumexp_cuda_kernelERKNSD_10TensorBaseESH_lENKUlvE_clEvENKUlvE4_clEvEUlS6_S6_E_S6_EEDaPvRmT3_T4_T5_mT6_P12ihipStream_tbENKUlT_T0_E_clISt17integral_constantIbLb1EESY_EEDaST_SU_EUlST_E0_NS1_11comp_targetILNS1_3genE10ELNS1_11target_archE1201ELNS1_3gpuE5ELNS1_3repE0EEENS1_30default_config_static_selectorELNS0_4arch9wavefront6targetE0EEEvT1_, .Lfunc_end479-_ZN7rocprim17ROCPRIM_400000_NS6detail17trampoline_kernelINS0_14default_configENS1_20scan_config_selectorIN3c108BFloat16EEEZZNS1_9scan_implILNS1_25lookback_scan_determinismE0ELb0ELb0ES3_PKS6_PS6_S6_ZZZN2at6native31launch_logcumsumexp_cuda_kernelERKNSD_10TensorBaseESH_lENKUlvE_clEvENKUlvE4_clEvEUlS6_S6_E_S6_EEDaPvRmT3_T4_T5_mT6_P12ihipStream_tbENKUlT_T0_E_clISt17integral_constantIbLb1EESY_EEDaST_SU_EUlST_E0_NS1_11comp_targetILNS1_3genE10ELNS1_11target_archE1201ELNS1_3gpuE5ELNS1_3repE0EEENS1_30default_config_static_selectorELNS0_4arch9wavefront6targetE0EEEvT1_
                                        ; -- End function
	.set _ZN7rocprim17ROCPRIM_400000_NS6detail17trampoline_kernelINS0_14default_configENS1_20scan_config_selectorIN3c108BFloat16EEEZZNS1_9scan_implILNS1_25lookback_scan_determinismE0ELb0ELb0ES3_PKS6_PS6_S6_ZZZN2at6native31launch_logcumsumexp_cuda_kernelERKNSD_10TensorBaseESH_lENKUlvE_clEvENKUlvE4_clEvEUlS6_S6_E_S6_EEDaPvRmT3_T4_T5_mT6_P12ihipStream_tbENKUlT_T0_E_clISt17integral_constantIbLb1EESY_EEDaST_SU_EUlST_E0_NS1_11comp_targetILNS1_3genE10ELNS1_11target_archE1201ELNS1_3gpuE5ELNS1_3repE0EEENS1_30default_config_static_selectorELNS0_4arch9wavefront6targetE0EEEvT1_.num_vgpr, 0
	.set _ZN7rocprim17ROCPRIM_400000_NS6detail17trampoline_kernelINS0_14default_configENS1_20scan_config_selectorIN3c108BFloat16EEEZZNS1_9scan_implILNS1_25lookback_scan_determinismE0ELb0ELb0ES3_PKS6_PS6_S6_ZZZN2at6native31launch_logcumsumexp_cuda_kernelERKNSD_10TensorBaseESH_lENKUlvE_clEvENKUlvE4_clEvEUlS6_S6_E_S6_EEDaPvRmT3_T4_T5_mT6_P12ihipStream_tbENKUlT_T0_E_clISt17integral_constantIbLb1EESY_EEDaST_SU_EUlST_E0_NS1_11comp_targetILNS1_3genE10ELNS1_11target_archE1201ELNS1_3gpuE5ELNS1_3repE0EEENS1_30default_config_static_selectorELNS0_4arch9wavefront6targetE0EEEvT1_.num_agpr, 0
	.set _ZN7rocprim17ROCPRIM_400000_NS6detail17trampoline_kernelINS0_14default_configENS1_20scan_config_selectorIN3c108BFloat16EEEZZNS1_9scan_implILNS1_25lookback_scan_determinismE0ELb0ELb0ES3_PKS6_PS6_S6_ZZZN2at6native31launch_logcumsumexp_cuda_kernelERKNSD_10TensorBaseESH_lENKUlvE_clEvENKUlvE4_clEvEUlS6_S6_E_S6_EEDaPvRmT3_T4_T5_mT6_P12ihipStream_tbENKUlT_T0_E_clISt17integral_constantIbLb1EESY_EEDaST_SU_EUlST_E0_NS1_11comp_targetILNS1_3genE10ELNS1_11target_archE1201ELNS1_3gpuE5ELNS1_3repE0EEENS1_30default_config_static_selectorELNS0_4arch9wavefront6targetE0EEEvT1_.numbered_sgpr, 0
	.set _ZN7rocprim17ROCPRIM_400000_NS6detail17trampoline_kernelINS0_14default_configENS1_20scan_config_selectorIN3c108BFloat16EEEZZNS1_9scan_implILNS1_25lookback_scan_determinismE0ELb0ELb0ES3_PKS6_PS6_S6_ZZZN2at6native31launch_logcumsumexp_cuda_kernelERKNSD_10TensorBaseESH_lENKUlvE_clEvENKUlvE4_clEvEUlS6_S6_E_S6_EEDaPvRmT3_T4_T5_mT6_P12ihipStream_tbENKUlT_T0_E_clISt17integral_constantIbLb1EESY_EEDaST_SU_EUlST_E0_NS1_11comp_targetILNS1_3genE10ELNS1_11target_archE1201ELNS1_3gpuE5ELNS1_3repE0EEENS1_30default_config_static_selectorELNS0_4arch9wavefront6targetE0EEEvT1_.num_named_barrier, 0
	.set _ZN7rocprim17ROCPRIM_400000_NS6detail17trampoline_kernelINS0_14default_configENS1_20scan_config_selectorIN3c108BFloat16EEEZZNS1_9scan_implILNS1_25lookback_scan_determinismE0ELb0ELb0ES3_PKS6_PS6_S6_ZZZN2at6native31launch_logcumsumexp_cuda_kernelERKNSD_10TensorBaseESH_lENKUlvE_clEvENKUlvE4_clEvEUlS6_S6_E_S6_EEDaPvRmT3_T4_T5_mT6_P12ihipStream_tbENKUlT_T0_E_clISt17integral_constantIbLb1EESY_EEDaST_SU_EUlST_E0_NS1_11comp_targetILNS1_3genE10ELNS1_11target_archE1201ELNS1_3gpuE5ELNS1_3repE0EEENS1_30default_config_static_selectorELNS0_4arch9wavefront6targetE0EEEvT1_.private_seg_size, 0
	.set _ZN7rocprim17ROCPRIM_400000_NS6detail17trampoline_kernelINS0_14default_configENS1_20scan_config_selectorIN3c108BFloat16EEEZZNS1_9scan_implILNS1_25lookback_scan_determinismE0ELb0ELb0ES3_PKS6_PS6_S6_ZZZN2at6native31launch_logcumsumexp_cuda_kernelERKNSD_10TensorBaseESH_lENKUlvE_clEvENKUlvE4_clEvEUlS6_S6_E_S6_EEDaPvRmT3_T4_T5_mT6_P12ihipStream_tbENKUlT_T0_E_clISt17integral_constantIbLb1EESY_EEDaST_SU_EUlST_E0_NS1_11comp_targetILNS1_3genE10ELNS1_11target_archE1201ELNS1_3gpuE5ELNS1_3repE0EEENS1_30default_config_static_selectorELNS0_4arch9wavefront6targetE0EEEvT1_.uses_vcc, 0
	.set _ZN7rocprim17ROCPRIM_400000_NS6detail17trampoline_kernelINS0_14default_configENS1_20scan_config_selectorIN3c108BFloat16EEEZZNS1_9scan_implILNS1_25lookback_scan_determinismE0ELb0ELb0ES3_PKS6_PS6_S6_ZZZN2at6native31launch_logcumsumexp_cuda_kernelERKNSD_10TensorBaseESH_lENKUlvE_clEvENKUlvE4_clEvEUlS6_S6_E_S6_EEDaPvRmT3_T4_T5_mT6_P12ihipStream_tbENKUlT_T0_E_clISt17integral_constantIbLb1EESY_EEDaST_SU_EUlST_E0_NS1_11comp_targetILNS1_3genE10ELNS1_11target_archE1201ELNS1_3gpuE5ELNS1_3repE0EEENS1_30default_config_static_selectorELNS0_4arch9wavefront6targetE0EEEvT1_.uses_flat_scratch, 0
	.set _ZN7rocprim17ROCPRIM_400000_NS6detail17trampoline_kernelINS0_14default_configENS1_20scan_config_selectorIN3c108BFloat16EEEZZNS1_9scan_implILNS1_25lookback_scan_determinismE0ELb0ELb0ES3_PKS6_PS6_S6_ZZZN2at6native31launch_logcumsumexp_cuda_kernelERKNSD_10TensorBaseESH_lENKUlvE_clEvENKUlvE4_clEvEUlS6_S6_E_S6_EEDaPvRmT3_T4_T5_mT6_P12ihipStream_tbENKUlT_T0_E_clISt17integral_constantIbLb1EESY_EEDaST_SU_EUlST_E0_NS1_11comp_targetILNS1_3genE10ELNS1_11target_archE1201ELNS1_3gpuE5ELNS1_3repE0EEENS1_30default_config_static_selectorELNS0_4arch9wavefront6targetE0EEEvT1_.has_dyn_sized_stack, 0
	.set _ZN7rocprim17ROCPRIM_400000_NS6detail17trampoline_kernelINS0_14default_configENS1_20scan_config_selectorIN3c108BFloat16EEEZZNS1_9scan_implILNS1_25lookback_scan_determinismE0ELb0ELb0ES3_PKS6_PS6_S6_ZZZN2at6native31launch_logcumsumexp_cuda_kernelERKNSD_10TensorBaseESH_lENKUlvE_clEvENKUlvE4_clEvEUlS6_S6_E_S6_EEDaPvRmT3_T4_T5_mT6_P12ihipStream_tbENKUlT_T0_E_clISt17integral_constantIbLb1EESY_EEDaST_SU_EUlST_E0_NS1_11comp_targetILNS1_3genE10ELNS1_11target_archE1201ELNS1_3gpuE5ELNS1_3repE0EEENS1_30default_config_static_selectorELNS0_4arch9wavefront6targetE0EEEvT1_.has_recursion, 0
	.set _ZN7rocprim17ROCPRIM_400000_NS6detail17trampoline_kernelINS0_14default_configENS1_20scan_config_selectorIN3c108BFloat16EEEZZNS1_9scan_implILNS1_25lookback_scan_determinismE0ELb0ELb0ES3_PKS6_PS6_S6_ZZZN2at6native31launch_logcumsumexp_cuda_kernelERKNSD_10TensorBaseESH_lENKUlvE_clEvENKUlvE4_clEvEUlS6_S6_E_S6_EEDaPvRmT3_T4_T5_mT6_P12ihipStream_tbENKUlT_T0_E_clISt17integral_constantIbLb1EESY_EEDaST_SU_EUlST_E0_NS1_11comp_targetILNS1_3genE10ELNS1_11target_archE1201ELNS1_3gpuE5ELNS1_3repE0EEENS1_30default_config_static_selectorELNS0_4arch9wavefront6targetE0EEEvT1_.has_indirect_call, 0
	.section	.AMDGPU.csdata,"",@progbits
; Kernel info:
; codeLenInByte = 0
; TotalNumSgprs: 0
; NumVgprs: 0
; ScratchSize: 0
; MemoryBound: 0
; FloatMode: 240
; IeeeMode: 1
; LDSByteSize: 0 bytes/workgroup (compile time only)
; SGPRBlocks: 0
; VGPRBlocks: 0
; NumSGPRsForWavesPerEU: 1
; NumVGPRsForWavesPerEU: 1
; Occupancy: 16
; WaveLimiterHint : 0
; COMPUTE_PGM_RSRC2:SCRATCH_EN: 0
; COMPUTE_PGM_RSRC2:USER_SGPR: 6
; COMPUTE_PGM_RSRC2:TRAP_HANDLER: 0
; COMPUTE_PGM_RSRC2:TGID_X_EN: 1
; COMPUTE_PGM_RSRC2:TGID_Y_EN: 0
; COMPUTE_PGM_RSRC2:TGID_Z_EN: 0
; COMPUTE_PGM_RSRC2:TIDIG_COMP_CNT: 0
	.section	.text._ZN7rocprim17ROCPRIM_400000_NS6detail17trampoline_kernelINS0_14default_configENS1_20scan_config_selectorIN3c108BFloat16EEEZZNS1_9scan_implILNS1_25lookback_scan_determinismE0ELb0ELb0ES3_PKS6_PS6_S6_ZZZN2at6native31launch_logcumsumexp_cuda_kernelERKNSD_10TensorBaseESH_lENKUlvE_clEvENKUlvE4_clEvEUlS6_S6_E_S6_EEDaPvRmT3_T4_T5_mT6_P12ihipStream_tbENKUlT_T0_E_clISt17integral_constantIbLb1EESY_EEDaST_SU_EUlST_E0_NS1_11comp_targetILNS1_3genE10ELNS1_11target_archE1200ELNS1_3gpuE4ELNS1_3repE0EEENS1_30default_config_static_selectorELNS0_4arch9wavefront6targetE0EEEvT1_,"axG",@progbits,_ZN7rocprim17ROCPRIM_400000_NS6detail17trampoline_kernelINS0_14default_configENS1_20scan_config_selectorIN3c108BFloat16EEEZZNS1_9scan_implILNS1_25lookback_scan_determinismE0ELb0ELb0ES3_PKS6_PS6_S6_ZZZN2at6native31launch_logcumsumexp_cuda_kernelERKNSD_10TensorBaseESH_lENKUlvE_clEvENKUlvE4_clEvEUlS6_S6_E_S6_EEDaPvRmT3_T4_T5_mT6_P12ihipStream_tbENKUlT_T0_E_clISt17integral_constantIbLb1EESY_EEDaST_SU_EUlST_E0_NS1_11comp_targetILNS1_3genE10ELNS1_11target_archE1200ELNS1_3gpuE4ELNS1_3repE0EEENS1_30default_config_static_selectorELNS0_4arch9wavefront6targetE0EEEvT1_,comdat
	.globl	_ZN7rocprim17ROCPRIM_400000_NS6detail17trampoline_kernelINS0_14default_configENS1_20scan_config_selectorIN3c108BFloat16EEEZZNS1_9scan_implILNS1_25lookback_scan_determinismE0ELb0ELb0ES3_PKS6_PS6_S6_ZZZN2at6native31launch_logcumsumexp_cuda_kernelERKNSD_10TensorBaseESH_lENKUlvE_clEvENKUlvE4_clEvEUlS6_S6_E_S6_EEDaPvRmT3_T4_T5_mT6_P12ihipStream_tbENKUlT_T0_E_clISt17integral_constantIbLb1EESY_EEDaST_SU_EUlST_E0_NS1_11comp_targetILNS1_3genE10ELNS1_11target_archE1200ELNS1_3gpuE4ELNS1_3repE0EEENS1_30default_config_static_selectorELNS0_4arch9wavefront6targetE0EEEvT1_ ; -- Begin function _ZN7rocprim17ROCPRIM_400000_NS6detail17trampoline_kernelINS0_14default_configENS1_20scan_config_selectorIN3c108BFloat16EEEZZNS1_9scan_implILNS1_25lookback_scan_determinismE0ELb0ELb0ES3_PKS6_PS6_S6_ZZZN2at6native31launch_logcumsumexp_cuda_kernelERKNSD_10TensorBaseESH_lENKUlvE_clEvENKUlvE4_clEvEUlS6_S6_E_S6_EEDaPvRmT3_T4_T5_mT6_P12ihipStream_tbENKUlT_T0_E_clISt17integral_constantIbLb1EESY_EEDaST_SU_EUlST_E0_NS1_11comp_targetILNS1_3genE10ELNS1_11target_archE1200ELNS1_3gpuE4ELNS1_3repE0EEENS1_30default_config_static_selectorELNS0_4arch9wavefront6targetE0EEEvT1_
	.p2align	8
	.type	_ZN7rocprim17ROCPRIM_400000_NS6detail17trampoline_kernelINS0_14default_configENS1_20scan_config_selectorIN3c108BFloat16EEEZZNS1_9scan_implILNS1_25lookback_scan_determinismE0ELb0ELb0ES3_PKS6_PS6_S6_ZZZN2at6native31launch_logcumsumexp_cuda_kernelERKNSD_10TensorBaseESH_lENKUlvE_clEvENKUlvE4_clEvEUlS6_S6_E_S6_EEDaPvRmT3_T4_T5_mT6_P12ihipStream_tbENKUlT_T0_E_clISt17integral_constantIbLb1EESY_EEDaST_SU_EUlST_E0_NS1_11comp_targetILNS1_3genE10ELNS1_11target_archE1200ELNS1_3gpuE4ELNS1_3repE0EEENS1_30default_config_static_selectorELNS0_4arch9wavefront6targetE0EEEvT1_,@function
_ZN7rocprim17ROCPRIM_400000_NS6detail17trampoline_kernelINS0_14default_configENS1_20scan_config_selectorIN3c108BFloat16EEEZZNS1_9scan_implILNS1_25lookback_scan_determinismE0ELb0ELb0ES3_PKS6_PS6_S6_ZZZN2at6native31launch_logcumsumexp_cuda_kernelERKNSD_10TensorBaseESH_lENKUlvE_clEvENKUlvE4_clEvEUlS6_S6_E_S6_EEDaPvRmT3_T4_T5_mT6_P12ihipStream_tbENKUlT_T0_E_clISt17integral_constantIbLb1EESY_EEDaST_SU_EUlST_E0_NS1_11comp_targetILNS1_3genE10ELNS1_11target_archE1200ELNS1_3gpuE4ELNS1_3repE0EEENS1_30default_config_static_selectorELNS0_4arch9wavefront6targetE0EEEvT1_: ; @_ZN7rocprim17ROCPRIM_400000_NS6detail17trampoline_kernelINS0_14default_configENS1_20scan_config_selectorIN3c108BFloat16EEEZZNS1_9scan_implILNS1_25lookback_scan_determinismE0ELb0ELb0ES3_PKS6_PS6_S6_ZZZN2at6native31launch_logcumsumexp_cuda_kernelERKNSD_10TensorBaseESH_lENKUlvE_clEvENKUlvE4_clEvEUlS6_S6_E_S6_EEDaPvRmT3_T4_T5_mT6_P12ihipStream_tbENKUlT_T0_E_clISt17integral_constantIbLb1EESY_EEDaST_SU_EUlST_E0_NS1_11comp_targetILNS1_3genE10ELNS1_11target_archE1200ELNS1_3gpuE4ELNS1_3repE0EEENS1_30default_config_static_selectorELNS0_4arch9wavefront6targetE0EEEvT1_
; %bb.0:
	.section	.rodata,"a",@progbits
	.p2align	6, 0x0
	.amdhsa_kernel _ZN7rocprim17ROCPRIM_400000_NS6detail17trampoline_kernelINS0_14default_configENS1_20scan_config_selectorIN3c108BFloat16EEEZZNS1_9scan_implILNS1_25lookback_scan_determinismE0ELb0ELb0ES3_PKS6_PS6_S6_ZZZN2at6native31launch_logcumsumexp_cuda_kernelERKNSD_10TensorBaseESH_lENKUlvE_clEvENKUlvE4_clEvEUlS6_S6_E_S6_EEDaPvRmT3_T4_T5_mT6_P12ihipStream_tbENKUlT_T0_E_clISt17integral_constantIbLb1EESY_EEDaST_SU_EUlST_E0_NS1_11comp_targetILNS1_3genE10ELNS1_11target_archE1200ELNS1_3gpuE4ELNS1_3repE0EEENS1_30default_config_static_selectorELNS0_4arch9wavefront6targetE0EEEvT1_
		.amdhsa_group_segment_fixed_size 0
		.amdhsa_private_segment_fixed_size 0
		.amdhsa_kernarg_size 32
		.amdhsa_user_sgpr_count 6
		.amdhsa_user_sgpr_private_segment_buffer 1
		.amdhsa_user_sgpr_dispatch_ptr 0
		.amdhsa_user_sgpr_queue_ptr 0
		.amdhsa_user_sgpr_kernarg_segment_ptr 1
		.amdhsa_user_sgpr_dispatch_id 0
		.amdhsa_user_sgpr_flat_scratch_init 0
		.amdhsa_user_sgpr_private_segment_size 0
		.amdhsa_wavefront_size32 1
		.amdhsa_uses_dynamic_stack 0
		.amdhsa_system_sgpr_private_segment_wavefront_offset 0
		.amdhsa_system_sgpr_workgroup_id_x 1
		.amdhsa_system_sgpr_workgroup_id_y 0
		.amdhsa_system_sgpr_workgroup_id_z 0
		.amdhsa_system_sgpr_workgroup_info 0
		.amdhsa_system_vgpr_workitem_id 0
		.amdhsa_next_free_vgpr 1
		.amdhsa_next_free_sgpr 1
		.amdhsa_reserve_vcc 0
		.amdhsa_reserve_flat_scratch 0
		.amdhsa_float_round_mode_32 0
		.amdhsa_float_round_mode_16_64 0
		.amdhsa_float_denorm_mode_32 3
		.amdhsa_float_denorm_mode_16_64 3
		.amdhsa_dx10_clamp 1
		.amdhsa_ieee_mode 1
		.amdhsa_fp16_overflow 0
		.amdhsa_workgroup_processor_mode 1
		.amdhsa_memory_ordered 1
		.amdhsa_forward_progress 1
		.amdhsa_shared_vgpr_count 0
		.amdhsa_exception_fp_ieee_invalid_op 0
		.amdhsa_exception_fp_denorm_src 0
		.amdhsa_exception_fp_ieee_div_zero 0
		.amdhsa_exception_fp_ieee_overflow 0
		.amdhsa_exception_fp_ieee_underflow 0
		.amdhsa_exception_fp_ieee_inexact 0
		.amdhsa_exception_int_div_zero 0
	.end_amdhsa_kernel
	.section	.text._ZN7rocprim17ROCPRIM_400000_NS6detail17trampoline_kernelINS0_14default_configENS1_20scan_config_selectorIN3c108BFloat16EEEZZNS1_9scan_implILNS1_25lookback_scan_determinismE0ELb0ELb0ES3_PKS6_PS6_S6_ZZZN2at6native31launch_logcumsumexp_cuda_kernelERKNSD_10TensorBaseESH_lENKUlvE_clEvENKUlvE4_clEvEUlS6_S6_E_S6_EEDaPvRmT3_T4_T5_mT6_P12ihipStream_tbENKUlT_T0_E_clISt17integral_constantIbLb1EESY_EEDaST_SU_EUlST_E0_NS1_11comp_targetILNS1_3genE10ELNS1_11target_archE1200ELNS1_3gpuE4ELNS1_3repE0EEENS1_30default_config_static_selectorELNS0_4arch9wavefront6targetE0EEEvT1_,"axG",@progbits,_ZN7rocprim17ROCPRIM_400000_NS6detail17trampoline_kernelINS0_14default_configENS1_20scan_config_selectorIN3c108BFloat16EEEZZNS1_9scan_implILNS1_25lookback_scan_determinismE0ELb0ELb0ES3_PKS6_PS6_S6_ZZZN2at6native31launch_logcumsumexp_cuda_kernelERKNSD_10TensorBaseESH_lENKUlvE_clEvENKUlvE4_clEvEUlS6_S6_E_S6_EEDaPvRmT3_T4_T5_mT6_P12ihipStream_tbENKUlT_T0_E_clISt17integral_constantIbLb1EESY_EEDaST_SU_EUlST_E0_NS1_11comp_targetILNS1_3genE10ELNS1_11target_archE1200ELNS1_3gpuE4ELNS1_3repE0EEENS1_30default_config_static_selectorELNS0_4arch9wavefront6targetE0EEEvT1_,comdat
.Lfunc_end480:
	.size	_ZN7rocprim17ROCPRIM_400000_NS6detail17trampoline_kernelINS0_14default_configENS1_20scan_config_selectorIN3c108BFloat16EEEZZNS1_9scan_implILNS1_25lookback_scan_determinismE0ELb0ELb0ES3_PKS6_PS6_S6_ZZZN2at6native31launch_logcumsumexp_cuda_kernelERKNSD_10TensorBaseESH_lENKUlvE_clEvENKUlvE4_clEvEUlS6_S6_E_S6_EEDaPvRmT3_T4_T5_mT6_P12ihipStream_tbENKUlT_T0_E_clISt17integral_constantIbLb1EESY_EEDaST_SU_EUlST_E0_NS1_11comp_targetILNS1_3genE10ELNS1_11target_archE1200ELNS1_3gpuE4ELNS1_3repE0EEENS1_30default_config_static_selectorELNS0_4arch9wavefront6targetE0EEEvT1_, .Lfunc_end480-_ZN7rocprim17ROCPRIM_400000_NS6detail17trampoline_kernelINS0_14default_configENS1_20scan_config_selectorIN3c108BFloat16EEEZZNS1_9scan_implILNS1_25lookback_scan_determinismE0ELb0ELb0ES3_PKS6_PS6_S6_ZZZN2at6native31launch_logcumsumexp_cuda_kernelERKNSD_10TensorBaseESH_lENKUlvE_clEvENKUlvE4_clEvEUlS6_S6_E_S6_EEDaPvRmT3_T4_T5_mT6_P12ihipStream_tbENKUlT_T0_E_clISt17integral_constantIbLb1EESY_EEDaST_SU_EUlST_E0_NS1_11comp_targetILNS1_3genE10ELNS1_11target_archE1200ELNS1_3gpuE4ELNS1_3repE0EEENS1_30default_config_static_selectorELNS0_4arch9wavefront6targetE0EEEvT1_
                                        ; -- End function
	.set _ZN7rocprim17ROCPRIM_400000_NS6detail17trampoline_kernelINS0_14default_configENS1_20scan_config_selectorIN3c108BFloat16EEEZZNS1_9scan_implILNS1_25lookback_scan_determinismE0ELb0ELb0ES3_PKS6_PS6_S6_ZZZN2at6native31launch_logcumsumexp_cuda_kernelERKNSD_10TensorBaseESH_lENKUlvE_clEvENKUlvE4_clEvEUlS6_S6_E_S6_EEDaPvRmT3_T4_T5_mT6_P12ihipStream_tbENKUlT_T0_E_clISt17integral_constantIbLb1EESY_EEDaST_SU_EUlST_E0_NS1_11comp_targetILNS1_3genE10ELNS1_11target_archE1200ELNS1_3gpuE4ELNS1_3repE0EEENS1_30default_config_static_selectorELNS0_4arch9wavefront6targetE0EEEvT1_.num_vgpr, 0
	.set _ZN7rocprim17ROCPRIM_400000_NS6detail17trampoline_kernelINS0_14default_configENS1_20scan_config_selectorIN3c108BFloat16EEEZZNS1_9scan_implILNS1_25lookback_scan_determinismE0ELb0ELb0ES3_PKS6_PS6_S6_ZZZN2at6native31launch_logcumsumexp_cuda_kernelERKNSD_10TensorBaseESH_lENKUlvE_clEvENKUlvE4_clEvEUlS6_S6_E_S6_EEDaPvRmT3_T4_T5_mT6_P12ihipStream_tbENKUlT_T0_E_clISt17integral_constantIbLb1EESY_EEDaST_SU_EUlST_E0_NS1_11comp_targetILNS1_3genE10ELNS1_11target_archE1200ELNS1_3gpuE4ELNS1_3repE0EEENS1_30default_config_static_selectorELNS0_4arch9wavefront6targetE0EEEvT1_.num_agpr, 0
	.set _ZN7rocprim17ROCPRIM_400000_NS6detail17trampoline_kernelINS0_14default_configENS1_20scan_config_selectorIN3c108BFloat16EEEZZNS1_9scan_implILNS1_25lookback_scan_determinismE0ELb0ELb0ES3_PKS6_PS6_S6_ZZZN2at6native31launch_logcumsumexp_cuda_kernelERKNSD_10TensorBaseESH_lENKUlvE_clEvENKUlvE4_clEvEUlS6_S6_E_S6_EEDaPvRmT3_T4_T5_mT6_P12ihipStream_tbENKUlT_T0_E_clISt17integral_constantIbLb1EESY_EEDaST_SU_EUlST_E0_NS1_11comp_targetILNS1_3genE10ELNS1_11target_archE1200ELNS1_3gpuE4ELNS1_3repE0EEENS1_30default_config_static_selectorELNS0_4arch9wavefront6targetE0EEEvT1_.numbered_sgpr, 0
	.set _ZN7rocprim17ROCPRIM_400000_NS6detail17trampoline_kernelINS0_14default_configENS1_20scan_config_selectorIN3c108BFloat16EEEZZNS1_9scan_implILNS1_25lookback_scan_determinismE0ELb0ELb0ES3_PKS6_PS6_S6_ZZZN2at6native31launch_logcumsumexp_cuda_kernelERKNSD_10TensorBaseESH_lENKUlvE_clEvENKUlvE4_clEvEUlS6_S6_E_S6_EEDaPvRmT3_T4_T5_mT6_P12ihipStream_tbENKUlT_T0_E_clISt17integral_constantIbLb1EESY_EEDaST_SU_EUlST_E0_NS1_11comp_targetILNS1_3genE10ELNS1_11target_archE1200ELNS1_3gpuE4ELNS1_3repE0EEENS1_30default_config_static_selectorELNS0_4arch9wavefront6targetE0EEEvT1_.num_named_barrier, 0
	.set _ZN7rocprim17ROCPRIM_400000_NS6detail17trampoline_kernelINS0_14default_configENS1_20scan_config_selectorIN3c108BFloat16EEEZZNS1_9scan_implILNS1_25lookback_scan_determinismE0ELb0ELb0ES3_PKS6_PS6_S6_ZZZN2at6native31launch_logcumsumexp_cuda_kernelERKNSD_10TensorBaseESH_lENKUlvE_clEvENKUlvE4_clEvEUlS6_S6_E_S6_EEDaPvRmT3_T4_T5_mT6_P12ihipStream_tbENKUlT_T0_E_clISt17integral_constantIbLb1EESY_EEDaST_SU_EUlST_E0_NS1_11comp_targetILNS1_3genE10ELNS1_11target_archE1200ELNS1_3gpuE4ELNS1_3repE0EEENS1_30default_config_static_selectorELNS0_4arch9wavefront6targetE0EEEvT1_.private_seg_size, 0
	.set _ZN7rocprim17ROCPRIM_400000_NS6detail17trampoline_kernelINS0_14default_configENS1_20scan_config_selectorIN3c108BFloat16EEEZZNS1_9scan_implILNS1_25lookback_scan_determinismE0ELb0ELb0ES3_PKS6_PS6_S6_ZZZN2at6native31launch_logcumsumexp_cuda_kernelERKNSD_10TensorBaseESH_lENKUlvE_clEvENKUlvE4_clEvEUlS6_S6_E_S6_EEDaPvRmT3_T4_T5_mT6_P12ihipStream_tbENKUlT_T0_E_clISt17integral_constantIbLb1EESY_EEDaST_SU_EUlST_E0_NS1_11comp_targetILNS1_3genE10ELNS1_11target_archE1200ELNS1_3gpuE4ELNS1_3repE0EEENS1_30default_config_static_selectorELNS0_4arch9wavefront6targetE0EEEvT1_.uses_vcc, 0
	.set _ZN7rocprim17ROCPRIM_400000_NS6detail17trampoline_kernelINS0_14default_configENS1_20scan_config_selectorIN3c108BFloat16EEEZZNS1_9scan_implILNS1_25lookback_scan_determinismE0ELb0ELb0ES3_PKS6_PS6_S6_ZZZN2at6native31launch_logcumsumexp_cuda_kernelERKNSD_10TensorBaseESH_lENKUlvE_clEvENKUlvE4_clEvEUlS6_S6_E_S6_EEDaPvRmT3_T4_T5_mT6_P12ihipStream_tbENKUlT_T0_E_clISt17integral_constantIbLb1EESY_EEDaST_SU_EUlST_E0_NS1_11comp_targetILNS1_3genE10ELNS1_11target_archE1200ELNS1_3gpuE4ELNS1_3repE0EEENS1_30default_config_static_selectorELNS0_4arch9wavefront6targetE0EEEvT1_.uses_flat_scratch, 0
	.set _ZN7rocprim17ROCPRIM_400000_NS6detail17trampoline_kernelINS0_14default_configENS1_20scan_config_selectorIN3c108BFloat16EEEZZNS1_9scan_implILNS1_25lookback_scan_determinismE0ELb0ELb0ES3_PKS6_PS6_S6_ZZZN2at6native31launch_logcumsumexp_cuda_kernelERKNSD_10TensorBaseESH_lENKUlvE_clEvENKUlvE4_clEvEUlS6_S6_E_S6_EEDaPvRmT3_T4_T5_mT6_P12ihipStream_tbENKUlT_T0_E_clISt17integral_constantIbLb1EESY_EEDaST_SU_EUlST_E0_NS1_11comp_targetILNS1_3genE10ELNS1_11target_archE1200ELNS1_3gpuE4ELNS1_3repE0EEENS1_30default_config_static_selectorELNS0_4arch9wavefront6targetE0EEEvT1_.has_dyn_sized_stack, 0
	.set _ZN7rocprim17ROCPRIM_400000_NS6detail17trampoline_kernelINS0_14default_configENS1_20scan_config_selectorIN3c108BFloat16EEEZZNS1_9scan_implILNS1_25lookback_scan_determinismE0ELb0ELb0ES3_PKS6_PS6_S6_ZZZN2at6native31launch_logcumsumexp_cuda_kernelERKNSD_10TensorBaseESH_lENKUlvE_clEvENKUlvE4_clEvEUlS6_S6_E_S6_EEDaPvRmT3_T4_T5_mT6_P12ihipStream_tbENKUlT_T0_E_clISt17integral_constantIbLb1EESY_EEDaST_SU_EUlST_E0_NS1_11comp_targetILNS1_3genE10ELNS1_11target_archE1200ELNS1_3gpuE4ELNS1_3repE0EEENS1_30default_config_static_selectorELNS0_4arch9wavefront6targetE0EEEvT1_.has_recursion, 0
	.set _ZN7rocprim17ROCPRIM_400000_NS6detail17trampoline_kernelINS0_14default_configENS1_20scan_config_selectorIN3c108BFloat16EEEZZNS1_9scan_implILNS1_25lookback_scan_determinismE0ELb0ELb0ES3_PKS6_PS6_S6_ZZZN2at6native31launch_logcumsumexp_cuda_kernelERKNSD_10TensorBaseESH_lENKUlvE_clEvENKUlvE4_clEvEUlS6_S6_E_S6_EEDaPvRmT3_T4_T5_mT6_P12ihipStream_tbENKUlT_T0_E_clISt17integral_constantIbLb1EESY_EEDaST_SU_EUlST_E0_NS1_11comp_targetILNS1_3genE10ELNS1_11target_archE1200ELNS1_3gpuE4ELNS1_3repE0EEENS1_30default_config_static_selectorELNS0_4arch9wavefront6targetE0EEEvT1_.has_indirect_call, 0
	.section	.AMDGPU.csdata,"",@progbits
; Kernel info:
; codeLenInByte = 0
; TotalNumSgprs: 0
; NumVgprs: 0
; ScratchSize: 0
; MemoryBound: 0
; FloatMode: 240
; IeeeMode: 1
; LDSByteSize: 0 bytes/workgroup (compile time only)
; SGPRBlocks: 0
; VGPRBlocks: 0
; NumSGPRsForWavesPerEU: 1
; NumVGPRsForWavesPerEU: 1
; Occupancy: 16
; WaveLimiterHint : 0
; COMPUTE_PGM_RSRC2:SCRATCH_EN: 0
; COMPUTE_PGM_RSRC2:USER_SGPR: 6
; COMPUTE_PGM_RSRC2:TRAP_HANDLER: 0
; COMPUTE_PGM_RSRC2:TGID_X_EN: 1
; COMPUTE_PGM_RSRC2:TGID_Y_EN: 0
; COMPUTE_PGM_RSRC2:TGID_Z_EN: 0
; COMPUTE_PGM_RSRC2:TIDIG_COMP_CNT: 0
	.section	.text._ZN7rocprim17ROCPRIM_400000_NS6detail17trampoline_kernelINS0_14default_configENS1_20scan_config_selectorIN3c108BFloat16EEEZZNS1_9scan_implILNS1_25lookback_scan_determinismE0ELb0ELb0ES3_PKS6_PS6_S6_ZZZN2at6native31launch_logcumsumexp_cuda_kernelERKNSD_10TensorBaseESH_lENKUlvE_clEvENKUlvE4_clEvEUlS6_S6_E_S6_EEDaPvRmT3_T4_T5_mT6_P12ihipStream_tbENKUlT_T0_E_clISt17integral_constantIbLb1EESY_EEDaST_SU_EUlST_E0_NS1_11comp_targetILNS1_3genE9ELNS1_11target_archE1100ELNS1_3gpuE3ELNS1_3repE0EEENS1_30default_config_static_selectorELNS0_4arch9wavefront6targetE0EEEvT1_,"axG",@progbits,_ZN7rocprim17ROCPRIM_400000_NS6detail17trampoline_kernelINS0_14default_configENS1_20scan_config_selectorIN3c108BFloat16EEEZZNS1_9scan_implILNS1_25lookback_scan_determinismE0ELb0ELb0ES3_PKS6_PS6_S6_ZZZN2at6native31launch_logcumsumexp_cuda_kernelERKNSD_10TensorBaseESH_lENKUlvE_clEvENKUlvE4_clEvEUlS6_S6_E_S6_EEDaPvRmT3_T4_T5_mT6_P12ihipStream_tbENKUlT_T0_E_clISt17integral_constantIbLb1EESY_EEDaST_SU_EUlST_E0_NS1_11comp_targetILNS1_3genE9ELNS1_11target_archE1100ELNS1_3gpuE3ELNS1_3repE0EEENS1_30default_config_static_selectorELNS0_4arch9wavefront6targetE0EEEvT1_,comdat
	.globl	_ZN7rocprim17ROCPRIM_400000_NS6detail17trampoline_kernelINS0_14default_configENS1_20scan_config_selectorIN3c108BFloat16EEEZZNS1_9scan_implILNS1_25lookback_scan_determinismE0ELb0ELb0ES3_PKS6_PS6_S6_ZZZN2at6native31launch_logcumsumexp_cuda_kernelERKNSD_10TensorBaseESH_lENKUlvE_clEvENKUlvE4_clEvEUlS6_S6_E_S6_EEDaPvRmT3_T4_T5_mT6_P12ihipStream_tbENKUlT_T0_E_clISt17integral_constantIbLb1EESY_EEDaST_SU_EUlST_E0_NS1_11comp_targetILNS1_3genE9ELNS1_11target_archE1100ELNS1_3gpuE3ELNS1_3repE0EEENS1_30default_config_static_selectorELNS0_4arch9wavefront6targetE0EEEvT1_ ; -- Begin function _ZN7rocprim17ROCPRIM_400000_NS6detail17trampoline_kernelINS0_14default_configENS1_20scan_config_selectorIN3c108BFloat16EEEZZNS1_9scan_implILNS1_25lookback_scan_determinismE0ELb0ELb0ES3_PKS6_PS6_S6_ZZZN2at6native31launch_logcumsumexp_cuda_kernelERKNSD_10TensorBaseESH_lENKUlvE_clEvENKUlvE4_clEvEUlS6_S6_E_S6_EEDaPvRmT3_T4_T5_mT6_P12ihipStream_tbENKUlT_T0_E_clISt17integral_constantIbLb1EESY_EEDaST_SU_EUlST_E0_NS1_11comp_targetILNS1_3genE9ELNS1_11target_archE1100ELNS1_3gpuE3ELNS1_3repE0EEENS1_30default_config_static_selectorELNS0_4arch9wavefront6targetE0EEEvT1_
	.p2align	8
	.type	_ZN7rocprim17ROCPRIM_400000_NS6detail17trampoline_kernelINS0_14default_configENS1_20scan_config_selectorIN3c108BFloat16EEEZZNS1_9scan_implILNS1_25lookback_scan_determinismE0ELb0ELb0ES3_PKS6_PS6_S6_ZZZN2at6native31launch_logcumsumexp_cuda_kernelERKNSD_10TensorBaseESH_lENKUlvE_clEvENKUlvE4_clEvEUlS6_S6_E_S6_EEDaPvRmT3_T4_T5_mT6_P12ihipStream_tbENKUlT_T0_E_clISt17integral_constantIbLb1EESY_EEDaST_SU_EUlST_E0_NS1_11comp_targetILNS1_3genE9ELNS1_11target_archE1100ELNS1_3gpuE3ELNS1_3repE0EEENS1_30default_config_static_selectorELNS0_4arch9wavefront6targetE0EEEvT1_,@function
_ZN7rocprim17ROCPRIM_400000_NS6detail17trampoline_kernelINS0_14default_configENS1_20scan_config_selectorIN3c108BFloat16EEEZZNS1_9scan_implILNS1_25lookback_scan_determinismE0ELb0ELb0ES3_PKS6_PS6_S6_ZZZN2at6native31launch_logcumsumexp_cuda_kernelERKNSD_10TensorBaseESH_lENKUlvE_clEvENKUlvE4_clEvEUlS6_S6_E_S6_EEDaPvRmT3_T4_T5_mT6_P12ihipStream_tbENKUlT_T0_E_clISt17integral_constantIbLb1EESY_EEDaST_SU_EUlST_E0_NS1_11comp_targetILNS1_3genE9ELNS1_11target_archE1100ELNS1_3gpuE3ELNS1_3repE0EEENS1_30default_config_static_selectorELNS0_4arch9wavefront6targetE0EEEvT1_: ; @_ZN7rocprim17ROCPRIM_400000_NS6detail17trampoline_kernelINS0_14default_configENS1_20scan_config_selectorIN3c108BFloat16EEEZZNS1_9scan_implILNS1_25lookback_scan_determinismE0ELb0ELb0ES3_PKS6_PS6_S6_ZZZN2at6native31launch_logcumsumexp_cuda_kernelERKNSD_10TensorBaseESH_lENKUlvE_clEvENKUlvE4_clEvEUlS6_S6_E_S6_EEDaPvRmT3_T4_T5_mT6_P12ihipStream_tbENKUlT_T0_E_clISt17integral_constantIbLb1EESY_EEDaST_SU_EUlST_E0_NS1_11comp_targetILNS1_3genE9ELNS1_11target_archE1100ELNS1_3gpuE3ELNS1_3repE0EEENS1_30default_config_static_selectorELNS0_4arch9wavefront6targetE0EEEvT1_
; %bb.0:
	.section	.rodata,"a",@progbits
	.p2align	6, 0x0
	.amdhsa_kernel _ZN7rocprim17ROCPRIM_400000_NS6detail17trampoline_kernelINS0_14default_configENS1_20scan_config_selectorIN3c108BFloat16EEEZZNS1_9scan_implILNS1_25lookback_scan_determinismE0ELb0ELb0ES3_PKS6_PS6_S6_ZZZN2at6native31launch_logcumsumexp_cuda_kernelERKNSD_10TensorBaseESH_lENKUlvE_clEvENKUlvE4_clEvEUlS6_S6_E_S6_EEDaPvRmT3_T4_T5_mT6_P12ihipStream_tbENKUlT_T0_E_clISt17integral_constantIbLb1EESY_EEDaST_SU_EUlST_E0_NS1_11comp_targetILNS1_3genE9ELNS1_11target_archE1100ELNS1_3gpuE3ELNS1_3repE0EEENS1_30default_config_static_selectorELNS0_4arch9wavefront6targetE0EEEvT1_
		.amdhsa_group_segment_fixed_size 0
		.amdhsa_private_segment_fixed_size 0
		.amdhsa_kernarg_size 32
		.amdhsa_user_sgpr_count 6
		.amdhsa_user_sgpr_private_segment_buffer 1
		.amdhsa_user_sgpr_dispatch_ptr 0
		.amdhsa_user_sgpr_queue_ptr 0
		.amdhsa_user_sgpr_kernarg_segment_ptr 1
		.amdhsa_user_sgpr_dispatch_id 0
		.amdhsa_user_sgpr_flat_scratch_init 0
		.amdhsa_user_sgpr_private_segment_size 0
		.amdhsa_wavefront_size32 1
		.amdhsa_uses_dynamic_stack 0
		.amdhsa_system_sgpr_private_segment_wavefront_offset 0
		.amdhsa_system_sgpr_workgroup_id_x 1
		.amdhsa_system_sgpr_workgroup_id_y 0
		.amdhsa_system_sgpr_workgroup_id_z 0
		.amdhsa_system_sgpr_workgroup_info 0
		.amdhsa_system_vgpr_workitem_id 0
		.amdhsa_next_free_vgpr 1
		.amdhsa_next_free_sgpr 1
		.amdhsa_reserve_vcc 0
		.amdhsa_reserve_flat_scratch 0
		.amdhsa_float_round_mode_32 0
		.amdhsa_float_round_mode_16_64 0
		.amdhsa_float_denorm_mode_32 3
		.amdhsa_float_denorm_mode_16_64 3
		.amdhsa_dx10_clamp 1
		.amdhsa_ieee_mode 1
		.amdhsa_fp16_overflow 0
		.amdhsa_workgroup_processor_mode 1
		.amdhsa_memory_ordered 1
		.amdhsa_forward_progress 1
		.amdhsa_shared_vgpr_count 0
		.amdhsa_exception_fp_ieee_invalid_op 0
		.amdhsa_exception_fp_denorm_src 0
		.amdhsa_exception_fp_ieee_div_zero 0
		.amdhsa_exception_fp_ieee_overflow 0
		.amdhsa_exception_fp_ieee_underflow 0
		.amdhsa_exception_fp_ieee_inexact 0
		.amdhsa_exception_int_div_zero 0
	.end_amdhsa_kernel
	.section	.text._ZN7rocprim17ROCPRIM_400000_NS6detail17trampoline_kernelINS0_14default_configENS1_20scan_config_selectorIN3c108BFloat16EEEZZNS1_9scan_implILNS1_25lookback_scan_determinismE0ELb0ELb0ES3_PKS6_PS6_S6_ZZZN2at6native31launch_logcumsumexp_cuda_kernelERKNSD_10TensorBaseESH_lENKUlvE_clEvENKUlvE4_clEvEUlS6_S6_E_S6_EEDaPvRmT3_T4_T5_mT6_P12ihipStream_tbENKUlT_T0_E_clISt17integral_constantIbLb1EESY_EEDaST_SU_EUlST_E0_NS1_11comp_targetILNS1_3genE9ELNS1_11target_archE1100ELNS1_3gpuE3ELNS1_3repE0EEENS1_30default_config_static_selectorELNS0_4arch9wavefront6targetE0EEEvT1_,"axG",@progbits,_ZN7rocprim17ROCPRIM_400000_NS6detail17trampoline_kernelINS0_14default_configENS1_20scan_config_selectorIN3c108BFloat16EEEZZNS1_9scan_implILNS1_25lookback_scan_determinismE0ELb0ELb0ES3_PKS6_PS6_S6_ZZZN2at6native31launch_logcumsumexp_cuda_kernelERKNSD_10TensorBaseESH_lENKUlvE_clEvENKUlvE4_clEvEUlS6_S6_E_S6_EEDaPvRmT3_T4_T5_mT6_P12ihipStream_tbENKUlT_T0_E_clISt17integral_constantIbLb1EESY_EEDaST_SU_EUlST_E0_NS1_11comp_targetILNS1_3genE9ELNS1_11target_archE1100ELNS1_3gpuE3ELNS1_3repE0EEENS1_30default_config_static_selectorELNS0_4arch9wavefront6targetE0EEEvT1_,comdat
.Lfunc_end481:
	.size	_ZN7rocprim17ROCPRIM_400000_NS6detail17trampoline_kernelINS0_14default_configENS1_20scan_config_selectorIN3c108BFloat16EEEZZNS1_9scan_implILNS1_25lookback_scan_determinismE0ELb0ELb0ES3_PKS6_PS6_S6_ZZZN2at6native31launch_logcumsumexp_cuda_kernelERKNSD_10TensorBaseESH_lENKUlvE_clEvENKUlvE4_clEvEUlS6_S6_E_S6_EEDaPvRmT3_T4_T5_mT6_P12ihipStream_tbENKUlT_T0_E_clISt17integral_constantIbLb1EESY_EEDaST_SU_EUlST_E0_NS1_11comp_targetILNS1_3genE9ELNS1_11target_archE1100ELNS1_3gpuE3ELNS1_3repE0EEENS1_30default_config_static_selectorELNS0_4arch9wavefront6targetE0EEEvT1_, .Lfunc_end481-_ZN7rocprim17ROCPRIM_400000_NS6detail17trampoline_kernelINS0_14default_configENS1_20scan_config_selectorIN3c108BFloat16EEEZZNS1_9scan_implILNS1_25lookback_scan_determinismE0ELb0ELb0ES3_PKS6_PS6_S6_ZZZN2at6native31launch_logcumsumexp_cuda_kernelERKNSD_10TensorBaseESH_lENKUlvE_clEvENKUlvE4_clEvEUlS6_S6_E_S6_EEDaPvRmT3_T4_T5_mT6_P12ihipStream_tbENKUlT_T0_E_clISt17integral_constantIbLb1EESY_EEDaST_SU_EUlST_E0_NS1_11comp_targetILNS1_3genE9ELNS1_11target_archE1100ELNS1_3gpuE3ELNS1_3repE0EEENS1_30default_config_static_selectorELNS0_4arch9wavefront6targetE0EEEvT1_
                                        ; -- End function
	.set _ZN7rocprim17ROCPRIM_400000_NS6detail17trampoline_kernelINS0_14default_configENS1_20scan_config_selectorIN3c108BFloat16EEEZZNS1_9scan_implILNS1_25lookback_scan_determinismE0ELb0ELb0ES3_PKS6_PS6_S6_ZZZN2at6native31launch_logcumsumexp_cuda_kernelERKNSD_10TensorBaseESH_lENKUlvE_clEvENKUlvE4_clEvEUlS6_S6_E_S6_EEDaPvRmT3_T4_T5_mT6_P12ihipStream_tbENKUlT_T0_E_clISt17integral_constantIbLb1EESY_EEDaST_SU_EUlST_E0_NS1_11comp_targetILNS1_3genE9ELNS1_11target_archE1100ELNS1_3gpuE3ELNS1_3repE0EEENS1_30default_config_static_selectorELNS0_4arch9wavefront6targetE0EEEvT1_.num_vgpr, 0
	.set _ZN7rocprim17ROCPRIM_400000_NS6detail17trampoline_kernelINS0_14default_configENS1_20scan_config_selectorIN3c108BFloat16EEEZZNS1_9scan_implILNS1_25lookback_scan_determinismE0ELb0ELb0ES3_PKS6_PS6_S6_ZZZN2at6native31launch_logcumsumexp_cuda_kernelERKNSD_10TensorBaseESH_lENKUlvE_clEvENKUlvE4_clEvEUlS6_S6_E_S6_EEDaPvRmT3_T4_T5_mT6_P12ihipStream_tbENKUlT_T0_E_clISt17integral_constantIbLb1EESY_EEDaST_SU_EUlST_E0_NS1_11comp_targetILNS1_3genE9ELNS1_11target_archE1100ELNS1_3gpuE3ELNS1_3repE0EEENS1_30default_config_static_selectorELNS0_4arch9wavefront6targetE0EEEvT1_.num_agpr, 0
	.set _ZN7rocprim17ROCPRIM_400000_NS6detail17trampoline_kernelINS0_14default_configENS1_20scan_config_selectorIN3c108BFloat16EEEZZNS1_9scan_implILNS1_25lookback_scan_determinismE0ELb0ELb0ES3_PKS6_PS6_S6_ZZZN2at6native31launch_logcumsumexp_cuda_kernelERKNSD_10TensorBaseESH_lENKUlvE_clEvENKUlvE4_clEvEUlS6_S6_E_S6_EEDaPvRmT3_T4_T5_mT6_P12ihipStream_tbENKUlT_T0_E_clISt17integral_constantIbLb1EESY_EEDaST_SU_EUlST_E0_NS1_11comp_targetILNS1_3genE9ELNS1_11target_archE1100ELNS1_3gpuE3ELNS1_3repE0EEENS1_30default_config_static_selectorELNS0_4arch9wavefront6targetE0EEEvT1_.numbered_sgpr, 0
	.set _ZN7rocprim17ROCPRIM_400000_NS6detail17trampoline_kernelINS0_14default_configENS1_20scan_config_selectorIN3c108BFloat16EEEZZNS1_9scan_implILNS1_25lookback_scan_determinismE0ELb0ELb0ES3_PKS6_PS6_S6_ZZZN2at6native31launch_logcumsumexp_cuda_kernelERKNSD_10TensorBaseESH_lENKUlvE_clEvENKUlvE4_clEvEUlS6_S6_E_S6_EEDaPvRmT3_T4_T5_mT6_P12ihipStream_tbENKUlT_T0_E_clISt17integral_constantIbLb1EESY_EEDaST_SU_EUlST_E0_NS1_11comp_targetILNS1_3genE9ELNS1_11target_archE1100ELNS1_3gpuE3ELNS1_3repE0EEENS1_30default_config_static_selectorELNS0_4arch9wavefront6targetE0EEEvT1_.num_named_barrier, 0
	.set _ZN7rocprim17ROCPRIM_400000_NS6detail17trampoline_kernelINS0_14default_configENS1_20scan_config_selectorIN3c108BFloat16EEEZZNS1_9scan_implILNS1_25lookback_scan_determinismE0ELb0ELb0ES3_PKS6_PS6_S6_ZZZN2at6native31launch_logcumsumexp_cuda_kernelERKNSD_10TensorBaseESH_lENKUlvE_clEvENKUlvE4_clEvEUlS6_S6_E_S6_EEDaPvRmT3_T4_T5_mT6_P12ihipStream_tbENKUlT_T0_E_clISt17integral_constantIbLb1EESY_EEDaST_SU_EUlST_E0_NS1_11comp_targetILNS1_3genE9ELNS1_11target_archE1100ELNS1_3gpuE3ELNS1_3repE0EEENS1_30default_config_static_selectorELNS0_4arch9wavefront6targetE0EEEvT1_.private_seg_size, 0
	.set _ZN7rocprim17ROCPRIM_400000_NS6detail17trampoline_kernelINS0_14default_configENS1_20scan_config_selectorIN3c108BFloat16EEEZZNS1_9scan_implILNS1_25lookback_scan_determinismE0ELb0ELb0ES3_PKS6_PS6_S6_ZZZN2at6native31launch_logcumsumexp_cuda_kernelERKNSD_10TensorBaseESH_lENKUlvE_clEvENKUlvE4_clEvEUlS6_S6_E_S6_EEDaPvRmT3_T4_T5_mT6_P12ihipStream_tbENKUlT_T0_E_clISt17integral_constantIbLb1EESY_EEDaST_SU_EUlST_E0_NS1_11comp_targetILNS1_3genE9ELNS1_11target_archE1100ELNS1_3gpuE3ELNS1_3repE0EEENS1_30default_config_static_selectorELNS0_4arch9wavefront6targetE0EEEvT1_.uses_vcc, 0
	.set _ZN7rocprim17ROCPRIM_400000_NS6detail17trampoline_kernelINS0_14default_configENS1_20scan_config_selectorIN3c108BFloat16EEEZZNS1_9scan_implILNS1_25lookback_scan_determinismE0ELb0ELb0ES3_PKS6_PS6_S6_ZZZN2at6native31launch_logcumsumexp_cuda_kernelERKNSD_10TensorBaseESH_lENKUlvE_clEvENKUlvE4_clEvEUlS6_S6_E_S6_EEDaPvRmT3_T4_T5_mT6_P12ihipStream_tbENKUlT_T0_E_clISt17integral_constantIbLb1EESY_EEDaST_SU_EUlST_E0_NS1_11comp_targetILNS1_3genE9ELNS1_11target_archE1100ELNS1_3gpuE3ELNS1_3repE0EEENS1_30default_config_static_selectorELNS0_4arch9wavefront6targetE0EEEvT1_.uses_flat_scratch, 0
	.set _ZN7rocprim17ROCPRIM_400000_NS6detail17trampoline_kernelINS0_14default_configENS1_20scan_config_selectorIN3c108BFloat16EEEZZNS1_9scan_implILNS1_25lookback_scan_determinismE0ELb0ELb0ES3_PKS6_PS6_S6_ZZZN2at6native31launch_logcumsumexp_cuda_kernelERKNSD_10TensorBaseESH_lENKUlvE_clEvENKUlvE4_clEvEUlS6_S6_E_S6_EEDaPvRmT3_T4_T5_mT6_P12ihipStream_tbENKUlT_T0_E_clISt17integral_constantIbLb1EESY_EEDaST_SU_EUlST_E0_NS1_11comp_targetILNS1_3genE9ELNS1_11target_archE1100ELNS1_3gpuE3ELNS1_3repE0EEENS1_30default_config_static_selectorELNS0_4arch9wavefront6targetE0EEEvT1_.has_dyn_sized_stack, 0
	.set _ZN7rocprim17ROCPRIM_400000_NS6detail17trampoline_kernelINS0_14default_configENS1_20scan_config_selectorIN3c108BFloat16EEEZZNS1_9scan_implILNS1_25lookback_scan_determinismE0ELb0ELb0ES3_PKS6_PS6_S6_ZZZN2at6native31launch_logcumsumexp_cuda_kernelERKNSD_10TensorBaseESH_lENKUlvE_clEvENKUlvE4_clEvEUlS6_S6_E_S6_EEDaPvRmT3_T4_T5_mT6_P12ihipStream_tbENKUlT_T0_E_clISt17integral_constantIbLb1EESY_EEDaST_SU_EUlST_E0_NS1_11comp_targetILNS1_3genE9ELNS1_11target_archE1100ELNS1_3gpuE3ELNS1_3repE0EEENS1_30default_config_static_selectorELNS0_4arch9wavefront6targetE0EEEvT1_.has_recursion, 0
	.set _ZN7rocprim17ROCPRIM_400000_NS6detail17trampoline_kernelINS0_14default_configENS1_20scan_config_selectorIN3c108BFloat16EEEZZNS1_9scan_implILNS1_25lookback_scan_determinismE0ELb0ELb0ES3_PKS6_PS6_S6_ZZZN2at6native31launch_logcumsumexp_cuda_kernelERKNSD_10TensorBaseESH_lENKUlvE_clEvENKUlvE4_clEvEUlS6_S6_E_S6_EEDaPvRmT3_T4_T5_mT6_P12ihipStream_tbENKUlT_T0_E_clISt17integral_constantIbLb1EESY_EEDaST_SU_EUlST_E0_NS1_11comp_targetILNS1_3genE9ELNS1_11target_archE1100ELNS1_3gpuE3ELNS1_3repE0EEENS1_30default_config_static_selectorELNS0_4arch9wavefront6targetE0EEEvT1_.has_indirect_call, 0
	.section	.AMDGPU.csdata,"",@progbits
; Kernel info:
; codeLenInByte = 0
; TotalNumSgprs: 0
; NumVgprs: 0
; ScratchSize: 0
; MemoryBound: 0
; FloatMode: 240
; IeeeMode: 1
; LDSByteSize: 0 bytes/workgroup (compile time only)
; SGPRBlocks: 0
; VGPRBlocks: 0
; NumSGPRsForWavesPerEU: 1
; NumVGPRsForWavesPerEU: 1
; Occupancy: 16
; WaveLimiterHint : 0
; COMPUTE_PGM_RSRC2:SCRATCH_EN: 0
; COMPUTE_PGM_RSRC2:USER_SGPR: 6
; COMPUTE_PGM_RSRC2:TRAP_HANDLER: 0
; COMPUTE_PGM_RSRC2:TGID_X_EN: 1
; COMPUTE_PGM_RSRC2:TGID_Y_EN: 0
; COMPUTE_PGM_RSRC2:TGID_Z_EN: 0
; COMPUTE_PGM_RSRC2:TIDIG_COMP_CNT: 0
	.section	.text._ZN7rocprim17ROCPRIM_400000_NS6detail17trampoline_kernelINS0_14default_configENS1_20scan_config_selectorIN3c108BFloat16EEEZZNS1_9scan_implILNS1_25lookback_scan_determinismE0ELb0ELb0ES3_PKS6_PS6_S6_ZZZN2at6native31launch_logcumsumexp_cuda_kernelERKNSD_10TensorBaseESH_lENKUlvE_clEvENKUlvE4_clEvEUlS6_S6_E_S6_EEDaPvRmT3_T4_T5_mT6_P12ihipStream_tbENKUlT_T0_E_clISt17integral_constantIbLb1EESY_EEDaST_SU_EUlST_E0_NS1_11comp_targetILNS1_3genE8ELNS1_11target_archE1030ELNS1_3gpuE2ELNS1_3repE0EEENS1_30default_config_static_selectorELNS0_4arch9wavefront6targetE0EEEvT1_,"axG",@progbits,_ZN7rocprim17ROCPRIM_400000_NS6detail17trampoline_kernelINS0_14default_configENS1_20scan_config_selectorIN3c108BFloat16EEEZZNS1_9scan_implILNS1_25lookback_scan_determinismE0ELb0ELb0ES3_PKS6_PS6_S6_ZZZN2at6native31launch_logcumsumexp_cuda_kernelERKNSD_10TensorBaseESH_lENKUlvE_clEvENKUlvE4_clEvEUlS6_S6_E_S6_EEDaPvRmT3_T4_T5_mT6_P12ihipStream_tbENKUlT_T0_E_clISt17integral_constantIbLb1EESY_EEDaST_SU_EUlST_E0_NS1_11comp_targetILNS1_3genE8ELNS1_11target_archE1030ELNS1_3gpuE2ELNS1_3repE0EEENS1_30default_config_static_selectorELNS0_4arch9wavefront6targetE0EEEvT1_,comdat
	.globl	_ZN7rocprim17ROCPRIM_400000_NS6detail17trampoline_kernelINS0_14default_configENS1_20scan_config_selectorIN3c108BFloat16EEEZZNS1_9scan_implILNS1_25lookback_scan_determinismE0ELb0ELb0ES3_PKS6_PS6_S6_ZZZN2at6native31launch_logcumsumexp_cuda_kernelERKNSD_10TensorBaseESH_lENKUlvE_clEvENKUlvE4_clEvEUlS6_S6_E_S6_EEDaPvRmT3_T4_T5_mT6_P12ihipStream_tbENKUlT_T0_E_clISt17integral_constantIbLb1EESY_EEDaST_SU_EUlST_E0_NS1_11comp_targetILNS1_3genE8ELNS1_11target_archE1030ELNS1_3gpuE2ELNS1_3repE0EEENS1_30default_config_static_selectorELNS0_4arch9wavefront6targetE0EEEvT1_ ; -- Begin function _ZN7rocprim17ROCPRIM_400000_NS6detail17trampoline_kernelINS0_14default_configENS1_20scan_config_selectorIN3c108BFloat16EEEZZNS1_9scan_implILNS1_25lookback_scan_determinismE0ELb0ELb0ES3_PKS6_PS6_S6_ZZZN2at6native31launch_logcumsumexp_cuda_kernelERKNSD_10TensorBaseESH_lENKUlvE_clEvENKUlvE4_clEvEUlS6_S6_E_S6_EEDaPvRmT3_T4_T5_mT6_P12ihipStream_tbENKUlT_T0_E_clISt17integral_constantIbLb1EESY_EEDaST_SU_EUlST_E0_NS1_11comp_targetILNS1_3genE8ELNS1_11target_archE1030ELNS1_3gpuE2ELNS1_3repE0EEENS1_30default_config_static_selectorELNS0_4arch9wavefront6targetE0EEEvT1_
	.p2align	8
	.type	_ZN7rocprim17ROCPRIM_400000_NS6detail17trampoline_kernelINS0_14default_configENS1_20scan_config_selectorIN3c108BFloat16EEEZZNS1_9scan_implILNS1_25lookback_scan_determinismE0ELb0ELb0ES3_PKS6_PS6_S6_ZZZN2at6native31launch_logcumsumexp_cuda_kernelERKNSD_10TensorBaseESH_lENKUlvE_clEvENKUlvE4_clEvEUlS6_S6_E_S6_EEDaPvRmT3_T4_T5_mT6_P12ihipStream_tbENKUlT_T0_E_clISt17integral_constantIbLb1EESY_EEDaST_SU_EUlST_E0_NS1_11comp_targetILNS1_3genE8ELNS1_11target_archE1030ELNS1_3gpuE2ELNS1_3repE0EEENS1_30default_config_static_selectorELNS0_4arch9wavefront6targetE0EEEvT1_,@function
_ZN7rocprim17ROCPRIM_400000_NS6detail17trampoline_kernelINS0_14default_configENS1_20scan_config_selectorIN3c108BFloat16EEEZZNS1_9scan_implILNS1_25lookback_scan_determinismE0ELb0ELb0ES3_PKS6_PS6_S6_ZZZN2at6native31launch_logcumsumexp_cuda_kernelERKNSD_10TensorBaseESH_lENKUlvE_clEvENKUlvE4_clEvEUlS6_S6_E_S6_EEDaPvRmT3_T4_T5_mT6_P12ihipStream_tbENKUlT_T0_E_clISt17integral_constantIbLb1EESY_EEDaST_SU_EUlST_E0_NS1_11comp_targetILNS1_3genE8ELNS1_11target_archE1030ELNS1_3gpuE2ELNS1_3repE0EEENS1_30default_config_static_selectorELNS0_4arch9wavefront6targetE0EEEvT1_: ; @_ZN7rocprim17ROCPRIM_400000_NS6detail17trampoline_kernelINS0_14default_configENS1_20scan_config_selectorIN3c108BFloat16EEEZZNS1_9scan_implILNS1_25lookback_scan_determinismE0ELb0ELb0ES3_PKS6_PS6_S6_ZZZN2at6native31launch_logcumsumexp_cuda_kernelERKNSD_10TensorBaseESH_lENKUlvE_clEvENKUlvE4_clEvEUlS6_S6_E_S6_EEDaPvRmT3_T4_T5_mT6_P12ihipStream_tbENKUlT_T0_E_clISt17integral_constantIbLb1EESY_EEDaST_SU_EUlST_E0_NS1_11comp_targetILNS1_3genE8ELNS1_11target_archE1030ELNS1_3gpuE2ELNS1_3repE0EEENS1_30default_config_static_selectorELNS0_4arch9wavefront6targetE0EEEvT1_
; %bb.0:
	s_load_dwordx4 s[16:19], s[4:5], 0x0
	v_mov_b32_e32 v1, 0
	v_lshlrev_b32_e32 v7, 1, v0
	s_waitcnt lgkmcnt(0)
	global_load_ushort v1, v1, s[16:17]
	v_cmp_gt_u32_e64 s0, s18, v0
	s_waitcnt vmcnt(0)
	v_mov_b32_e32 v2, v1
	s_and_saveexec_b32 s1, s0
	s_cbranch_execz .LBB482_2
; %bb.1:
	global_load_ushort v2, v7, s[16:17]
.LBB482_2:
	s_or_b32 exec_lo, exec_lo, s1
	v_or_b32_e32 v3, 64, v0
	v_cmp_gt_u32_e64 s1, s18, v3
	v_mov_b32_e32 v3, v1
	s_and_saveexec_b32 s2, s1
	s_cbranch_execz .LBB482_4
; %bb.3:
	global_load_ushort v3, v7, s[16:17] offset:128
.LBB482_4:
	s_or_b32 exec_lo, exec_lo, s2
	v_or_b32_e32 v4, 0x80, v0
	v_cmp_gt_u32_e64 s2, s18, v4
	v_mov_b32_e32 v4, v1
	s_and_saveexec_b32 s3, s2
	s_cbranch_execz .LBB482_6
; %bb.5:
	global_load_ushort v4, v7, s[16:17] offset:256
.LBB482_6:
	;; [unrolled: 9-line block ×10, first 2 shown]
	s_or_b32 exec_lo, exec_lo, s13
	v_or_b32_e32 v14, 0x2c0, v0
	s_mov_b32 s14, exec_lo
	v_cmp_gt_u32_e64 s13, s18, v14
	v_cmpx_le_u32_e64 s18, v14
	s_xor_b32 s14, exec_lo, s14
	s_andn2_saveexec_b32 s14, s14
	s_cbranch_execz .LBB482_24
; %bb.23:
	v_lshlrev_b32_e32 v1, 1, v0
	global_load_ushort v1, v1, s[16:17] offset:1408
.LBB482_24:
	s_or_b32 exec_lo, exec_lo, s14
	s_waitcnt vmcnt(0)
	ds_write_b16 v7, v2
	ds_write_b16 v7, v3 offset:128
	ds_write_b16 v7, v4 offset:256
	;; [unrolled: 1-line block ×10, first 2 shown]
	v_mad_u32_u24 v5, v0, 22, v7
	ds_write_b16 v7, v1 offset:1408
	s_waitcnt lgkmcnt(0)
	s_barrier
	buffer_gl0_inv
	ds_read2_b64 v[1:4], v5 offset1:1
	ds_read_b64 v[5:6], v5 offset:16
	s_waitcnt lgkmcnt(0)
	s_barrier
	buffer_gl0_inv
	v_and_b32_e32 v8, 0xffff0000, v1
	v_lshlrev_b32_e32 v25, 16, v1
	v_max_f32_e32 v14, v8, v8
	v_max_f32_e32 v28, v25, v25
	v_cmp_u_f32_e64 s25, v25, v25
	v_cmp_u_f32_e64 s14, v8, v8
	v_min_f32_e32 v26, v28, v14
	v_max_f32_e32 v27, v28, v14
	v_cndmask_b32_e64 v9, v26, v25, s25
	v_cndmask_b32_e64 v10, v27, v25, s25
	;; [unrolled: 1-line block ×4, first 2 shown]
	v_mov_b32_e32 v10, v25
	v_cmp_class_f32_e64 s15, v11, 0x1f8
	v_cmp_neq_f32_e32 vcc_lo, v11, v9
	s_or_b32 s16, vcc_lo, s15
	s_and_saveexec_b32 s15, s16
	s_cbranch_execz .LBB482_26
; %bb.25:
	v_sub_f32_e32 v10, v11, v9
	s_mov_b32 s16, 0x3e9b6dac
	v_mul_f32_e32 v11, 0x3fb8aa3b, v10
	v_cmp_ngt_f32_e32 vcc_lo, 0xc2ce8ed0, v10
	v_fma_f32 v12, 0x3fb8aa3b, v10, -v11
	v_rndne_f32_e32 v13, v11
	v_fmamk_f32 v12, v10, 0x32a5705f, v12
	v_sub_f32_e32 v11, v11, v13
	v_add_f32_e32 v11, v11, v12
	v_cvt_i32_f32_e32 v12, v13
	v_exp_f32_e32 v11, v11
	v_ldexp_f32 v11, v11, v12
	v_cndmask_b32_e32 v11, 0, v11, vcc_lo
	v_cmp_nlt_f32_e32 vcc_lo, 0x42b17218, v10
	v_cndmask_b32_e32 v12, 0x7f800000, v11, vcc_lo
	v_add_f32_e32 v13, 1.0, v12
	v_cvt_f64_f32_e32 v[10:11], v13
	v_frexp_exp_i32_f64_e32 v10, v[10:11]
	v_frexp_mant_f32_e32 v11, v13
	v_cmp_gt_f32_e32 vcc_lo, 0x3f2aaaab, v11
	v_add_f32_e32 v11, -1.0, v13
	v_sub_f32_e32 v16, v11, v13
	v_sub_f32_e32 v11, v12, v11
	v_add_f32_e32 v16, 1.0, v16
	v_add_f32_e32 v11, v11, v16
	v_subrev_co_ci_u32_e64 v10, null, 0, v10, vcc_lo
	v_cmp_neq_f32_e32 vcc_lo, 0x7f800000, v12
	v_sub_nc_u32_e32 v15, 0, v10
	v_cvt_f32_i32_e32 v10, v10
	v_ldexp_f32 v13, v13, v15
	v_ldexp_f32 v11, v11, v15
	v_add_f32_e32 v17, 1.0, v13
	v_add_f32_e32 v15, -1.0, v13
	v_add_f32_e32 v16, -1.0, v17
	v_add_f32_e32 v18, 1.0, v15
	v_sub_f32_e32 v16, v13, v16
	v_sub_f32_e32 v13, v13, v18
	v_add_f32_e32 v16, v11, v16
	v_add_f32_e32 v11, v11, v13
	;; [unrolled: 1-line block ×4, first 2 shown]
	v_rcp_f32_e32 v13, v18
	v_sub_f32_e32 v17, v17, v18
	v_sub_f32_e32 v15, v15, v19
	v_add_f32_e32 v16, v16, v17
	v_add_f32_e32 v11, v11, v15
	v_mul_f32_e32 v20, v19, v13
	v_mul_f32_e32 v21, v18, v20
	v_fma_f32 v17, v20, v18, -v21
	v_fmac_f32_e32 v17, v20, v16
	v_add_f32_e32 v22, v21, v17
	v_sub_f32_e32 v23, v19, v22
	v_sub_f32_e32 v15, v22, v21
	;; [unrolled: 1-line block ×5, first 2 shown]
	v_add_f32_e32 v11, v11, v19
	v_add_f32_e32 v11, v15, v11
	;; [unrolled: 1-line block ×3, first 2 shown]
	v_mul_f32_e32 v17, v13, v15
	v_sub_f32_e32 v22, v23, v15
	v_mul_f32_e32 v19, v18, v17
	v_add_f32_e32 v11, v11, v22
	v_fma_f32 v18, v17, v18, -v19
	v_fmac_f32_e32 v18, v17, v16
	v_add_f32_e32 v16, v19, v18
	v_sub_f32_e32 v21, v15, v16
	v_sub_f32_e32 v19, v16, v19
	;; [unrolled: 1-line block ×5, first 2 shown]
	v_add_f32_e32 v11, v11, v15
	v_add_f32_e32 v15, v20, v17
	;; [unrolled: 1-line block ×3, first 2 shown]
	v_sub_f32_e32 v16, v15, v20
	v_add_f32_e32 v11, v21, v11
	v_sub_f32_e32 v16, v17, v16
	v_mul_f32_e32 v11, v13, v11
	v_add_f32_e32 v11, v16, v11
	v_add_f32_e32 v13, v15, v11
	v_mul_f32_e32 v16, v13, v13
	v_fmaak_f32 v17, s16, v16, 0x3ecc95a3
	v_mul_f32_e32 v18, v13, v16
	v_fmaak_f32 v16, v16, v17, 0x3f2aaada
	v_ldexp_f32 v17, v13, 1
	v_sub_f32_e32 v13, v13, v15
	v_mul_f32_e32 v16, v18, v16
	v_mul_f32_e32 v18, 0x3f317218, v10
	v_sub_f32_e32 v11, v11, v13
	v_add_f32_e32 v15, v17, v16
	v_ldexp_f32 v11, v11, 1
	v_sub_f32_e32 v13, v15, v17
	v_fma_f32 v17, 0x3f317218, v10, -v18
	v_sub_f32_e32 v13, v16, v13
	v_fmamk_f32 v10, v10, 0xb102e308, v17
	v_add_f32_e32 v11, v11, v13
	v_add_f32_e32 v13, v18, v10
	;; [unrolled: 1-line block ×3, first 2 shown]
	v_sub_f32_e32 v18, v13, v18
	v_add_f32_e32 v17, v13, v16
	v_sub_f32_e32 v15, v16, v15
	v_sub_f32_e32 v10, v10, v18
	;; [unrolled: 1-line block ×6, first 2 shown]
	v_add_f32_e32 v16, v10, v11
	v_sub_f32_e32 v13, v13, v20
	v_add_f32_e32 v13, v15, v13
	v_sub_f32_e32 v15, v16, v10
	;; [unrolled: 2-line block ×3, first 2 shown]
	v_sub_f32_e32 v11, v11, v15
	v_add_f32_e32 v18, v17, v13
	v_sub_f32_e32 v10, v10, v16
	v_sub_f32_e32 v15, v18, v17
	v_add_f32_e32 v10, v11, v10
	v_sub_f32_e32 v11, v13, v15
	v_add_f32_e32 v10, v10, v11
	v_add_f32_e32 v10, v18, v10
	v_cndmask_b32_e32 v10, 0x7f800000, v10, vcc_lo
	v_cmp_gt_f32_e64 vcc_lo, 0x33800000, |v12|
	v_cndmask_b32_e32 v10, v10, v12, vcc_lo
	v_add_f32_e32 v10, v9, v10
.LBB482_26:
	s_or_b32 exec_lo, exec_lo, s15
	v_bfe_u32 v9, v10, 16, 1
	v_cmp_o_f32_e32 vcc_lo, v10, v10
	v_add3_u32 v9, v10, v9, 0x7fff
	v_and_b32_e32 v11, 0xffff0000, v9
	v_lshlrev_b32_e32 v9, 16, v2
	v_cndmask_b32_e32 v12, 0x7fc00000, v11, vcc_lo
	v_max_f32_e32 v11, v9, v9
	v_cmp_u_f32_e64 s15, v9, v9
	v_max_f32_e32 v10, v12, v12
	v_cmp_u_f32_e32 vcc_lo, v12, v12
	v_min_f32_e32 v13, v10, v11
	v_max_f32_e32 v10, v10, v11
	v_cndmask_b32_e32 v13, v13, v12, vcc_lo
	v_cndmask_b32_e32 v10, v10, v12, vcc_lo
	v_cndmask_b32_e64 v13, v13, v9, s15
	v_cndmask_b32_e64 v10, v10, v9, s15
	v_cmp_class_f32_e64 s16, v13, 0x1f8
	v_cmp_neq_f32_e32 vcc_lo, v13, v10
	s_or_b32 s17, vcc_lo, s16
	s_and_saveexec_b32 s16, s17
	s_cbranch_execz .LBB482_28
; %bb.27:
	v_sub_f32_e32 v12, v13, v10
	s_mov_b32 s17, 0x3e9b6dac
	v_mul_f32_e32 v13, 0x3fb8aa3b, v12
	v_cmp_ngt_f32_e32 vcc_lo, 0xc2ce8ed0, v12
	v_fma_f32 v15, 0x3fb8aa3b, v12, -v13
	v_rndne_f32_e32 v16, v13
	v_fmamk_f32 v15, v12, 0x32a5705f, v15
	v_sub_f32_e32 v13, v13, v16
	v_add_f32_e32 v13, v13, v15
	v_cvt_i32_f32_e32 v15, v16
	v_exp_f32_e32 v13, v13
	v_ldexp_f32 v13, v13, v15
	v_cndmask_b32_e32 v13, 0, v13, vcc_lo
	v_cmp_nlt_f32_e32 vcc_lo, 0x42b17218, v12
	v_cndmask_b32_e32 v15, 0x7f800000, v13, vcc_lo
	v_add_f32_e32 v16, 1.0, v15
	v_cvt_f64_f32_e32 v[12:13], v16
	v_frexp_exp_i32_f64_e32 v12, v[12:13]
	v_frexp_mant_f32_e32 v13, v16
	v_cmp_gt_f32_e32 vcc_lo, 0x3f2aaaab, v13
	v_add_f32_e32 v13, -1.0, v16
	v_sub_f32_e32 v18, v13, v16
	v_sub_f32_e32 v13, v15, v13
	v_add_f32_e32 v18, 1.0, v18
	v_add_f32_e32 v13, v13, v18
	v_subrev_co_ci_u32_e64 v12, null, 0, v12, vcc_lo
	v_cmp_neq_f32_e32 vcc_lo, 0x7f800000, v15
	v_sub_nc_u32_e32 v17, 0, v12
	v_cvt_f32_i32_e32 v12, v12
	v_ldexp_f32 v16, v16, v17
	v_ldexp_f32 v13, v13, v17
	v_add_f32_e32 v19, 1.0, v16
	v_add_f32_e32 v17, -1.0, v16
	v_add_f32_e32 v18, -1.0, v19
	v_add_f32_e32 v20, 1.0, v17
	v_sub_f32_e32 v18, v16, v18
	v_sub_f32_e32 v16, v16, v20
	v_add_f32_e32 v18, v13, v18
	v_add_f32_e32 v13, v13, v16
	;; [unrolled: 1-line block ×4, first 2 shown]
	v_rcp_f32_e32 v16, v20
	v_sub_f32_e32 v19, v19, v20
	v_sub_f32_e32 v17, v17, v21
	v_add_f32_e32 v18, v18, v19
	v_add_f32_e32 v13, v13, v17
	v_mul_f32_e32 v22, v21, v16
	v_mul_f32_e32 v23, v20, v22
	v_fma_f32 v19, v22, v20, -v23
	v_fmac_f32_e32 v19, v22, v18
	v_add_f32_e32 v24, v23, v19
	v_sub_f32_e32 v29, v21, v24
	v_sub_f32_e32 v17, v24, v23
	;; [unrolled: 1-line block ×5, first 2 shown]
	v_add_f32_e32 v13, v13, v21
	v_add_f32_e32 v13, v17, v13
	;; [unrolled: 1-line block ×3, first 2 shown]
	v_mul_f32_e32 v19, v16, v17
	v_sub_f32_e32 v24, v29, v17
	v_mul_f32_e32 v21, v20, v19
	v_add_f32_e32 v13, v13, v24
	v_fma_f32 v20, v19, v20, -v21
	v_fmac_f32_e32 v20, v19, v18
	v_add_f32_e32 v18, v21, v20
	v_sub_f32_e32 v23, v17, v18
	v_sub_f32_e32 v21, v18, v21
	;; [unrolled: 1-line block ×5, first 2 shown]
	v_add_f32_e32 v13, v13, v17
	v_add_f32_e32 v17, v22, v19
	;; [unrolled: 1-line block ×3, first 2 shown]
	v_sub_f32_e32 v18, v17, v22
	v_add_f32_e32 v13, v23, v13
	v_sub_f32_e32 v18, v19, v18
	v_mul_f32_e32 v13, v16, v13
	v_add_f32_e32 v13, v18, v13
	v_add_f32_e32 v16, v17, v13
	v_mul_f32_e32 v18, v16, v16
	v_fmaak_f32 v19, s17, v18, 0x3ecc95a3
	v_mul_f32_e32 v20, v16, v18
	v_fmaak_f32 v18, v18, v19, 0x3f2aaada
	v_ldexp_f32 v19, v16, 1
	v_sub_f32_e32 v16, v16, v17
	v_mul_f32_e32 v18, v20, v18
	v_mul_f32_e32 v20, 0x3f317218, v12
	v_sub_f32_e32 v13, v13, v16
	v_add_f32_e32 v17, v19, v18
	v_ldexp_f32 v13, v13, 1
	v_sub_f32_e32 v16, v17, v19
	v_fma_f32 v19, 0x3f317218, v12, -v20
	v_sub_f32_e32 v16, v18, v16
	v_fmamk_f32 v12, v12, 0xb102e308, v19
	v_add_f32_e32 v13, v13, v16
	v_add_f32_e32 v16, v20, v12
	;; [unrolled: 1-line block ×3, first 2 shown]
	v_sub_f32_e32 v20, v16, v20
	v_add_f32_e32 v19, v16, v18
	v_sub_f32_e32 v17, v18, v17
	v_sub_f32_e32 v12, v12, v20
	;; [unrolled: 1-line block ×6, first 2 shown]
	v_add_f32_e32 v18, v12, v13
	v_sub_f32_e32 v16, v16, v22
	v_add_f32_e32 v16, v17, v16
	v_sub_f32_e32 v17, v18, v12
	;; [unrolled: 2-line block ×3, first 2 shown]
	v_sub_f32_e32 v13, v13, v17
	v_add_f32_e32 v20, v19, v16
	v_sub_f32_e32 v12, v12, v18
	v_sub_f32_e32 v17, v20, v19
	v_add_f32_e32 v12, v13, v12
	v_sub_f32_e32 v13, v16, v17
	v_add_f32_e32 v12, v12, v13
	v_add_f32_e32 v12, v20, v12
	v_cndmask_b32_e32 v12, 0x7f800000, v12, vcc_lo
	v_cmp_gt_f32_e64 vcc_lo, 0x33800000, |v15|
	v_cndmask_b32_e32 v12, v12, v15, vcc_lo
	v_add_f32_e32 v12, v10, v12
.LBB482_28:
	s_or_b32 exec_lo, exec_lo, s16
	v_bfe_u32 v10, v12, 16, 1
	v_cmp_o_f32_e32 vcc_lo, v12, v12
	v_and_b32_e32 v2, 0xffff0000, v2
	v_add3_u32 v10, v12, v10, 0x7fff
	v_max_f32_e32 v13, v2, v2
	v_cmp_u_f32_e64 s16, v2, v2
	v_and_b32_e32 v10, 0xffff0000, v10
	v_cndmask_b32_e32 v12, 0x7fc00000, v10, vcc_lo
	v_max_f32_e32 v10, v12, v12
	v_cmp_u_f32_e32 vcc_lo, v12, v12
	v_min_f32_e32 v15, v10, v13
	v_max_f32_e32 v10, v10, v13
	v_cndmask_b32_e32 v15, v15, v12, vcc_lo
	v_cndmask_b32_e32 v10, v10, v12, vcc_lo
	v_cndmask_b32_e64 v15, v15, v2, s16
	v_cndmask_b32_e64 v10, v10, v2, s16
	v_cmp_class_f32_e64 s17, v15, 0x1f8
	v_cmp_neq_f32_e32 vcc_lo, v15, v10
	s_or_b32 s18, vcc_lo, s17
	s_and_saveexec_b32 s17, s18
	s_cbranch_execz .LBB482_30
; %bb.29:
	v_sub_f32_e32 v12, v15, v10
	s_mov_b32 s18, 0x3e9b6dac
	v_mul_f32_e32 v15, 0x3fb8aa3b, v12
	v_cmp_ngt_f32_e32 vcc_lo, 0xc2ce8ed0, v12
	v_fma_f32 v16, 0x3fb8aa3b, v12, -v15
	v_rndne_f32_e32 v17, v15
	v_fmamk_f32 v16, v12, 0x32a5705f, v16
	v_sub_f32_e32 v15, v15, v17
	v_add_f32_e32 v15, v15, v16
	v_cvt_i32_f32_e32 v16, v17
	v_exp_f32_e32 v15, v15
	v_ldexp_f32 v15, v15, v16
	v_cndmask_b32_e32 v15, 0, v15, vcc_lo
	v_cmp_nlt_f32_e32 vcc_lo, 0x42b17218, v12
	v_cndmask_b32_e32 v12, 0x7f800000, v15, vcc_lo
	v_add_f32_e32 v17, 1.0, v12
	v_cvt_f64_f32_e32 v[15:16], v17
	v_frexp_exp_i32_f64_e32 v15, v[15:16]
	v_frexp_mant_f32_e32 v16, v17
	v_cmp_gt_f32_e32 vcc_lo, 0x3f2aaaab, v16
	v_add_f32_e32 v16, -1.0, v17
	v_sub_f32_e32 v19, v16, v17
	v_sub_f32_e32 v16, v12, v16
	v_add_f32_e32 v19, 1.0, v19
	v_add_f32_e32 v16, v16, v19
	v_subrev_co_ci_u32_e64 v15, null, 0, v15, vcc_lo
	v_cmp_neq_f32_e32 vcc_lo, 0x7f800000, v12
	v_sub_nc_u32_e32 v18, 0, v15
	v_cvt_f32_i32_e32 v15, v15
	v_ldexp_f32 v17, v17, v18
	v_ldexp_f32 v16, v16, v18
	v_add_f32_e32 v20, 1.0, v17
	v_add_f32_e32 v18, -1.0, v17
	v_add_f32_e32 v19, -1.0, v20
	v_add_f32_e32 v21, 1.0, v18
	v_sub_f32_e32 v19, v17, v19
	v_sub_f32_e32 v17, v17, v21
	v_add_f32_e32 v19, v16, v19
	v_add_f32_e32 v16, v16, v17
	;; [unrolled: 1-line block ×4, first 2 shown]
	v_rcp_f32_e32 v17, v21
	v_sub_f32_e32 v20, v20, v21
	v_sub_f32_e32 v18, v18, v22
	v_add_f32_e32 v19, v19, v20
	v_add_f32_e32 v16, v16, v18
	v_mul_f32_e32 v23, v22, v17
	v_mul_f32_e32 v24, v21, v23
	v_fma_f32 v20, v23, v21, -v24
	v_fmac_f32_e32 v20, v23, v19
	v_add_f32_e32 v29, v24, v20
	v_sub_f32_e32 v30, v22, v29
	v_sub_f32_e32 v18, v29, v24
	;; [unrolled: 1-line block ×5, first 2 shown]
	v_add_f32_e32 v16, v16, v22
	v_add_f32_e32 v16, v18, v16
	;; [unrolled: 1-line block ×3, first 2 shown]
	v_mul_f32_e32 v20, v17, v18
	v_sub_f32_e32 v29, v30, v18
	v_mul_f32_e32 v22, v21, v20
	v_add_f32_e32 v16, v16, v29
	v_fma_f32 v21, v20, v21, -v22
	v_fmac_f32_e32 v21, v20, v19
	v_add_f32_e32 v19, v22, v21
	v_sub_f32_e32 v24, v18, v19
	v_sub_f32_e32 v22, v19, v22
	;; [unrolled: 1-line block ×5, first 2 shown]
	v_add_f32_e32 v16, v16, v18
	v_add_f32_e32 v18, v23, v20
	;; [unrolled: 1-line block ×3, first 2 shown]
	v_sub_f32_e32 v19, v18, v23
	v_add_f32_e32 v16, v24, v16
	v_sub_f32_e32 v19, v20, v19
	v_mul_f32_e32 v16, v17, v16
	v_add_f32_e32 v16, v19, v16
	v_add_f32_e32 v17, v18, v16
	v_mul_f32_e32 v19, v17, v17
	v_fmaak_f32 v20, s18, v19, 0x3ecc95a3
	v_mul_f32_e32 v21, v17, v19
	v_fmaak_f32 v19, v19, v20, 0x3f2aaada
	v_ldexp_f32 v20, v17, 1
	v_sub_f32_e32 v17, v17, v18
	v_mul_f32_e32 v19, v21, v19
	v_mul_f32_e32 v21, 0x3f317218, v15
	v_sub_f32_e32 v16, v16, v17
	v_add_f32_e32 v18, v20, v19
	v_ldexp_f32 v16, v16, 1
	v_sub_f32_e32 v17, v18, v20
	v_fma_f32 v20, 0x3f317218, v15, -v21
	v_sub_f32_e32 v17, v19, v17
	v_fmamk_f32 v15, v15, 0xb102e308, v20
	v_add_f32_e32 v16, v16, v17
	v_add_f32_e32 v17, v21, v15
	;; [unrolled: 1-line block ×3, first 2 shown]
	v_sub_f32_e32 v21, v17, v21
	v_add_f32_e32 v20, v17, v19
	v_sub_f32_e32 v18, v19, v18
	v_sub_f32_e32 v15, v15, v21
	;; [unrolled: 1-line block ×6, first 2 shown]
	v_add_f32_e32 v19, v15, v16
	v_sub_f32_e32 v17, v17, v23
	v_add_f32_e32 v17, v18, v17
	v_sub_f32_e32 v18, v19, v15
	;; [unrolled: 2-line block ×3, first 2 shown]
	v_sub_f32_e32 v16, v16, v18
	v_add_f32_e32 v21, v20, v17
	v_sub_f32_e32 v15, v15, v19
	v_sub_f32_e32 v18, v21, v20
	v_add_f32_e32 v15, v16, v15
	v_sub_f32_e32 v16, v17, v18
	v_add_f32_e32 v15, v15, v16
	v_add_f32_e32 v15, v21, v15
	v_cndmask_b32_e32 v15, 0x7f800000, v15, vcc_lo
	v_cmp_gt_f32_e64 vcc_lo, 0x33800000, |v12|
	v_cndmask_b32_e32 v12, v15, v12, vcc_lo
	v_add_f32_e32 v12, v10, v12
.LBB482_30:
	s_or_b32 exec_lo, exec_lo, s17
	v_bfe_u32 v10, v12, 16, 1
	v_cmp_o_f32_e32 vcc_lo, v12, v12
	v_add3_u32 v10, v12, v10, 0x7fff
	v_and_b32_e32 v15, 0xffff0000, v10
	v_lshlrev_b32_e32 v10, 16, v3
	v_cndmask_b32_e32 v16, 0x7fc00000, v15, vcc_lo
	v_max_f32_e32 v15, v10, v10
	v_cmp_u_f32_e64 s17, v10, v10
	v_max_f32_e32 v12, v16, v16
	v_cmp_u_f32_e32 vcc_lo, v16, v16
	v_min_f32_e32 v17, v12, v15
	v_max_f32_e32 v12, v12, v15
	v_cndmask_b32_e32 v17, v17, v16, vcc_lo
	v_cndmask_b32_e32 v12, v12, v16, vcc_lo
	v_cndmask_b32_e64 v17, v17, v10, s17
	v_cndmask_b32_e64 v12, v12, v10, s17
	v_cmp_class_f32_e64 s18, v17, 0x1f8
	v_cmp_neq_f32_e32 vcc_lo, v17, v12
	s_or_b32 s19, vcc_lo, s18
	s_and_saveexec_b32 s18, s19
	s_cbranch_execz .LBB482_32
; %bb.31:
	v_sub_f32_e32 v16, v17, v12
	s_mov_b32 s19, 0x3e9b6dac
	v_mul_f32_e32 v17, 0x3fb8aa3b, v16
	v_cmp_ngt_f32_e32 vcc_lo, 0xc2ce8ed0, v16
	v_fma_f32 v18, 0x3fb8aa3b, v16, -v17
	v_rndne_f32_e32 v19, v17
	v_fmamk_f32 v18, v16, 0x32a5705f, v18
	v_sub_f32_e32 v17, v17, v19
	v_add_f32_e32 v17, v17, v18
	v_cvt_i32_f32_e32 v18, v19
	v_exp_f32_e32 v17, v17
	v_ldexp_f32 v17, v17, v18
	v_cndmask_b32_e32 v17, 0, v17, vcc_lo
	v_cmp_nlt_f32_e32 vcc_lo, 0x42b17218, v16
	v_cndmask_b32_e32 v18, 0x7f800000, v17, vcc_lo
	v_add_f32_e32 v19, 1.0, v18
	v_cvt_f64_f32_e32 v[16:17], v19
	v_frexp_exp_i32_f64_e32 v16, v[16:17]
	v_frexp_mant_f32_e32 v17, v19
	v_cmp_gt_f32_e32 vcc_lo, 0x3f2aaaab, v17
	v_add_f32_e32 v17, -1.0, v19
	v_sub_f32_e32 v21, v17, v19
	v_sub_f32_e32 v17, v18, v17
	v_add_f32_e32 v21, 1.0, v21
	v_add_f32_e32 v17, v17, v21
	v_subrev_co_ci_u32_e64 v16, null, 0, v16, vcc_lo
	v_cmp_neq_f32_e32 vcc_lo, 0x7f800000, v18
	v_sub_nc_u32_e32 v20, 0, v16
	v_cvt_f32_i32_e32 v16, v16
	v_ldexp_f32 v19, v19, v20
	v_ldexp_f32 v17, v17, v20
	v_add_f32_e32 v22, 1.0, v19
	v_add_f32_e32 v20, -1.0, v19
	v_add_f32_e32 v21, -1.0, v22
	v_add_f32_e32 v23, 1.0, v20
	v_sub_f32_e32 v21, v19, v21
	v_sub_f32_e32 v19, v19, v23
	v_add_f32_e32 v21, v17, v21
	v_add_f32_e32 v17, v17, v19
	;; [unrolled: 1-line block ×4, first 2 shown]
	v_rcp_f32_e32 v19, v23
	v_sub_f32_e32 v22, v22, v23
	v_sub_f32_e32 v20, v20, v24
	v_add_f32_e32 v21, v21, v22
	v_add_f32_e32 v17, v17, v20
	v_mul_f32_e32 v29, v24, v19
	v_mul_f32_e32 v30, v23, v29
	v_fma_f32 v22, v29, v23, -v30
	v_fmac_f32_e32 v22, v29, v21
	v_add_f32_e32 v31, v30, v22
	v_sub_f32_e32 v32, v24, v31
	v_sub_f32_e32 v20, v31, v30
	v_sub_f32_e32 v24, v24, v32
	v_sub_f32_e32 v20, v20, v22
	v_sub_f32_e32 v24, v24, v31
	v_add_f32_e32 v17, v17, v24
	v_add_f32_e32 v17, v20, v17
	v_add_f32_e32 v20, v32, v17
	v_mul_f32_e32 v22, v19, v20
	v_sub_f32_e32 v31, v32, v20
	v_mul_f32_e32 v24, v23, v22
	v_add_f32_e32 v17, v17, v31
	v_fma_f32 v23, v22, v23, -v24
	v_fmac_f32_e32 v23, v22, v21
	v_add_f32_e32 v21, v24, v23
	v_sub_f32_e32 v30, v20, v21
	v_sub_f32_e32 v24, v21, v24
	;; [unrolled: 1-line block ×5, first 2 shown]
	v_add_f32_e32 v17, v17, v20
	v_add_f32_e32 v20, v29, v22
	;; [unrolled: 1-line block ×3, first 2 shown]
	v_sub_f32_e32 v21, v20, v29
	v_add_f32_e32 v17, v30, v17
	v_sub_f32_e32 v21, v22, v21
	v_mul_f32_e32 v17, v19, v17
	v_add_f32_e32 v17, v21, v17
	v_add_f32_e32 v19, v20, v17
	v_mul_f32_e32 v21, v19, v19
	v_fmaak_f32 v22, s19, v21, 0x3ecc95a3
	v_mul_f32_e32 v23, v19, v21
	v_fmaak_f32 v21, v21, v22, 0x3f2aaada
	v_ldexp_f32 v22, v19, 1
	v_sub_f32_e32 v19, v19, v20
	v_mul_f32_e32 v21, v23, v21
	v_mul_f32_e32 v23, 0x3f317218, v16
	v_sub_f32_e32 v17, v17, v19
	v_add_f32_e32 v20, v22, v21
	v_ldexp_f32 v17, v17, 1
	v_sub_f32_e32 v19, v20, v22
	v_fma_f32 v22, 0x3f317218, v16, -v23
	v_sub_f32_e32 v19, v21, v19
	v_fmamk_f32 v16, v16, 0xb102e308, v22
	v_add_f32_e32 v17, v17, v19
	v_add_f32_e32 v19, v23, v16
	;; [unrolled: 1-line block ×3, first 2 shown]
	v_sub_f32_e32 v23, v19, v23
	v_add_f32_e32 v22, v19, v21
	v_sub_f32_e32 v20, v21, v20
	v_sub_f32_e32 v16, v16, v23
	;; [unrolled: 1-line block ×6, first 2 shown]
	v_add_f32_e32 v21, v16, v17
	v_sub_f32_e32 v19, v19, v29
	v_add_f32_e32 v19, v20, v19
	v_sub_f32_e32 v20, v21, v16
	;; [unrolled: 2-line block ×3, first 2 shown]
	v_sub_f32_e32 v17, v17, v20
	v_add_f32_e32 v23, v22, v19
	v_sub_f32_e32 v16, v16, v21
	v_sub_f32_e32 v20, v23, v22
	v_add_f32_e32 v16, v17, v16
	v_sub_f32_e32 v17, v19, v20
	v_add_f32_e32 v16, v16, v17
	v_add_f32_e32 v16, v23, v16
	v_cndmask_b32_e32 v16, 0x7f800000, v16, vcc_lo
	v_cmp_gt_f32_e64 vcc_lo, 0x33800000, |v18|
	v_cndmask_b32_e32 v16, v16, v18, vcc_lo
	v_add_f32_e32 v16, v12, v16
.LBB482_32:
	s_or_b32 exec_lo, exec_lo, s18
	v_bfe_u32 v12, v16, 16, 1
	v_cmp_o_f32_e32 vcc_lo, v16, v16
	v_and_b32_e32 v3, 0xffff0000, v3
	v_add3_u32 v12, v16, v12, 0x7fff
	v_max_f32_e32 v17, v3, v3
	v_cmp_u_f32_e64 s18, v3, v3
	v_and_b32_e32 v12, 0xffff0000, v12
	v_cndmask_b32_e32 v16, 0x7fc00000, v12, vcc_lo
	v_max_f32_e32 v12, v16, v16
	v_cmp_u_f32_e32 vcc_lo, v16, v16
	v_min_f32_e32 v18, v12, v17
	v_max_f32_e32 v12, v12, v17
	v_cndmask_b32_e32 v18, v18, v16, vcc_lo
	v_cndmask_b32_e32 v12, v12, v16, vcc_lo
	v_cndmask_b32_e64 v18, v18, v3, s18
	v_cndmask_b32_e64 v12, v12, v3, s18
	v_cmp_class_f32_e64 s19, v18, 0x1f8
	v_cmp_neq_f32_e32 vcc_lo, v18, v12
	s_or_b32 s20, vcc_lo, s19
	s_and_saveexec_b32 s19, s20
	s_cbranch_execz .LBB482_34
; %bb.33:
	v_sub_f32_e32 v16, v18, v12
	s_mov_b32 s20, 0x3e9b6dac
	v_mul_f32_e32 v18, 0x3fb8aa3b, v16
	v_cmp_ngt_f32_e32 vcc_lo, 0xc2ce8ed0, v16
	v_fma_f32 v19, 0x3fb8aa3b, v16, -v18
	v_rndne_f32_e32 v20, v18
	v_fmamk_f32 v19, v16, 0x32a5705f, v19
	v_sub_f32_e32 v18, v18, v20
	v_add_f32_e32 v18, v18, v19
	v_cvt_i32_f32_e32 v19, v20
	v_exp_f32_e32 v18, v18
	v_ldexp_f32 v18, v18, v19
	v_cndmask_b32_e32 v18, 0, v18, vcc_lo
	v_cmp_nlt_f32_e32 vcc_lo, 0x42b17218, v16
	v_cndmask_b32_e32 v16, 0x7f800000, v18, vcc_lo
	v_add_f32_e32 v20, 1.0, v16
	v_cvt_f64_f32_e32 v[18:19], v20
	v_frexp_exp_i32_f64_e32 v18, v[18:19]
	v_frexp_mant_f32_e32 v19, v20
	v_cmp_gt_f32_e32 vcc_lo, 0x3f2aaaab, v19
	v_add_f32_e32 v19, -1.0, v20
	v_sub_f32_e32 v22, v19, v20
	v_sub_f32_e32 v19, v16, v19
	v_add_f32_e32 v22, 1.0, v22
	v_add_f32_e32 v19, v19, v22
	v_subrev_co_ci_u32_e64 v18, null, 0, v18, vcc_lo
	v_cmp_neq_f32_e32 vcc_lo, 0x7f800000, v16
	v_sub_nc_u32_e32 v21, 0, v18
	v_cvt_f32_i32_e32 v18, v18
	v_ldexp_f32 v20, v20, v21
	v_ldexp_f32 v19, v19, v21
	v_add_f32_e32 v23, 1.0, v20
	v_add_f32_e32 v21, -1.0, v20
	v_add_f32_e32 v22, -1.0, v23
	v_add_f32_e32 v24, 1.0, v21
	v_sub_f32_e32 v22, v20, v22
	v_sub_f32_e32 v20, v20, v24
	v_add_f32_e32 v22, v19, v22
	v_add_f32_e32 v19, v19, v20
	;; [unrolled: 1-line block ×4, first 2 shown]
	v_rcp_f32_e32 v20, v24
	v_sub_f32_e32 v23, v23, v24
	v_sub_f32_e32 v21, v21, v29
	v_add_f32_e32 v22, v22, v23
	v_add_f32_e32 v19, v19, v21
	v_mul_f32_e32 v30, v29, v20
	v_mul_f32_e32 v31, v24, v30
	v_fma_f32 v23, v30, v24, -v31
	v_fmac_f32_e32 v23, v30, v22
	v_add_f32_e32 v32, v31, v23
	v_sub_f32_e32 v33, v29, v32
	v_sub_f32_e32 v21, v32, v31
	;; [unrolled: 1-line block ×5, first 2 shown]
	v_add_f32_e32 v19, v19, v29
	v_add_f32_e32 v19, v21, v19
	;; [unrolled: 1-line block ×3, first 2 shown]
	v_mul_f32_e32 v23, v20, v21
	v_sub_f32_e32 v32, v33, v21
	v_mul_f32_e32 v29, v24, v23
	v_add_f32_e32 v19, v19, v32
	v_fma_f32 v24, v23, v24, -v29
	v_fmac_f32_e32 v24, v23, v22
	v_add_f32_e32 v22, v29, v24
	v_sub_f32_e32 v31, v21, v22
	v_sub_f32_e32 v29, v22, v29
	;; [unrolled: 1-line block ×5, first 2 shown]
	v_add_f32_e32 v19, v19, v21
	v_add_f32_e32 v21, v30, v23
	;; [unrolled: 1-line block ×3, first 2 shown]
	v_sub_f32_e32 v22, v21, v30
	v_add_f32_e32 v19, v31, v19
	v_sub_f32_e32 v22, v23, v22
	v_mul_f32_e32 v19, v20, v19
	v_add_f32_e32 v19, v22, v19
	v_add_f32_e32 v20, v21, v19
	v_mul_f32_e32 v22, v20, v20
	v_fmaak_f32 v23, s20, v22, 0x3ecc95a3
	v_mul_f32_e32 v24, v20, v22
	v_fmaak_f32 v22, v22, v23, 0x3f2aaada
	v_ldexp_f32 v23, v20, 1
	v_sub_f32_e32 v20, v20, v21
	v_mul_f32_e32 v22, v24, v22
	v_mul_f32_e32 v24, 0x3f317218, v18
	v_sub_f32_e32 v19, v19, v20
	v_add_f32_e32 v21, v23, v22
	v_ldexp_f32 v19, v19, 1
	v_sub_f32_e32 v20, v21, v23
	v_fma_f32 v23, 0x3f317218, v18, -v24
	v_sub_f32_e32 v20, v22, v20
	v_fmamk_f32 v18, v18, 0xb102e308, v23
	v_add_f32_e32 v19, v19, v20
	v_add_f32_e32 v20, v24, v18
	;; [unrolled: 1-line block ×3, first 2 shown]
	v_sub_f32_e32 v24, v20, v24
	v_add_f32_e32 v23, v20, v22
	v_sub_f32_e32 v21, v22, v21
	v_sub_f32_e32 v18, v18, v24
	;; [unrolled: 1-line block ×6, first 2 shown]
	v_add_f32_e32 v22, v18, v19
	v_sub_f32_e32 v20, v20, v30
	v_add_f32_e32 v20, v21, v20
	v_sub_f32_e32 v21, v22, v18
	;; [unrolled: 2-line block ×3, first 2 shown]
	v_sub_f32_e32 v19, v19, v21
	v_add_f32_e32 v24, v23, v20
	v_sub_f32_e32 v18, v18, v22
	v_sub_f32_e32 v21, v24, v23
	v_add_f32_e32 v18, v19, v18
	v_sub_f32_e32 v19, v20, v21
	v_add_f32_e32 v18, v18, v19
	v_add_f32_e32 v18, v24, v18
	v_cndmask_b32_e32 v18, 0x7f800000, v18, vcc_lo
	v_cmp_gt_f32_e64 vcc_lo, 0x33800000, |v16|
	v_cndmask_b32_e32 v16, v18, v16, vcc_lo
	v_add_f32_e32 v16, v12, v16
.LBB482_34:
	s_or_b32 exec_lo, exec_lo, s19
	v_bfe_u32 v12, v16, 16, 1
	v_cmp_o_f32_e32 vcc_lo, v16, v16
	v_add3_u32 v12, v16, v12, 0x7fff
	v_and_b32_e32 v18, 0xffff0000, v12
	v_lshlrev_b32_e32 v12, 16, v4
	v_cndmask_b32_e32 v19, 0x7fc00000, v18, vcc_lo
	v_max_f32_e32 v18, v12, v12
	v_cmp_u_f32_e64 s19, v12, v12
	v_max_f32_e32 v16, v19, v19
	v_cmp_u_f32_e32 vcc_lo, v19, v19
	v_min_f32_e32 v20, v16, v18
	v_max_f32_e32 v16, v16, v18
	v_cndmask_b32_e32 v20, v20, v19, vcc_lo
	v_cndmask_b32_e32 v16, v16, v19, vcc_lo
	v_cndmask_b32_e64 v20, v20, v12, s19
	v_cndmask_b32_e64 v16, v16, v12, s19
	v_cmp_class_f32_e64 s20, v20, 0x1f8
	v_cmp_neq_f32_e32 vcc_lo, v20, v16
	s_or_b32 s21, vcc_lo, s20
	s_and_saveexec_b32 s20, s21
	s_cbranch_execz .LBB482_36
; %bb.35:
	v_sub_f32_e32 v19, v20, v16
	s_mov_b32 s21, 0x3e9b6dac
	v_mul_f32_e32 v20, 0x3fb8aa3b, v19
	v_cmp_ngt_f32_e32 vcc_lo, 0xc2ce8ed0, v19
	v_fma_f32 v21, 0x3fb8aa3b, v19, -v20
	v_rndne_f32_e32 v22, v20
	v_fmamk_f32 v21, v19, 0x32a5705f, v21
	v_sub_f32_e32 v20, v20, v22
	v_add_f32_e32 v20, v20, v21
	v_cvt_i32_f32_e32 v21, v22
	v_exp_f32_e32 v20, v20
	v_ldexp_f32 v20, v20, v21
	v_cndmask_b32_e32 v20, 0, v20, vcc_lo
	v_cmp_nlt_f32_e32 vcc_lo, 0x42b17218, v19
	v_cndmask_b32_e32 v21, 0x7f800000, v20, vcc_lo
	v_add_f32_e32 v22, 1.0, v21
	v_cvt_f64_f32_e32 v[19:20], v22
	v_frexp_exp_i32_f64_e32 v19, v[19:20]
	v_frexp_mant_f32_e32 v20, v22
	v_cmp_gt_f32_e32 vcc_lo, 0x3f2aaaab, v20
	v_add_f32_e32 v20, -1.0, v22
	v_sub_f32_e32 v24, v20, v22
	v_sub_f32_e32 v20, v21, v20
	v_add_f32_e32 v24, 1.0, v24
	v_add_f32_e32 v20, v20, v24
	v_subrev_co_ci_u32_e64 v19, null, 0, v19, vcc_lo
	v_cmp_neq_f32_e32 vcc_lo, 0x7f800000, v21
	v_sub_nc_u32_e32 v23, 0, v19
	v_cvt_f32_i32_e32 v19, v19
	v_ldexp_f32 v22, v22, v23
	v_ldexp_f32 v20, v20, v23
	v_add_f32_e32 v29, 1.0, v22
	v_add_f32_e32 v23, -1.0, v22
	v_add_f32_e32 v24, -1.0, v29
	v_add_f32_e32 v30, 1.0, v23
	v_sub_f32_e32 v24, v22, v24
	v_sub_f32_e32 v22, v22, v30
	v_add_f32_e32 v24, v20, v24
	v_add_f32_e32 v20, v20, v22
	v_add_f32_e32 v30, v29, v24
	v_add_f32_e32 v31, v23, v20
	v_rcp_f32_e32 v22, v30
	v_sub_f32_e32 v29, v29, v30
	v_sub_f32_e32 v23, v23, v31
	v_add_f32_e32 v24, v24, v29
	v_add_f32_e32 v20, v20, v23
	v_mul_f32_e32 v32, v31, v22
	v_mul_f32_e32 v33, v30, v32
	v_fma_f32 v29, v32, v30, -v33
	v_fmac_f32_e32 v29, v32, v24
	v_add_f32_e32 v34, v33, v29
	v_sub_f32_e32 v35, v31, v34
	v_sub_f32_e32 v23, v34, v33
	;; [unrolled: 1-line block ×5, first 2 shown]
	v_add_f32_e32 v20, v20, v31
	v_add_f32_e32 v20, v23, v20
	;; [unrolled: 1-line block ×3, first 2 shown]
	v_mul_f32_e32 v29, v22, v23
	v_sub_f32_e32 v34, v35, v23
	v_mul_f32_e32 v31, v30, v29
	v_add_f32_e32 v20, v20, v34
	v_fma_f32 v30, v29, v30, -v31
	v_fmac_f32_e32 v30, v29, v24
	v_add_f32_e32 v24, v31, v30
	v_sub_f32_e32 v33, v23, v24
	v_sub_f32_e32 v31, v24, v31
	;; [unrolled: 1-line block ×5, first 2 shown]
	v_add_f32_e32 v20, v20, v23
	v_add_f32_e32 v23, v32, v29
	;; [unrolled: 1-line block ×3, first 2 shown]
	v_sub_f32_e32 v24, v23, v32
	v_add_f32_e32 v20, v33, v20
	v_sub_f32_e32 v24, v29, v24
	v_mul_f32_e32 v20, v22, v20
	v_add_f32_e32 v20, v24, v20
	v_add_f32_e32 v22, v23, v20
	v_mul_f32_e32 v24, v22, v22
	v_fmaak_f32 v29, s21, v24, 0x3ecc95a3
	v_mul_f32_e32 v30, v22, v24
	v_fmaak_f32 v24, v24, v29, 0x3f2aaada
	v_ldexp_f32 v29, v22, 1
	v_sub_f32_e32 v22, v22, v23
	v_mul_f32_e32 v24, v30, v24
	v_mul_f32_e32 v30, 0x3f317218, v19
	v_sub_f32_e32 v20, v20, v22
	v_add_f32_e32 v23, v29, v24
	v_ldexp_f32 v20, v20, 1
	v_sub_f32_e32 v22, v23, v29
	v_fma_f32 v29, 0x3f317218, v19, -v30
	v_sub_f32_e32 v22, v24, v22
	v_fmamk_f32 v19, v19, 0xb102e308, v29
	v_add_f32_e32 v20, v20, v22
	v_add_f32_e32 v22, v30, v19
	;; [unrolled: 1-line block ×3, first 2 shown]
	v_sub_f32_e32 v30, v22, v30
	v_add_f32_e32 v29, v22, v24
	v_sub_f32_e32 v23, v24, v23
	v_sub_f32_e32 v19, v19, v30
	;; [unrolled: 1-line block ×6, first 2 shown]
	v_add_f32_e32 v24, v19, v20
	v_sub_f32_e32 v22, v22, v32
	v_add_f32_e32 v22, v23, v22
	v_sub_f32_e32 v23, v24, v19
	;; [unrolled: 2-line block ×3, first 2 shown]
	v_sub_f32_e32 v20, v20, v23
	v_add_f32_e32 v30, v29, v22
	v_sub_f32_e32 v19, v19, v24
	v_sub_f32_e32 v23, v30, v29
	v_add_f32_e32 v19, v20, v19
	v_sub_f32_e32 v20, v22, v23
	v_add_f32_e32 v19, v19, v20
	v_add_f32_e32 v19, v30, v19
	v_cndmask_b32_e32 v19, 0x7f800000, v19, vcc_lo
	v_cmp_gt_f32_e64 vcc_lo, 0x33800000, |v21|
	v_cndmask_b32_e32 v19, v19, v21, vcc_lo
	v_add_f32_e32 v19, v16, v19
.LBB482_36:
	s_or_b32 exec_lo, exec_lo, s20
	v_bfe_u32 v16, v19, 16, 1
	v_cmp_o_f32_e32 vcc_lo, v19, v19
	v_and_b32_e32 v4, 0xffff0000, v4
	v_add3_u32 v16, v19, v16, 0x7fff
	v_max_f32_e32 v20, v4, v4
	v_cmp_u_f32_e64 s20, v4, v4
	v_and_b32_e32 v16, 0xffff0000, v16
	v_cndmask_b32_e32 v19, 0x7fc00000, v16, vcc_lo
	v_max_f32_e32 v16, v19, v19
	v_cmp_u_f32_e32 vcc_lo, v19, v19
	v_min_f32_e32 v21, v16, v20
	v_max_f32_e32 v16, v16, v20
	v_cndmask_b32_e32 v21, v21, v19, vcc_lo
	v_cndmask_b32_e32 v16, v16, v19, vcc_lo
	v_cndmask_b32_e64 v21, v21, v4, s20
	v_cndmask_b32_e64 v16, v16, v4, s20
	v_cmp_class_f32_e64 s21, v21, 0x1f8
	v_cmp_neq_f32_e32 vcc_lo, v21, v16
	s_or_b32 s22, vcc_lo, s21
	s_and_saveexec_b32 s21, s22
	s_cbranch_execz .LBB482_38
; %bb.37:
	v_sub_f32_e32 v19, v21, v16
	s_mov_b32 s22, 0x3e9b6dac
	v_mul_f32_e32 v21, 0x3fb8aa3b, v19
	v_cmp_ngt_f32_e32 vcc_lo, 0xc2ce8ed0, v19
	v_fma_f32 v22, 0x3fb8aa3b, v19, -v21
	v_rndne_f32_e32 v23, v21
	v_fmamk_f32 v22, v19, 0x32a5705f, v22
	v_sub_f32_e32 v21, v21, v23
	v_add_f32_e32 v21, v21, v22
	v_cvt_i32_f32_e32 v22, v23
	v_exp_f32_e32 v21, v21
	v_ldexp_f32 v21, v21, v22
	v_cndmask_b32_e32 v21, 0, v21, vcc_lo
	v_cmp_nlt_f32_e32 vcc_lo, 0x42b17218, v19
	v_cndmask_b32_e32 v19, 0x7f800000, v21, vcc_lo
	v_add_f32_e32 v23, 1.0, v19
	v_cvt_f64_f32_e32 v[21:22], v23
	v_frexp_exp_i32_f64_e32 v21, v[21:22]
	v_frexp_mant_f32_e32 v22, v23
	v_cmp_gt_f32_e32 vcc_lo, 0x3f2aaaab, v22
	v_add_f32_e32 v22, -1.0, v23
	v_sub_f32_e32 v29, v22, v23
	v_sub_f32_e32 v22, v19, v22
	v_add_f32_e32 v29, 1.0, v29
	v_add_f32_e32 v22, v22, v29
	v_subrev_co_ci_u32_e64 v21, null, 0, v21, vcc_lo
	v_cmp_neq_f32_e32 vcc_lo, 0x7f800000, v19
	v_sub_nc_u32_e32 v24, 0, v21
	v_cvt_f32_i32_e32 v21, v21
	v_ldexp_f32 v23, v23, v24
	v_ldexp_f32 v22, v22, v24
	v_add_f32_e32 v30, 1.0, v23
	v_add_f32_e32 v24, -1.0, v23
	v_add_f32_e32 v29, -1.0, v30
	v_add_f32_e32 v31, 1.0, v24
	v_sub_f32_e32 v29, v23, v29
	v_sub_f32_e32 v23, v23, v31
	v_add_f32_e32 v29, v22, v29
	v_add_f32_e32 v22, v22, v23
	;; [unrolled: 1-line block ×4, first 2 shown]
	v_rcp_f32_e32 v23, v31
	v_sub_f32_e32 v30, v30, v31
	v_sub_f32_e32 v24, v24, v32
	v_add_f32_e32 v29, v29, v30
	v_add_f32_e32 v22, v22, v24
	v_mul_f32_e32 v33, v32, v23
	v_mul_f32_e32 v34, v31, v33
	v_fma_f32 v30, v33, v31, -v34
	v_fmac_f32_e32 v30, v33, v29
	v_add_f32_e32 v35, v34, v30
	v_sub_f32_e32 v36, v32, v35
	v_sub_f32_e32 v24, v35, v34
	;; [unrolled: 1-line block ×5, first 2 shown]
	v_add_f32_e32 v22, v22, v32
	v_add_f32_e32 v22, v24, v22
	;; [unrolled: 1-line block ×3, first 2 shown]
	v_mul_f32_e32 v30, v23, v24
	v_sub_f32_e32 v35, v36, v24
	v_mul_f32_e32 v32, v31, v30
	v_add_f32_e32 v22, v22, v35
	v_fma_f32 v31, v30, v31, -v32
	v_fmac_f32_e32 v31, v30, v29
	v_add_f32_e32 v29, v32, v31
	v_sub_f32_e32 v34, v24, v29
	v_sub_f32_e32 v32, v29, v32
	;; [unrolled: 1-line block ×5, first 2 shown]
	v_add_f32_e32 v22, v22, v24
	v_add_f32_e32 v24, v33, v30
	;; [unrolled: 1-line block ×3, first 2 shown]
	v_sub_f32_e32 v29, v24, v33
	v_add_f32_e32 v22, v34, v22
	v_sub_f32_e32 v29, v30, v29
	v_mul_f32_e32 v22, v23, v22
	v_add_f32_e32 v22, v29, v22
	v_add_f32_e32 v23, v24, v22
	v_mul_f32_e32 v29, v23, v23
	v_fmaak_f32 v30, s22, v29, 0x3ecc95a3
	v_mul_f32_e32 v31, v23, v29
	v_fmaak_f32 v29, v29, v30, 0x3f2aaada
	v_ldexp_f32 v30, v23, 1
	v_sub_f32_e32 v23, v23, v24
	v_mul_f32_e32 v29, v31, v29
	v_mul_f32_e32 v31, 0x3f317218, v21
	v_sub_f32_e32 v22, v22, v23
	v_add_f32_e32 v24, v30, v29
	v_ldexp_f32 v22, v22, 1
	v_sub_f32_e32 v23, v24, v30
	v_fma_f32 v30, 0x3f317218, v21, -v31
	v_sub_f32_e32 v23, v29, v23
	v_fmamk_f32 v21, v21, 0xb102e308, v30
	v_add_f32_e32 v22, v22, v23
	v_add_f32_e32 v23, v31, v21
	;; [unrolled: 1-line block ×3, first 2 shown]
	v_sub_f32_e32 v31, v23, v31
	v_add_f32_e32 v30, v23, v29
	v_sub_f32_e32 v24, v29, v24
	v_sub_f32_e32 v21, v21, v31
	;; [unrolled: 1-line block ×6, first 2 shown]
	v_add_f32_e32 v29, v21, v22
	v_sub_f32_e32 v23, v23, v33
	v_add_f32_e32 v23, v24, v23
	v_sub_f32_e32 v24, v29, v21
	;; [unrolled: 2-line block ×3, first 2 shown]
	v_sub_f32_e32 v22, v22, v24
	v_add_f32_e32 v31, v30, v23
	v_sub_f32_e32 v21, v21, v29
	v_sub_f32_e32 v24, v31, v30
	v_add_f32_e32 v21, v22, v21
	v_sub_f32_e32 v22, v23, v24
	v_add_f32_e32 v21, v21, v22
	v_add_f32_e32 v21, v31, v21
	v_cndmask_b32_e32 v21, 0x7f800000, v21, vcc_lo
	v_cmp_gt_f32_e64 vcc_lo, 0x33800000, |v19|
	v_cndmask_b32_e32 v19, v21, v19, vcc_lo
	v_add_f32_e32 v19, v16, v19
.LBB482_38:
	s_or_b32 exec_lo, exec_lo, s21
	v_bfe_u32 v16, v19, 16, 1
	v_cmp_o_f32_e32 vcc_lo, v19, v19
	v_add3_u32 v16, v19, v16, 0x7fff
	v_and_b32_e32 v21, 0xffff0000, v16
	v_lshlrev_b32_e32 v16, 16, v5
	v_cndmask_b32_e32 v22, 0x7fc00000, v21, vcc_lo
	v_max_f32_e32 v21, v16, v16
	v_cmp_u_f32_e64 s21, v16, v16
	v_max_f32_e32 v19, v22, v22
	v_cmp_u_f32_e32 vcc_lo, v22, v22
	v_min_f32_e32 v23, v19, v21
	v_max_f32_e32 v19, v19, v21
	v_cndmask_b32_e32 v23, v23, v22, vcc_lo
	v_cndmask_b32_e32 v19, v19, v22, vcc_lo
	v_cndmask_b32_e64 v23, v23, v16, s21
	v_cndmask_b32_e64 v19, v19, v16, s21
	v_cmp_class_f32_e64 s22, v23, 0x1f8
	v_cmp_neq_f32_e32 vcc_lo, v23, v19
	s_or_b32 s23, vcc_lo, s22
	s_and_saveexec_b32 s22, s23
	s_cbranch_execz .LBB482_40
; %bb.39:
	v_sub_f32_e32 v22, v23, v19
	s_mov_b32 s23, 0x3e9b6dac
	v_mul_f32_e32 v23, 0x3fb8aa3b, v22
	v_cmp_ngt_f32_e32 vcc_lo, 0xc2ce8ed0, v22
	v_fma_f32 v24, 0x3fb8aa3b, v22, -v23
	v_rndne_f32_e32 v29, v23
	v_fmamk_f32 v24, v22, 0x32a5705f, v24
	v_sub_f32_e32 v23, v23, v29
	v_add_f32_e32 v23, v23, v24
	v_cvt_i32_f32_e32 v24, v29
	v_exp_f32_e32 v23, v23
	v_ldexp_f32 v23, v23, v24
	v_cndmask_b32_e32 v23, 0, v23, vcc_lo
	v_cmp_nlt_f32_e32 vcc_lo, 0x42b17218, v22
	v_cndmask_b32_e32 v24, 0x7f800000, v23, vcc_lo
	v_add_f32_e32 v29, 1.0, v24
	v_cvt_f64_f32_e32 v[22:23], v29
	v_frexp_exp_i32_f64_e32 v22, v[22:23]
	v_frexp_mant_f32_e32 v23, v29
	v_cmp_gt_f32_e32 vcc_lo, 0x3f2aaaab, v23
	v_add_f32_e32 v23, -1.0, v29
	v_sub_f32_e32 v31, v23, v29
	v_sub_f32_e32 v23, v24, v23
	v_add_f32_e32 v31, 1.0, v31
	v_add_f32_e32 v23, v23, v31
	v_subrev_co_ci_u32_e64 v22, null, 0, v22, vcc_lo
	v_cmp_neq_f32_e32 vcc_lo, 0x7f800000, v24
	v_sub_nc_u32_e32 v30, 0, v22
	v_cvt_f32_i32_e32 v22, v22
	v_ldexp_f32 v29, v29, v30
	v_ldexp_f32 v23, v23, v30
	v_add_f32_e32 v32, 1.0, v29
	v_add_f32_e32 v30, -1.0, v29
	v_add_f32_e32 v31, -1.0, v32
	v_add_f32_e32 v33, 1.0, v30
	v_sub_f32_e32 v31, v29, v31
	v_sub_f32_e32 v29, v29, v33
	v_add_f32_e32 v31, v23, v31
	v_add_f32_e32 v23, v23, v29
	;; [unrolled: 1-line block ×4, first 2 shown]
	v_rcp_f32_e32 v29, v33
	v_sub_f32_e32 v32, v32, v33
	v_sub_f32_e32 v30, v30, v34
	v_add_f32_e32 v31, v31, v32
	v_add_f32_e32 v23, v23, v30
	v_mul_f32_e32 v35, v34, v29
	v_mul_f32_e32 v36, v33, v35
	v_fma_f32 v32, v35, v33, -v36
	v_fmac_f32_e32 v32, v35, v31
	v_add_f32_e32 v37, v36, v32
	v_sub_f32_e32 v38, v34, v37
	v_sub_f32_e32 v30, v37, v36
	;; [unrolled: 1-line block ×5, first 2 shown]
	v_add_f32_e32 v23, v23, v34
	v_add_f32_e32 v23, v30, v23
	;; [unrolled: 1-line block ×3, first 2 shown]
	v_mul_f32_e32 v32, v29, v30
	v_sub_f32_e32 v37, v38, v30
	v_mul_f32_e32 v34, v33, v32
	v_add_f32_e32 v23, v23, v37
	v_fma_f32 v33, v32, v33, -v34
	v_fmac_f32_e32 v33, v32, v31
	v_add_f32_e32 v31, v34, v33
	v_sub_f32_e32 v36, v30, v31
	v_sub_f32_e32 v34, v31, v34
	;; [unrolled: 1-line block ×5, first 2 shown]
	v_add_f32_e32 v23, v23, v30
	v_add_f32_e32 v30, v35, v32
	;; [unrolled: 1-line block ×3, first 2 shown]
	v_sub_f32_e32 v31, v30, v35
	v_add_f32_e32 v23, v36, v23
	v_sub_f32_e32 v31, v32, v31
	v_mul_f32_e32 v23, v29, v23
	v_add_f32_e32 v23, v31, v23
	v_add_f32_e32 v29, v30, v23
	v_mul_f32_e32 v31, v29, v29
	v_fmaak_f32 v32, s23, v31, 0x3ecc95a3
	v_mul_f32_e32 v33, v29, v31
	v_fmaak_f32 v31, v31, v32, 0x3f2aaada
	v_ldexp_f32 v32, v29, 1
	v_sub_f32_e32 v29, v29, v30
	v_mul_f32_e32 v31, v33, v31
	v_mul_f32_e32 v33, 0x3f317218, v22
	v_sub_f32_e32 v23, v23, v29
	v_add_f32_e32 v30, v32, v31
	v_ldexp_f32 v23, v23, 1
	v_sub_f32_e32 v29, v30, v32
	v_fma_f32 v32, 0x3f317218, v22, -v33
	v_sub_f32_e32 v29, v31, v29
	v_fmamk_f32 v22, v22, 0xb102e308, v32
	v_add_f32_e32 v23, v23, v29
	v_add_f32_e32 v29, v33, v22
	;; [unrolled: 1-line block ×3, first 2 shown]
	v_sub_f32_e32 v33, v29, v33
	v_add_f32_e32 v32, v29, v31
	v_sub_f32_e32 v30, v31, v30
	v_sub_f32_e32 v22, v22, v33
	;; [unrolled: 1-line block ×6, first 2 shown]
	v_add_f32_e32 v31, v22, v23
	v_sub_f32_e32 v29, v29, v35
	v_add_f32_e32 v29, v30, v29
	v_sub_f32_e32 v30, v31, v22
	;; [unrolled: 2-line block ×3, first 2 shown]
	v_sub_f32_e32 v23, v23, v30
	v_add_f32_e32 v33, v32, v29
	v_sub_f32_e32 v22, v22, v31
	v_sub_f32_e32 v30, v33, v32
	v_add_f32_e32 v22, v23, v22
	v_sub_f32_e32 v23, v29, v30
	v_add_f32_e32 v22, v22, v23
	v_add_f32_e32 v22, v33, v22
	v_cndmask_b32_e32 v22, 0x7f800000, v22, vcc_lo
	v_cmp_gt_f32_e64 vcc_lo, 0x33800000, |v24|
	v_cndmask_b32_e32 v22, v22, v24, vcc_lo
	v_add_f32_e32 v22, v19, v22
.LBB482_40:
	s_or_b32 exec_lo, exec_lo, s22
	v_bfe_u32 v19, v22, 16, 1
	v_cmp_o_f32_e32 vcc_lo, v22, v22
	v_and_b32_e32 v5, 0xffff0000, v5
	v_add3_u32 v19, v22, v19, 0x7fff
	v_max_f32_e32 v22, v5, v5
	v_cmp_u_f32_e64 s22, v5, v5
	v_and_b32_e32 v19, 0xffff0000, v19
	v_cndmask_b32_e32 v23, 0x7fc00000, v19, vcc_lo
	v_max_f32_e32 v19, v23, v23
	v_cmp_u_f32_e32 vcc_lo, v23, v23
	v_min_f32_e32 v24, v19, v22
	v_max_f32_e32 v19, v19, v22
	v_cndmask_b32_e32 v24, v24, v23, vcc_lo
	v_cndmask_b32_e32 v19, v19, v23, vcc_lo
	v_cndmask_b32_e64 v24, v24, v5, s22
	v_cndmask_b32_e64 v19, v19, v5, s22
	v_cmp_class_f32_e64 s23, v24, 0x1f8
	v_cmp_neq_f32_e32 vcc_lo, v24, v19
	s_or_b32 s24, vcc_lo, s23
	s_and_saveexec_b32 s23, s24
	s_cbranch_execz .LBB482_42
; %bb.41:
	v_sub_f32_e32 v23, v24, v19
	s_mov_b32 s24, 0x3e9b6dac
	v_mul_f32_e32 v24, 0x3fb8aa3b, v23
	v_cmp_ngt_f32_e32 vcc_lo, 0xc2ce8ed0, v23
	v_fma_f32 v29, 0x3fb8aa3b, v23, -v24
	v_rndne_f32_e32 v30, v24
	v_fmamk_f32 v29, v23, 0x32a5705f, v29
	v_sub_f32_e32 v24, v24, v30
	v_add_f32_e32 v24, v24, v29
	v_cvt_i32_f32_e32 v29, v30
	v_exp_f32_e32 v24, v24
	v_ldexp_f32 v24, v24, v29
	v_cndmask_b32_e32 v24, 0, v24, vcc_lo
	v_cmp_nlt_f32_e32 vcc_lo, 0x42b17218, v23
	v_cndmask_b32_e32 v29, 0x7f800000, v24, vcc_lo
	v_add_f32_e32 v30, 1.0, v29
	v_cvt_f64_f32_e32 v[23:24], v30
	v_frexp_exp_i32_f64_e32 v23, v[23:24]
	v_frexp_mant_f32_e32 v24, v30
	v_cmp_gt_f32_e32 vcc_lo, 0x3f2aaaab, v24
	v_add_f32_e32 v24, -1.0, v30
	v_sub_f32_e32 v32, v24, v30
	v_sub_f32_e32 v24, v29, v24
	v_add_f32_e32 v32, 1.0, v32
	v_add_f32_e32 v24, v24, v32
	v_subrev_co_ci_u32_e64 v23, null, 0, v23, vcc_lo
	v_cmp_neq_f32_e32 vcc_lo, 0x7f800000, v29
	v_sub_nc_u32_e32 v31, 0, v23
	v_cvt_f32_i32_e32 v23, v23
	v_ldexp_f32 v30, v30, v31
	v_ldexp_f32 v24, v24, v31
	v_add_f32_e32 v33, 1.0, v30
	v_add_f32_e32 v31, -1.0, v30
	v_add_f32_e32 v32, -1.0, v33
	v_add_f32_e32 v34, 1.0, v31
	v_sub_f32_e32 v32, v30, v32
	v_sub_f32_e32 v30, v30, v34
	v_add_f32_e32 v32, v24, v32
	v_add_f32_e32 v24, v24, v30
	;; [unrolled: 1-line block ×4, first 2 shown]
	v_rcp_f32_e32 v30, v34
	v_sub_f32_e32 v33, v33, v34
	v_sub_f32_e32 v31, v31, v35
	v_add_f32_e32 v32, v32, v33
	v_add_f32_e32 v24, v24, v31
	v_mul_f32_e32 v36, v35, v30
	v_mul_f32_e32 v37, v34, v36
	v_fma_f32 v33, v36, v34, -v37
	v_fmac_f32_e32 v33, v36, v32
	v_add_f32_e32 v38, v37, v33
	v_sub_f32_e32 v39, v35, v38
	v_sub_f32_e32 v31, v38, v37
	;; [unrolled: 1-line block ×5, first 2 shown]
	v_add_f32_e32 v24, v24, v35
	v_add_f32_e32 v24, v31, v24
	;; [unrolled: 1-line block ×3, first 2 shown]
	v_mul_f32_e32 v33, v30, v31
	v_sub_f32_e32 v38, v39, v31
	v_mul_f32_e32 v35, v34, v33
	v_add_f32_e32 v24, v24, v38
	v_fma_f32 v34, v33, v34, -v35
	v_fmac_f32_e32 v34, v33, v32
	v_add_f32_e32 v32, v35, v34
	v_sub_f32_e32 v37, v31, v32
	v_sub_f32_e32 v35, v32, v35
	;; [unrolled: 1-line block ×5, first 2 shown]
	v_add_f32_e32 v24, v24, v31
	v_add_f32_e32 v31, v36, v33
	;; [unrolled: 1-line block ×3, first 2 shown]
	v_sub_f32_e32 v32, v31, v36
	v_add_f32_e32 v24, v37, v24
	v_sub_f32_e32 v32, v33, v32
	v_mul_f32_e32 v24, v30, v24
	v_add_f32_e32 v24, v32, v24
	v_add_f32_e32 v30, v31, v24
	v_mul_f32_e32 v32, v30, v30
	v_fmaak_f32 v33, s24, v32, 0x3ecc95a3
	v_mul_f32_e32 v34, v30, v32
	v_fmaak_f32 v32, v32, v33, 0x3f2aaada
	v_ldexp_f32 v33, v30, 1
	v_sub_f32_e32 v30, v30, v31
	v_mul_f32_e32 v32, v34, v32
	v_mul_f32_e32 v34, 0x3f317218, v23
	v_sub_f32_e32 v24, v24, v30
	v_add_f32_e32 v31, v33, v32
	v_ldexp_f32 v24, v24, 1
	v_sub_f32_e32 v30, v31, v33
	v_fma_f32 v33, 0x3f317218, v23, -v34
	v_sub_f32_e32 v30, v32, v30
	v_fmamk_f32 v23, v23, 0xb102e308, v33
	v_add_f32_e32 v24, v24, v30
	v_add_f32_e32 v30, v34, v23
	v_add_f32_e32 v32, v31, v24
	v_sub_f32_e32 v34, v30, v34
	v_add_f32_e32 v33, v30, v32
	v_sub_f32_e32 v31, v32, v31
	v_sub_f32_e32 v23, v23, v34
	;; [unrolled: 1-line block ×6, first 2 shown]
	v_add_f32_e32 v32, v23, v24
	v_sub_f32_e32 v30, v30, v36
	v_add_f32_e32 v30, v31, v30
	v_sub_f32_e32 v31, v32, v23
	;; [unrolled: 2-line block ×3, first 2 shown]
	v_sub_f32_e32 v24, v24, v31
	v_add_f32_e32 v34, v33, v30
	v_sub_f32_e32 v23, v23, v32
	v_sub_f32_e32 v31, v34, v33
	v_add_f32_e32 v23, v24, v23
	v_sub_f32_e32 v24, v30, v31
	v_add_f32_e32 v23, v23, v24
	v_add_f32_e32 v23, v34, v23
	v_cndmask_b32_e32 v23, 0x7f800000, v23, vcc_lo
	v_cmp_gt_f32_e64 vcc_lo, 0x33800000, |v29|
	v_cndmask_b32_e32 v23, v23, v29, vcc_lo
	v_add_f32_e32 v23, v19, v23
.LBB482_42:
	s_or_b32 exec_lo, exec_lo, s23
	v_bfe_u32 v19, v23, 16, 1
	v_cmp_o_f32_e32 vcc_lo, v23, v23
	v_add3_u32 v19, v23, v19, 0x7fff
	v_and_b32_e32 v24, 0xffff0000, v19
	v_lshlrev_b32_e32 v19, 16, v6
	v_cndmask_b32_e32 v29, 0x7fc00000, v24, vcc_lo
	v_max_f32_e32 v23, v19, v19
	v_cmp_u_f32_e64 s23, v19, v19
	v_max_f32_e32 v24, v29, v29
	v_cmp_u_f32_e32 vcc_lo, v29, v29
	v_min_f32_e32 v30, v24, v23
	v_max_f32_e32 v24, v24, v23
	v_cndmask_b32_e32 v30, v30, v29, vcc_lo
	v_cndmask_b32_e32 v24, v24, v29, vcc_lo
	v_cndmask_b32_e64 v30, v30, v19, s23
	v_cndmask_b32_e64 v24, v24, v19, s23
	v_cmp_class_f32_e64 s24, v30, 0x1f8
	v_cmp_neq_f32_e32 vcc_lo, v30, v24
	s_or_b32 s26, vcc_lo, s24
	s_and_saveexec_b32 s24, s26
	s_cbranch_execz .LBB482_44
; %bb.43:
	v_sub_f32_e32 v29, v30, v24
	s_mov_b32 s26, 0x3e9b6dac
	v_mul_f32_e32 v30, 0x3fb8aa3b, v29
	v_cmp_ngt_f32_e32 vcc_lo, 0xc2ce8ed0, v29
	v_fma_f32 v31, 0x3fb8aa3b, v29, -v30
	v_rndne_f32_e32 v32, v30
	v_fmamk_f32 v31, v29, 0x32a5705f, v31
	v_sub_f32_e32 v30, v30, v32
	v_add_f32_e32 v30, v30, v31
	v_cvt_i32_f32_e32 v31, v32
	v_exp_f32_e32 v30, v30
	v_ldexp_f32 v30, v30, v31
	v_cndmask_b32_e32 v30, 0, v30, vcc_lo
	v_cmp_nlt_f32_e32 vcc_lo, 0x42b17218, v29
	v_cndmask_b32_e32 v31, 0x7f800000, v30, vcc_lo
	v_add_f32_e32 v32, 1.0, v31
	v_cvt_f64_f32_e32 v[29:30], v32
	v_frexp_exp_i32_f64_e32 v29, v[29:30]
	v_frexp_mant_f32_e32 v30, v32
	v_cmp_gt_f32_e32 vcc_lo, 0x3f2aaaab, v30
	v_add_f32_e32 v30, -1.0, v32
	v_sub_f32_e32 v34, v30, v32
	v_sub_f32_e32 v30, v31, v30
	v_add_f32_e32 v34, 1.0, v34
	v_add_f32_e32 v30, v30, v34
	v_subrev_co_ci_u32_e64 v29, null, 0, v29, vcc_lo
	v_cmp_neq_f32_e32 vcc_lo, 0x7f800000, v31
	v_sub_nc_u32_e32 v33, 0, v29
	v_cvt_f32_i32_e32 v29, v29
	v_ldexp_f32 v32, v32, v33
	v_ldexp_f32 v30, v30, v33
	v_add_f32_e32 v35, 1.0, v32
	v_add_f32_e32 v33, -1.0, v32
	v_add_f32_e32 v34, -1.0, v35
	v_add_f32_e32 v36, 1.0, v33
	v_sub_f32_e32 v34, v32, v34
	v_sub_f32_e32 v32, v32, v36
	v_add_f32_e32 v34, v30, v34
	v_add_f32_e32 v30, v30, v32
	;; [unrolled: 1-line block ×4, first 2 shown]
	v_rcp_f32_e32 v32, v36
	v_sub_f32_e32 v35, v35, v36
	v_sub_f32_e32 v33, v33, v37
	v_add_f32_e32 v34, v34, v35
	v_add_f32_e32 v30, v30, v33
	v_mul_f32_e32 v38, v37, v32
	v_mul_f32_e32 v39, v36, v38
	v_fma_f32 v35, v38, v36, -v39
	v_fmac_f32_e32 v35, v38, v34
	v_add_f32_e32 v40, v39, v35
	v_sub_f32_e32 v41, v37, v40
	v_sub_f32_e32 v33, v40, v39
	;; [unrolled: 1-line block ×5, first 2 shown]
	v_add_f32_e32 v30, v30, v37
	v_add_f32_e32 v30, v33, v30
	;; [unrolled: 1-line block ×3, first 2 shown]
	v_mul_f32_e32 v35, v32, v33
	v_sub_f32_e32 v40, v41, v33
	v_mul_f32_e32 v37, v36, v35
	v_add_f32_e32 v30, v30, v40
	v_fma_f32 v36, v35, v36, -v37
	v_fmac_f32_e32 v36, v35, v34
	v_add_f32_e32 v34, v37, v36
	v_sub_f32_e32 v39, v33, v34
	v_sub_f32_e32 v37, v34, v37
	;; [unrolled: 1-line block ×5, first 2 shown]
	v_add_f32_e32 v30, v30, v33
	v_add_f32_e32 v33, v38, v35
	;; [unrolled: 1-line block ×3, first 2 shown]
	v_sub_f32_e32 v34, v33, v38
	v_add_f32_e32 v30, v39, v30
	v_sub_f32_e32 v34, v35, v34
	v_mul_f32_e32 v30, v32, v30
	v_add_f32_e32 v30, v34, v30
	v_add_f32_e32 v32, v33, v30
	v_mul_f32_e32 v34, v32, v32
	v_fmaak_f32 v35, s26, v34, 0x3ecc95a3
	v_mul_f32_e32 v36, v32, v34
	v_fmaak_f32 v34, v34, v35, 0x3f2aaada
	v_ldexp_f32 v35, v32, 1
	v_sub_f32_e32 v32, v32, v33
	v_mul_f32_e32 v34, v36, v34
	v_mul_f32_e32 v36, 0x3f317218, v29
	v_sub_f32_e32 v30, v30, v32
	v_add_f32_e32 v33, v35, v34
	v_ldexp_f32 v30, v30, 1
	v_sub_f32_e32 v32, v33, v35
	v_fma_f32 v35, 0x3f317218, v29, -v36
	v_sub_f32_e32 v32, v34, v32
	v_fmamk_f32 v29, v29, 0xb102e308, v35
	v_add_f32_e32 v30, v30, v32
	v_add_f32_e32 v32, v36, v29
	;; [unrolled: 1-line block ×3, first 2 shown]
	v_sub_f32_e32 v36, v32, v36
	v_add_f32_e32 v35, v32, v34
	v_sub_f32_e32 v33, v34, v33
	v_sub_f32_e32 v29, v29, v36
	;; [unrolled: 1-line block ×6, first 2 shown]
	v_add_f32_e32 v34, v29, v30
	v_sub_f32_e32 v32, v32, v38
	v_add_f32_e32 v32, v33, v32
	v_sub_f32_e32 v33, v34, v29
	;; [unrolled: 2-line block ×3, first 2 shown]
	v_sub_f32_e32 v30, v30, v33
	v_add_f32_e32 v36, v35, v32
	v_sub_f32_e32 v29, v29, v34
	v_sub_f32_e32 v33, v36, v35
	v_add_f32_e32 v29, v30, v29
	v_sub_f32_e32 v30, v32, v33
	v_add_f32_e32 v29, v29, v30
	v_add_f32_e32 v29, v36, v29
	v_cndmask_b32_e32 v29, 0x7f800000, v29, vcc_lo
	v_cmp_gt_f32_e64 vcc_lo, 0x33800000, |v31|
	v_cndmask_b32_e32 v29, v29, v31, vcc_lo
	v_add_f32_e32 v29, v24, v29
.LBB482_44:
	s_or_b32 exec_lo, exec_lo, s24
	v_bfe_u32 v24, v29, 16, 1
	v_cmp_o_f32_e32 vcc_lo, v29, v29
	v_and_b32_e32 v6, 0xffff0000, v6
	v_add3_u32 v24, v29, v24, 0x7fff
	v_cmp_u_f32_e64 s24, v6, v6
	v_and_b32_e32 v24, 0xffff0000, v24
	v_cndmask_b32_e32 v30, 0x7fc00000, v24, vcc_lo
	v_max_f32_e32 v24, v6, v6
	v_max_f32_e32 v29, v30, v30
	v_cmp_u_f32_e32 vcc_lo, v30, v30
	v_min_f32_e32 v31, v29, v24
	v_max_f32_e32 v29, v29, v24
	v_cndmask_b32_e32 v31, v31, v30, vcc_lo
	v_cndmask_b32_e32 v29, v29, v30, vcc_lo
	v_cndmask_b32_e64 v31, v31, v6, s24
	v_cndmask_b32_e64 v29, v29, v6, s24
	v_cmp_class_f32_e64 s26, v31, 0x1f8
	v_cmp_neq_f32_e32 vcc_lo, v31, v29
	s_or_b32 s27, vcc_lo, s26
	s_and_saveexec_b32 s26, s27
	s_cbranch_execz .LBB482_46
; %bb.45:
	v_sub_f32_e32 v30, v31, v29
	s_mov_b32 s27, 0x3e9b6dac
	v_mul_f32_e32 v31, 0x3fb8aa3b, v30
	v_cmp_ngt_f32_e32 vcc_lo, 0xc2ce8ed0, v30
	v_fma_f32 v32, 0x3fb8aa3b, v30, -v31
	v_rndne_f32_e32 v33, v31
	v_fmamk_f32 v32, v30, 0x32a5705f, v32
	v_sub_f32_e32 v31, v31, v33
	v_add_f32_e32 v31, v31, v32
	v_cvt_i32_f32_e32 v32, v33
	v_exp_f32_e32 v31, v31
	v_ldexp_f32 v31, v31, v32
	v_cndmask_b32_e32 v31, 0, v31, vcc_lo
	v_cmp_nlt_f32_e32 vcc_lo, 0x42b17218, v30
	v_cndmask_b32_e32 v32, 0x7f800000, v31, vcc_lo
	v_add_f32_e32 v33, 1.0, v32
	v_cvt_f64_f32_e32 v[30:31], v33
	v_frexp_exp_i32_f64_e32 v30, v[30:31]
	v_frexp_mant_f32_e32 v31, v33
	v_cmp_gt_f32_e32 vcc_lo, 0x3f2aaaab, v31
	v_add_f32_e32 v31, -1.0, v33
	v_sub_f32_e32 v35, v31, v33
	v_sub_f32_e32 v31, v32, v31
	v_add_f32_e32 v35, 1.0, v35
	v_add_f32_e32 v31, v31, v35
	v_subrev_co_ci_u32_e64 v30, null, 0, v30, vcc_lo
	v_cmp_neq_f32_e32 vcc_lo, 0x7f800000, v32
	v_sub_nc_u32_e32 v34, 0, v30
	v_cvt_f32_i32_e32 v30, v30
	v_ldexp_f32 v33, v33, v34
	v_ldexp_f32 v31, v31, v34
	v_add_f32_e32 v36, 1.0, v33
	v_add_f32_e32 v34, -1.0, v33
	v_add_f32_e32 v35, -1.0, v36
	v_add_f32_e32 v37, 1.0, v34
	v_sub_f32_e32 v35, v33, v35
	v_sub_f32_e32 v33, v33, v37
	v_add_f32_e32 v35, v31, v35
	v_add_f32_e32 v31, v31, v33
	v_add_f32_e32 v37, v36, v35
	v_add_f32_e32 v38, v34, v31
	v_rcp_f32_e32 v33, v37
	v_sub_f32_e32 v36, v36, v37
	v_sub_f32_e32 v34, v34, v38
	v_add_f32_e32 v35, v35, v36
	v_add_f32_e32 v31, v31, v34
	v_mul_f32_e32 v39, v38, v33
	v_mul_f32_e32 v40, v37, v39
	v_fma_f32 v36, v39, v37, -v40
	v_fmac_f32_e32 v36, v39, v35
	v_add_f32_e32 v41, v40, v36
	v_sub_f32_e32 v42, v38, v41
	v_sub_f32_e32 v34, v41, v40
	v_sub_f32_e32 v38, v38, v42
	v_sub_f32_e32 v34, v34, v36
	v_sub_f32_e32 v38, v38, v41
	v_add_f32_e32 v31, v31, v38
	v_add_f32_e32 v31, v34, v31
	;; [unrolled: 1-line block ×3, first 2 shown]
	v_mul_f32_e32 v36, v33, v34
	v_sub_f32_e32 v41, v42, v34
	v_mul_f32_e32 v38, v37, v36
	v_add_f32_e32 v31, v31, v41
	v_fma_f32 v37, v36, v37, -v38
	v_fmac_f32_e32 v37, v36, v35
	v_add_f32_e32 v35, v38, v37
	v_sub_f32_e32 v40, v34, v35
	v_sub_f32_e32 v38, v35, v38
	;; [unrolled: 1-line block ×5, first 2 shown]
	v_add_f32_e32 v31, v31, v34
	v_add_f32_e32 v34, v39, v36
	;; [unrolled: 1-line block ×3, first 2 shown]
	v_sub_f32_e32 v35, v34, v39
	v_add_f32_e32 v31, v40, v31
	v_sub_f32_e32 v35, v36, v35
	v_mul_f32_e32 v31, v33, v31
	v_add_f32_e32 v31, v35, v31
	v_add_f32_e32 v33, v34, v31
	v_mul_f32_e32 v35, v33, v33
	v_fmaak_f32 v36, s27, v35, 0x3ecc95a3
	v_mul_f32_e32 v37, v33, v35
	v_fmaak_f32 v35, v35, v36, 0x3f2aaada
	v_ldexp_f32 v36, v33, 1
	v_sub_f32_e32 v33, v33, v34
	v_mul_f32_e32 v35, v37, v35
	v_mul_f32_e32 v37, 0x3f317218, v30
	v_sub_f32_e32 v31, v31, v33
	v_add_f32_e32 v34, v36, v35
	v_ldexp_f32 v31, v31, 1
	v_sub_f32_e32 v33, v34, v36
	v_fma_f32 v36, 0x3f317218, v30, -v37
	v_sub_f32_e32 v33, v35, v33
	v_fmamk_f32 v30, v30, 0xb102e308, v36
	v_add_f32_e32 v31, v31, v33
	v_add_f32_e32 v33, v37, v30
	;; [unrolled: 1-line block ×3, first 2 shown]
	v_sub_f32_e32 v37, v33, v37
	v_add_f32_e32 v36, v33, v35
	v_sub_f32_e32 v34, v35, v34
	v_sub_f32_e32 v30, v30, v37
	;; [unrolled: 1-line block ×6, first 2 shown]
	v_add_f32_e32 v35, v30, v31
	v_sub_f32_e32 v33, v33, v39
	v_add_f32_e32 v33, v34, v33
	v_sub_f32_e32 v34, v35, v30
	;; [unrolled: 2-line block ×3, first 2 shown]
	v_sub_f32_e32 v31, v31, v34
	v_add_f32_e32 v37, v36, v33
	v_sub_f32_e32 v30, v30, v35
	v_sub_f32_e32 v34, v37, v36
	v_add_f32_e32 v30, v31, v30
	v_sub_f32_e32 v31, v33, v34
	v_add_f32_e32 v30, v30, v31
	v_add_f32_e32 v30, v37, v30
	v_cndmask_b32_e32 v30, 0x7f800000, v30, vcc_lo
	v_cmp_gt_f32_e64 vcc_lo, 0x33800000, |v32|
	v_cndmask_b32_e32 v30, v30, v32, vcc_lo
	v_add_f32_e32 v30, v29, v30
.LBB482_46:
	s_or_b32 exec_lo, exec_lo, s26
	s_load_dwordx2 s[26:27], s[4:5], 0x18
	v_bfe_u32 v29, v30, 16, 1
	v_lshrrev_b32_e32 v31, 4, v0
	v_cmp_o_f32_e32 vcc_lo, v30, v30
	s_mov_b32 s5, exec_lo
	v_add3_u32 v29, v30, v29, 0x7fff
	v_mov_b32_e32 v30, 0x7fc0
	v_and_b32_e32 v31, 2, v31
	v_cndmask_b32_sdwa v30, v30, v29, vcc_lo dst_sel:DWORD dst_unused:UNUSED_PAD src0_sel:DWORD src1_sel:WORD_1
	v_lshl_add_u32 v29, v0, 1, v31
	ds_write_b16 v29, v30
	s_waitcnt lgkmcnt(0)
	s_barrier
	buffer_gl0_inv
	v_cmpx_gt_u32_e32 32, v0
	s_cbranch_execz .LBB482_74
; %bb.47:
	v_lshrrev_b32_e32 v29, 3, v0
	v_lshlrev_b32_e32 v31, 2, v0
	v_and_b32_e32 v29, 6, v29
	v_add_nc_u32_e32 v29, v29, v31
	ds_read_u16 v31, v29 offset:2
	ds_read_u16 v32, v29
	s_waitcnt lgkmcnt(1)
	v_lshlrev_b32_e32 v33, 16, v31
	s_waitcnt lgkmcnt(0)
	v_lshlrev_b32_e32 v31, 16, v32
	v_max_f32_e32 v34, v33, v33
	v_max_f32_e32 v32, v31, v31
	v_cmp_u_f32_e64 s4, v31, v31
	v_cmp_u_f32_e32 vcc_lo, v33, v33
	v_min_f32_e32 v35, v32, v34
	v_max_f32_e32 v34, v32, v34
	v_cndmask_b32_e64 v35, v35, v31, s4
	v_cndmask_b32_e64 v34, v34, v31, s4
	v_cndmask_b32_e32 v35, v35, v33, vcc_lo
	v_cndmask_b32_e32 v33, v34, v33, vcc_lo
	v_mov_b32_e32 v34, v31
	v_cmp_class_f32_e64 s28, v35, 0x1f8
	v_cmp_neq_f32_e32 vcc_lo, v35, v33
	s_or_b32 s29, vcc_lo, s28
	s_and_saveexec_b32 s28, s29
	s_cbranch_execz .LBB482_49
; %bb.48:
	v_sub_f32_e32 v34, v35, v33
	s_mov_b32 s29, 0x3e9b6dac
	v_mul_f32_e32 v35, 0x3fb8aa3b, v34
	v_cmp_ngt_f32_e32 vcc_lo, 0xc2ce8ed0, v34
	v_fma_f32 v36, 0x3fb8aa3b, v34, -v35
	v_rndne_f32_e32 v37, v35
	v_fmamk_f32 v36, v34, 0x32a5705f, v36
	v_sub_f32_e32 v35, v35, v37
	v_add_f32_e32 v35, v35, v36
	v_cvt_i32_f32_e32 v36, v37
	v_exp_f32_e32 v35, v35
	v_ldexp_f32 v35, v35, v36
	v_cndmask_b32_e32 v35, 0, v35, vcc_lo
	v_cmp_nlt_f32_e32 vcc_lo, 0x42b17218, v34
	v_cndmask_b32_e32 v36, 0x7f800000, v35, vcc_lo
	v_add_f32_e32 v37, 1.0, v36
	v_cvt_f64_f32_e32 v[34:35], v37
	v_frexp_exp_i32_f64_e32 v34, v[34:35]
	v_frexp_mant_f32_e32 v35, v37
	v_cmp_gt_f32_e32 vcc_lo, 0x3f2aaaab, v35
	v_add_f32_e32 v35, -1.0, v37
	v_sub_f32_e32 v39, v35, v37
	v_sub_f32_e32 v35, v36, v35
	v_add_f32_e32 v39, 1.0, v39
	v_add_f32_e32 v35, v35, v39
	v_subrev_co_ci_u32_e64 v34, null, 0, v34, vcc_lo
	v_cmp_neq_f32_e32 vcc_lo, 0x7f800000, v36
	v_sub_nc_u32_e32 v38, 0, v34
	v_cvt_f32_i32_e32 v34, v34
	v_ldexp_f32 v37, v37, v38
	v_ldexp_f32 v35, v35, v38
	v_add_f32_e32 v40, 1.0, v37
	v_add_f32_e32 v38, -1.0, v37
	v_add_f32_e32 v39, -1.0, v40
	v_add_f32_e32 v41, 1.0, v38
	v_sub_f32_e32 v39, v37, v39
	v_sub_f32_e32 v37, v37, v41
	v_add_f32_e32 v39, v35, v39
	v_add_f32_e32 v35, v35, v37
	;; [unrolled: 1-line block ×4, first 2 shown]
	v_rcp_f32_e32 v37, v41
	v_sub_f32_e32 v40, v40, v41
	v_sub_f32_e32 v38, v38, v42
	v_add_f32_e32 v39, v39, v40
	v_add_f32_e32 v35, v35, v38
	v_mul_f32_e32 v43, v42, v37
	v_mul_f32_e32 v44, v41, v43
	v_fma_f32 v40, v43, v41, -v44
	v_fmac_f32_e32 v40, v43, v39
	v_add_f32_e32 v45, v44, v40
	v_sub_f32_e32 v46, v42, v45
	v_sub_f32_e32 v38, v45, v44
	;; [unrolled: 1-line block ×5, first 2 shown]
	v_add_f32_e32 v35, v35, v42
	v_add_f32_e32 v35, v38, v35
	;; [unrolled: 1-line block ×3, first 2 shown]
	v_mul_f32_e32 v40, v37, v38
	v_sub_f32_e32 v45, v46, v38
	v_mul_f32_e32 v42, v41, v40
	v_add_f32_e32 v35, v35, v45
	v_fma_f32 v41, v40, v41, -v42
	v_fmac_f32_e32 v41, v40, v39
	v_add_f32_e32 v39, v42, v41
	v_sub_f32_e32 v44, v38, v39
	v_sub_f32_e32 v42, v39, v42
	;; [unrolled: 1-line block ×5, first 2 shown]
	v_add_f32_e32 v35, v35, v38
	v_add_f32_e32 v38, v43, v40
	;; [unrolled: 1-line block ×3, first 2 shown]
	v_sub_f32_e32 v39, v38, v43
	v_add_f32_e32 v35, v44, v35
	v_sub_f32_e32 v39, v40, v39
	v_mul_f32_e32 v35, v37, v35
	v_add_f32_e32 v35, v39, v35
	v_add_f32_e32 v37, v38, v35
	v_mul_f32_e32 v39, v37, v37
	v_fmaak_f32 v40, s29, v39, 0x3ecc95a3
	v_mul_f32_e32 v41, v37, v39
	v_fmaak_f32 v39, v39, v40, 0x3f2aaada
	v_ldexp_f32 v40, v37, 1
	v_sub_f32_e32 v37, v37, v38
	v_mul_f32_e32 v39, v41, v39
	v_mul_f32_e32 v41, 0x3f317218, v34
	v_sub_f32_e32 v35, v35, v37
	v_add_f32_e32 v38, v40, v39
	v_ldexp_f32 v35, v35, 1
	v_sub_f32_e32 v37, v38, v40
	v_fma_f32 v40, 0x3f317218, v34, -v41
	v_sub_f32_e32 v37, v39, v37
	v_fmamk_f32 v34, v34, 0xb102e308, v40
	v_add_f32_e32 v35, v35, v37
	v_add_f32_e32 v37, v41, v34
	v_add_f32_e32 v39, v38, v35
	v_sub_f32_e32 v41, v37, v41
	v_add_f32_e32 v40, v37, v39
	v_sub_f32_e32 v38, v39, v38
	v_sub_f32_e32 v34, v34, v41
	;; [unrolled: 1-line block ×6, first 2 shown]
	v_add_f32_e32 v39, v34, v35
	v_sub_f32_e32 v37, v37, v43
	v_add_f32_e32 v37, v38, v37
	v_sub_f32_e32 v38, v39, v34
	;; [unrolled: 2-line block ×3, first 2 shown]
	v_sub_f32_e32 v35, v35, v38
	v_add_f32_e32 v41, v40, v37
	v_sub_f32_e32 v34, v34, v39
	v_sub_f32_e32 v38, v41, v40
	v_add_f32_e32 v34, v35, v34
	v_sub_f32_e32 v35, v37, v38
	v_add_f32_e32 v34, v34, v35
	v_add_f32_e32 v34, v41, v34
	v_cndmask_b32_e32 v34, 0x7f800000, v34, vcc_lo
	v_cmp_gt_f32_e64 vcc_lo, 0x33800000, |v36|
	v_cndmask_b32_e32 v34, v34, v36, vcc_lo
	v_add_f32_e32 v34, v33, v34
.LBB482_49:
	s_or_b32 exec_lo, exec_lo, s28
	v_bfe_u32 v33, v34, 16, 1
	v_cmp_o_f32_e32 vcc_lo, v34, v34
	v_mov_b32_e32 v35, 0x7fc0
	s_mov_b32 s28, exec_lo
	v_add3_u32 v33, v34, v33, 0x7fff
	v_cndmask_b32_sdwa v35, v35, v33, vcc_lo dst_sel:DWORD dst_unused:UNUSED_PAD src0_sel:DWORD src1_sel:WORD_1
	v_mbcnt_lo_u32_b32 v33, -1, 0
	v_and_b32_e32 v36, 0xffff, v35
	v_and_b32_e32 v34, 15, v33
	v_mov_b32_dpp v37, v36 row_shr:1 row_mask:0xf bank_mask:0xf
	v_cmpx_ne_u32_e32 0, v34
	s_xor_b32 s28, exec_lo, s28
	s_cbranch_execz .LBB482_53
; %bb.50:
	v_lshlrev_b32_e32 v35, 16, v36
	v_lshlrev_b32_e32 v36, 16, v37
	v_max_f32_e32 v37, v35, v35
	v_max_f32_e32 v38, v36, v36
	v_cmp_u_f32_e32 vcc_lo, v36, v36
	v_min_f32_e32 v39, v38, v37
	v_max_f32_e32 v37, v38, v37
	v_cndmask_b32_e32 v38, v39, v36, vcc_lo
	v_cndmask_b32_e32 v39, v37, v36, vcc_lo
	v_cmp_u_f32_e32 vcc_lo, v35, v35
	v_cndmask_b32_e32 v37, v38, v35, vcc_lo
	v_cndmask_b32_e32 v35, v39, v35, vcc_lo
	v_cmp_class_f32_e64 s29, v37, 0x1f8
	v_cmp_neq_f32_e32 vcc_lo, v37, v35
	s_or_b32 s30, vcc_lo, s29
	s_and_saveexec_b32 s29, s30
	s_cbranch_execz .LBB482_52
; %bb.51:
	v_sub_f32_e32 v36, v37, v35
	s_mov_b32 s30, 0x3e9b6dac
	v_mul_f32_e32 v37, 0x3fb8aa3b, v36
	v_cmp_ngt_f32_e32 vcc_lo, 0xc2ce8ed0, v36
	v_fma_f32 v38, 0x3fb8aa3b, v36, -v37
	v_rndne_f32_e32 v39, v37
	v_fmamk_f32 v38, v36, 0x32a5705f, v38
	v_sub_f32_e32 v37, v37, v39
	v_add_f32_e32 v37, v37, v38
	v_cvt_i32_f32_e32 v38, v39
	v_exp_f32_e32 v37, v37
	v_ldexp_f32 v37, v37, v38
	v_cndmask_b32_e32 v37, 0, v37, vcc_lo
	v_cmp_nlt_f32_e32 vcc_lo, 0x42b17218, v36
	v_cndmask_b32_e32 v38, 0x7f800000, v37, vcc_lo
	v_add_f32_e32 v39, 1.0, v38
	v_cvt_f64_f32_e32 v[36:37], v39
	v_frexp_exp_i32_f64_e32 v36, v[36:37]
	v_frexp_mant_f32_e32 v37, v39
	v_cmp_gt_f32_e32 vcc_lo, 0x3f2aaaab, v37
	v_add_f32_e32 v37, -1.0, v39
	v_sub_f32_e32 v41, v37, v39
	v_sub_f32_e32 v37, v38, v37
	v_add_f32_e32 v41, 1.0, v41
	v_add_f32_e32 v37, v37, v41
	v_subrev_co_ci_u32_e64 v36, null, 0, v36, vcc_lo
	v_cmp_neq_f32_e32 vcc_lo, 0x7f800000, v38
	v_sub_nc_u32_e32 v40, 0, v36
	v_cvt_f32_i32_e32 v36, v36
	v_ldexp_f32 v39, v39, v40
	v_ldexp_f32 v37, v37, v40
	v_add_f32_e32 v42, 1.0, v39
	v_add_f32_e32 v40, -1.0, v39
	v_add_f32_e32 v41, -1.0, v42
	v_add_f32_e32 v43, 1.0, v40
	v_sub_f32_e32 v41, v39, v41
	v_sub_f32_e32 v39, v39, v43
	v_add_f32_e32 v41, v37, v41
	v_add_f32_e32 v37, v37, v39
	;; [unrolled: 1-line block ×4, first 2 shown]
	v_rcp_f32_e32 v39, v43
	v_sub_f32_e32 v42, v42, v43
	v_sub_f32_e32 v40, v40, v44
	v_add_f32_e32 v41, v41, v42
	v_add_f32_e32 v37, v37, v40
	v_mul_f32_e32 v45, v44, v39
	v_mul_f32_e32 v46, v43, v45
	v_fma_f32 v42, v45, v43, -v46
	v_fmac_f32_e32 v42, v45, v41
	v_add_f32_e32 v47, v46, v42
	v_sub_f32_e32 v48, v44, v47
	v_sub_f32_e32 v40, v47, v46
	;; [unrolled: 1-line block ×5, first 2 shown]
	v_add_f32_e32 v37, v37, v44
	v_add_f32_e32 v37, v40, v37
	;; [unrolled: 1-line block ×3, first 2 shown]
	v_mul_f32_e32 v42, v39, v40
	v_sub_f32_e32 v47, v48, v40
	v_mul_f32_e32 v44, v43, v42
	v_add_f32_e32 v37, v37, v47
	v_fma_f32 v43, v42, v43, -v44
	v_fmac_f32_e32 v43, v42, v41
	v_add_f32_e32 v41, v44, v43
	v_sub_f32_e32 v46, v40, v41
	v_sub_f32_e32 v44, v41, v44
	;; [unrolled: 1-line block ×5, first 2 shown]
	v_add_f32_e32 v37, v37, v40
	v_add_f32_e32 v40, v45, v42
	;; [unrolled: 1-line block ×3, first 2 shown]
	v_sub_f32_e32 v41, v40, v45
	v_add_f32_e32 v37, v46, v37
	v_sub_f32_e32 v41, v42, v41
	v_mul_f32_e32 v37, v39, v37
	v_add_f32_e32 v37, v41, v37
	v_add_f32_e32 v39, v40, v37
	v_mul_f32_e32 v41, v39, v39
	v_fmaak_f32 v42, s30, v41, 0x3ecc95a3
	v_mul_f32_e32 v43, v39, v41
	v_fmaak_f32 v41, v41, v42, 0x3f2aaada
	v_ldexp_f32 v42, v39, 1
	v_sub_f32_e32 v39, v39, v40
	v_mul_f32_e32 v41, v43, v41
	v_mul_f32_e32 v43, 0x3f317218, v36
	v_sub_f32_e32 v37, v37, v39
	v_add_f32_e32 v40, v42, v41
	v_ldexp_f32 v37, v37, 1
	v_sub_f32_e32 v39, v40, v42
	v_fma_f32 v42, 0x3f317218, v36, -v43
	v_sub_f32_e32 v39, v41, v39
	v_fmamk_f32 v36, v36, 0xb102e308, v42
	v_add_f32_e32 v37, v37, v39
	v_add_f32_e32 v39, v43, v36
	;; [unrolled: 1-line block ×3, first 2 shown]
	v_sub_f32_e32 v43, v39, v43
	v_add_f32_e32 v42, v39, v41
	v_sub_f32_e32 v40, v41, v40
	v_sub_f32_e32 v36, v36, v43
	;; [unrolled: 1-line block ×6, first 2 shown]
	v_add_f32_e32 v41, v36, v37
	v_sub_f32_e32 v39, v39, v45
	v_add_f32_e32 v39, v40, v39
	v_sub_f32_e32 v40, v41, v36
	;; [unrolled: 2-line block ×3, first 2 shown]
	v_sub_f32_e32 v37, v37, v40
	v_add_f32_e32 v43, v42, v39
	v_sub_f32_e32 v36, v36, v41
	v_sub_f32_e32 v40, v43, v42
	v_add_f32_e32 v36, v37, v36
	v_sub_f32_e32 v37, v39, v40
	v_add_f32_e32 v36, v36, v37
	v_add_f32_e32 v36, v43, v36
	v_cndmask_b32_e32 v36, 0x7f800000, v36, vcc_lo
	v_cmp_gt_f32_e64 vcc_lo, 0x33800000, |v38|
	v_cndmask_b32_e32 v36, v36, v38, vcc_lo
	v_add_f32_e32 v36, v35, v36
.LBB482_52:
	s_or_b32 exec_lo, exec_lo, s29
	v_bfe_u32 v35, v36, 16, 1
	v_cmp_o_f32_e32 vcc_lo, v36, v36
	v_add3_u32 v35, v36, v35, 0x7fff
	v_mov_b32_e32 v36, 0x7fc0
	v_cndmask_b32_sdwa v35, v36, v35, vcc_lo dst_sel:DWORD dst_unused:UNUSED_PAD src0_sel:DWORD src1_sel:WORD_1
	v_and_b32_e32 v36, 0xffff, v35
.LBB482_53:
	s_or_b32 exec_lo, exec_lo, s28
	v_mov_b32_dpp v37, v36 row_shr:2 row_mask:0xf bank_mask:0xf
	s_mov_b32 s28, exec_lo
	v_cmpx_lt_u32_e32 1, v34
	s_cbranch_execz .LBB482_57
; %bb.54:
	v_lshlrev_b32_e32 v35, 16, v36
	v_lshlrev_b32_e32 v36, 16, v37
	v_max_f32_e32 v37, v35, v35
	v_max_f32_e32 v38, v36, v36
	v_cmp_u_f32_e32 vcc_lo, v36, v36
	v_min_f32_e32 v39, v38, v37
	v_max_f32_e32 v37, v38, v37
	v_cndmask_b32_e32 v38, v39, v36, vcc_lo
	v_cndmask_b32_e32 v39, v37, v36, vcc_lo
	v_cmp_u_f32_e32 vcc_lo, v35, v35
	v_cndmask_b32_e32 v37, v38, v35, vcc_lo
	v_cndmask_b32_e32 v35, v39, v35, vcc_lo
	v_cmp_class_f32_e64 s29, v37, 0x1f8
	v_cmp_neq_f32_e32 vcc_lo, v37, v35
	s_or_b32 s30, vcc_lo, s29
	s_and_saveexec_b32 s29, s30
	s_cbranch_execz .LBB482_56
; %bb.55:
	v_sub_f32_e32 v36, v37, v35
	s_mov_b32 s30, 0x3e9b6dac
	v_mul_f32_e32 v37, 0x3fb8aa3b, v36
	v_cmp_ngt_f32_e32 vcc_lo, 0xc2ce8ed0, v36
	v_fma_f32 v38, 0x3fb8aa3b, v36, -v37
	v_rndne_f32_e32 v39, v37
	v_fmamk_f32 v38, v36, 0x32a5705f, v38
	v_sub_f32_e32 v37, v37, v39
	v_add_f32_e32 v37, v37, v38
	v_cvt_i32_f32_e32 v38, v39
	v_exp_f32_e32 v37, v37
	v_ldexp_f32 v37, v37, v38
	v_cndmask_b32_e32 v37, 0, v37, vcc_lo
	v_cmp_nlt_f32_e32 vcc_lo, 0x42b17218, v36
	v_cndmask_b32_e32 v38, 0x7f800000, v37, vcc_lo
	v_add_f32_e32 v39, 1.0, v38
	v_cvt_f64_f32_e32 v[36:37], v39
	v_frexp_exp_i32_f64_e32 v36, v[36:37]
	v_frexp_mant_f32_e32 v37, v39
	v_cmp_gt_f32_e32 vcc_lo, 0x3f2aaaab, v37
	v_add_f32_e32 v37, -1.0, v39
	v_sub_f32_e32 v41, v37, v39
	v_sub_f32_e32 v37, v38, v37
	v_add_f32_e32 v41, 1.0, v41
	v_add_f32_e32 v37, v37, v41
	v_subrev_co_ci_u32_e64 v36, null, 0, v36, vcc_lo
	v_cmp_neq_f32_e32 vcc_lo, 0x7f800000, v38
	v_sub_nc_u32_e32 v40, 0, v36
	v_cvt_f32_i32_e32 v36, v36
	v_ldexp_f32 v39, v39, v40
	v_ldexp_f32 v37, v37, v40
	v_add_f32_e32 v42, 1.0, v39
	v_add_f32_e32 v40, -1.0, v39
	v_add_f32_e32 v41, -1.0, v42
	v_add_f32_e32 v43, 1.0, v40
	v_sub_f32_e32 v41, v39, v41
	v_sub_f32_e32 v39, v39, v43
	v_add_f32_e32 v41, v37, v41
	v_add_f32_e32 v37, v37, v39
	;; [unrolled: 1-line block ×4, first 2 shown]
	v_rcp_f32_e32 v39, v43
	v_sub_f32_e32 v42, v42, v43
	v_sub_f32_e32 v40, v40, v44
	v_add_f32_e32 v41, v41, v42
	v_add_f32_e32 v37, v37, v40
	v_mul_f32_e32 v45, v44, v39
	v_mul_f32_e32 v46, v43, v45
	v_fma_f32 v42, v45, v43, -v46
	v_fmac_f32_e32 v42, v45, v41
	v_add_f32_e32 v47, v46, v42
	v_sub_f32_e32 v48, v44, v47
	v_sub_f32_e32 v40, v47, v46
	;; [unrolled: 1-line block ×5, first 2 shown]
	v_add_f32_e32 v37, v37, v44
	v_add_f32_e32 v37, v40, v37
	;; [unrolled: 1-line block ×3, first 2 shown]
	v_mul_f32_e32 v42, v39, v40
	v_sub_f32_e32 v47, v48, v40
	v_mul_f32_e32 v44, v43, v42
	v_add_f32_e32 v37, v37, v47
	v_fma_f32 v43, v42, v43, -v44
	v_fmac_f32_e32 v43, v42, v41
	v_add_f32_e32 v41, v44, v43
	v_sub_f32_e32 v46, v40, v41
	v_sub_f32_e32 v44, v41, v44
	;; [unrolled: 1-line block ×5, first 2 shown]
	v_add_f32_e32 v37, v37, v40
	v_add_f32_e32 v40, v45, v42
	;; [unrolled: 1-line block ×3, first 2 shown]
	v_sub_f32_e32 v41, v40, v45
	v_add_f32_e32 v37, v46, v37
	v_sub_f32_e32 v41, v42, v41
	v_mul_f32_e32 v37, v39, v37
	v_add_f32_e32 v37, v41, v37
	v_add_f32_e32 v39, v40, v37
	v_mul_f32_e32 v41, v39, v39
	v_fmaak_f32 v42, s30, v41, 0x3ecc95a3
	v_mul_f32_e32 v43, v39, v41
	v_fmaak_f32 v41, v41, v42, 0x3f2aaada
	v_ldexp_f32 v42, v39, 1
	v_sub_f32_e32 v39, v39, v40
	v_mul_f32_e32 v41, v43, v41
	v_mul_f32_e32 v43, 0x3f317218, v36
	v_sub_f32_e32 v37, v37, v39
	v_add_f32_e32 v40, v42, v41
	v_ldexp_f32 v37, v37, 1
	v_sub_f32_e32 v39, v40, v42
	v_fma_f32 v42, 0x3f317218, v36, -v43
	v_sub_f32_e32 v39, v41, v39
	v_fmamk_f32 v36, v36, 0xb102e308, v42
	v_add_f32_e32 v37, v37, v39
	v_add_f32_e32 v39, v43, v36
	;; [unrolled: 1-line block ×3, first 2 shown]
	v_sub_f32_e32 v43, v39, v43
	v_add_f32_e32 v42, v39, v41
	v_sub_f32_e32 v40, v41, v40
	v_sub_f32_e32 v36, v36, v43
	v_sub_f32_e32 v44, v42, v39
	v_sub_f32_e32 v37, v37, v40
	v_sub_f32_e32 v45, v42, v44
	v_sub_f32_e32 v40, v41, v44
	v_add_f32_e32 v41, v36, v37
	v_sub_f32_e32 v39, v39, v45
	v_add_f32_e32 v39, v40, v39
	v_sub_f32_e32 v40, v41, v36
	;; [unrolled: 2-line block ×3, first 2 shown]
	v_sub_f32_e32 v37, v37, v40
	v_add_f32_e32 v43, v42, v39
	v_sub_f32_e32 v36, v36, v41
	v_sub_f32_e32 v40, v43, v42
	v_add_f32_e32 v36, v37, v36
	v_sub_f32_e32 v37, v39, v40
	v_add_f32_e32 v36, v36, v37
	v_add_f32_e32 v36, v43, v36
	v_cndmask_b32_e32 v36, 0x7f800000, v36, vcc_lo
	v_cmp_gt_f32_e64 vcc_lo, 0x33800000, |v38|
	v_cndmask_b32_e32 v36, v36, v38, vcc_lo
	v_add_f32_e32 v36, v35, v36
.LBB482_56:
	s_or_b32 exec_lo, exec_lo, s29
	v_bfe_u32 v35, v36, 16, 1
	v_cmp_o_f32_e32 vcc_lo, v36, v36
	v_add3_u32 v35, v36, v35, 0x7fff
	v_mov_b32_e32 v36, 0x7fc0
	v_cndmask_b32_sdwa v35, v36, v35, vcc_lo dst_sel:DWORD dst_unused:UNUSED_PAD src0_sel:DWORD src1_sel:WORD_1
	v_and_b32_e32 v36, 0xffff, v35
.LBB482_57:
	s_or_b32 exec_lo, exec_lo, s28
	v_mov_b32_dpp v37, v36 row_shr:4 row_mask:0xf bank_mask:0xf
	s_mov_b32 s28, exec_lo
	v_cmpx_lt_u32_e32 3, v34
	s_cbranch_execz .LBB482_61
; %bb.58:
	v_lshlrev_b32_e32 v35, 16, v36
	v_lshlrev_b32_e32 v36, 16, v37
	v_max_f32_e32 v37, v35, v35
	v_max_f32_e32 v38, v36, v36
	v_cmp_u_f32_e32 vcc_lo, v36, v36
	v_min_f32_e32 v39, v38, v37
	v_max_f32_e32 v37, v38, v37
	v_cndmask_b32_e32 v38, v39, v36, vcc_lo
	v_cndmask_b32_e32 v39, v37, v36, vcc_lo
	v_cmp_u_f32_e32 vcc_lo, v35, v35
	v_cndmask_b32_e32 v37, v38, v35, vcc_lo
	v_cndmask_b32_e32 v35, v39, v35, vcc_lo
	v_cmp_class_f32_e64 s29, v37, 0x1f8
	v_cmp_neq_f32_e32 vcc_lo, v37, v35
	s_or_b32 s30, vcc_lo, s29
	s_and_saveexec_b32 s29, s30
	s_cbranch_execz .LBB482_60
; %bb.59:
	v_sub_f32_e32 v36, v37, v35
	s_mov_b32 s30, 0x3e9b6dac
	v_mul_f32_e32 v37, 0x3fb8aa3b, v36
	v_cmp_ngt_f32_e32 vcc_lo, 0xc2ce8ed0, v36
	v_fma_f32 v38, 0x3fb8aa3b, v36, -v37
	v_rndne_f32_e32 v39, v37
	v_fmamk_f32 v38, v36, 0x32a5705f, v38
	v_sub_f32_e32 v37, v37, v39
	v_add_f32_e32 v37, v37, v38
	v_cvt_i32_f32_e32 v38, v39
	v_exp_f32_e32 v37, v37
	v_ldexp_f32 v37, v37, v38
	v_cndmask_b32_e32 v37, 0, v37, vcc_lo
	v_cmp_nlt_f32_e32 vcc_lo, 0x42b17218, v36
	v_cndmask_b32_e32 v38, 0x7f800000, v37, vcc_lo
	v_add_f32_e32 v39, 1.0, v38
	v_cvt_f64_f32_e32 v[36:37], v39
	v_frexp_exp_i32_f64_e32 v36, v[36:37]
	v_frexp_mant_f32_e32 v37, v39
	v_cmp_gt_f32_e32 vcc_lo, 0x3f2aaaab, v37
	v_add_f32_e32 v37, -1.0, v39
	v_sub_f32_e32 v41, v37, v39
	v_sub_f32_e32 v37, v38, v37
	v_add_f32_e32 v41, 1.0, v41
	v_add_f32_e32 v37, v37, v41
	v_subrev_co_ci_u32_e64 v36, null, 0, v36, vcc_lo
	v_cmp_neq_f32_e32 vcc_lo, 0x7f800000, v38
	v_sub_nc_u32_e32 v40, 0, v36
	v_cvt_f32_i32_e32 v36, v36
	v_ldexp_f32 v39, v39, v40
	v_ldexp_f32 v37, v37, v40
	v_add_f32_e32 v42, 1.0, v39
	v_add_f32_e32 v40, -1.0, v39
	v_add_f32_e32 v41, -1.0, v42
	v_add_f32_e32 v43, 1.0, v40
	v_sub_f32_e32 v41, v39, v41
	v_sub_f32_e32 v39, v39, v43
	v_add_f32_e32 v41, v37, v41
	v_add_f32_e32 v37, v37, v39
	;; [unrolled: 1-line block ×4, first 2 shown]
	v_rcp_f32_e32 v39, v43
	v_sub_f32_e32 v42, v42, v43
	v_sub_f32_e32 v40, v40, v44
	v_add_f32_e32 v41, v41, v42
	v_add_f32_e32 v37, v37, v40
	v_mul_f32_e32 v45, v44, v39
	v_mul_f32_e32 v46, v43, v45
	v_fma_f32 v42, v45, v43, -v46
	v_fmac_f32_e32 v42, v45, v41
	v_add_f32_e32 v47, v46, v42
	v_sub_f32_e32 v48, v44, v47
	v_sub_f32_e32 v40, v47, v46
	;; [unrolled: 1-line block ×5, first 2 shown]
	v_add_f32_e32 v37, v37, v44
	v_add_f32_e32 v37, v40, v37
	;; [unrolled: 1-line block ×3, first 2 shown]
	v_mul_f32_e32 v42, v39, v40
	v_sub_f32_e32 v47, v48, v40
	v_mul_f32_e32 v44, v43, v42
	v_add_f32_e32 v37, v37, v47
	v_fma_f32 v43, v42, v43, -v44
	v_fmac_f32_e32 v43, v42, v41
	v_add_f32_e32 v41, v44, v43
	v_sub_f32_e32 v46, v40, v41
	v_sub_f32_e32 v44, v41, v44
	v_sub_f32_e32 v40, v40, v46
	v_sub_f32_e32 v40, v40, v41
	v_sub_f32_e32 v41, v44, v43
	v_add_f32_e32 v37, v37, v40
	v_add_f32_e32 v40, v45, v42
	v_add_f32_e32 v37, v41, v37
	v_sub_f32_e32 v41, v40, v45
	v_add_f32_e32 v37, v46, v37
	v_sub_f32_e32 v41, v42, v41
	v_mul_f32_e32 v37, v39, v37
	v_add_f32_e32 v37, v41, v37
	v_add_f32_e32 v39, v40, v37
	v_mul_f32_e32 v41, v39, v39
	v_fmaak_f32 v42, s30, v41, 0x3ecc95a3
	v_mul_f32_e32 v43, v39, v41
	v_fmaak_f32 v41, v41, v42, 0x3f2aaada
	v_ldexp_f32 v42, v39, 1
	v_sub_f32_e32 v39, v39, v40
	v_mul_f32_e32 v41, v43, v41
	v_mul_f32_e32 v43, 0x3f317218, v36
	v_sub_f32_e32 v37, v37, v39
	v_add_f32_e32 v40, v42, v41
	v_ldexp_f32 v37, v37, 1
	v_sub_f32_e32 v39, v40, v42
	v_fma_f32 v42, 0x3f317218, v36, -v43
	v_sub_f32_e32 v39, v41, v39
	v_fmamk_f32 v36, v36, 0xb102e308, v42
	v_add_f32_e32 v37, v37, v39
	v_add_f32_e32 v39, v43, v36
	;; [unrolled: 1-line block ×3, first 2 shown]
	v_sub_f32_e32 v43, v39, v43
	v_add_f32_e32 v42, v39, v41
	v_sub_f32_e32 v40, v41, v40
	v_sub_f32_e32 v36, v36, v43
	;; [unrolled: 1-line block ×6, first 2 shown]
	v_add_f32_e32 v41, v36, v37
	v_sub_f32_e32 v39, v39, v45
	v_add_f32_e32 v39, v40, v39
	v_sub_f32_e32 v40, v41, v36
	;; [unrolled: 2-line block ×3, first 2 shown]
	v_sub_f32_e32 v37, v37, v40
	v_add_f32_e32 v43, v42, v39
	v_sub_f32_e32 v36, v36, v41
	v_sub_f32_e32 v40, v43, v42
	v_add_f32_e32 v36, v37, v36
	v_sub_f32_e32 v37, v39, v40
	v_add_f32_e32 v36, v36, v37
	v_add_f32_e32 v36, v43, v36
	v_cndmask_b32_e32 v36, 0x7f800000, v36, vcc_lo
	v_cmp_gt_f32_e64 vcc_lo, 0x33800000, |v38|
	v_cndmask_b32_e32 v36, v36, v38, vcc_lo
	v_add_f32_e32 v36, v35, v36
.LBB482_60:
	s_or_b32 exec_lo, exec_lo, s29
	v_bfe_u32 v35, v36, 16, 1
	v_cmp_o_f32_e32 vcc_lo, v36, v36
	v_add3_u32 v35, v36, v35, 0x7fff
	v_mov_b32_e32 v36, 0x7fc0
	v_cndmask_b32_sdwa v35, v36, v35, vcc_lo dst_sel:DWORD dst_unused:UNUSED_PAD src0_sel:DWORD src1_sel:WORD_1
	v_and_b32_e32 v36, 0xffff, v35
.LBB482_61:
	s_or_b32 exec_lo, exec_lo, s28
	v_mov_b32_dpp v37, v36 row_shr:8 row_mask:0xf bank_mask:0xf
	s_mov_b32 s28, exec_lo
	v_cmpx_lt_u32_e32 7, v34
	s_cbranch_execz .LBB482_65
; %bb.62:
	v_lshlrev_b32_e32 v34, 16, v36
	v_lshlrev_b32_e32 v35, 16, v37
	v_max_f32_e32 v36, v34, v34
	v_max_f32_e32 v37, v35, v35
	v_cmp_u_f32_e32 vcc_lo, v35, v35
	v_min_f32_e32 v38, v37, v36
	v_max_f32_e32 v36, v37, v36
	v_cndmask_b32_e32 v37, v38, v35, vcc_lo
	v_cndmask_b32_e32 v38, v36, v35, vcc_lo
	v_cmp_u_f32_e32 vcc_lo, v34, v34
	v_cndmask_b32_e32 v36, v37, v34, vcc_lo
	v_cndmask_b32_e32 v34, v38, v34, vcc_lo
	v_cmp_class_f32_e64 s29, v36, 0x1f8
	v_cmp_neq_f32_e32 vcc_lo, v36, v34
	s_or_b32 s30, vcc_lo, s29
	s_and_saveexec_b32 s29, s30
	s_cbranch_execz .LBB482_64
; %bb.63:
	v_sub_f32_e32 v35, v36, v34
	s_mov_b32 s30, 0x3e9b6dac
	v_mul_f32_e32 v36, 0x3fb8aa3b, v35
	v_cmp_ngt_f32_e32 vcc_lo, 0xc2ce8ed0, v35
	v_fma_f32 v37, 0x3fb8aa3b, v35, -v36
	v_rndne_f32_e32 v38, v36
	v_fmamk_f32 v37, v35, 0x32a5705f, v37
	v_sub_f32_e32 v36, v36, v38
	v_add_f32_e32 v36, v36, v37
	v_cvt_i32_f32_e32 v37, v38
	v_exp_f32_e32 v36, v36
	v_ldexp_f32 v36, v36, v37
	v_cndmask_b32_e32 v36, 0, v36, vcc_lo
	v_cmp_nlt_f32_e32 vcc_lo, 0x42b17218, v35
	v_cndmask_b32_e32 v37, 0x7f800000, v36, vcc_lo
	v_add_f32_e32 v38, 1.0, v37
	v_cvt_f64_f32_e32 v[35:36], v38
	v_frexp_exp_i32_f64_e32 v35, v[35:36]
	v_frexp_mant_f32_e32 v36, v38
	v_cmp_gt_f32_e32 vcc_lo, 0x3f2aaaab, v36
	v_add_f32_e32 v36, -1.0, v38
	v_sub_f32_e32 v40, v36, v38
	v_sub_f32_e32 v36, v37, v36
	v_add_f32_e32 v40, 1.0, v40
	v_add_f32_e32 v36, v36, v40
	v_subrev_co_ci_u32_e64 v35, null, 0, v35, vcc_lo
	v_cmp_neq_f32_e32 vcc_lo, 0x7f800000, v37
	v_sub_nc_u32_e32 v39, 0, v35
	v_cvt_f32_i32_e32 v35, v35
	v_ldexp_f32 v38, v38, v39
	v_ldexp_f32 v36, v36, v39
	v_add_f32_e32 v41, 1.0, v38
	v_add_f32_e32 v39, -1.0, v38
	v_add_f32_e32 v40, -1.0, v41
	v_add_f32_e32 v42, 1.0, v39
	v_sub_f32_e32 v40, v38, v40
	v_sub_f32_e32 v38, v38, v42
	v_add_f32_e32 v40, v36, v40
	v_add_f32_e32 v36, v36, v38
	;; [unrolled: 1-line block ×4, first 2 shown]
	v_rcp_f32_e32 v38, v42
	v_sub_f32_e32 v41, v41, v42
	v_sub_f32_e32 v39, v39, v43
	v_add_f32_e32 v40, v40, v41
	v_add_f32_e32 v36, v36, v39
	v_mul_f32_e32 v44, v43, v38
	v_mul_f32_e32 v45, v42, v44
	v_fma_f32 v41, v44, v42, -v45
	v_fmac_f32_e32 v41, v44, v40
	v_add_f32_e32 v46, v45, v41
	v_sub_f32_e32 v47, v43, v46
	v_sub_f32_e32 v39, v46, v45
	;; [unrolled: 1-line block ×5, first 2 shown]
	v_add_f32_e32 v36, v36, v43
	v_add_f32_e32 v36, v39, v36
	;; [unrolled: 1-line block ×3, first 2 shown]
	v_mul_f32_e32 v41, v38, v39
	v_sub_f32_e32 v46, v47, v39
	v_mul_f32_e32 v43, v42, v41
	v_add_f32_e32 v36, v36, v46
	v_fma_f32 v42, v41, v42, -v43
	v_fmac_f32_e32 v42, v41, v40
	v_add_f32_e32 v40, v43, v42
	v_sub_f32_e32 v45, v39, v40
	v_sub_f32_e32 v43, v40, v43
	;; [unrolled: 1-line block ×5, first 2 shown]
	v_add_f32_e32 v36, v36, v39
	v_add_f32_e32 v39, v44, v41
	;; [unrolled: 1-line block ×3, first 2 shown]
	v_sub_f32_e32 v40, v39, v44
	v_add_f32_e32 v36, v45, v36
	v_sub_f32_e32 v40, v41, v40
	v_mul_f32_e32 v36, v38, v36
	v_add_f32_e32 v36, v40, v36
	v_add_f32_e32 v38, v39, v36
	v_mul_f32_e32 v40, v38, v38
	v_fmaak_f32 v41, s30, v40, 0x3ecc95a3
	v_mul_f32_e32 v42, v38, v40
	v_fmaak_f32 v40, v40, v41, 0x3f2aaada
	v_ldexp_f32 v41, v38, 1
	v_sub_f32_e32 v38, v38, v39
	v_mul_f32_e32 v40, v42, v40
	v_mul_f32_e32 v42, 0x3f317218, v35
	v_sub_f32_e32 v36, v36, v38
	v_add_f32_e32 v39, v41, v40
	v_ldexp_f32 v36, v36, 1
	v_sub_f32_e32 v38, v39, v41
	v_fma_f32 v41, 0x3f317218, v35, -v42
	v_sub_f32_e32 v38, v40, v38
	v_fmamk_f32 v35, v35, 0xb102e308, v41
	v_add_f32_e32 v36, v36, v38
	v_add_f32_e32 v38, v42, v35
	;; [unrolled: 1-line block ×3, first 2 shown]
	v_sub_f32_e32 v42, v38, v42
	v_add_f32_e32 v41, v38, v40
	v_sub_f32_e32 v39, v40, v39
	v_sub_f32_e32 v35, v35, v42
	;; [unrolled: 1-line block ×6, first 2 shown]
	v_add_f32_e32 v40, v35, v36
	v_sub_f32_e32 v38, v38, v44
	v_add_f32_e32 v38, v39, v38
	v_sub_f32_e32 v39, v40, v35
	;; [unrolled: 2-line block ×3, first 2 shown]
	v_sub_f32_e32 v36, v36, v39
	v_add_f32_e32 v42, v41, v38
	v_sub_f32_e32 v35, v35, v40
	v_sub_f32_e32 v39, v42, v41
	v_add_f32_e32 v35, v36, v35
	v_sub_f32_e32 v36, v38, v39
	v_add_f32_e32 v35, v35, v36
	v_add_f32_e32 v35, v42, v35
	v_cndmask_b32_e32 v35, 0x7f800000, v35, vcc_lo
	v_cmp_gt_f32_e64 vcc_lo, 0x33800000, |v37|
	v_cndmask_b32_e32 v35, v35, v37, vcc_lo
	v_add_f32_e32 v35, v34, v35
.LBB482_64:
	s_or_b32 exec_lo, exec_lo, s29
	v_bfe_u32 v34, v35, 16, 1
	v_cmp_o_f32_e32 vcc_lo, v35, v35
	v_add3_u32 v34, v35, v34, 0x7fff
	v_mov_b32_e32 v35, 0x7fc0
	v_cndmask_b32_sdwa v35, v35, v34, vcc_lo dst_sel:DWORD dst_unused:UNUSED_PAD src0_sel:DWORD src1_sel:WORD_1
	v_and_b32_e32 v36, 0xffff, v35
.LBB482_65:
	s_or_b32 exec_lo, exec_lo, s28
	ds_swizzle_b32 v34, v36 offset:swizzle(BROADCAST,32,15)
	v_and_b32_e32 v37, 16, v33
	s_mov_b32 s28, exec_lo
	v_cmpx_ne_u32_e32 0, v37
	s_cbranch_execz .LBB482_69
; %bb.66:
	v_lshlrev_b32_e32 v37, 16, v36
	s_waitcnt lgkmcnt(0)
	v_lshlrev_b32_e32 v35, 16, v34
	v_max_f32_e32 v34, v37, v37
	v_max_f32_e32 v36, v35, v35
	v_cmp_u_f32_e32 vcc_lo, v35, v35
	v_min_f32_e32 v38, v36, v34
	v_max_f32_e32 v34, v36, v34
	v_cndmask_b32_e32 v36, v38, v35, vcc_lo
	v_cndmask_b32_e32 v34, v34, v35, vcc_lo
	v_cmp_u_f32_e32 vcc_lo, v37, v37
	v_cndmask_b32_e32 v36, v36, v37, vcc_lo
	v_cndmask_b32_e32 v34, v34, v37, vcc_lo
	v_cmp_class_f32_e64 s29, v36, 0x1f8
	v_cmp_neq_f32_e32 vcc_lo, v36, v34
	s_or_b32 s30, vcc_lo, s29
	s_and_saveexec_b32 s29, s30
	s_cbranch_execz .LBB482_68
; %bb.67:
	v_sub_f32_e32 v35, v36, v34
	s_mov_b32 s30, 0x3e9b6dac
	v_mul_f32_e32 v36, 0x3fb8aa3b, v35
	v_cmp_ngt_f32_e32 vcc_lo, 0xc2ce8ed0, v35
	v_fma_f32 v37, 0x3fb8aa3b, v35, -v36
	v_rndne_f32_e32 v38, v36
	v_fmamk_f32 v37, v35, 0x32a5705f, v37
	v_sub_f32_e32 v36, v36, v38
	v_add_f32_e32 v36, v36, v37
	v_cvt_i32_f32_e32 v37, v38
	v_exp_f32_e32 v36, v36
	v_ldexp_f32 v36, v36, v37
	v_cndmask_b32_e32 v36, 0, v36, vcc_lo
	v_cmp_nlt_f32_e32 vcc_lo, 0x42b17218, v35
	v_cndmask_b32_e32 v37, 0x7f800000, v36, vcc_lo
	v_add_f32_e32 v38, 1.0, v37
	v_cvt_f64_f32_e32 v[35:36], v38
	v_frexp_exp_i32_f64_e32 v35, v[35:36]
	v_frexp_mant_f32_e32 v36, v38
	v_cmp_gt_f32_e32 vcc_lo, 0x3f2aaaab, v36
	v_add_f32_e32 v36, -1.0, v38
	v_sub_f32_e32 v40, v36, v38
	v_sub_f32_e32 v36, v37, v36
	v_add_f32_e32 v40, 1.0, v40
	v_add_f32_e32 v36, v36, v40
	v_subrev_co_ci_u32_e64 v35, null, 0, v35, vcc_lo
	v_cmp_neq_f32_e32 vcc_lo, 0x7f800000, v37
	v_sub_nc_u32_e32 v39, 0, v35
	v_cvt_f32_i32_e32 v35, v35
	v_ldexp_f32 v38, v38, v39
	v_ldexp_f32 v36, v36, v39
	v_add_f32_e32 v41, 1.0, v38
	v_add_f32_e32 v39, -1.0, v38
	v_add_f32_e32 v40, -1.0, v41
	v_add_f32_e32 v42, 1.0, v39
	v_sub_f32_e32 v40, v38, v40
	v_sub_f32_e32 v38, v38, v42
	v_add_f32_e32 v40, v36, v40
	v_add_f32_e32 v36, v36, v38
	;; [unrolled: 1-line block ×4, first 2 shown]
	v_rcp_f32_e32 v38, v42
	v_sub_f32_e32 v41, v41, v42
	v_sub_f32_e32 v39, v39, v43
	v_add_f32_e32 v40, v40, v41
	v_add_f32_e32 v36, v36, v39
	v_mul_f32_e32 v44, v43, v38
	v_mul_f32_e32 v45, v42, v44
	v_fma_f32 v41, v44, v42, -v45
	v_fmac_f32_e32 v41, v44, v40
	v_add_f32_e32 v46, v45, v41
	v_sub_f32_e32 v47, v43, v46
	v_sub_f32_e32 v39, v46, v45
	;; [unrolled: 1-line block ×5, first 2 shown]
	v_add_f32_e32 v36, v36, v43
	v_add_f32_e32 v36, v39, v36
	v_add_f32_e32 v39, v47, v36
	v_mul_f32_e32 v41, v38, v39
	v_sub_f32_e32 v46, v47, v39
	v_mul_f32_e32 v43, v42, v41
	v_add_f32_e32 v36, v36, v46
	v_fma_f32 v42, v41, v42, -v43
	v_fmac_f32_e32 v42, v41, v40
	v_add_f32_e32 v40, v43, v42
	v_sub_f32_e32 v45, v39, v40
	v_sub_f32_e32 v43, v40, v43
	;; [unrolled: 1-line block ×5, first 2 shown]
	v_add_f32_e32 v36, v36, v39
	v_add_f32_e32 v39, v44, v41
	;; [unrolled: 1-line block ×3, first 2 shown]
	v_sub_f32_e32 v40, v39, v44
	v_add_f32_e32 v36, v45, v36
	v_sub_f32_e32 v40, v41, v40
	v_mul_f32_e32 v36, v38, v36
	v_add_f32_e32 v36, v40, v36
	v_add_f32_e32 v38, v39, v36
	v_mul_f32_e32 v40, v38, v38
	v_fmaak_f32 v41, s30, v40, 0x3ecc95a3
	v_mul_f32_e32 v42, v38, v40
	v_fmaak_f32 v40, v40, v41, 0x3f2aaada
	v_ldexp_f32 v41, v38, 1
	v_sub_f32_e32 v38, v38, v39
	v_mul_f32_e32 v40, v42, v40
	v_mul_f32_e32 v42, 0x3f317218, v35
	v_sub_f32_e32 v36, v36, v38
	v_add_f32_e32 v39, v41, v40
	v_ldexp_f32 v36, v36, 1
	v_sub_f32_e32 v38, v39, v41
	v_fma_f32 v41, 0x3f317218, v35, -v42
	v_sub_f32_e32 v38, v40, v38
	v_fmamk_f32 v35, v35, 0xb102e308, v41
	v_add_f32_e32 v36, v36, v38
	v_add_f32_e32 v38, v42, v35
	;; [unrolled: 1-line block ×3, first 2 shown]
	v_sub_f32_e32 v42, v38, v42
	v_add_f32_e32 v41, v38, v40
	v_sub_f32_e32 v39, v40, v39
	v_sub_f32_e32 v35, v35, v42
	;; [unrolled: 1-line block ×6, first 2 shown]
	v_add_f32_e32 v40, v35, v36
	v_sub_f32_e32 v38, v38, v44
	v_add_f32_e32 v38, v39, v38
	v_sub_f32_e32 v39, v40, v35
	;; [unrolled: 2-line block ×3, first 2 shown]
	v_sub_f32_e32 v36, v36, v39
	v_add_f32_e32 v42, v41, v38
	v_sub_f32_e32 v35, v35, v40
	v_sub_f32_e32 v39, v42, v41
	v_add_f32_e32 v35, v36, v35
	v_sub_f32_e32 v36, v38, v39
	v_add_f32_e32 v35, v35, v36
	v_add_f32_e32 v35, v42, v35
	v_cndmask_b32_e32 v35, 0x7f800000, v35, vcc_lo
	v_cmp_gt_f32_e64 vcc_lo, 0x33800000, |v37|
	v_cndmask_b32_e32 v35, v35, v37, vcc_lo
	v_add_f32_e32 v35, v34, v35
.LBB482_68:
	s_or_b32 exec_lo, exec_lo, s29
	v_bfe_u32 v34, v35, 16, 1
	v_cmp_o_f32_e32 vcc_lo, v35, v35
	v_add3_u32 v34, v35, v34, 0x7fff
	v_mov_b32_e32 v35, 0x7fc0
	v_cndmask_b32_sdwa v35, v35, v34, vcc_lo dst_sel:DWORD dst_unused:UNUSED_PAD src0_sel:DWORD src1_sel:WORD_1
.LBB482_69:
	s_or_b32 exec_lo, exec_lo, s28
	s_waitcnt lgkmcnt(0)
	v_add_nc_u32_e32 v34, -1, v33
	v_cmp_gt_i32_e32 vcc_lo, 0, v34
	v_cndmask_b32_e32 v33, v34, v33, vcc_lo
	v_and_b32_e32 v34, 0xffff, v35
	v_lshlrev_b32_e32 v33, 2, v33
	ds_bpermute_b32 v33, v33, v34
	s_waitcnt lgkmcnt(0)
	v_lshlrev_b32_e32 v33, 16, v33
	v_max_f32_e32 v34, v33, v33
	v_cmp_u_f32_e32 vcc_lo, v33, v33
	v_min_f32_e32 v35, v34, v32
	v_max_f32_e32 v32, v34, v32
	v_cndmask_b32_e32 v34, v35, v33, vcc_lo
	v_cndmask_b32_e32 v35, v32, v33, vcc_lo
	v_cndmask_b32_e64 v32, v34, v31, s4
	v_cndmask_b32_e64 v31, v35, v31, s4
	v_cmp_class_f32_e64 s4, v32, 0x1f8
	v_cmp_neq_f32_e32 vcc_lo, v32, v31
	s_or_b32 s28, vcc_lo, s4
	s_and_saveexec_b32 s4, s28
	s_cbranch_execz .LBB482_71
; %bb.70:
	v_sub_f32_e32 v32, v32, v31
	s_mov_b32 s28, 0x3e9b6dac
	v_mul_f32_e32 v33, 0x3fb8aa3b, v32
	v_cmp_ngt_f32_e32 vcc_lo, 0xc2ce8ed0, v32
	v_fma_f32 v34, 0x3fb8aa3b, v32, -v33
	v_rndne_f32_e32 v35, v33
	v_fmamk_f32 v34, v32, 0x32a5705f, v34
	v_sub_f32_e32 v33, v33, v35
	v_add_f32_e32 v33, v33, v34
	v_cvt_i32_f32_e32 v34, v35
	v_exp_f32_e32 v33, v33
	v_ldexp_f32 v33, v33, v34
	v_cndmask_b32_e32 v33, 0, v33, vcc_lo
	v_cmp_nlt_f32_e32 vcc_lo, 0x42b17218, v32
	v_cndmask_b32_e32 v34, 0x7f800000, v33, vcc_lo
	v_add_f32_e32 v35, 1.0, v34
	v_cvt_f64_f32_e32 v[32:33], v35
	v_frexp_exp_i32_f64_e32 v32, v[32:33]
	v_frexp_mant_f32_e32 v33, v35
	v_cmp_gt_f32_e32 vcc_lo, 0x3f2aaaab, v33
	v_add_f32_e32 v33, -1.0, v35
	v_sub_f32_e32 v37, v33, v35
	v_sub_f32_e32 v33, v34, v33
	v_add_f32_e32 v37, 1.0, v37
	v_add_f32_e32 v33, v33, v37
	v_subrev_co_ci_u32_e64 v32, null, 0, v32, vcc_lo
	v_cmp_neq_f32_e32 vcc_lo, 0x7f800000, v34
	v_sub_nc_u32_e32 v36, 0, v32
	v_cvt_f32_i32_e32 v32, v32
	v_ldexp_f32 v35, v35, v36
	v_ldexp_f32 v33, v33, v36
	v_add_f32_e32 v38, 1.0, v35
	v_add_f32_e32 v36, -1.0, v35
	v_add_f32_e32 v37, -1.0, v38
	v_add_f32_e32 v39, 1.0, v36
	v_sub_f32_e32 v37, v35, v37
	v_sub_f32_e32 v35, v35, v39
	v_add_f32_e32 v37, v33, v37
	v_add_f32_e32 v33, v33, v35
	;; [unrolled: 1-line block ×4, first 2 shown]
	v_rcp_f32_e32 v35, v39
	v_sub_f32_e32 v38, v38, v39
	v_sub_f32_e32 v36, v36, v40
	v_add_f32_e32 v37, v37, v38
	v_add_f32_e32 v33, v33, v36
	v_mul_f32_e32 v41, v40, v35
	v_mul_f32_e32 v42, v39, v41
	v_fma_f32 v38, v41, v39, -v42
	v_fmac_f32_e32 v38, v41, v37
	v_add_f32_e32 v43, v42, v38
	v_sub_f32_e32 v44, v40, v43
	v_sub_f32_e32 v36, v43, v42
	v_sub_f32_e32 v40, v40, v44
	v_sub_f32_e32 v36, v36, v38
	v_sub_f32_e32 v40, v40, v43
	v_add_f32_e32 v33, v33, v40
	v_add_f32_e32 v33, v36, v33
	;; [unrolled: 1-line block ×3, first 2 shown]
	v_mul_f32_e32 v38, v35, v36
	v_sub_f32_e32 v43, v44, v36
	v_mul_f32_e32 v40, v39, v38
	v_add_f32_e32 v33, v33, v43
	v_fma_f32 v39, v38, v39, -v40
	v_fmac_f32_e32 v39, v38, v37
	v_add_f32_e32 v37, v40, v39
	v_sub_f32_e32 v42, v36, v37
	v_sub_f32_e32 v40, v37, v40
	;; [unrolled: 1-line block ×5, first 2 shown]
	v_add_f32_e32 v33, v33, v36
	v_add_f32_e32 v36, v41, v38
	;; [unrolled: 1-line block ×3, first 2 shown]
	v_sub_f32_e32 v37, v36, v41
	v_add_f32_e32 v33, v42, v33
	v_sub_f32_e32 v37, v38, v37
	v_mul_f32_e32 v33, v35, v33
	v_add_f32_e32 v33, v37, v33
	v_add_f32_e32 v35, v36, v33
	v_mul_f32_e32 v37, v35, v35
	v_fmaak_f32 v38, s28, v37, 0x3ecc95a3
	v_mul_f32_e32 v39, v35, v37
	v_fmaak_f32 v37, v37, v38, 0x3f2aaada
	v_ldexp_f32 v38, v35, 1
	v_sub_f32_e32 v35, v35, v36
	v_mul_f32_e32 v37, v39, v37
	v_mul_f32_e32 v39, 0x3f317218, v32
	v_sub_f32_e32 v33, v33, v35
	v_add_f32_e32 v36, v38, v37
	v_ldexp_f32 v33, v33, 1
	v_sub_f32_e32 v35, v36, v38
	v_fma_f32 v38, 0x3f317218, v32, -v39
	v_sub_f32_e32 v35, v37, v35
	v_fmamk_f32 v32, v32, 0xb102e308, v38
	v_add_f32_e32 v33, v33, v35
	v_add_f32_e32 v35, v39, v32
	;; [unrolled: 1-line block ×3, first 2 shown]
	v_sub_f32_e32 v39, v35, v39
	v_add_f32_e32 v38, v35, v37
	v_sub_f32_e32 v36, v37, v36
	v_sub_f32_e32 v32, v32, v39
	v_sub_f32_e32 v40, v38, v35
	v_sub_f32_e32 v33, v33, v36
	v_sub_f32_e32 v41, v38, v40
	v_sub_f32_e32 v36, v37, v40
	v_add_f32_e32 v37, v32, v33
	v_sub_f32_e32 v35, v35, v41
	v_add_f32_e32 v35, v36, v35
	v_sub_f32_e32 v36, v37, v32
	;; [unrolled: 2-line block ×3, first 2 shown]
	v_sub_f32_e32 v33, v33, v36
	v_add_f32_e32 v39, v38, v35
	v_sub_f32_e32 v32, v32, v37
	v_sub_f32_e32 v36, v39, v38
	v_add_f32_e32 v32, v33, v32
	v_sub_f32_e32 v33, v35, v36
	v_add_f32_e32 v32, v32, v33
	v_add_f32_e32 v32, v39, v32
	v_cndmask_b32_e32 v32, 0x7f800000, v32, vcc_lo
	v_cmp_gt_f32_e64 vcc_lo, 0x33800000, |v34|
	v_cndmask_b32_e32 v32, v32, v34, vcc_lo
	v_add_f32_e32 v33, v31, v32
.LBB482_71:
	s_or_b32 exec_lo, exec_lo, s4
	v_bfe_u32 v32, v33, 16, 1
	v_cmp_o_f32_e32 vcc_lo, v33, v33
	v_mov_b32_e32 v31, 0x7fc0
	; wave barrier
	v_add3_u32 v32, v33, v32, 0x7fff
	v_cndmask_b32_sdwa v32, v31, v32, vcc_lo dst_sel:DWORD dst_unused:UNUSED_PAD src0_sel:DWORD src1_sel:WORD_1
	v_cmp_eq_u32_e32 vcc_lo, 0, v0
	v_cndmask_b32_e32 v30, v32, v30, vcc_lo
	ds_write_b16 v29, v30
	; wave barrier
	ds_read_u16 v33, v29 offset:2
	v_lshlrev_b32_e32 v32, 16, v30
	v_cmp_u_f32_e32 vcc_lo, v32, v32
	s_waitcnt lgkmcnt(0)
	v_lshlrev_b32_e32 v30, 16, v33
	v_max_f32_e32 v33, v32, v32
	v_max_f32_e32 v34, v30, v30
	v_min_f32_e32 v35, v33, v34
	v_max_f32_e32 v33, v33, v34
	v_cndmask_b32_e32 v34, v35, v32, vcc_lo
	v_cndmask_b32_e32 v35, v33, v32, vcc_lo
	v_cmp_u_f32_e32 vcc_lo, v30, v30
	v_cndmask_b32_e32 v33, v34, v30, vcc_lo
	v_cndmask_b32_e32 v30, v35, v30, vcc_lo
	v_cmp_class_f32_e64 s4, v33, 0x1f8
	v_cmp_neq_f32_e32 vcc_lo, v33, v30
	s_or_b32 s28, vcc_lo, s4
	s_and_saveexec_b32 s4, s28
	s_cbranch_execz .LBB482_73
; %bb.72:
	v_sub_f32_e32 v32, v33, v30
	s_mov_b32 s28, 0x3e9b6dac
	v_mul_f32_e32 v33, 0x3fb8aa3b, v32
	v_cmp_ngt_f32_e32 vcc_lo, 0xc2ce8ed0, v32
	v_fma_f32 v34, 0x3fb8aa3b, v32, -v33
	v_rndne_f32_e32 v35, v33
	v_fmamk_f32 v34, v32, 0x32a5705f, v34
	v_sub_f32_e32 v33, v33, v35
	v_add_f32_e32 v33, v33, v34
	v_cvt_i32_f32_e32 v34, v35
	v_exp_f32_e32 v33, v33
	v_ldexp_f32 v33, v33, v34
	v_cndmask_b32_e32 v33, 0, v33, vcc_lo
	v_cmp_nlt_f32_e32 vcc_lo, 0x42b17218, v32
	v_cndmask_b32_e32 v34, 0x7f800000, v33, vcc_lo
	v_add_f32_e32 v35, 1.0, v34
	v_cvt_f64_f32_e32 v[32:33], v35
	v_frexp_exp_i32_f64_e32 v32, v[32:33]
	v_frexp_mant_f32_e32 v33, v35
	v_cmp_gt_f32_e32 vcc_lo, 0x3f2aaaab, v33
	v_add_f32_e32 v33, -1.0, v35
	v_sub_f32_e32 v37, v33, v35
	v_sub_f32_e32 v33, v34, v33
	v_add_f32_e32 v37, 1.0, v37
	v_add_f32_e32 v33, v33, v37
	v_subrev_co_ci_u32_e64 v32, null, 0, v32, vcc_lo
	v_cmp_neq_f32_e32 vcc_lo, 0x7f800000, v34
	v_sub_nc_u32_e32 v36, 0, v32
	v_cvt_f32_i32_e32 v32, v32
	v_ldexp_f32 v35, v35, v36
	v_ldexp_f32 v33, v33, v36
	v_add_f32_e32 v38, 1.0, v35
	v_add_f32_e32 v36, -1.0, v35
	v_add_f32_e32 v37, -1.0, v38
	v_add_f32_e32 v39, 1.0, v36
	v_sub_f32_e32 v37, v35, v37
	v_sub_f32_e32 v35, v35, v39
	v_add_f32_e32 v37, v33, v37
	v_add_f32_e32 v33, v33, v35
	;; [unrolled: 1-line block ×4, first 2 shown]
	v_rcp_f32_e32 v35, v39
	v_sub_f32_e32 v38, v38, v39
	v_sub_f32_e32 v36, v36, v40
	v_add_f32_e32 v37, v37, v38
	v_add_f32_e32 v33, v33, v36
	v_mul_f32_e32 v41, v40, v35
	v_mul_f32_e32 v42, v39, v41
	v_fma_f32 v38, v41, v39, -v42
	v_fmac_f32_e32 v38, v41, v37
	v_add_f32_e32 v43, v42, v38
	v_sub_f32_e32 v44, v40, v43
	v_sub_f32_e32 v36, v43, v42
	v_sub_f32_e32 v40, v40, v44
	v_sub_f32_e32 v36, v36, v38
	v_sub_f32_e32 v40, v40, v43
	v_add_f32_e32 v33, v33, v40
	v_add_f32_e32 v33, v36, v33
	;; [unrolled: 1-line block ×3, first 2 shown]
	v_mul_f32_e32 v38, v35, v36
	v_sub_f32_e32 v43, v44, v36
	v_mul_f32_e32 v40, v39, v38
	v_add_f32_e32 v33, v33, v43
	v_fma_f32 v39, v38, v39, -v40
	v_fmac_f32_e32 v39, v38, v37
	v_add_f32_e32 v37, v40, v39
	v_sub_f32_e32 v42, v36, v37
	v_sub_f32_e32 v40, v37, v40
	;; [unrolled: 1-line block ×5, first 2 shown]
	v_add_f32_e32 v33, v33, v36
	v_add_f32_e32 v36, v41, v38
	;; [unrolled: 1-line block ×3, first 2 shown]
	v_sub_f32_e32 v37, v36, v41
	v_add_f32_e32 v33, v42, v33
	v_sub_f32_e32 v37, v38, v37
	v_mul_f32_e32 v33, v35, v33
	v_add_f32_e32 v33, v37, v33
	v_add_f32_e32 v35, v36, v33
	v_mul_f32_e32 v37, v35, v35
	v_fmaak_f32 v38, s28, v37, 0x3ecc95a3
	v_mul_f32_e32 v39, v35, v37
	v_fmaak_f32 v37, v37, v38, 0x3f2aaada
	v_ldexp_f32 v38, v35, 1
	v_sub_f32_e32 v35, v35, v36
	v_mul_f32_e32 v37, v39, v37
	v_mul_f32_e32 v39, 0x3f317218, v32
	v_sub_f32_e32 v33, v33, v35
	v_add_f32_e32 v36, v38, v37
	v_ldexp_f32 v33, v33, 1
	v_sub_f32_e32 v35, v36, v38
	v_fma_f32 v38, 0x3f317218, v32, -v39
	v_sub_f32_e32 v35, v37, v35
	v_fmamk_f32 v32, v32, 0xb102e308, v38
	v_add_f32_e32 v33, v33, v35
	v_add_f32_e32 v35, v39, v32
	;; [unrolled: 1-line block ×3, first 2 shown]
	v_sub_f32_e32 v39, v35, v39
	v_add_f32_e32 v38, v35, v37
	v_sub_f32_e32 v36, v37, v36
	v_sub_f32_e32 v32, v32, v39
	;; [unrolled: 1-line block ×6, first 2 shown]
	v_add_f32_e32 v37, v32, v33
	v_sub_f32_e32 v35, v35, v41
	v_add_f32_e32 v35, v36, v35
	v_sub_f32_e32 v36, v37, v32
	;; [unrolled: 2-line block ×3, first 2 shown]
	v_sub_f32_e32 v33, v33, v36
	v_add_f32_e32 v39, v38, v35
	v_sub_f32_e32 v32, v32, v37
	v_sub_f32_e32 v36, v39, v38
	v_add_f32_e32 v32, v33, v32
	v_sub_f32_e32 v33, v35, v36
	v_add_f32_e32 v32, v32, v33
	v_add_f32_e32 v32, v39, v32
	v_cndmask_b32_e32 v32, 0x7f800000, v32, vcc_lo
	v_cmp_gt_f32_e64 vcc_lo, 0x33800000, |v34|
	v_cndmask_b32_e32 v32, v32, v34, vcc_lo
	v_add_f32_e32 v32, v30, v32
.LBB482_73:
	s_or_b32 exec_lo, exec_lo, s4
	v_bfe_u32 v30, v32, 16, 1
	v_cmp_o_f32_e32 vcc_lo, v32, v32
	v_add3_u32 v30, v32, v30, 0x7fff
	v_cndmask_b32_sdwa v30, v31, v30, vcc_lo dst_sel:DWORD dst_unused:UNUSED_PAD src0_sel:DWORD src1_sel:WORD_1
	ds_write_b16 v29, v30 offset:2
.LBB482_74:
	s_or_b32 exec_lo, exec_lo, s5
	v_mul_u32_u24_e32 v29, 22, v0
	s_mov_b32 s4, exec_lo
	s_waitcnt lgkmcnt(0)
	s_barrier
	buffer_gl0_inv
	v_cmpx_ne_u32_e32 0, v0
	s_cbranch_execz .LBB482_78
; %bb.75:
	v_add_nc_u32_e32 v1, -1, v0
	v_lshrrev_b32_e32 v26, 4, v1
	v_and_b32_e32 v26, 0xffffffe, v26
	v_lshl_add_u32 v1, v1, 1, v26
	ds_read_u16 v1, v1
	s_waitcnt lgkmcnt(0)
	v_lshlrev_b32_e32 v26, 16, v1
	v_max_f32_e32 v1, v26, v26
	v_cmp_u_f32_e32 vcc_lo, v26, v26
	v_min_f32_e32 v27, v1, v28
	v_max_f32_e32 v1, v1, v28
	v_cndmask_b32_e32 v27, v27, v26, vcc_lo
	v_cndmask_b32_e32 v1, v1, v26, vcc_lo
	v_cndmask_b32_e64 v27, v27, v25, s25
	v_cndmask_b32_e64 v1, v1, v25, s25
	v_cmp_class_f32_e64 s5, v27, 0x1f8
	v_cmp_neq_f32_e32 vcc_lo, v27, v1
	s_or_b32 s25, vcc_lo, s5
	s_and_saveexec_b32 s5, s25
	s_cbranch_execz .LBB482_77
; %bb.76:
	v_sub_f32_e32 v25, v27, v1
	s_mov_b32 s25, 0x3e9b6dac
	v_mul_f32_e32 v26, 0x3fb8aa3b, v25
	v_cmp_ngt_f32_e32 vcc_lo, 0xc2ce8ed0, v25
	v_fma_f32 v27, 0x3fb8aa3b, v25, -v26
	v_rndne_f32_e32 v28, v26
	v_fmamk_f32 v27, v25, 0x32a5705f, v27
	v_sub_f32_e32 v26, v26, v28
	v_add_f32_e32 v26, v26, v27
	v_cvt_i32_f32_e32 v27, v28
	v_exp_f32_e32 v26, v26
	v_ldexp_f32 v26, v26, v27
	v_cndmask_b32_e32 v26, 0, v26, vcc_lo
	v_cmp_nlt_f32_e32 vcc_lo, 0x42b17218, v25
	v_cndmask_b32_e32 v27, 0x7f800000, v26, vcc_lo
	v_add_f32_e32 v28, 1.0, v27
	v_cvt_f64_f32_e32 v[25:26], v28
	v_frexp_exp_i32_f64_e32 v25, v[25:26]
	v_frexp_mant_f32_e32 v26, v28
	v_cmp_gt_f32_e32 vcc_lo, 0x3f2aaaab, v26
	v_add_f32_e32 v26, -1.0, v28
	v_sub_f32_e32 v31, v26, v28
	v_sub_f32_e32 v26, v27, v26
	v_add_f32_e32 v31, 1.0, v31
	v_add_f32_e32 v26, v26, v31
	v_subrev_co_ci_u32_e64 v25, null, 0, v25, vcc_lo
	v_cmp_neq_f32_e32 vcc_lo, 0x7f800000, v27
	v_sub_nc_u32_e32 v30, 0, v25
	v_cvt_f32_i32_e32 v25, v25
	v_ldexp_f32 v28, v28, v30
	v_ldexp_f32 v26, v26, v30
	v_add_f32_e32 v32, 1.0, v28
	v_add_f32_e32 v30, -1.0, v28
	v_add_f32_e32 v31, -1.0, v32
	v_add_f32_e32 v33, 1.0, v30
	v_sub_f32_e32 v31, v28, v31
	v_sub_f32_e32 v28, v28, v33
	v_add_f32_e32 v31, v26, v31
	v_add_f32_e32 v26, v26, v28
	;; [unrolled: 1-line block ×4, first 2 shown]
	v_rcp_f32_e32 v28, v33
	v_sub_f32_e32 v32, v32, v33
	v_sub_f32_e32 v30, v30, v34
	v_add_f32_e32 v31, v31, v32
	v_add_f32_e32 v26, v26, v30
	v_mul_f32_e32 v35, v34, v28
	v_mul_f32_e32 v36, v33, v35
	v_fma_f32 v32, v35, v33, -v36
	v_fmac_f32_e32 v32, v35, v31
	v_add_f32_e32 v37, v36, v32
	v_sub_f32_e32 v38, v34, v37
	v_sub_f32_e32 v30, v37, v36
	;; [unrolled: 1-line block ×5, first 2 shown]
	v_add_f32_e32 v26, v26, v34
	v_add_f32_e32 v26, v30, v26
	;; [unrolled: 1-line block ×3, first 2 shown]
	v_mul_f32_e32 v32, v28, v30
	v_sub_f32_e32 v37, v38, v30
	v_mul_f32_e32 v34, v33, v32
	v_add_f32_e32 v26, v26, v37
	v_fma_f32 v33, v32, v33, -v34
	v_fmac_f32_e32 v33, v32, v31
	v_add_f32_e32 v31, v34, v33
	v_sub_f32_e32 v36, v30, v31
	v_sub_f32_e32 v34, v31, v34
	;; [unrolled: 1-line block ×5, first 2 shown]
	v_add_f32_e32 v26, v26, v30
	v_add_f32_e32 v30, v35, v32
	;; [unrolled: 1-line block ×3, first 2 shown]
	v_sub_f32_e32 v31, v30, v35
	v_add_f32_e32 v26, v36, v26
	v_sub_f32_e32 v31, v32, v31
	v_mul_f32_e32 v26, v28, v26
	v_add_f32_e32 v26, v31, v26
	v_add_f32_e32 v28, v30, v26
	v_mul_f32_e32 v31, v28, v28
	v_fmaak_f32 v32, s25, v31, 0x3ecc95a3
	v_mul_f32_e32 v33, v28, v31
	v_fmaak_f32 v31, v31, v32, 0x3f2aaada
	v_ldexp_f32 v32, v28, 1
	v_sub_f32_e32 v28, v28, v30
	v_mul_f32_e32 v31, v33, v31
	v_mul_f32_e32 v33, 0x3f317218, v25
	v_sub_f32_e32 v26, v26, v28
	v_add_f32_e32 v30, v32, v31
	v_ldexp_f32 v26, v26, 1
	v_sub_f32_e32 v28, v30, v32
	v_fma_f32 v32, 0x3f317218, v25, -v33
	v_sub_f32_e32 v28, v31, v28
	v_fmamk_f32 v25, v25, 0xb102e308, v32
	v_add_f32_e32 v26, v26, v28
	v_add_f32_e32 v28, v33, v25
	;; [unrolled: 1-line block ×3, first 2 shown]
	v_sub_f32_e32 v33, v28, v33
	v_add_f32_e32 v32, v28, v31
	v_sub_f32_e32 v30, v31, v30
	v_sub_f32_e32 v25, v25, v33
	;; [unrolled: 1-line block ×6, first 2 shown]
	v_add_f32_e32 v31, v25, v26
	v_sub_f32_e32 v28, v28, v35
	v_add_f32_e32 v28, v30, v28
	v_sub_f32_e32 v30, v31, v25
	;; [unrolled: 2-line block ×3, first 2 shown]
	v_sub_f32_e32 v26, v26, v30
	v_add_f32_e32 v33, v32, v28
	v_sub_f32_e32 v25, v25, v31
	v_sub_f32_e32 v30, v33, v32
	v_add_f32_e32 v25, v26, v25
	v_sub_f32_e32 v26, v28, v30
	v_add_f32_e32 v25, v25, v26
	v_add_f32_e32 v25, v33, v25
	v_cndmask_b32_e32 v25, 0x7f800000, v25, vcc_lo
	v_cmp_gt_f32_e64 vcc_lo, 0x33800000, |v27|
	v_cndmask_b32_e32 v25, v25, v27, vcc_lo
	v_add_f32_e32 v26, v1, v25
.LBB482_77:
	s_or_b32 exec_lo, exec_lo, s5
	v_bfe_u32 v1, v26, 16, 1
	v_cmp_o_f32_e32 vcc_lo, v26, v26
	v_mov_b32_e32 v25, 0x7fc0
	;;#ASMSTART
	;;#ASMEND
	v_add3_u32 v1, v26, v1, 0x7fff
	v_cndmask_b32_sdwa v1, v25, v1, vcc_lo dst_sel:DWORD dst_unused:UNUSED_PAD src0_sel:DWORD src1_sel:WORD_1
	v_lshlrev_b32_e32 v25, 16, v1
	v_max_f32_e32 v27, v25, v25
	v_min_f32_e32 v26, v27, v14
	v_max_f32_e32 v27, v27, v14
.LBB482_78:
	s_or_b32 exec_lo, exec_lo, s4
	v_cmp_u_f32_e32 vcc_lo, v25, v25
	v_cndmask_b32_e32 v14, v26, v25, vcc_lo
	v_cndmask_b32_e32 v26, v27, v25, vcc_lo
	v_cndmask_b32_e64 v14, v14, v8, s14
	v_cndmask_b32_e64 v8, v26, v8, s14
	v_cmp_class_f32_e64 s4, v14, 0x1f8
	v_cmp_neq_f32_e32 vcc_lo, v14, v8
	s_or_b32 s5, vcc_lo, s4
	s_and_saveexec_b32 s4, s5
	s_cbranch_execz .LBB482_80
; %bb.79:
	v_sub_f32_e32 v14, v14, v8
	s_mov_b32 s5, 0x3e9b6dac
	v_mul_f32_e32 v25, 0x3fb8aa3b, v14
	v_cmp_ngt_f32_e32 vcc_lo, 0xc2ce8ed0, v14
	v_fma_f32 v26, 0x3fb8aa3b, v14, -v25
	v_rndne_f32_e32 v27, v25
	v_fmamk_f32 v26, v14, 0x32a5705f, v26
	v_sub_f32_e32 v25, v25, v27
	v_add_f32_e32 v25, v25, v26
	v_cvt_i32_f32_e32 v26, v27
	v_exp_f32_e32 v25, v25
	v_ldexp_f32 v25, v25, v26
	v_cndmask_b32_e32 v25, 0, v25, vcc_lo
	v_cmp_nlt_f32_e32 vcc_lo, 0x42b17218, v14
	v_cndmask_b32_e32 v14, 0x7f800000, v25, vcc_lo
	v_add_f32_e32 v27, 1.0, v14
	v_cvt_f64_f32_e32 v[25:26], v27
	v_frexp_exp_i32_f64_e32 v25, v[25:26]
	v_frexp_mant_f32_e32 v26, v27
	v_cmp_gt_f32_e32 vcc_lo, 0x3f2aaaab, v26
	v_add_f32_e32 v26, -1.0, v27
	v_sub_f32_e32 v30, v26, v27
	v_sub_f32_e32 v26, v14, v26
	v_add_f32_e32 v30, 1.0, v30
	v_add_f32_e32 v26, v26, v30
	v_subrev_co_ci_u32_e64 v25, null, 0, v25, vcc_lo
	v_cmp_neq_f32_e32 vcc_lo, 0x7f800000, v14
	v_sub_nc_u32_e32 v28, 0, v25
	v_cvt_f32_i32_e32 v25, v25
	v_ldexp_f32 v27, v27, v28
	v_ldexp_f32 v26, v26, v28
	v_add_f32_e32 v31, 1.0, v27
	v_add_f32_e32 v28, -1.0, v27
	v_add_f32_e32 v30, -1.0, v31
	v_add_f32_e32 v32, 1.0, v28
	v_sub_f32_e32 v30, v27, v30
	v_sub_f32_e32 v27, v27, v32
	v_add_f32_e32 v30, v26, v30
	v_add_f32_e32 v26, v26, v27
	;; [unrolled: 1-line block ×4, first 2 shown]
	v_rcp_f32_e32 v27, v32
	v_sub_f32_e32 v31, v31, v32
	v_sub_f32_e32 v28, v28, v33
	v_add_f32_e32 v30, v30, v31
	v_add_f32_e32 v26, v26, v28
	v_mul_f32_e32 v34, v33, v27
	v_mul_f32_e32 v35, v32, v34
	v_fma_f32 v31, v34, v32, -v35
	v_fmac_f32_e32 v31, v34, v30
	v_add_f32_e32 v36, v35, v31
	v_sub_f32_e32 v37, v33, v36
	v_sub_f32_e32 v28, v36, v35
	;; [unrolled: 1-line block ×5, first 2 shown]
	v_add_f32_e32 v26, v26, v33
	v_add_f32_e32 v26, v28, v26
	;; [unrolled: 1-line block ×3, first 2 shown]
	v_mul_f32_e32 v31, v27, v28
	v_sub_f32_e32 v36, v37, v28
	v_mul_f32_e32 v33, v32, v31
	v_add_f32_e32 v26, v26, v36
	v_fma_f32 v32, v31, v32, -v33
	v_fmac_f32_e32 v32, v31, v30
	v_add_f32_e32 v30, v33, v32
	v_sub_f32_e32 v35, v28, v30
	v_sub_f32_e32 v33, v30, v33
	;; [unrolled: 1-line block ×5, first 2 shown]
	v_add_f32_e32 v26, v26, v28
	v_add_f32_e32 v28, v34, v31
	;; [unrolled: 1-line block ×3, first 2 shown]
	v_sub_f32_e32 v30, v28, v34
	v_add_f32_e32 v26, v35, v26
	v_sub_f32_e32 v30, v31, v30
	v_mul_f32_e32 v26, v27, v26
	v_add_f32_e32 v26, v30, v26
	v_add_f32_e32 v27, v28, v26
	v_mul_f32_e32 v30, v27, v27
	v_fmaak_f32 v31, s5, v30, 0x3ecc95a3
	v_mul_f32_e32 v32, v27, v30
	v_fmaak_f32 v30, v30, v31, 0x3f2aaada
	v_ldexp_f32 v31, v27, 1
	v_sub_f32_e32 v27, v27, v28
	v_mul_f32_e32 v30, v32, v30
	v_mul_f32_e32 v32, 0x3f317218, v25
	v_sub_f32_e32 v26, v26, v27
	v_add_f32_e32 v28, v31, v30
	v_ldexp_f32 v26, v26, 1
	v_sub_f32_e32 v27, v28, v31
	v_fma_f32 v31, 0x3f317218, v25, -v32
	v_sub_f32_e32 v27, v30, v27
	v_fmamk_f32 v25, v25, 0xb102e308, v31
	v_add_f32_e32 v26, v26, v27
	v_add_f32_e32 v27, v32, v25
	;; [unrolled: 1-line block ×3, first 2 shown]
	v_sub_f32_e32 v32, v27, v32
	v_add_f32_e32 v31, v27, v30
	v_sub_f32_e32 v28, v30, v28
	v_sub_f32_e32 v25, v25, v32
	;; [unrolled: 1-line block ×6, first 2 shown]
	v_add_f32_e32 v30, v25, v26
	v_sub_f32_e32 v27, v27, v34
	v_add_f32_e32 v27, v28, v27
	v_sub_f32_e32 v28, v30, v25
	;; [unrolled: 2-line block ×3, first 2 shown]
	v_sub_f32_e32 v26, v26, v28
	v_add_f32_e32 v32, v31, v27
	v_sub_f32_e32 v25, v25, v30
	v_sub_f32_e32 v28, v32, v31
	v_add_f32_e32 v25, v26, v25
	v_sub_f32_e32 v26, v27, v28
	v_add_f32_e32 v25, v25, v26
	v_add_f32_e32 v25, v32, v25
	v_cndmask_b32_e32 v25, 0x7f800000, v25, vcc_lo
	v_cmp_gt_f32_e64 vcc_lo, 0x33800000, |v14|
	v_cndmask_b32_e32 v14, v25, v14, vcc_lo
	v_add_f32_e32 v25, v8, v14
.LBB482_80:
	s_or_b32 exec_lo, exec_lo, s4
	v_bfe_u32 v8, v25, 16, 1
	v_cmp_o_f32_e32 vcc_lo, v25, v25
	v_mov_b32_e32 v14, 0x7fc0
	v_add3_u32 v8, v25, v8, 0x7fff
	v_cndmask_b32_sdwa v8, v14, v8, vcc_lo dst_sel:DWORD dst_unused:UNUSED_PAD src0_sel:DWORD src1_sel:WORD_1
	v_lshlrev_b32_e32 v25, 16, v8
	v_max_f32_e32 v26, v25, v25
	v_cmp_u_f32_e32 vcc_lo, v25, v25
	v_min_f32_e32 v27, v26, v11
	v_max_f32_e32 v11, v26, v11
	v_cndmask_b32_e32 v26, v27, v25, vcc_lo
	v_cndmask_b32_e32 v27, v11, v25, vcc_lo
	v_cndmask_b32_e64 v11, v26, v9, s15
	v_cndmask_b32_e64 v9, v27, v9, s15
	v_cmp_class_f32_e64 s4, v11, 0x1f8
	v_cmp_neq_f32_e32 vcc_lo, v11, v9
	s_or_b32 s5, vcc_lo, s4
	s_and_saveexec_b32 s4, s5
	s_cbranch_execz .LBB482_82
; %bb.81:
	v_sub_f32_e32 v11, v11, v9
	s_mov_b32 s5, 0x3e9b6dac
	v_mul_f32_e32 v25, 0x3fb8aa3b, v11
	v_cmp_ngt_f32_e32 vcc_lo, 0xc2ce8ed0, v11
	v_fma_f32 v26, 0x3fb8aa3b, v11, -v25
	v_rndne_f32_e32 v27, v25
	v_fmamk_f32 v26, v11, 0x32a5705f, v26
	v_sub_f32_e32 v25, v25, v27
	v_add_f32_e32 v25, v25, v26
	v_cvt_i32_f32_e32 v26, v27
	v_exp_f32_e32 v25, v25
	v_ldexp_f32 v25, v25, v26
	v_cndmask_b32_e32 v25, 0, v25, vcc_lo
	v_cmp_nlt_f32_e32 vcc_lo, 0x42b17218, v11
	v_cndmask_b32_e32 v11, 0x7f800000, v25, vcc_lo
	v_add_f32_e32 v27, 1.0, v11
	v_cvt_f64_f32_e32 v[25:26], v27
	v_frexp_exp_i32_f64_e32 v25, v[25:26]
	v_frexp_mant_f32_e32 v26, v27
	v_cmp_gt_f32_e32 vcc_lo, 0x3f2aaaab, v26
	v_add_f32_e32 v26, -1.0, v27
	v_sub_f32_e32 v30, v26, v27
	v_sub_f32_e32 v26, v11, v26
	v_add_f32_e32 v30, 1.0, v30
	v_add_f32_e32 v26, v26, v30
	v_subrev_co_ci_u32_e64 v25, null, 0, v25, vcc_lo
	v_cmp_neq_f32_e32 vcc_lo, 0x7f800000, v11
	v_sub_nc_u32_e32 v28, 0, v25
	v_cvt_f32_i32_e32 v25, v25
	v_ldexp_f32 v27, v27, v28
	v_ldexp_f32 v26, v26, v28
	v_add_f32_e32 v31, 1.0, v27
	v_add_f32_e32 v28, -1.0, v27
	v_add_f32_e32 v30, -1.0, v31
	v_add_f32_e32 v32, 1.0, v28
	v_sub_f32_e32 v30, v27, v30
	v_sub_f32_e32 v27, v27, v32
	v_add_f32_e32 v30, v26, v30
	v_add_f32_e32 v26, v26, v27
	;; [unrolled: 1-line block ×4, first 2 shown]
	v_rcp_f32_e32 v27, v32
	v_sub_f32_e32 v31, v31, v32
	v_sub_f32_e32 v28, v28, v33
	v_add_f32_e32 v30, v30, v31
	v_add_f32_e32 v26, v26, v28
	v_mul_f32_e32 v34, v33, v27
	v_mul_f32_e32 v35, v32, v34
	v_fma_f32 v31, v34, v32, -v35
	v_fmac_f32_e32 v31, v34, v30
	v_add_f32_e32 v36, v35, v31
	v_sub_f32_e32 v37, v33, v36
	v_sub_f32_e32 v28, v36, v35
	;; [unrolled: 1-line block ×5, first 2 shown]
	v_add_f32_e32 v26, v26, v33
	v_add_f32_e32 v26, v28, v26
	;; [unrolled: 1-line block ×3, first 2 shown]
	v_mul_f32_e32 v31, v27, v28
	v_sub_f32_e32 v36, v37, v28
	v_mul_f32_e32 v33, v32, v31
	v_add_f32_e32 v26, v26, v36
	v_fma_f32 v32, v31, v32, -v33
	v_fmac_f32_e32 v32, v31, v30
	v_add_f32_e32 v30, v33, v32
	v_sub_f32_e32 v35, v28, v30
	v_sub_f32_e32 v33, v30, v33
	;; [unrolled: 1-line block ×5, first 2 shown]
	v_add_f32_e32 v26, v26, v28
	v_add_f32_e32 v28, v34, v31
	;; [unrolled: 1-line block ×3, first 2 shown]
	v_sub_f32_e32 v30, v28, v34
	v_add_f32_e32 v26, v35, v26
	v_sub_f32_e32 v30, v31, v30
	v_mul_f32_e32 v26, v27, v26
	v_add_f32_e32 v26, v30, v26
	v_add_f32_e32 v27, v28, v26
	v_mul_f32_e32 v30, v27, v27
	v_fmaak_f32 v31, s5, v30, 0x3ecc95a3
	v_mul_f32_e32 v32, v27, v30
	v_fmaak_f32 v30, v30, v31, 0x3f2aaada
	v_ldexp_f32 v31, v27, 1
	v_sub_f32_e32 v27, v27, v28
	v_mul_f32_e32 v30, v32, v30
	v_mul_f32_e32 v32, 0x3f317218, v25
	v_sub_f32_e32 v26, v26, v27
	v_add_f32_e32 v28, v31, v30
	v_ldexp_f32 v26, v26, 1
	v_sub_f32_e32 v27, v28, v31
	v_fma_f32 v31, 0x3f317218, v25, -v32
	v_sub_f32_e32 v27, v30, v27
	v_fmamk_f32 v25, v25, 0xb102e308, v31
	v_add_f32_e32 v26, v26, v27
	v_add_f32_e32 v27, v32, v25
	;; [unrolled: 1-line block ×3, first 2 shown]
	v_sub_f32_e32 v32, v27, v32
	v_add_f32_e32 v31, v27, v30
	v_sub_f32_e32 v28, v30, v28
	v_sub_f32_e32 v25, v25, v32
	;; [unrolled: 1-line block ×6, first 2 shown]
	v_add_f32_e32 v30, v25, v26
	v_sub_f32_e32 v27, v27, v34
	v_add_f32_e32 v27, v28, v27
	v_sub_f32_e32 v28, v30, v25
	;; [unrolled: 2-line block ×3, first 2 shown]
	v_sub_f32_e32 v26, v26, v28
	v_add_f32_e32 v32, v31, v27
	v_sub_f32_e32 v25, v25, v30
	v_sub_f32_e32 v28, v32, v31
	v_add_f32_e32 v25, v26, v25
	v_sub_f32_e32 v26, v27, v28
	v_add_f32_e32 v25, v25, v26
	v_add_f32_e32 v25, v32, v25
	v_cndmask_b32_e32 v25, 0x7f800000, v25, vcc_lo
	v_cmp_gt_f32_e64 vcc_lo, 0x33800000, |v11|
	v_cndmask_b32_e32 v11, v25, v11, vcc_lo
	v_add_f32_e32 v25, v9, v11
.LBB482_82:
	s_or_b32 exec_lo, exec_lo, s4
	v_bfe_u32 v9, v25, 16, 1
	v_cmp_o_f32_e32 vcc_lo, v25, v25
	v_add3_u32 v9, v25, v9, 0x7fff
	v_cndmask_b32_sdwa v9, v14, v9, vcc_lo dst_sel:DWORD dst_unused:UNUSED_PAD src0_sel:DWORD src1_sel:WORD_1
	v_lshlrev_b32_e32 v14, 16, v9
	v_max_f32_e32 v11, v14, v14
	v_cmp_u_f32_e32 vcc_lo, v14, v14
	v_min_f32_e32 v25, v11, v13
	v_max_f32_e32 v11, v11, v13
	v_cndmask_b32_e32 v13, v25, v14, vcc_lo
	v_cndmask_b32_e32 v25, v11, v14, vcc_lo
	v_cndmask_b32_e64 v11, v13, v2, s16
	v_cndmask_b32_e64 v2, v25, v2, s16
	v_cmp_class_f32_e64 s4, v11, 0x1f8
	v_cmp_neq_f32_e32 vcc_lo, v11, v2
	s_or_b32 s5, vcc_lo, s4
	s_and_saveexec_b32 s4, s5
	s_cbranch_execz .LBB482_84
; %bb.83:
	v_sub_f32_e32 v11, v11, v2
	s_mov_b32 s5, 0x3e9b6dac
	v_mul_f32_e32 v13, 0x3fb8aa3b, v11
	v_cmp_ngt_f32_e32 vcc_lo, 0xc2ce8ed0, v11
	v_fma_f32 v14, 0x3fb8aa3b, v11, -v13
	v_rndne_f32_e32 v25, v13
	v_fmamk_f32 v14, v11, 0x32a5705f, v14
	v_sub_f32_e32 v13, v13, v25
	v_add_f32_e32 v13, v13, v14
	v_cvt_i32_f32_e32 v14, v25
	v_exp_f32_e32 v13, v13
	v_ldexp_f32 v13, v13, v14
	v_cndmask_b32_e32 v13, 0, v13, vcc_lo
	v_cmp_nlt_f32_e32 vcc_lo, 0x42b17218, v11
	v_cndmask_b32_e32 v11, 0x7f800000, v13, vcc_lo
	v_add_f32_e32 v25, 1.0, v11
	v_cvt_f64_f32_e32 v[13:14], v25
	v_frexp_exp_i32_f64_e32 v13, v[13:14]
	v_frexp_mant_f32_e32 v14, v25
	v_cmp_gt_f32_e32 vcc_lo, 0x3f2aaaab, v14
	v_add_f32_e32 v14, -1.0, v25
	v_sub_f32_e32 v27, v14, v25
	v_sub_f32_e32 v14, v11, v14
	v_add_f32_e32 v27, 1.0, v27
	v_add_f32_e32 v14, v14, v27
	v_subrev_co_ci_u32_e64 v13, null, 0, v13, vcc_lo
	v_cmp_neq_f32_e32 vcc_lo, 0x7f800000, v11
	v_sub_nc_u32_e32 v26, 0, v13
	v_cvt_f32_i32_e32 v13, v13
	v_ldexp_f32 v25, v25, v26
	v_ldexp_f32 v14, v14, v26
	v_add_f32_e32 v28, 1.0, v25
	v_add_f32_e32 v26, -1.0, v25
	v_add_f32_e32 v27, -1.0, v28
	v_add_f32_e32 v30, 1.0, v26
	v_sub_f32_e32 v27, v25, v27
	v_sub_f32_e32 v25, v25, v30
	v_add_f32_e32 v27, v14, v27
	v_add_f32_e32 v14, v14, v25
	;; [unrolled: 1-line block ×4, first 2 shown]
	v_rcp_f32_e32 v25, v30
	v_sub_f32_e32 v28, v28, v30
	v_sub_f32_e32 v26, v26, v31
	v_add_f32_e32 v27, v27, v28
	v_add_f32_e32 v14, v14, v26
	v_mul_f32_e32 v32, v31, v25
	v_mul_f32_e32 v33, v30, v32
	v_fma_f32 v28, v32, v30, -v33
	v_fmac_f32_e32 v28, v32, v27
	v_add_f32_e32 v34, v33, v28
	v_sub_f32_e32 v35, v31, v34
	v_sub_f32_e32 v26, v34, v33
	;; [unrolled: 1-line block ×5, first 2 shown]
	v_add_f32_e32 v14, v14, v31
	v_add_f32_e32 v14, v26, v14
	;; [unrolled: 1-line block ×3, first 2 shown]
	v_mul_f32_e32 v28, v25, v26
	v_sub_f32_e32 v34, v35, v26
	v_mul_f32_e32 v31, v30, v28
	v_add_f32_e32 v14, v14, v34
	v_fma_f32 v30, v28, v30, -v31
	v_fmac_f32_e32 v30, v28, v27
	v_add_f32_e32 v27, v31, v30
	v_sub_f32_e32 v33, v26, v27
	v_sub_f32_e32 v31, v27, v31
	;; [unrolled: 1-line block ×5, first 2 shown]
	v_add_f32_e32 v14, v14, v26
	v_add_f32_e32 v26, v32, v28
	;; [unrolled: 1-line block ×3, first 2 shown]
	v_sub_f32_e32 v27, v26, v32
	v_add_f32_e32 v14, v33, v14
	v_sub_f32_e32 v27, v28, v27
	v_mul_f32_e32 v14, v25, v14
	v_add_f32_e32 v14, v27, v14
	v_add_f32_e32 v25, v26, v14
	v_mul_f32_e32 v27, v25, v25
	v_fmaak_f32 v28, s5, v27, 0x3ecc95a3
	v_mul_f32_e32 v30, v25, v27
	v_fmaak_f32 v27, v27, v28, 0x3f2aaada
	v_ldexp_f32 v28, v25, 1
	v_sub_f32_e32 v25, v25, v26
	v_mul_f32_e32 v27, v30, v27
	v_mul_f32_e32 v30, 0x3f317218, v13
	v_sub_f32_e32 v14, v14, v25
	v_add_f32_e32 v26, v28, v27
	v_ldexp_f32 v14, v14, 1
	v_sub_f32_e32 v25, v26, v28
	v_fma_f32 v28, 0x3f317218, v13, -v30
	v_sub_f32_e32 v25, v27, v25
	v_fmamk_f32 v13, v13, 0xb102e308, v28
	v_add_f32_e32 v14, v14, v25
	v_add_f32_e32 v25, v30, v13
	;; [unrolled: 1-line block ×3, first 2 shown]
	v_sub_f32_e32 v30, v25, v30
	v_add_f32_e32 v28, v25, v27
	v_sub_f32_e32 v26, v27, v26
	v_sub_f32_e32 v13, v13, v30
	v_sub_f32_e32 v31, v28, v25
	v_sub_f32_e32 v14, v14, v26
	v_sub_f32_e32 v32, v28, v31
	v_sub_f32_e32 v26, v27, v31
	v_add_f32_e32 v27, v13, v14
	v_sub_f32_e32 v25, v25, v32
	v_add_f32_e32 v25, v26, v25
	v_sub_f32_e32 v26, v27, v13
	;; [unrolled: 2-line block ×3, first 2 shown]
	v_sub_f32_e32 v14, v14, v26
	v_add_f32_e32 v30, v28, v25
	v_sub_f32_e32 v13, v13, v27
	v_sub_f32_e32 v26, v30, v28
	v_add_f32_e32 v13, v14, v13
	v_sub_f32_e32 v14, v25, v26
	v_add_f32_e32 v13, v13, v14
	v_add_f32_e32 v13, v30, v13
	v_cndmask_b32_e32 v13, 0x7f800000, v13, vcc_lo
	v_cmp_gt_f32_e64 vcc_lo, 0x33800000, |v11|
	v_cndmask_b32_e32 v11, v13, v11, vcc_lo
	v_add_f32_e32 v14, v2, v11
.LBB482_84:
	s_or_b32 exec_lo, exec_lo, s4
	v_bfe_u32 v2, v14, 16, 1
	v_cmp_o_f32_e32 vcc_lo, v14, v14
	v_mov_b32_e32 v11, 0x7fc0
	v_add3_u32 v2, v14, v2, 0x7fff
	v_cndmask_b32_sdwa v2, v11, v2, vcc_lo dst_sel:DWORD dst_unused:UNUSED_PAD src0_sel:DWORD src1_sel:WORD_1
	v_lshlrev_b32_e32 v13, 16, v2
	v_max_f32_e32 v14, v13, v13
	v_cmp_u_f32_e32 vcc_lo, v13, v13
	v_min_f32_e32 v25, v14, v15
	v_max_f32_e32 v14, v14, v15
	v_cndmask_b32_e32 v15, v25, v13, vcc_lo
	v_cndmask_b32_e32 v25, v14, v13, vcc_lo
	v_cndmask_b32_e64 v14, v15, v10, s17
	v_cndmask_b32_e64 v10, v25, v10, s17
	v_cmp_class_f32_e64 s4, v14, 0x1f8
	v_cmp_neq_f32_e32 vcc_lo, v14, v10
	s_or_b32 s5, vcc_lo, s4
	s_and_saveexec_b32 s4, s5
	s_cbranch_execz .LBB482_86
; %bb.85:
	v_sub_f32_e32 v13, v14, v10
	s_mov_b32 s5, 0x3e9b6dac
	v_mul_f32_e32 v14, 0x3fb8aa3b, v13
	v_cmp_ngt_f32_e32 vcc_lo, 0xc2ce8ed0, v13
	v_fma_f32 v15, 0x3fb8aa3b, v13, -v14
	v_rndne_f32_e32 v25, v14
	v_fmamk_f32 v15, v13, 0x32a5705f, v15
	v_sub_f32_e32 v14, v14, v25
	v_add_f32_e32 v14, v14, v15
	v_cvt_i32_f32_e32 v15, v25
	v_exp_f32_e32 v14, v14
	v_ldexp_f32 v14, v14, v15
	v_cndmask_b32_e32 v14, 0, v14, vcc_lo
	v_cmp_nlt_f32_e32 vcc_lo, 0x42b17218, v13
	v_cndmask_b32_e32 v15, 0x7f800000, v14, vcc_lo
	v_add_f32_e32 v25, 1.0, v15
	v_cvt_f64_f32_e32 v[13:14], v25
	v_frexp_exp_i32_f64_e32 v13, v[13:14]
	v_frexp_mant_f32_e32 v14, v25
	v_cmp_gt_f32_e32 vcc_lo, 0x3f2aaaab, v14
	v_add_f32_e32 v14, -1.0, v25
	v_sub_f32_e32 v27, v14, v25
	v_sub_f32_e32 v14, v15, v14
	v_add_f32_e32 v27, 1.0, v27
	v_add_f32_e32 v14, v14, v27
	v_subrev_co_ci_u32_e64 v13, null, 0, v13, vcc_lo
	v_cmp_neq_f32_e32 vcc_lo, 0x7f800000, v15
	v_sub_nc_u32_e32 v26, 0, v13
	v_cvt_f32_i32_e32 v13, v13
	v_ldexp_f32 v25, v25, v26
	v_ldexp_f32 v14, v14, v26
	v_add_f32_e32 v28, 1.0, v25
	v_add_f32_e32 v26, -1.0, v25
	v_add_f32_e32 v27, -1.0, v28
	v_add_f32_e32 v30, 1.0, v26
	v_sub_f32_e32 v27, v25, v27
	v_sub_f32_e32 v25, v25, v30
	v_add_f32_e32 v27, v14, v27
	v_add_f32_e32 v14, v14, v25
	;; [unrolled: 1-line block ×4, first 2 shown]
	v_rcp_f32_e32 v25, v30
	v_sub_f32_e32 v28, v28, v30
	v_sub_f32_e32 v26, v26, v31
	v_add_f32_e32 v27, v27, v28
	v_add_f32_e32 v14, v14, v26
	v_mul_f32_e32 v32, v31, v25
	v_mul_f32_e32 v33, v30, v32
	v_fma_f32 v28, v32, v30, -v33
	v_fmac_f32_e32 v28, v32, v27
	v_add_f32_e32 v34, v33, v28
	v_sub_f32_e32 v35, v31, v34
	v_sub_f32_e32 v26, v34, v33
	v_sub_f32_e32 v31, v31, v35
	v_sub_f32_e32 v26, v26, v28
	v_sub_f32_e32 v31, v31, v34
	v_add_f32_e32 v14, v14, v31
	v_add_f32_e32 v14, v26, v14
	;; [unrolled: 1-line block ×3, first 2 shown]
	v_mul_f32_e32 v28, v25, v26
	v_sub_f32_e32 v34, v35, v26
	v_mul_f32_e32 v31, v30, v28
	v_add_f32_e32 v14, v14, v34
	v_fma_f32 v30, v28, v30, -v31
	v_fmac_f32_e32 v30, v28, v27
	v_add_f32_e32 v27, v31, v30
	v_sub_f32_e32 v33, v26, v27
	v_sub_f32_e32 v31, v27, v31
	v_sub_f32_e32 v26, v26, v33
	v_sub_f32_e32 v26, v26, v27
	v_sub_f32_e32 v27, v31, v30
	v_add_f32_e32 v14, v14, v26
	v_add_f32_e32 v26, v32, v28
	;; [unrolled: 1-line block ×3, first 2 shown]
	v_sub_f32_e32 v27, v26, v32
	v_add_f32_e32 v14, v33, v14
	v_sub_f32_e32 v27, v28, v27
	v_mul_f32_e32 v14, v25, v14
	v_add_f32_e32 v14, v27, v14
	v_add_f32_e32 v25, v26, v14
	v_mul_f32_e32 v27, v25, v25
	v_fmaak_f32 v28, s5, v27, 0x3ecc95a3
	v_mul_f32_e32 v30, v25, v27
	v_fmaak_f32 v27, v27, v28, 0x3f2aaada
	v_ldexp_f32 v28, v25, 1
	v_sub_f32_e32 v25, v25, v26
	v_mul_f32_e32 v27, v30, v27
	v_mul_f32_e32 v30, 0x3f317218, v13
	v_sub_f32_e32 v14, v14, v25
	v_add_f32_e32 v26, v28, v27
	v_ldexp_f32 v14, v14, 1
	v_sub_f32_e32 v25, v26, v28
	v_fma_f32 v28, 0x3f317218, v13, -v30
	v_sub_f32_e32 v25, v27, v25
	v_fmamk_f32 v13, v13, 0xb102e308, v28
	v_add_f32_e32 v14, v14, v25
	v_add_f32_e32 v25, v30, v13
	;; [unrolled: 1-line block ×3, first 2 shown]
	v_sub_f32_e32 v30, v25, v30
	v_add_f32_e32 v28, v25, v27
	v_sub_f32_e32 v26, v27, v26
	v_sub_f32_e32 v13, v13, v30
	;; [unrolled: 1-line block ×6, first 2 shown]
	v_add_f32_e32 v27, v13, v14
	v_sub_f32_e32 v25, v25, v32
	v_add_f32_e32 v25, v26, v25
	v_sub_f32_e32 v26, v27, v13
	v_add_f32_e32 v25, v27, v25
	v_sub_f32_e32 v27, v27, v26
	v_sub_f32_e32 v14, v14, v26
	v_add_f32_e32 v30, v28, v25
	v_sub_f32_e32 v13, v13, v27
	v_sub_f32_e32 v26, v30, v28
	v_add_f32_e32 v13, v14, v13
	v_sub_f32_e32 v14, v25, v26
	v_add_f32_e32 v13, v13, v14
	v_add_f32_e32 v13, v30, v13
	v_cndmask_b32_e32 v13, 0x7f800000, v13, vcc_lo
	v_cmp_gt_f32_e64 vcc_lo, 0x33800000, |v15|
	v_cndmask_b32_e32 v13, v13, v15, vcc_lo
	v_add_f32_e32 v13, v10, v13
.LBB482_86:
	s_or_b32 exec_lo, exec_lo, s4
	v_bfe_u32 v10, v13, 16, 1
	v_cmp_o_f32_e32 vcc_lo, v13, v13
	v_add3_u32 v10, v13, v10, 0x7fff
	v_cndmask_b32_sdwa v10, v11, v10, vcc_lo dst_sel:DWORD dst_unused:UNUSED_PAD src0_sel:DWORD src1_sel:WORD_1
	v_lshlrev_b32_e32 v13, 16, v10
	v_max_f32_e32 v11, v13, v13
	v_cmp_u_f32_e32 vcc_lo, v13, v13
	v_min_f32_e32 v14, v11, v17
	v_max_f32_e32 v11, v11, v17
	v_cndmask_b32_e32 v14, v14, v13, vcc_lo
	v_cndmask_b32_e32 v15, v11, v13, vcc_lo
	v_cndmask_b32_e64 v11, v14, v3, s18
	v_cndmask_b32_e64 v3, v15, v3, s18
	v_cmp_class_f32_e64 s4, v11, 0x1f8
	v_cmp_neq_f32_e32 vcc_lo, v11, v3
	s_or_b32 s5, vcc_lo, s4
	s_and_saveexec_b32 s4, s5
	s_cbranch_execz .LBB482_88
; %bb.87:
	v_sub_f32_e32 v11, v11, v3
	s_mov_b32 s5, 0x3e9b6dac
	v_mul_f32_e32 v13, 0x3fb8aa3b, v11
	v_cmp_ngt_f32_e32 vcc_lo, 0xc2ce8ed0, v11
	v_fma_f32 v14, 0x3fb8aa3b, v11, -v13
	v_rndne_f32_e32 v15, v13
	v_fmamk_f32 v14, v11, 0x32a5705f, v14
	v_sub_f32_e32 v13, v13, v15
	v_add_f32_e32 v13, v13, v14
	v_cvt_i32_f32_e32 v14, v15
	v_exp_f32_e32 v13, v13
	v_ldexp_f32 v13, v13, v14
	v_cndmask_b32_e32 v13, 0, v13, vcc_lo
	v_cmp_nlt_f32_e32 vcc_lo, 0x42b17218, v11
	v_cndmask_b32_e32 v11, 0x7f800000, v13, vcc_lo
	v_add_f32_e32 v15, 1.0, v11
	v_cvt_f64_f32_e32 v[13:14], v15
	v_frexp_exp_i32_f64_e32 v13, v[13:14]
	v_frexp_mant_f32_e32 v14, v15
	v_cmp_gt_f32_e32 vcc_lo, 0x3f2aaaab, v14
	v_add_f32_e32 v14, -1.0, v15
	v_sub_f32_e32 v25, v14, v15
	v_sub_f32_e32 v14, v11, v14
	v_add_f32_e32 v25, 1.0, v25
	v_add_f32_e32 v14, v14, v25
	v_subrev_co_ci_u32_e64 v13, null, 0, v13, vcc_lo
	v_cmp_neq_f32_e32 vcc_lo, 0x7f800000, v11
	v_sub_nc_u32_e32 v17, 0, v13
	v_cvt_f32_i32_e32 v13, v13
	v_ldexp_f32 v15, v15, v17
	v_ldexp_f32 v14, v14, v17
	v_add_f32_e32 v26, 1.0, v15
	v_add_f32_e32 v17, -1.0, v15
	v_add_f32_e32 v25, -1.0, v26
	v_add_f32_e32 v27, 1.0, v17
	v_sub_f32_e32 v25, v15, v25
	v_sub_f32_e32 v15, v15, v27
	v_add_f32_e32 v25, v14, v25
	v_add_f32_e32 v14, v14, v15
	;; [unrolled: 1-line block ×4, first 2 shown]
	v_rcp_f32_e32 v15, v27
	v_sub_f32_e32 v26, v26, v27
	v_sub_f32_e32 v17, v17, v28
	v_add_f32_e32 v25, v25, v26
	v_add_f32_e32 v14, v14, v17
	v_mul_f32_e32 v30, v28, v15
	v_mul_f32_e32 v31, v27, v30
	v_fma_f32 v26, v30, v27, -v31
	v_fmac_f32_e32 v26, v30, v25
	v_add_f32_e32 v32, v31, v26
	v_sub_f32_e32 v33, v28, v32
	v_sub_f32_e32 v17, v32, v31
	;; [unrolled: 1-line block ×5, first 2 shown]
	v_add_f32_e32 v14, v14, v28
	v_add_f32_e32 v14, v17, v14
	v_add_f32_e32 v17, v33, v14
	v_mul_f32_e32 v26, v15, v17
	v_sub_f32_e32 v32, v33, v17
	v_mul_f32_e32 v28, v27, v26
	v_add_f32_e32 v14, v14, v32
	v_fma_f32 v27, v26, v27, -v28
	v_fmac_f32_e32 v27, v26, v25
	v_add_f32_e32 v25, v28, v27
	v_sub_f32_e32 v31, v17, v25
	v_sub_f32_e32 v28, v25, v28
	;; [unrolled: 1-line block ×5, first 2 shown]
	v_add_f32_e32 v14, v14, v17
	v_add_f32_e32 v17, v30, v26
	;; [unrolled: 1-line block ×3, first 2 shown]
	v_sub_f32_e32 v25, v17, v30
	v_add_f32_e32 v14, v31, v14
	v_sub_f32_e32 v25, v26, v25
	v_mul_f32_e32 v14, v15, v14
	v_add_f32_e32 v14, v25, v14
	v_add_f32_e32 v15, v17, v14
	v_mul_f32_e32 v25, v15, v15
	v_fmaak_f32 v26, s5, v25, 0x3ecc95a3
	v_mul_f32_e32 v27, v15, v25
	v_fmaak_f32 v25, v25, v26, 0x3f2aaada
	v_ldexp_f32 v26, v15, 1
	v_sub_f32_e32 v15, v15, v17
	v_mul_f32_e32 v25, v27, v25
	v_mul_f32_e32 v27, 0x3f317218, v13
	v_sub_f32_e32 v14, v14, v15
	v_add_f32_e32 v17, v26, v25
	v_ldexp_f32 v14, v14, 1
	v_sub_f32_e32 v15, v17, v26
	v_fma_f32 v26, 0x3f317218, v13, -v27
	v_sub_f32_e32 v15, v25, v15
	v_fmamk_f32 v13, v13, 0xb102e308, v26
	v_add_f32_e32 v14, v14, v15
	v_add_f32_e32 v15, v27, v13
	;; [unrolled: 1-line block ×3, first 2 shown]
	v_sub_f32_e32 v27, v15, v27
	v_add_f32_e32 v26, v15, v25
	v_sub_f32_e32 v17, v25, v17
	v_sub_f32_e32 v13, v13, v27
	;; [unrolled: 1-line block ×6, first 2 shown]
	v_add_f32_e32 v25, v13, v14
	v_sub_f32_e32 v15, v15, v30
	v_add_f32_e32 v15, v17, v15
	v_sub_f32_e32 v17, v25, v13
	;; [unrolled: 2-line block ×3, first 2 shown]
	v_sub_f32_e32 v14, v14, v17
	v_add_f32_e32 v27, v26, v15
	v_sub_f32_e32 v13, v13, v25
	v_sub_f32_e32 v17, v27, v26
	v_add_f32_e32 v13, v14, v13
	v_sub_f32_e32 v14, v15, v17
	v_add_f32_e32 v13, v13, v14
	v_add_f32_e32 v13, v27, v13
	v_cndmask_b32_e32 v13, 0x7f800000, v13, vcc_lo
	v_cmp_gt_f32_e64 vcc_lo, 0x33800000, |v11|
	v_cndmask_b32_e32 v11, v13, v11, vcc_lo
	v_add_f32_e32 v13, v3, v11
.LBB482_88:
	s_or_b32 exec_lo, exec_lo, s4
	v_bfe_u32 v3, v13, 16, 1
	v_cmp_o_f32_e32 vcc_lo, v13, v13
	v_mov_b32_e32 v11, 0x7fc0
	v_add3_u32 v3, v13, v3, 0x7fff
	v_cndmask_b32_sdwa v3, v11, v3, vcc_lo dst_sel:DWORD dst_unused:UNUSED_PAD src0_sel:DWORD src1_sel:WORD_1
	v_lshlrev_b32_e32 v13, 16, v3
	v_max_f32_e32 v14, v13, v13
	v_cmp_u_f32_e32 vcc_lo, v13, v13
	v_min_f32_e32 v15, v14, v18
	v_max_f32_e32 v14, v14, v18
	v_cndmask_b32_e32 v15, v15, v13, vcc_lo
	v_cndmask_b32_e32 v17, v14, v13, vcc_lo
	v_cndmask_b32_e64 v14, v15, v12, s19
	v_cndmask_b32_e64 v12, v17, v12, s19
	v_cmp_class_f32_e64 s4, v14, 0x1f8
	v_cmp_neq_f32_e32 vcc_lo, v14, v12
	s_or_b32 s5, vcc_lo, s4
	s_and_saveexec_b32 s4, s5
	s_cbranch_execz .LBB482_90
; %bb.89:
	v_sub_f32_e32 v13, v14, v12
	s_mov_b32 s5, 0x3e9b6dac
	v_mul_f32_e32 v14, 0x3fb8aa3b, v13
	v_cmp_ngt_f32_e32 vcc_lo, 0xc2ce8ed0, v13
	v_fma_f32 v15, 0x3fb8aa3b, v13, -v14
	v_rndne_f32_e32 v17, v14
	v_fmamk_f32 v15, v13, 0x32a5705f, v15
	v_sub_f32_e32 v14, v14, v17
	v_add_f32_e32 v14, v14, v15
	v_cvt_i32_f32_e32 v15, v17
	v_exp_f32_e32 v14, v14
	v_ldexp_f32 v14, v14, v15
	v_cndmask_b32_e32 v14, 0, v14, vcc_lo
	v_cmp_nlt_f32_e32 vcc_lo, 0x42b17218, v13
	v_cndmask_b32_e32 v15, 0x7f800000, v14, vcc_lo
	v_add_f32_e32 v17, 1.0, v15
	v_cvt_f64_f32_e32 v[13:14], v17
	v_frexp_exp_i32_f64_e32 v13, v[13:14]
	v_frexp_mant_f32_e32 v14, v17
	v_cmp_gt_f32_e32 vcc_lo, 0x3f2aaaab, v14
	v_add_f32_e32 v14, -1.0, v17
	v_sub_f32_e32 v25, v14, v17
	v_sub_f32_e32 v14, v15, v14
	v_add_f32_e32 v25, 1.0, v25
	v_add_f32_e32 v14, v14, v25
	v_subrev_co_ci_u32_e64 v13, null, 0, v13, vcc_lo
	v_cmp_neq_f32_e32 vcc_lo, 0x7f800000, v15
	v_sub_nc_u32_e32 v18, 0, v13
	v_cvt_f32_i32_e32 v13, v13
	v_ldexp_f32 v17, v17, v18
	v_ldexp_f32 v14, v14, v18
	v_add_f32_e32 v26, 1.0, v17
	v_add_f32_e32 v18, -1.0, v17
	v_add_f32_e32 v25, -1.0, v26
	v_add_f32_e32 v27, 1.0, v18
	v_sub_f32_e32 v25, v17, v25
	v_sub_f32_e32 v17, v17, v27
	v_add_f32_e32 v25, v14, v25
	v_add_f32_e32 v14, v14, v17
	;; [unrolled: 1-line block ×4, first 2 shown]
	v_rcp_f32_e32 v17, v27
	v_sub_f32_e32 v26, v26, v27
	v_sub_f32_e32 v18, v18, v28
	v_add_f32_e32 v25, v25, v26
	v_add_f32_e32 v14, v14, v18
	v_mul_f32_e32 v30, v28, v17
	v_mul_f32_e32 v31, v27, v30
	v_fma_f32 v26, v30, v27, -v31
	v_fmac_f32_e32 v26, v30, v25
	v_add_f32_e32 v32, v31, v26
	v_sub_f32_e32 v33, v28, v32
	v_sub_f32_e32 v18, v32, v31
	;; [unrolled: 1-line block ×5, first 2 shown]
	v_add_f32_e32 v14, v14, v28
	v_add_f32_e32 v14, v18, v14
	;; [unrolled: 1-line block ×3, first 2 shown]
	v_mul_f32_e32 v26, v17, v18
	v_sub_f32_e32 v32, v33, v18
	v_mul_f32_e32 v28, v27, v26
	v_add_f32_e32 v14, v14, v32
	v_fma_f32 v27, v26, v27, -v28
	v_fmac_f32_e32 v27, v26, v25
	v_add_f32_e32 v25, v28, v27
	v_sub_f32_e32 v31, v18, v25
	v_sub_f32_e32 v28, v25, v28
	;; [unrolled: 1-line block ×5, first 2 shown]
	v_add_f32_e32 v14, v14, v18
	v_add_f32_e32 v18, v30, v26
	;; [unrolled: 1-line block ×3, first 2 shown]
	v_sub_f32_e32 v25, v18, v30
	v_add_f32_e32 v14, v31, v14
	v_sub_f32_e32 v25, v26, v25
	v_mul_f32_e32 v14, v17, v14
	v_add_f32_e32 v14, v25, v14
	v_add_f32_e32 v17, v18, v14
	v_mul_f32_e32 v25, v17, v17
	v_fmaak_f32 v26, s5, v25, 0x3ecc95a3
	v_mul_f32_e32 v27, v17, v25
	v_fmaak_f32 v25, v25, v26, 0x3f2aaada
	v_ldexp_f32 v26, v17, 1
	v_sub_f32_e32 v17, v17, v18
	v_mul_f32_e32 v25, v27, v25
	v_mul_f32_e32 v27, 0x3f317218, v13
	v_sub_f32_e32 v14, v14, v17
	v_add_f32_e32 v18, v26, v25
	v_ldexp_f32 v14, v14, 1
	v_sub_f32_e32 v17, v18, v26
	v_fma_f32 v26, 0x3f317218, v13, -v27
	v_sub_f32_e32 v17, v25, v17
	v_fmamk_f32 v13, v13, 0xb102e308, v26
	v_add_f32_e32 v14, v14, v17
	v_add_f32_e32 v17, v27, v13
	;; [unrolled: 1-line block ×3, first 2 shown]
	v_sub_f32_e32 v27, v17, v27
	v_add_f32_e32 v26, v17, v25
	v_sub_f32_e32 v18, v25, v18
	v_sub_f32_e32 v13, v13, v27
	;; [unrolled: 1-line block ×6, first 2 shown]
	v_add_f32_e32 v25, v13, v14
	v_sub_f32_e32 v17, v17, v30
	v_add_f32_e32 v17, v18, v17
	v_sub_f32_e32 v18, v25, v13
	;; [unrolled: 2-line block ×3, first 2 shown]
	v_sub_f32_e32 v14, v14, v18
	v_add_f32_e32 v27, v26, v17
	v_sub_f32_e32 v13, v13, v25
	v_sub_f32_e32 v18, v27, v26
	v_add_f32_e32 v13, v14, v13
	v_sub_f32_e32 v14, v17, v18
	v_add_f32_e32 v13, v13, v14
	v_add_f32_e32 v13, v27, v13
	v_cndmask_b32_e32 v13, 0x7f800000, v13, vcc_lo
	v_cmp_gt_f32_e64 vcc_lo, 0x33800000, |v15|
	v_cndmask_b32_e32 v13, v13, v15, vcc_lo
	v_add_f32_e32 v13, v12, v13
.LBB482_90:
	s_or_b32 exec_lo, exec_lo, s4
	v_bfe_u32 v12, v13, 16, 1
	v_cmp_o_f32_e32 vcc_lo, v13, v13
	v_add3_u32 v12, v13, v12, 0x7fff
	v_cndmask_b32_sdwa v11, v11, v12, vcc_lo dst_sel:DWORD dst_unused:UNUSED_PAD src0_sel:DWORD src1_sel:WORD_1
	v_lshlrev_b32_e32 v13, 16, v11
	v_max_f32_e32 v12, v13, v13
	v_cmp_u_f32_e32 vcc_lo, v13, v13
	v_min_f32_e32 v14, v12, v20
	v_max_f32_e32 v12, v12, v20
	v_cndmask_b32_e32 v14, v14, v13, vcc_lo
	v_cndmask_b32_e32 v15, v12, v13, vcc_lo
	v_cndmask_b32_e64 v12, v14, v4, s20
	v_cndmask_b32_e64 v4, v15, v4, s20
	v_cmp_class_f32_e64 s4, v12, 0x1f8
	v_cmp_neq_f32_e32 vcc_lo, v12, v4
	s_or_b32 s5, vcc_lo, s4
	s_and_saveexec_b32 s4, s5
	s_cbranch_execz .LBB482_92
; %bb.91:
	v_sub_f32_e32 v12, v12, v4
	s_mov_b32 s5, 0x3e9b6dac
	v_mul_f32_e32 v13, 0x3fb8aa3b, v12
	v_cmp_ngt_f32_e32 vcc_lo, 0xc2ce8ed0, v12
	v_fma_f32 v14, 0x3fb8aa3b, v12, -v13
	v_rndne_f32_e32 v15, v13
	v_fmamk_f32 v14, v12, 0x32a5705f, v14
	v_sub_f32_e32 v13, v13, v15
	v_add_f32_e32 v13, v13, v14
	v_cvt_i32_f32_e32 v14, v15
	v_exp_f32_e32 v13, v13
	v_ldexp_f32 v13, v13, v14
	v_cndmask_b32_e32 v13, 0, v13, vcc_lo
	v_cmp_nlt_f32_e32 vcc_lo, 0x42b17218, v12
	v_cndmask_b32_e32 v14, 0x7f800000, v13, vcc_lo
	v_add_f32_e32 v15, 1.0, v14
	v_cvt_f64_f32_e32 v[12:13], v15
	v_frexp_exp_i32_f64_e32 v12, v[12:13]
	v_frexp_mant_f32_e32 v13, v15
	v_cmp_gt_f32_e32 vcc_lo, 0x3f2aaaab, v13
	v_add_f32_e32 v13, -1.0, v15
	v_sub_f32_e32 v18, v13, v15
	v_sub_f32_e32 v13, v14, v13
	v_add_f32_e32 v18, 1.0, v18
	v_add_f32_e32 v13, v13, v18
	v_subrev_co_ci_u32_e64 v12, null, 0, v12, vcc_lo
	v_cmp_neq_f32_e32 vcc_lo, 0x7f800000, v14
	v_sub_nc_u32_e32 v17, 0, v12
	v_cvt_f32_i32_e32 v12, v12
	v_ldexp_f32 v15, v15, v17
	v_ldexp_f32 v13, v13, v17
	v_add_f32_e32 v20, 1.0, v15
	v_add_f32_e32 v17, -1.0, v15
	v_add_f32_e32 v18, -1.0, v20
	v_add_f32_e32 v25, 1.0, v17
	v_sub_f32_e32 v18, v15, v18
	v_sub_f32_e32 v15, v15, v25
	v_add_f32_e32 v18, v13, v18
	v_add_f32_e32 v13, v13, v15
	;; [unrolled: 1-line block ×4, first 2 shown]
	v_rcp_f32_e32 v15, v25
	v_sub_f32_e32 v20, v20, v25
	v_sub_f32_e32 v17, v17, v26
	v_add_f32_e32 v18, v18, v20
	v_add_f32_e32 v13, v13, v17
	v_mul_f32_e32 v27, v26, v15
	v_mul_f32_e32 v28, v25, v27
	v_fma_f32 v20, v27, v25, -v28
	v_fmac_f32_e32 v20, v27, v18
	v_add_f32_e32 v30, v28, v20
	v_sub_f32_e32 v31, v26, v30
	v_sub_f32_e32 v17, v30, v28
	;; [unrolled: 1-line block ×5, first 2 shown]
	v_add_f32_e32 v13, v13, v26
	v_add_f32_e32 v13, v17, v13
	;; [unrolled: 1-line block ×3, first 2 shown]
	v_mul_f32_e32 v20, v15, v17
	v_sub_f32_e32 v30, v31, v17
	v_mul_f32_e32 v26, v25, v20
	v_add_f32_e32 v13, v13, v30
	v_fma_f32 v25, v20, v25, -v26
	v_fmac_f32_e32 v25, v20, v18
	v_add_f32_e32 v18, v26, v25
	v_sub_f32_e32 v28, v17, v18
	v_sub_f32_e32 v26, v18, v26
	;; [unrolled: 1-line block ×5, first 2 shown]
	v_add_f32_e32 v13, v13, v17
	v_add_f32_e32 v17, v27, v20
	;; [unrolled: 1-line block ×3, first 2 shown]
	v_sub_f32_e32 v18, v17, v27
	v_add_f32_e32 v13, v28, v13
	v_sub_f32_e32 v18, v20, v18
	v_mul_f32_e32 v13, v15, v13
	v_add_f32_e32 v13, v18, v13
	v_add_f32_e32 v15, v17, v13
	v_mul_f32_e32 v18, v15, v15
	v_fmaak_f32 v20, s5, v18, 0x3ecc95a3
	v_mul_f32_e32 v25, v15, v18
	v_fmaak_f32 v18, v18, v20, 0x3f2aaada
	v_ldexp_f32 v20, v15, 1
	v_sub_f32_e32 v15, v15, v17
	v_mul_f32_e32 v18, v25, v18
	v_mul_f32_e32 v25, 0x3f317218, v12
	v_sub_f32_e32 v13, v13, v15
	v_add_f32_e32 v17, v20, v18
	v_ldexp_f32 v13, v13, 1
	v_sub_f32_e32 v15, v17, v20
	v_fma_f32 v20, 0x3f317218, v12, -v25
	v_sub_f32_e32 v15, v18, v15
	v_fmamk_f32 v12, v12, 0xb102e308, v20
	v_add_f32_e32 v13, v13, v15
	v_add_f32_e32 v15, v25, v12
	v_add_f32_e32 v18, v17, v13
	v_sub_f32_e32 v25, v15, v25
	v_add_f32_e32 v20, v15, v18
	v_sub_f32_e32 v17, v18, v17
	v_sub_f32_e32 v12, v12, v25
	;; [unrolled: 1-line block ×6, first 2 shown]
	v_add_f32_e32 v18, v12, v13
	v_sub_f32_e32 v15, v15, v27
	v_add_f32_e32 v15, v17, v15
	v_sub_f32_e32 v17, v18, v12
	;; [unrolled: 2-line block ×3, first 2 shown]
	v_sub_f32_e32 v13, v13, v17
	v_add_f32_e32 v25, v20, v15
	v_sub_f32_e32 v12, v12, v18
	v_sub_f32_e32 v17, v25, v20
	v_add_f32_e32 v12, v13, v12
	v_sub_f32_e32 v13, v15, v17
	v_add_f32_e32 v12, v12, v13
	v_add_f32_e32 v12, v25, v12
	v_cndmask_b32_e32 v12, 0x7f800000, v12, vcc_lo
	v_cmp_gt_f32_e64 vcc_lo, 0x33800000, |v14|
	v_cndmask_b32_e32 v12, v12, v14, vcc_lo
	v_add_f32_e32 v13, v4, v12
.LBB482_92:
	s_or_b32 exec_lo, exec_lo, s4
	v_bfe_u32 v4, v13, 16, 1
	v_cmp_o_f32_e32 vcc_lo, v13, v13
	v_mov_b32_e32 v12, 0x7fc0
	v_add3_u32 v4, v13, v4, 0x7fff
	v_cndmask_b32_sdwa v4, v12, v4, vcc_lo dst_sel:DWORD dst_unused:UNUSED_PAD src0_sel:DWORD src1_sel:WORD_1
	v_lshlrev_b32_e32 v14, 16, v4
	v_max_f32_e32 v13, v14, v14
	v_cmp_u_f32_e32 vcc_lo, v14, v14
	v_min_f32_e32 v15, v13, v21
	v_max_f32_e32 v13, v13, v21
	v_cndmask_b32_e32 v15, v15, v14, vcc_lo
	v_cndmask_b32_e32 v13, v13, v14, vcc_lo
	v_cndmask_b32_e64 v15, v15, v16, s21
	v_cndmask_b32_e64 v13, v13, v16, s21
	v_cmp_class_f32_e64 s4, v15, 0x1f8
	v_cmp_neq_f32_e32 vcc_lo, v15, v13
	s_or_b32 s5, vcc_lo, s4
	s_and_saveexec_b32 s4, s5
	s_cbranch_execz .LBB482_94
; %bb.93:
	v_sub_f32_e32 v14, v15, v13
	s_mov_b32 s5, 0x3e9b6dac
	v_mul_f32_e32 v15, 0x3fb8aa3b, v14
	v_cmp_ngt_f32_e32 vcc_lo, 0xc2ce8ed0, v14
	v_fma_f32 v16, 0x3fb8aa3b, v14, -v15
	v_rndne_f32_e32 v17, v15
	v_fmamk_f32 v16, v14, 0x32a5705f, v16
	v_sub_f32_e32 v15, v15, v17
	v_add_f32_e32 v15, v15, v16
	v_cvt_i32_f32_e32 v16, v17
	v_exp_f32_e32 v15, v15
	v_ldexp_f32 v15, v15, v16
	v_cndmask_b32_e32 v15, 0, v15, vcc_lo
	v_cmp_nlt_f32_e32 vcc_lo, 0x42b17218, v14
	v_cndmask_b32_e32 v16, 0x7f800000, v15, vcc_lo
	v_add_f32_e32 v17, 1.0, v16
	v_cvt_f64_f32_e32 v[14:15], v17
	v_frexp_exp_i32_f64_e32 v14, v[14:15]
	v_frexp_mant_f32_e32 v15, v17
	v_cmp_gt_f32_e32 vcc_lo, 0x3f2aaaab, v15
	v_add_f32_e32 v15, -1.0, v17
	v_sub_f32_e32 v20, v15, v17
	v_sub_f32_e32 v15, v16, v15
	v_add_f32_e32 v20, 1.0, v20
	v_add_f32_e32 v15, v15, v20
	v_subrev_co_ci_u32_e64 v14, null, 0, v14, vcc_lo
	v_cmp_neq_f32_e32 vcc_lo, 0x7f800000, v16
	v_sub_nc_u32_e32 v18, 0, v14
	v_cvt_f32_i32_e32 v14, v14
	v_ldexp_f32 v17, v17, v18
	v_ldexp_f32 v15, v15, v18
	v_add_f32_e32 v21, 1.0, v17
	v_add_f32_e32 v18, -1.0, v17
	v_add_f32_e32 v20, -1.0, v21
	v_add_f32_e32 v25, 1.0, v18
	v_sub_f32_e32 v20, v17, v20
	v_sub_f32_e32 v17, v17, v25
	v_add_f32_e32 v20, v15, v20
	v_add_f32_e32 v15, v15, v17
	;; [unrolled: 1-line block ×4, first 2 shown]
	v_rcp_f32_e32 v17, v25
	v_sub_f32_e32 v21, v21, v25
	v_sub_f32_e32 v18, v18, v26
	v_add_f32_e32 v20, v20, v21
	v_add_f32_e32 v15, v15, v18
	v_mul_f32_e32 v27, v26, v17
	v_mul_f32_e32 v28, v25, v27
	v_fma_f32 v21, v27, v25, -v28
	v_fmac_f32_e32 v21, v27, v20
	v_add_f32_e32 v30, v28, v21
	v_sub_f32_e32 v31, v26, v30
	v_sub_f32_e32 v18, v30, v28
	;; [unrolled: 1-line block ×5, first 2 shown]
	v_add_f32_e32 v15, v15, v26
	v_add_f32_e32 v15, v18, v15
	;; [unrolled: 1-line block ×3, first 2 shown]
	v_mul_f32_e32 v21, v17, v18
	v_sub_f32_e32 v30, v31, v18
	v_mul_f32_e32 v26, v25, v21
	v_add_f32_e32 v15, v15, v30
	v_fma_f32 v25, v21, v25, -v26
	v_fmac_f32_e32 v25, v21, v20
	v_add_f32_e32 v20, v26, v25
	v_sub_f32_e32 v28, v18, v20
	v_sub_f32_e32 v26, v20, v26
	;; [unrolled: 1-line block ×5, first 2 shown]
	v_add_f32_e32 v15, v15, v18
	v_add_f32_e32 v18, v27, v21
	;; [unrolled: 1-line block ×3, first 2 shown]
	v_sub_f32_e32 v20, v18, v27
	v_add_f32_e32 v15, v28, v15
	v_sub_f32_e32 v20, v21, v20
	v_mul_f32_e32 v15, v17, v15
	v_add_f32_e32 v15, v20, v15
	v_add_f32_e32 v17, v18, v15
	v_mul_f32_e32 v20, v17, v17
	v_fmaak_f32 v21, s5, v20, 0x3ecc95a3
	v_mul_f32_e32 v25, v17, v20
	v_fmaak_f32 v20, v20, v21, 0x3f2aaada
	v_ldexp_f32 v21, v17, 1
	v_sub_f32_e32 v17, v17, v18
	v_mul_f32_e32 v20, v25, v20
	v_mul_f32_e32 v25, 0x3f317218, v14
	v_sub_f32_e32 v15, v15, v17
	v_add_f32_e32 v18, v21, v20
	v_ldexp_f32 v15, v15, 1
	v_sub_f32_e32 v17, v18, v21
	v_fma_f32 v21, 0x3f317218, v14, -v25
	v_sub_f32_e32 v17, v20, v17
	v_fmamk_f32 v14, v14, 0xb102e308, v21
	v_add_f32_e32 v15, v15, v17
	v_add_f32_e32 v17, v25, v14
	;; [unrolled: 1-line block ×3, first 2 shown]
	v_sub_f32_e32 v25, v17, v25
	v_add_f32_e32 v21, v17, v20
	v_sub_f32_e32 v18, v20, v18
	v_sub_f32_e32 v14, v14, v25
	;; [unrolled: 1-line block ×6, first 2 shown]
	v_add_f32_e32 v20, v14, v15
	v_sub_f32_e32 v17, v17, v27
	v_add_f32_e32 v17, v18, v17
	v_sub_f32_e32 v18, v20, v14
	;; [unrolled: 2-line block ×3, first 2 shown]
	v_sub_f32_e32 v15, v15, v18
	v_add_f32_e32 v25, v21, v17
	v_sub_f32_e32 v14, v14, v20
	v_sub_f32_e32 v18, v25, v21
	v_add_f32_e32 v14, v15, v14
	v_sub_f32_e32 v15, v17, v18
	v_add_f32_e32 v14, v14, v15
	v_add_f32_e32 v14, v25, v14
	v_cndmask_b32_e32 v14, 0x7f800000, v14, vcc_lo
	v_cmp_gt_f32_e64 vcc_lo, 0x33800000, |v16|
	v_cndmask_b32_e32 v14, v14, v16, vcc_lo
	v_add_f32_e32 v14, v13, v14
.LBB482_94:
	s_or_b32 exec_lo, exec_lo, s4
	v_bfe_u32 v13, v14, 16, 1
	v_cmp_o_f32_e32 vcc_lo, v14, v14
	v_add3_u32 v13, v14, v13, 0x7fff
	v_cndmask_b32_sdwa v12, v12, v13, vcc_lo dst_sel:DWORD dst_unused:UNUSED_PAD src0_sel:DWORD src1_sel:WORD_1
	v_lshlrev_b32_e32 v14, 16, v12
	v_max_f32_e32 v13, v14, v14
	v_cmp_u_f32_e32 vcc_lo, v14, v14
	v_min_f32_e32 v15, v13, v22
	v_max_f32_e32 v13, v13, v22
	v_cndmask_b32_e32 v15, v15, v14, vcc_lo
	v_cndmask_b32_e32 v16, v13, v14, vcc_lo
	v_cndmask_b32_e64 v13, v15, v5, s22
	v_cndmask_b32_e64 v5, v16, v5, s22
	v_cmp_class_f32_e64 s4, v13, 0x1f8
	v_cmp_neq_f32_e32 vcc_lo, v13, v5
	s_or_b32 s5, vcc_lo, s4
	s_and_saveexec_b32 s4, s5
	s_cbranch_execz .LBB482_96
; %bb.95:
	v_sub_f32_e32 v13, v13, v5
	s_mov_b32 s5, 0x3e9b6dac
	v_mul_f32_e32 v14, 0x3fb8aa3b, v13
	v_cmp_ngt_f32_e32 vcc_lo, 0xc2ce8ed0, v13
	v_fma_f32 v15, 0x3fb8aa3b, v13, -v14
	v_rndne_f32_e32 v16, v14
	v_fmamk_f32 v15, v13, 0x32a5705f, v15
	v_sub_f32_e32 v14, v14, v16
	v_add_f32_e32 v14, v14, v15
	v_cvt_i32_f32_e32 v15, v16
	v_exp_f32_e32 v14, v14
	v_ldexp_f32 v14, v14, v15
	v_cndmask_b32_e32 v14, 0, v14, vcc_lo
	v_cmp_nlt_f32_e32 vcc_lo, 0x42b17218, v13
	v_cndmask_b32_e32 v15, 0x7f800000, v14, vcc_lo
	v_add_f32_e32 v16, 1.0, v15
	v_cvt_f64_f32_e32 v[13:14], v16
	v_frexp_exp_i32_f64_e32 v13, v[13:14]
	v_frexp_mant_f32_e32 v14, v16
	v_cmp_gt_f32_e32 vcc_lo, 0x3f2aaaab, v14
	v_add_f32_e32 v14, -1.0, v16
	v_sub_f32_e32 v18, v14, v16
	v_sub_f32_e32 v14, v15, v14
	v_add_f32_e32 v18, 1.0, v18
	v_add_f32_e32 v14, v14, v18
	v_subrev_co_ci_u32_e64 v13, null, 0, v13, vcc_lo
	v_cmp_neq_f32_e32 vcc_lo, 0x7f800000, v15
	v_sub_nc_u32_e32 v17, 0, v13
	v_cvt_f32_i32_e32 v13, v13
	v_ldexp_f32 v16, v16, v17
	v_ldexp_f32 v14, v14, v17
	v_add_f32_e32 v20, 1.0, v16
	v_add_f32_e32 v17, -1.0, v16
	v_add_f32_e32 v18, -1.0, v20
	v_add_f32_e32 v21, 1.0, v17
	v_sub_f32_e32 v18, v16, v18
	v_sub_f32_e32 v16, v16, v21
	v_add_f32_e32 v18, v14, v18
	v_add_f32_e32 v14, v14, v16
	;; [unrolled: 1-line block ×4, first 2 shown]
	v_rcp_f32_e32 v16, v21
	v_sub_f32_e32 v20, v20, v21
	v_sub_f32_e32 v17, v17, v22
	v_add_f32_e32 v18, v18, v20
	v_add_f32_e32 v14, v14, v17
	v_mul_f32_e32 v25, v22, v16
	v_mul_f32_e32 v26, v21, v25
	v_fma_f32 v20, v25, v21, -v26
	v_fmac_f32_e32 v20, v25, v18
	v_add_f32_e32 v27, v26, v20
	v_sub_f32_e32 v28, v22, v27
	v_sub_f32_e32 v17, v27, v26
	;; [unrolled: 1-line block ×5, first 2 shown]
	v_add_f32_e32 v14, v14, v22
	v_add_f32_e32 v14, v17, v14
	;; [unrolled: 1-line block ×3, first 2 shown]
	v_mul_f32_e32 v20, v16, v17
	v_sub_f32_e32 v27, v28, v17
	v_mul_f32_e32 v22, v21, v20
	v_add_f32_e32 v14, v14, v27
	v_fma_f32 v21, v20, v21, -v22
	v_fmac_f32_e32 v21, v20, v18
	v_add_f32_e32 v18, v22, v21
	v_sub_f32_e32 v26, v17, v18
	v_sub_f32_e32 v22, v18, v22
	;; [unrolled: 1-line block ×5, first 2 shown]
	v_add_f32_e32 v14, v14, v17
	v_add_f32_e32 v17, v25, v20
	;; [unrolled: 1-line block ×3, first 2 shown]
	v_sub_f32_e32 v18, v17, v25
	v_add_f32_e32 v14, v26, v14
	v_sub_f32_e32 v18, v20, v18
	v_mul_f32_e32 v14, v16, v14
	v_add_f32_e32 v14, v18, v14
	v_add_f32_e32 v16, v17, v14
	v_mul_f32_e32 v18, v16, v16
	v_fmaak_f32 v20, s5, v18, 0x3ecc95a3
	v_mul_f32_e32 v21, v16, v18
	v_fmaak_f32 v18, v18, v20, 0x3f2aaada
	v_ldexp_f32 v20, v16, 1
	v_sub_f32_e32 v16, v16, v17
	v_mul_f32_e32 v18, v21, v18
	v_mul_f32_e32 v21, 0x3f317218, v13
	v_sub_f32_e32 v14, v14, v16
	v_add_f32_e32 v17, v20, v18
	v_ldexp_f32 v14, v14, 1
	v_sub_f32_e32 v16, v17, v20
	v_fma_f32 v20, 0x3f317218, v13, -v21
	v_sub_f32_e32 v16, v18, v16
	v_fmamk_f32 v13, v13, 0xb102e308, v20
	v_add_f32_e32 v14, v14, v16
	v_add_f32_e32 v16, v21, v13
	v_add_f32_e32 v18, v17, v14
	v_sub_f32_e32 v21, v16, v21
	v_add_f32_e32 v20, v16, v18
	v_sub_f32_e32 v17, v18, v17
	v_sub_f32_e32 v13, v13, v21
	;; [unrolled: 1-line block ×6, first 2 shown]
	v_add_f32_e32 v18, v13, v14
	v_sub_f32_e32 v16, v16, v25
	v_add_f32_e32 v16, v17, v16
	v_sub_f32_e32 v17, v18, v13
	;; [unrolled: 2-line block ×3, first 2 shown]
	v_sub_f32_e32 v14, v14, v17
	v_add_f32_e32 v21, v20, v16
	v_sub_f32_e32 v13, v13, v18
	v_sub_f32_e32 v17, v21, v20
	v_add_f32_e32 v13, v14, v13
	v_sub_f32_e32 v14, v16, v17
	v_add_f32_e32 v13, v13, v14
	v_add_f32_e32 v13, v21, v13
	v_cndmask_b32_e32 v13, 0x7f800000, v13, vcc_lo
	v_cmp_gt_f32_e64 vcc_lo, 0x33800000, |v15|
	v_cndmask_b32_e32 v13, v13, v15, vcc_lo
	v_add_f32_e32 v14, v5, v13
.LBB482_96:
	s_or_b32 exec_lo, exec_lo, s4
	v_bfe_u32 v5, v14, 16, 1
	v_cmp_o_f32_e32 vcc_lo, v14, v14
	v_mov_b32_e32 v13, 0x7fc0
	v_add3_u32 v5, v14, v5, 0x7fff
	v_cndmask_b32_sdwa v5, v13, v5, vcc_lo dst_sel:DWORD dst_unused:UNUSED_PAD src0_sel:DWORD src1_sel:WORD_1
	v_lshlrev_b32_e32 v15, 16, v5
	v_max_f32_e32 v14, v15, v15
	v_cmp_u_f32_e32 vcc_lo, v15, v15
	v_min_f32_e32 v16, v14, v23
	v_max_f32_e32 v14, v14, v23
	v_cndmask_b32_e32 v16, v16, v15, vcc_lo
	v_cndmask_b32_e32 v14, v14, v15, vcc_lo
	v_cndmask_b32_e64 v16, v16, v19, s23
	v_cndmask_b32_e64 v14, v14, v19, s23
	v_cmp_class_f32_e64 s4, v16, 0x1f8
	v_cmp_neq_f32_e32 vcc_lo, v16, v14
	s_or_b32 s5, vcc_lo, s4
	s_and_saveexec_b32 s4, s5
	s_cbranch_execz .LBB482_98
; %bb.97:
	v_sub_f32_e32 v15, v16, v14
	s_mov_b32 s5, 0x3e9b6dac
	v_mul_f32_e32 v16, 0x3fb8aa3b, v15
	v_cmp_ngt_f32_e32 vcc_lo, 0xc2ce8ed0, v15
	v_fma_f32 v17, 0x3fb8aa3b, v15, -v16
	v_rndne_f32_e32 v18, v16
	v_fmamk_f32 v17, v15, 0x32a5705f, v17
	v_sub_f32_e32 v16, v16, v18
	v_add_f32_e32 v16, v16, v17
	v_cvt_i32_f32_e32 v17, v18
	v_exp_f32_e32 v16, v16
	v_ldexp_f32 v16, v16, v17
	v_cndmask_b32_e32 v16, 0, v16, vcc_lo
	v_cmp_nlt_f32_e32 vcc_lo, 0x42b17218, v15
	v_cndmask_b32_e32 v17, 0x7f800000, v16, vcc_lo
	v_add_f32_e32 v18, 1.0, v17
	v_cvt_f64_f32_e32 v[15:16], v18
	v_frexp_exp_i32_f64_e32 v15, v[15:16]
	v_frexp_mant_f32_e32 v16, v18
	v_cmp_gt_f32_e32 vcc_lo, 0x3f2aaaab, v16
	v_add_f32_e32 v16, -1.0, v18
	v_sub_f32_e32 v20, v16, v18
	v_sub_f32_e32 v16, v17, v16
	v_add_f32_e32 v20, 1.0, v20
	v_add_f32_e32 v16, v16, v20
	v_subrev_co_ci_u32_e64 v15, null, 0, v15, vcc_lo
	v_cmp_neq_f32_e32 vcc_lo, 0x7f800000, v17
	v_sub_nc_u32_e32 v19, 0, v15
	v_cvt_f32_i32_e32 v15, v15
	v_ldexp_f32 v18, v18, v19
	v_ldexp_f32 v16, v16, v19
	v_add_f32_e32 v21, 1.0, v18
	v_add_f32_e32 v19, -1.0, v18
	v_add_f32_e32 v20, -1.0, v21
	v_add_f32_e32 v22, 1.0, v19
	v_sub_f32_e32 v20, v18, v20
	v_sub_f32_e32 v18, v18, v22
	v_add_f32_e32 v20, v16, v20
	v_add_f32_e32 v16, v16, v18
	;; [unrolled: 1-line block ×4, first 2 shown]
	v_rcp_f32_e32 v18, v22
	v_sub_f32_e32 v21, v21, v22
	v_sub_f32_e32 v19, v19, v23
	v_add_f32_e32 v20, v20, v21
	v_add_f32_e32 v16, v16, v19
	v_mul_f32_e32 v25, v23, v18
	v_mul_f32_e32 v26, v22, v25
	v_fma_f32 v21, v25, v22, -v26
	v_fmac_f32_e32 v21, v25, v20
	v_add_f32_e32 v27, v26, v21
	v_sub_f32_e32 v28, v23, v27
	v_sub_f32_e32 v19, v27, v26
	;; [unrolled: 1-line block ×5, first 2 shown]
	v_add_f32_e32 v16, v16, v23
	v_add_f32_e32 v16, v19, v16
	;; [unrolled: 1-line block ×3, first 2 shown]
	v_mul_f32_e32 v21, v18, v19
	v_sub_f32_e32 v27, v28, v19
	v_mul_f32_e32 v23, v22, v21
	v_add_f32_e32 v16, v16, v27
	v_fma_f32 v22, v21, v22, -v23
	v_fmac_f32_e32 v22, v21, v20
	v_add_f32_e32 v20, v23, v22
	v_sub_f32_e32 v26, v19, v20
	v_sub_f32_e32 v23, v20, v23
	;; [unrolled: 1-line block ×5, first 2 shown]
	v_add_f32_e32 v16, v16, v19
	v_add_f32_e32 v19, v25, v21
	;; [unrolled: 1-line block ×3, first 2 shown]
	v_sub_f32_e32 v20, v19, v25
	v_add_f32_e32 v16, v26, v16
	v_sub_f32_e32 v20, v21, v20
	v_mul_f32_e32 v16, v18, v16
	v_add_f32_e32 v16, v20, v16
	v_add_f32_e32 v18, v19, v16
	v_mul_f32_e32 v20, v18, v18
	v_fmaak_f32 v21, s5, v20, 0x3ecc95a3
	v_mul_f32_e32 v22, v18, v20
	v_fmaak_f32 v20, v20, v21, 0x3f2aaada
	v_ldexp_f32 v21, v18, 1
	v_sub_f32_e32 v18, v18, v19
	v_mul_f32_e32 v20, v22, v20
	v_mul_f32_e32 v22, 0x3f317218, v15
	v_sub_f32_e32 v16, v16, v18
	v_add_f32_e32 v19, v21, v20
	v_ldexp_f32 v16, v16, 1
	v_sub_f32_e32 v18, v19, v21
	v_fma_f32 v21, 0x3f317218, v15, -v22
	v_sub_f32_e32 v18, v20, v18
	v_fmamk_f32 v15, v15, 0xb102e308, v21
	v_add_f32_e32 v16, v16, v18
	v_add_f32_e32 v18, v22, v15
	;; [unrolled: 1-line block ×3, first 2 shown]
	v_sub_f32_e32 v22, v18, v22
	v_add_f32_e32 v21, v18, v20
	v_sub_f32_e32 v19, v20, v19
	v_sub_f32_e32 v15, v15, v22
	;; [unrolled: 1-line block ×6, first 2 shown]
	v_add_f32_e32 v20, v15, v16
	v_sub_f32_e32 v18, v18, v25
	v_add_f32_e32 v18, v19, v18
	v_sub_f32_e32 v19, v20, v15
	;; [unrolled: 2-line block ×3, first 2 shown]
	v_sub_f32_e32 v16, v16, v19
	v_add_f32_e32 v22, v21, v18
	v_sub_f32_e32 v15, v15, v20
	v_sub_f32_e32 v19, v22, v21
	v_add_f32_e32 v15, v16, v15
	v_sub_f32_e32 v16, v18, v19
	v_add_f32_e32 v15, v15, v16
	v_add_f32_e32 v15, v22, v15
	v_cndmask_b32_e32 v15, 0x7f800000, v15, vcc_lo
	v_cmp_gt_f32_e64 vcc_lo, 0x33800000, |v17|
	v_cndmask_b32_e32 v15, v15, v17, vcc_lo
	v_add_f32_e32 v15, v14, v15
.LBB482_98:
	s_or_b32 exec_lo, exec_lo, s4
	v_bfe_u32 v14, v15, 16, 1
	v_cmp_o_f32_e32 vcc_lo, v15, v15
	v_add3_u32 v14, v15, v14, 0x7fff
	v_cndmask_b32_sdwa v13, v13, v14, vcc_lo dst_sel:DWORD dst_unused:UNUSED_PAD src0_sel:DWORD src1_sel:WORD_1
	v_lshlrev_b32_e32 v14, 16, v13
	v_max_f32_e32 v15, v14, v14
	v_cmp_u_f32_e32 vcc_lo, v14, v14
	v_min_f32_e32 v16, v15, v24
	v_max_f32_e32 v15, v15, v24
	v_cndmask_b32_e32 v16, v16, v14, vcc_lo
	v_cndmask_b32_e32 v17, v15, v14, vcc_lo
	v_cndmask_b32_e64 v15, v16, v6, s24
	v_cndmask_b32_e64 v6, v17, v6, s24
	v_cmp_class_f32_e64 s4, v15, 0x1f8
	v_cmp_neq_f32_e32 vcc_lo, v15, v6
	s_or_b32 s5, vcc_lo, s4
	s_and_saveexec_b32 s4, s5
	s_cbranch_execz .LBB482_100
; %bb.99:
	v_sub_f32_e32 v14, v15, v6
	s_mov_b32 s5, 0x3e9b6dac
	v_mul_f32_e32 v15, 0x3fb8aa3b, v14
	v_cmp_ngt_f32_e32 vcc_lo, 0xc2ce8ed0, v14
	v_fma_f32 v16, 0x3fb8aa3b, v14, -v15
	v_rndne_f32_e32 v17, v15
	v_fmamk_f32 v16, v14, 0x32a5705f, v16
	v_sub_f32_e32 v15, v15, v17
	v_add_f32_e32 v15, v15, v16
	v_cvt_i32_f32_e32 v16, v17
	v_exp_f32_e32 v15, v15
	v_ldexp_f32 v15, v15, v16
	v_cndmask_b32_e32 v15, 0, v15, vcc_lo
	v_cmp_nlt_f32_e32 vcc_lo, 0x42b17218, v14
	v_cndmask_b32_e32 v16, 0x7f800000, v15, vcc_lo
	v_add_f32_e32 v17, 1.0, v16
	v_cvt_f64_f32_e32 v[14:15], v17
	v_frexp_exp_i32_f64_e32 v14, v[14:15]
	v_frexp_mant_f32_e32 v15, v17
	v_cmp_gt_f32_e32 vcc_lo, 0x3f2aaaab, v15
	v_add_f32_e32 v15, -1.0, v17
	v_sub_f32_e32 v19, v15, v17
	v_sub_f32_e32 v15, v16, v15
	v_add_f32_e32 v19, 1.0, v19
	v_add_f32_e32 v15, v15, v19
	v_subrev_co_ci_u32_e64 v14, null, 0, v14, vcc_lo
	v_cmp_neq_f32_e32 vcc_lo, 0x7f800000, v16
	v_sub_nc_u32_e32 v18, 0, v14
	v_cvt_f32_i32_e32 v14, v14
	v_ldexp_f32 v17, v17, v18
	v_ldexp_f32 v15, v15, v18
	v_add_f32_e32 v20, 1.0, v17
	v_add_f32_e32 v18, -1.0, v17
	v_add_f32_e32 v19, -1.0, v20
	v_add_f32_e32 v21, 1.0, v18
	v_sub_f32_e32 v19, v17, v19
	v_sub_f32_e32 v17, v17, v21
	v_add_f32_e32 v19, v15, v19
	v_add_f32_e32 v15, v15, v17
	;; [unrolled: 1-line block ×4, first 2 shown]
	v_rcp_f32_e32 v17, v21
	v_sub_f32_e32 v20, v20, v21
	v_sub_f32_e32 v18, v18, v22
	v_add_f32_e32 v19, v19, v20
	v_add_f32_e32 v15, v15, v18
	v_mul_f32_e32 v23, v22, v17
	v_mul_f32_e32 v24, v21, v23
	v_fma_f32 v20, v23, v21, -v24
	v_fmac_f32_e32 v20, v23, v19
	v_add_f32_e32 v25, v24, v20
	v_sub_f32_e32 v26, v22, v25
	v_sub_f32_e32 v18, v25, v24
	;; [unrolled: 1-line block ×5, first 2 shown]
	v_add_f32_e32 v15, v15, v22
	v_add_f32_e32 v15, v18, v15
	v_add_f32_e32 v18, v26, v15
	v_mul_f32_e32 v20, v17, v18
	v_sub_f32_e32 v25, v26, v18
	v_mul_f32_e32 v22, v21, v20
	v_add_f32_e32 v15, v15, v25
	v_fma_f32 v21, v20, v21, -v22
	v_fmac_f32_e32 v21, v20, v19
	v_add_f32_e32 v19, v22, v21
	v_sub_f32_e32 v24, v18, v19
	v_sub_f32_e32 v22, v19, v22
	;; [unrolled: 1-line block ×5, first 2 shown]
	v_add_f32_e32 v15, v15, v18
	v_add_f32_e32 v18, v23, v20
	;; [unrolled: 1-line block ×3, first 2 shown]
	v_sub_f32_e32 v19, v18, v23
	v_add_f32_e32 v15, v24, v15
	v_sub_f32_e32 v19, v20, v19
	v_mul_f32_e32 v15, v17, v15
	v_add_f32_e32 v15, v19, v15
	v_add_f32_e32 v17, v18, v15
	v_mul_f32_e32 v19, v17, v17
	v_fmaak_f32 v20, s5, v19, 0x3ecc95a3
	v_mul_f32_e32 v21, v17, v19
	v_fmaak_f32 v19, v19, v20, 0x3f2aaada
	v_ldexp_f32 v20, v17, 1
	v_sub_f32_e32 v17, v17, v18
	v_mul_f32_e32 v19, v21, v19
	v_mul_f32_e32 v21, 0x3f317218, v14
	v_sub_f32_e32 v15, v15, v17
	v_add_f32_e32 v18, v20, v19
	v_ldexp_f32 v15, v15, 1
	v_sub_f32_e32 v17, v18, v20
	v_fma_f32 v20, 0x3f317218, v14, -v21
	v_sub_f32_e32 v17, v19, v17
	v_fmamk_f32 v14, v14, 0xb102e308, v20
	v_add_f32_e32 v15, v15, v17
	v_add_f32_e32 v17, v21, v14
	;; [unrolled: 1-line block ×3, first 2 shown]
	v_sub_f32_e32 v21, v17, v21
	v_add_f32_e32 v20, v17, v19
	v_sub_f32_e32 v18, v19, v18
	v_sub_f32_e32 v14, v14, v21
	;; [unrolled: 1-line block ×6, first 2 shown]
	v_add_f32_e32 v19, v14, v15
	v_sub_f32_e32 v17, v17, v23
	v_add_f32_e32 v17, v18, v17
	v_sub_f32_e32 v18, v19, v14
	;; [unrolled: 2-line block ×3, first 2 shown]
	v_sub_f32_e32 v15, v15, v18
	v_add_f32_e32 v21, v20, v17
	v_sub_f32_e32 v14, v14, v19
	v_sub_f32_e32 v18, v21, v20
	v_add_f32_e32 v14, v15, v14
	v_sub_f32_e32 v15, v17, v18
	v_add_f32_e32 v14, v14, v15
	v_add_f32_e32 v14, v21, v14
	v_cndmask_b32_e32 v14, 0x7f800000, v14, vcc_lo
	v_cmp_gt_f32_e64 vcc_lo, 0x33800000, |v16|
	v_cndmask_b32_e32 v14, v14, v16, vcc_lo
	v_add_f32_e32 v14, v6, v14
.LBB482_100:
	s_or_b32 exec_lo, exec_lo, s4
	v_bfe_u32 v6, v14, 16, 1
	v_cmp_o_f32_e32 vcc_lo, v14, v14
	v_mov_b32_e32 v15, 0x7fc0
	v_perm_b32 v4, v4, v11, 0x5040100
	v_perm_b32 v3, v3, v10, 0x5040100
	v_add3_u32 v6, v14, v6, 0x7fff
	v_add_nc_u32_e32 v14, v7, v29
	v_perm_b32 v2, v2, v9, 0x5040100
	v_perm_b32 v1, v8, v1, 0x5040100
	;; [unrolled: 1-line block ×3, first 2 shown]
	v_cndmask_b32_sdwa v6, v15, v6, vcc_lo dst_sel:DWORD dst_unused:UNUSED_PAD src0_sel:DWORD src1_sel:WORD_1
	s_barrier
	buffer_gl0_inv
	v_lshlrev_b32_e32 v0, 1, v0
	v_perm_b32 v6, v6, v13, 0x5040100
	ds_write2_b64 v14, v[1:2], v[3:4] offset1:1
	ds_write_b64 v14, v[5:6] offset:16
	s_waitcnt lgkmcnt(0)
	s_barrier
	buffer_gl0_inv
	ds_read_u16 v13, v7 offset:128
	ds_read_u16 v12, v7 offset:256
	;; [unrolled: 1-line block ×11, first 2 shown]
	v_add_co_u32 v0, s4, s26, v0
	v_add_co_ci_u32_e64 v1, null, s27, 0, s4
	s_and_saveexec_b32 s4, s0
	s_cbranch_execnz .LBB482_113
; %bb.101:
	s_or_b32 exec_lo, exec_lo, s4
	s_and_saveexec_b32 s0, s1
	s_cbranch_execnz .LBB482_114
.LBB482_102:
	s_or_b32 exec_lo, exec_lo, s0
	s_and_saveexec_b32 s0, s2
	s_cbranch_execnz .LBB482_115
.LBB482_103:
	s_or_b32 exec_lo, exec_lo, s0
	s_and_saveexec_b32 s0, s3
	s_cbranch_execnz .LBB482_116
.LBB482_104:
	s_or_b32 exec_lo, exec_lo, s0
	s_and_saveexec_b32 s0, s6
	s_cbranch_execnz .LBB482_117
.LBB482_105:
	s_or_b32 exec_lo, exec_lo, s0
	s_and_saveexec_b32 s0, s7
	s_cbranch_execnz .LBB482_118
.LBB482_106:
	s_or_b32 exec_lo, exec_lo, s0
	s_and_saveexec_b32 s0, s8
	s_cbranch_execnz .LBB482_119
.LBB482_107:
	s_or_b32 exec_lo, exec_lo, s0
	s_and_saveexec_b32 s0, s9
	s_cbranch_execnz .LBB482_120
.LBB482_108:
	s_or_b32 exec_lo, exec_lo, s0
	s_and_saveexec_b32 s0, s10
	s_cbranch_execnz .LBB482_121
.LBB482_109:
	s_or_b32 exec_lo, exec_lo, s0
	s_and_saveexec_b32 s0, s11
	s_cbranch_execnz .LBB482_122
.LBB482_110:
	s_or_b32 exec_lo, exec_lo, s0
	s_and_saveexec_b32 s0, s12
	s_cbranch_execnz .LBB482_123
.LBB482_111:
	s_or_b32 exec_lo, exec_lo, s0
	s_and_saveexec_b32 s0, s13
	s_cbranch_execnz .LBB482_124
.LBB482_112:
	s_endpgm
.LBB482_113:
	ds_read_u16 v7, v7
	s_waitcnt lgkmcnt(0)
	global_store_short v[0:1], v7, off
	s_or_b32 exec_lo, exec_lo, s4
	s_and_saveexec_b32 s0, s1
	s_cbranch_execz .LBB482_102
.LBB482_114:
	s_waitcnt lgkmcnt(10)
	global_store_short v[0:1], v13, off offset:128
	s_or_b32 exec_lo, exec_lo, s0
	s_and_saveexec_b32 s0, s2
	s_cbranch_execz .LBB482_103
.LBB482_115:
	s_waitcnt lgkmcnt(9)
	global_store_short v[0:1], v12, off offset:256
	s_or_b32 exec_lo, exec_lo, s0
	s_and_saveexec_b32 s0, s3
	s_cbranch_execz .LBB482_104
.LBB482_116:
	s_waitcnt lgkmcnt(8)
	global_store_short v[0:1], v11, off offset:384
	s_or_b32 exec_lo, exec_lo, s0
	s_and_saveexec_b32 s0, s6
	s_cbranch_execz .LBB482_105
.LBB482_117:
	s_waitcnt lgkmcnt(7)
	global_store_short v[0:1], v10, off offset:512
	s_or_b32 exec_lo, exec_lo, s0
	s_and_saveexec_b32 s0, s7
	s_cbranch_execz .LBB482_106
.LBB482_118:
	s_waitcnt lgkmcnt(6)
	global_store_short v[0:1], v9, off offset:640
	s_or_b32 exec_lo, exec_lo, s0
	s_and_saveexec_b32 s0, s8
	s_cbranch_execz .LBB482_107
.LBB482_119:
	s_waitcnt lgkmcnt(5)
	global_store_short v[0:1], v8, off offset:768
	s_or_b32 exec_lo, exec_lo, s0
	s_and_saveexec_b32 s0, s9
	s_cbranch_execz .LBB482_108
.LBB482_120:
	s_waitcnt lgkmcnt(4)
	global_store_short v[0:1], v6, off offset:896
	s_or_b32 exec_lo, exec_lo, s0
	s_and_saveexec_b32 s0, s10
	s_cbranch_execz .LBB482_109
.LBB482_121:
	s_waitcnt lgkmcnt(3)
	global_store_short v[0:1], v5, off offset:1024
	s_or_b32 exec_lo, exec_lo, s0
	s_and_saveexec_b32 s0, s11
	s_cbranch_execz .LBB482_110
.LBB482_122:
	s_waitcnt lgkmcnt(2)
	global_store_short v[0:1], v4, off offset:1152
	s_or_b32 exec_lo, exec_lo, s0
	s_and_saveexec_b32 s0, s12
	s_cbranch_execz .LBB482_111
.LBB482_123:
	s_waitcnt lgkmcnt(1)
	global_store_short v[0:1], v3, off offset:1280
	s_or_b32 exec_lo, exec_lo, s0
	s_and_saveexec_b32 s0, s13
	s_cbranch_execz .LBB482_112
.LBB482_124:
	s_waitcnt lgkmcnt(0)
	global_store_short v[0:1], v2, off offset:1408
	s_endpgm
	.section	.rodata,"a",@progbits
	.p2align	6, 0x0
	.amdhsa_kernel _ZN7rocprim17ROCPRIM_400000_NS6detail17trampoline_kernelINS0_14default_configENS1_20scan_config_selectorIN3c108BFloat16EEEZZNS1_9scan_implILNS1_25lookback_scan_determinismE0ELb0ELb0ES3_PKS6_PS6_S6_ZZZN2at6native31launch_logcumsumexp_cuda_kernelERKNSD_10TensorBaseESH_lENKUlvE_clEvENKUlvE4_clEvEUlS6_S6_E_S6_EEDaPvRmT3_T4_T5_mT6_P12ihipStream_tbENKUlT_T0_E_clISt17integral_constantIbLb1EESY_EEDaST_SU_EUlST_E0_NS1_11comp_targetILNS1_3genE8ELNS1_11target_archE1030ELNS1_3gpuE2ELNS1_3repE0EEENS1_30default_config_static_selectorELNS0_4arch9wavefront6targetE0EEEvT1_
		.amdhsa_group_segment_fixed_size 1536
		.amdhsa_private_segment_fixed_size 0
		.amdhsa_kernarg_size 32
		.amdhsa_user_sgpr_count 6
		.amdhsa_user_sgpr_private_segment_buffer 1
		.amdhsa_user_sgpr_dispatch_ptr 0
		.amdhsa_user_sgpr_queue_ptr 0
		.amdhsa_user_sgpr_kernarg_segment_ptr 1
		.amdhsa_user_sgpr_dispatch_id 0
		.amdhsa_user_sgpr_flat_scratch_init 0
		.amdhsa_user_sgpr_private_segment_size 0
		.amdhsa_wavefront_size32 1
		.amdhsa_uses_dynamic_stack 0
		.amdhsa_system_sgpr_private_segment_wavefront_offset 0
		.amdhsa_system_sgpr_workgroup_id_x 1
		.amdhsa_system_sgpr_workgroup_id_y 0
		.amdhsa_system_sgpr_workgroup_id_z 0
		.amdhsa_system_sgpr_workgroup_info 0
		.amdhsa_system_vgpr_workitem_id 0
		.amdhsa_next_free_vgpr 49
		.amdhsa_next_free_sgpr 31
		.amdhsa_reserve_vcc 1
		.amdhsa_reserve_flat_scratch 0
		.amdhsa_float_round_mode_32 0
		.amdhsa_float_round_mode_16_64 0
		.amdhsa_float_denorm_mode_32 3
		.amdhsa_float_denorm_mode_16_64 3
		.amdhsa_dx10_clamp 1
		.amdhsa_ieee_mode 1
		.amdhsa_fp16_overflow 0
		.amdhsa_workgroup_processor_mode 1
		.amdhsa_memory_ordered 1
		.amdhsa_forward_progress 1
		.amdhsa_shared_vgpr_count 0
		.amdhsa_exception_fp_ieee_invalid_op 0
		.amdhsa_exception_fp_denorm_src 0
		.amdhsa_exception_fp_ieee_div_zero 0
		.amdhsa_exception_fp_ieee_overflow 0
		.amdhsa_exception_fp_ieee_underflow 0
		.amdhsa_exception_fp_ieee_inexact 0
		.amdhsa_exception_int_div_zero 0
	.end_amdhsa_kernel
	.section	.text._ZN7rocprim17ROCPRIM_400000_NS6detail17trampoline_kernelINS0_14default_configENS1_20scan_config_selectorIN3c108BFloat16EEEZZNS1_9scan_implILNS1_25lookback_scan_determinismE0ELb0ELb0ES3_PKS6_PS6_S6_ZZZN2at6native31launch_logcumsumexp_cuda_kernelERKNSD_10TensorBaseESH_lENKUlvE_clEvENKUlvE4_clEvEUlS6_S6_E_S6_EEDaPvRmT3_T4_T5_mT6_P12ihipStream_tbENKUlT_T0_E_clISt17integral_constantIbLb1EESY_EEDaST_SU_EUlST_E0_NS1_11comp_targetILNS1_3genE8ELNS1_11target_archE1030ELNS1_3gpuE2ELNS1_3repE0EEENS1_30default_config_static_selectorELNS0_4arch9wavefront6targetE0EEEvT1_,"axG",@progbits,_ZN7rocprim17ROCPRIM_400000_NS6detail17trampoline_kernelINS0_14default_configENS1_20scan_config_selectorIN3c108BFloat16EEEZZNS1_9scan_implILNS1_25lookback_scan_determinismE0ELb0ELb0ES3_PKS6_PS6_S6_ZZZN2at6native31launch_logcumsumexp_cuda_kernelERKNSD_10TensorBaseESH_lENKUlvE_clEvENKUlvE4_clEvEUlS6_S6_E_S6_EEDaPvRmT3_T4_T5_mT6_P12ihipStream_tbENKUlT_T0_E_clISt17integral_constantIbLb1EESY_EEDaST_SU_EUlST_E0_NS1_11comp_targetILNS1_3genE8ELNS1_11target_archE1030ELNS1_3gpuE2ELNS1_3repE0EEENS1_30default_config_static_selectorELNS0_4arch9wavefront6targetE0EEEvT1_,comdat
.Lfunc_end482:
	.size	_ZN7rocprim17ROCPRIM_400000_NS6detail17trampoline_kernelINS0_14default_configENS1_20scan_config_selectorIN3c108BFloat16EEEZZNS1_9scan_implILNS1_25lookback_scan_determinismE0ELb0ELb0ES3_PKS6_PS6_S6_ZZZN2at6native31launch_logcumsumexp_cuda_kernelERKNSD_10TensorBaseESH_lENKUlvE_clEvENKUlvE4_clEvEUlS6_S6_E_S6_EEDaPvRmT3_T4_T5_mT6_P12ihipStream_tbENKUlT_T0_E_clISt17integral_constantIbLb1EESY_EEDaST_SU_EUlST_E0_NS1_11comp_targetILNS1_3genE8ELNS1_11target_archE1030ELNS1_3gpuE2ELNS1_3repE0EEENS1_30default_config_static_selectorELNS0_4arch9wavefront6targetE0EEEvT1_, .Lfunc_end482-_ZN7rocprim17ROCPRIM_400000_NS6detail17trampoline_kernelINS0_14default_configENS1_20scan_config_selectorIN3c108BFloat16EEEZZNS1_9scan_implILNS1_25lookback_scan_determinismE0ELb0ELb0ES3_PKS6_PS6_S6_ZZZN2at6native31launch_logcumsumexp_cuda_kernelERKNSD_10TensorBaseESH_lENKUlvE_clEvENKUlvE4_clEvEUlS6_S6_E_S6_EEDaPvRmT3_T4_T5_mT6_P12ihipStream_tbENKUlT_T0_E_clISt17integral_constantIbLb1EESY_EEDaST_SU_EUlST_E0_NS1_11comp_targetILNS1_3genE8ELNS1_11target_archE1030ELNS1_3gpuE2ELNS1_3repE0EEENS1_30default_config_static_selectorELNS0_4arch9wavefront6targetE0EEEvT1_
                                        ; -- End function
	.set _ZN7rocprim17ROCPRIM_400000_NS6detail17trampoline_kernelINS0_14default_configENS1_20scan_config_selectorIN3c108BFloat16EEEZZNS1_9scan_implILNS1_25lookback_scan_determinismE0ELb0ELb0ES3_PKS6_PS6_S6_ZZZN2at6native31launch_logcumsumexp_cuda_kernelERKNSD_10TensorBaseESH_lENKUlvE_clEvENKUlvE4_clEvEUlS6_S6_E_S6_EEDaPvRmT3_T4_T5_mT6_P12ihipStream_tbENKUlT_T0_E_clISt17integral_constantIbLb1EESY_EEDaST_SU_EUlST_E0_NS1_11comp_targetILNS1_3genE8ELNS1_11target_archE1030ELNS1_3gpuE2ELNS1_3repE0EEENS1_30default_config_static_selectorELNS0_4arch9wavefront6targetE0EEEvT1_.num_vgpr, 49
	.set _ZN7rocprim17ROCPRIM_400000_NS6detail17trampoline_kernelINS0_14default_configENS1_20scan_config_selectorIN3c108BFloat16EEEZZNS1_9scan_implILNS1_25lookback_scan_determinismE0ELb0ELb0ES3_PKS6_PS6_S6_ZZZN2at6native31launch_logcumsumexp_cuda_kernelERKNSD_10TensorBaseESH_lENKUlvE_clEvENKUlvE4_clEvEUlS6_S6_E_S6_EEDaPvRmT3_T4_T5_mT6_P12ihipStream_tbENKUlT_T0_E_clISt17integral_constantIbLb1EESY_EEDaST_SU_EUlST_E0_NS1_11comp_targetILNS1_3genE8ELNS1_11target_archE1030ELNS1_3gpuE2ELNS1_3repE0EEENS1_30default_config_static_selectorELNS0_4arch9wavefront6targetE0EEEvT1_.num_agpr, 0
	.set _ZN7rocprim17ROCPRIM_400000_NS6detail17trampoline_kernelINS0_14default_configENS1_20scan_config_selectorIN3c108BFloat16EEEZZNS1_9scan_implILNS1_25lookback_scan_determinismE0ELb0ELb0ES3_PKS6_PS6_S6_ZZZN2at6native31launch_logcumsumexp_cuda_kernelERKNSD_10TensorBaseESH_lENKUlvE_clEvENKUlvE4_clEvEUlS6_S6_E_S6_EEDaPvRmT3_T4_T5_mT6_P12ihipStream_tbENKUlT_T0_E_clISt17integral_constantIbLb1EESY_EEDaST_SU_EUlST_E0_NS1_11comp_targetILNS1_3genE8ELNS1_11target_archE1030ELNS1_3gpuE2ELNS1_3repE0EEENS1_30default_config_static_selectorELNS0_4arch9wavefront6targetE0EEEvT1_.numbered_sgpr, 31
	.set _ZN7rocprim17ROCPRIM_400000_NS6detail17trampoline_kernelINS0_14default_configENS1_20scan_config_selectorIN3c108BFloat16EEEZZNS1_9scan_implILNS1_25lookback_scan_determinismE0ELb0ELb0ES3_PKS6_PS6_S6_ZZZN2at6native31launch_logcumsumexp_cuda_kernelERKNSD_10TensorBaseESH_lENKUlvE_clEvENKUlvE4_clEvEUlS6_S6_E_S6_EEDaPvRmT3_T4_T5_mT6_P12ihipStream_tbENKUlT_T0_E_clISt17integral_constantIbLb1EESY_EEDaST_SU_EUlST_E0_NS1_11comp_targetILNS1_3genE8ELNS1_11target_archE1030ELNS1_3gpuE2ELNS1_3repE0EEENS1_30default_config_static_selectorELNS0_4arch9wavefront6targetE0EEEvT1_.num_named_barrier, 0
	.set _ZN7rocprim17ROCPRIM_400000_NS6detail17trampoline_kernelINS0_14default_configENS1_20scan_config_selectorIN3c108BFloat16EEEZZNS1_9scan_implILNS1_25lookback_scan_determinismE0ELb0ELb0ES3_PKS6_PS6_S6_ZZZN2at6native31launch_logcumsumexp_cuda_kernelERKNSD_10TensorBaseESH_lENKUlvE_clEvENKUlvE4_clEvEUlS6_S6_E_S6_EEDaPvRmT3_T4_T5_mT6_P12ihipStream_tbENKUlT_T0_E_clISt17integral_constantIbLb1EESY_EEDaST_SU_EUlST_E0_NS1_11comp_targetILNS1_3genE8ELNS1_11target_archE1030ELNS1_3gpuE2ELNS1_3repE0EEENS1_30default_config_static_selectorELNS0_4arch9wavefront6targetE0EEEvT1_.private_seg_size, 0
	.set _ZN7rocprim17ROCPRIM_400000_NS6detail17trampoline_kernelINS0_14default_configENS1_20scan_config_selectorIN3c108BFloat16EEEZZNS1_9scan_implILNS1_25lookback_scan_determinismE0ELb0ELb0ES3_PKS6_PS6_S6_ZZZN2at6native31launch_logcumsumexp_cuda_kernelERKNSD_10TensorBaseESH_lENKUlvE_clEvENKUlvE4_clEvEUlS6_S6_E_S6_EEDaPvRmT3_T4_T5_mT6_P12ihipStream_tbENKUlT_T0_E_clISt17integral_constantIbLb1EESY_EEDaST_SU_EUlST_E0_NS1_11comp_targetILNS1_3genE8ELNS1_11target_archE1030ELNS1_3gpuE2ELNS1_3repE0EEENS1_30default_config_static_selectorELNS0_4arch9wavefront6targetE0EEEvT1_.uses_vcc, 1
	.set _ZN7rocprim17ROCPRIM_400000_NS6detail17trampoline_kernelINS0_14default_configENS1_20scan_config_selectorIN3c108BFloat16EEEZZNS1_9scan_implILNS1_25lookback_scan_determinismE0ELb0ELb0ES3_PKS6_PS6_S6_ZZZN2at6native31launch_logcumsumexp_cuda_kernelERKNSD_10TensorBaseESH_lENKUlvE_clEvENKUlvE4_clEvEUlS6_S6_E_S6_EEDaPvRmT3_T4_T5_mT6_P12ihipStream_tbENKUlT_T0_E_clISt17integral_constantIbLb1EESY_EEDaST_SU_EUlST_E0_NS1_11comp_targetILNS1_3genE8ELNS1_11target_archE1030ELNS1_3gpuE2ELNS1_3repE0EEENS1_30default_config_static_selectorELNS0_4arch9wavefront6targetE0EEEvT1_.uses_flat_scratch, 0
	.set _ZN7rocprim17ROCPRIM_400000_NS6detail17trampoline_kernelINS0_14default_configENS1_20scan_config_selectorIN3c108BFloat16EEEZZNS1_9scan_implILNS1_25lookback_scan_determinismE0ELb0ELb0ES3_PKS6_PS6_S6_ZZZN2at6native31launch_logcumsumexp_cuda_kernelERKNSD_10TensorBaseESH_lENKUlvE_clEvENKUlvE4_clEvEUlS6_S6_E_S6_EEDaPvRmT3_T4_T5_mT6_P12ihipStream_tbENKUlT_T0_E_clISt17integral_constantIbLb1EESY_EEDaST_SU_EUlST_E0_NS1_11comp_targetILNS1_3genE8ELNS1_11target_archE1030ELNS1_3gpuE2ELNS1_3repE0EEENS1_30default_config_static_selectorELNS0_4arch9wavefront6targetE0EEEvT1_.has_dyn_sized_stack, 0
	.set _ZN7rocprim17ROCPRIM_400000_NS6detail17trampoline_kernelINS0_14default_configENS1_20scan_config_selectorIN3c108BFloat16EEEZZNS1_9scan_implILNS1_25lookback_scan_determinismE0ELb0ELb0ES3_PKS6_PS6_S6_ZZZN2at6native31launch_logcumsumexp_cuda_kernelERKNSD_10TensorBaseESH_lENKUlvE_clEvENKUlvE4_clEvEUlS6_S6_E_S6_EEDaPvRmT3_T4_T5_mT6_P12ihipStream_tbENKUlT_T0_E_clISt17integral_constantIbLb1EESY_EEDaST_SU_EUlST_E0_NS1_11comp_targetILNS1_3genE8ELNS1_11target_archE1030ELNS1_3gpuE2ELNS1_3repE0EEENS1_30default_config_static_selectorELNS0_4arch9wavefront6targetE0EEEvT1_.has_recursion, 0
	.set _ZN7rocprim17ROCPRIM_400000_NS6detail17trampoline_kernelINS0_14default_configENS1_20scan_config_selectorIN3c108BFloat16EEEZZNS1_9scan_implILNS1_25lookback_scan_determinismE0ELb0ELb0ES3_PKS6_PS6_S6_ZZZN2at6native31launch_logcumsumexp_cuda_kernelERKNSD_10TensorBaseESH_lENKUlvE_clEvENKUlvE4_clEvEUlS6_S6_E_S6_EEDaPvRmT3_T4_T5_mT6_P12ihipStream_tbENKUlT_T0_E_clISt17integral_constantIbLb1EESY_EEDaST_SU_EUlST_E0_NS1_11comp_targetILNS1_3genE8ELNS1_11target_archE1030ELNS1_3gpuE2ELNS1_3repE0EEENS1_30default_config_static_selectorELNS0_4arch9wavefront6targetE0EEEvT1_.has_indirect_call, 0
	.section	.AMDGPU.csdata,"",@progbits
; Kernel info:
; codeLenInByte = 24260
; TotalNumSgprs: 33
; NumVgprs: 49
; ScratchSize: 0
; MemoryBound: 0
; FloatMode: 240
; IeeeMode: 1
; LDSByteSize: 1536 bytes/workgroup (compile time only)
; SGPRBlocks: 0
; VGPRBlocks: 6
; NumSGPRsForWavesPerEU: 33
; NumVGPRsForWavesPerEU: 49
; Occupancy: 16
; WaveLimiterHint : 0
; COMPUTE_PGM_RSRC2:SCRATCH_EN: 0
; COMPUTE_PGM_RSRC2:USER_SGPR: 6
; COMPUTE_PGM_RSRC2:TRAP_HANDLER: 0
; COMPUTE_PGM_RSRC2:TGID_X_EN: 1
; COMPUTE_PGM_RSRC2:TGID_Y_EN: 0
; COMPUTE_PGM_RSRC2:TGID_Z_EN: 0
; COMPUTE_PGM_RSRC2:TIDIG_COMP_CNT: 0
	.section	.text._ZN7rocprim17ROCPRIM_400000_NS6detail31init_lookback_scan_state_kernelINS1_19lookback_scan_stateIN3c108BFloat16ELb1ELb1EEENS1_16block_id_wrapperIjLb0EEEEEvT_jT0_jPNS9_10value_typeE,"axG",@progbits,_ZN7rocprim17ROCPRIM_400000_NS6detail31init_lookback_scan_state_kernelINS1_19lookback_scan_stateIN3c108BFloat16ELb1ELb1EEENS1_16block_id_wrapperIjLb0EEEEEvT_jT0_jPNS9_10value_typeE,comdat
	.protected	_ZN7rocprim17ROCPRIM_400000_NS6detail31init_lookback_scan_state_kernelINS1_19lookback_scan_stateIN3c108BFloat16ELb1ELb1EEENS1_16block_id_wrapperIjLb0EEEEEvT_jT0_jPNS9_10value_typeE ; -- Begin function _ZN7rocprim17ROCPRIM_400000_NS6detail31init_lookback_scan_state_kernelINS1_19lookback_scan_stateIN3c108BFloat16ELb1ELb1EEENS1_16block_id_wrapperIjLb0EEEEEvT_jT0_jPNS9_10value_typeE
	.globl	_ZN7rocprim17ROCPRIM_400000_NS6detail31init_lookback_scan_state_kernelINS1_19lookback_scan_stateIN3c108BFloat16ELb1ELb1EEENS1_16block_id_wrapperIjLb0EEEEEvT_jT0_jPNS9_10value_typeE
	.p2align	8
	.type	_ZN7rocprim17ROCPRIM_400000_NS6detail31init_lookback_scan_state_kernelINS1_19lookback_scan_stateIN3c108BFloat16ELb1ELb1EEENS1_16block_id_wrapperIjLb0EEEEEvT_jT0_jPNS9_10value_typeE,@function
_ZN7rocprim17ROCPRIM_400000_NS6detail31init_lookback_scan_state_kernelINS1_19lookback_scan_stateIN3c108BFloat16ELb1ELb1EEENS1_16block_id_wrapperIjLb0EEEEEvT_jT0_jPNS9_10value_typeE: ; @_ZN7rocprim17ROCPRIM_400000_NS6detail31init_lookback_scan_state_kernelINS1_19lookback_scan_stateIN3c108BFloat16ELb1ELb1EEENS1_16block_id_wrapperIjLb0EEEEEvT_jT0_jPNS9_10value_typeE
; %bb.0:
	s_clause 0x3
	s_load_dword s8, s[4:5], 0x2c
	s_load_dwordx2 s[2:3], s[4:5], 0x18
	s_load_dwordx2 s[0:1], s[4:5], 0x0
	s_load_dword s7, s[4:5], 0x8
	s_waitcnt lgkmcnt(0)
	s_and_b32 s8, s8, 0xffff
	s_cmp_eq_u64 s[2:3], 0
	v_mad_u64_u32 v[0:1], null, s6, s8, v[0:1]
	s_cbranch_scc1 .LBB483_9
; %bb.1:
	s_load_dword s4, s[4:5], 0x10
	s_waitcnt lgkmcnt(0)
	s_cmp_lt_u32 s4, s7
	s_cselect_b32 s5, s4, 0
	v_cmp_eq_u32_e32 vcc_lo, s5, v0
	s_mov_b32 s5, 0
	s_and_saveexec_b32 s6, vcc_lo
	s_cbranch_execz .LBB483_8
; %bb.2:
	s_add_i32 s4, s4, 32
	v_mov_b32_e32 v1, 0
	s_lshl_b64 s[4:5], s[4:5], 2
	s_add_u32 s4, s0, s4
	s_addc_u32 s5, s1, s5
	global_load_dword v2, v1, s[4:5] glc dlc
	s_waitcnt vmcnt(0)
	v_and_b32_e32 v3, 0xff0000, v2
	v_cmp_ne_u32_e32 vcc_lo, 0, v3
	s_cbranch_vccnz .LBB483_7
; %bb.3:
	s_mov_b32 s8, 1
.LBB483_4:                              ; =>This Loop Header: Depth=1
                                        ;     Child Loop BB483_5 Depth 2
	s_mov_b32 s9, s8
.LBB483_5:                              ;   Parent Loop BB483_4 Depth=1
                                        ; =>  This Inner Loop Header: Depth=2
	s_add_i32 s9, s9, -1
	s_sleep 1
	s_cmp_eq_u32 s9, 0
	s_cbranch_scc0 .LBB483_5
; %bb.6:                                ;   in Loop: Header=BB483_4 Depth=1
	global_load_dword v2, v1, s[4:5] glc dlc
	s_cmp_lt_u32 s8, 32
	s_cselect_b32 s9, -1, 0
	s_cmp_lg_u32 s9, 0
	s_addc_u32 s8, s8, 0
	s_waitcnt vmcnt(0)
	v_and_b32_e32 v3, 0xff0000, v2
	v_cmp_ne_u32_e32 vcc_lo, 0, v3
	s_cbranch_vccz .LBB483_4
.LBB483_7:
	v_mov_b32_e32 v1, 0
	global_store_short v1, v2, s[2:3]
.LBB483_8:
	s_or_b32 exec_lo, exec_lo, s6
.LBB483_9:
	s_mov_b32 s2, exec_lo
	v_cmpx_gt_u32_e64 s7, v0
	s_cbranch_execz .LBB483_11
; %bb.10:
	v_add_nc_u32_e32 v1, 32, v0
	v_mov_b32_e32 v2, 0
	v_lshlrev_b64 v[3:4], 2, v[1:2]
	v_add_co_u32 v3, vcc_lo, s0, v3
	v_add_co_ci_u32_e64 v4, null, s1, v4, vcc_lo
	global_store_dword v[3:4], v2, off
.LBB483_11:
	s_or_b32 exec_lo, exec_lo, s2
	s_mov_b32 s2, exec_lo
	v_cmpx_gt_u32_e32 32, v0
	s_cbranch_execz .LBB483_13
; %bb.12:
	v_mov_b32_e32 v1, 0
	v_mov_b32_e32 v2, 0xff0000
	v_lshlrev_b64 v[0:1], 2, v[0:1]
	v_add_co_u32 v0, vcc_lo, s0, v0
	v_add_co_ci_u32_e64 v1, null, s1, v1, vcc_lo
	global_store_dword v[0:1], v2, off
.LBB483_13:
	s_endpgm
	.section	.rodata,"a",@progbits
	.p2align	6, 0x0
	.amdhsa_kernel _ZN7rocprim17ROCPRIM_400000_NS6detail31init_lookback_scan_state_kernelINS1_19lookback_scan_stateIN3c108BFloat16ELb1ELb1EEENS1_16block_id_wrapperIjLb0EEEEEvT_jT0_jPNS9_10value_typeE
		.amdhsa_group_segment_fixed_size 0
		.amdhsa_private_segment_fixed_size 0
		.amdhsa_kernarg_size 288
		.amdhsa_user_sgpr_count 6
		.amdhsa_user_sgpr_private_segment_buffer 1
		.amdhsa_user_sgpr_dispatch_ptr 0
		.amdhsa_user_sgpr_queue_ptr 0
		.amdhsa_user_sgpr_kernarg_segment_ptr 1
		.amdhsa_user_sgpr_dispatch_id 0
		.amdhsa_user_sgpr_flat_scratch_init 0
		.amdhsa_user_sgpr_private_segment_size 0
		.amdhsa_wavefront_size32 1
		.amdhsa_uses_dynamic_stack 0
		.amdhsa_system_sgpr_private_segment_wavefront_offset 0
		.amdhsa_system_sgpr_workgroup_id_x 1
		.amdhsa_system_sgpr_workgroup_id_y 0
		.amdhsa_system_sgpr_workgroup_id_z 0
		.amdhsa_system_sgpr_workgroup_info 0
		.amdhsa_system_vgpr_workitem_id 0
		.amdhsa_next_free_vgpr 5
		.amdhsa_next_free_sgpr 10
		.amdhsa_reserve_vcc 1
		.amdhsa_reserve_flat_scratch 0
		.amdhsa_float_round_mode_32 0
		.amdhsa_float_round_mode_16_64 0
		.amdhsa_float_denorm_mode_32 3
		.amdhsa_float_denorm_mode_16_64 3
		.amdhsa_dx10_clamp 1
		.amdhsa_ieee_mode 1
		.amdhsa_fp16_overflow 0
		.amdhsa_workgroup_processor_mode 1
		.amdhsa_memory_ordered 1
		.amdhsa_forward_progress 1
		.amdhsa_shared_vgpr_count 0
		.amdhsa_exception_fp_ieee_invalid_op 0
		.amdhsa_exception_fp_denorm_src 0
		.amdhsa_exception_fp_ieee_div_zero 0
		.amdhsa_exception_fp_ieee_overflow 0
		.amdhsa_exception_fp_ieee_underflow 0
		.amdhsa_exception_fp_ieee_inexact 0
		.amdhsa_exception_int_div_zero 0
	.end_amdhsa_kernel
	.section	.text._ZN7rocprim17ROCPRIM_400000_NS6detail31init_lookback_scan_state_kernelINS1_19lookback_scan_stateIN3c108BFloat16ELb1ELb1EEENS1_16block_id_wrapperIjLb0EEEEEvT_jT0_jPNS9_10value_typeE,"axG",@progbits,_ZN7rocprim17ROCPRIM_400000_NS6detail31init_lookback_scan_state_kernelINS1_19lookback_scan_stateIN3c108BFloat16ELb1ELb1EEENS1_16block_id_wrapperIjLb0EEEEEvT_jT0_jPNS9_10value_typeE,comdat
.Lfunc_end483:
	.size	_ZN7rocprim17ROCPRIM_400000_NS6detail31init_lookback_scan_state_kernelINS1_19lookback_scan_stateIN3c108BFloat16ELb1ELb1EEENS1_16block_id_wrapperIjLb0EEEEEvT_jT0_jPNS9_10value_typeE, .Lfunc_end483-_ZN7rocprim17ROCPRIM_400000_NS6detail31init_lookback_scan_state_kernelINS1_19lookback_scan_stateIN3c108BFloat16ELb1ELb1EEENS1_16block_id_wrapperIjLb0EEEEEvT_jT0_jPNS9_10value_typeE
                                        ; -- End function
	.set _ZN7rocprim17ROCPRIM_400000_NS6detail31init_lookback_scan_state_kernelINS1_19lookback_scan_stateIN3c108BFloat16ELb1ELb1EEENS1_16block_id_wrapperIjLb0EEEEEvT_jT0_jPNS9_10value_typeE.num_vgpr, 5
	.set _ZN7rocprim17ROCPRIM_400000_NS6detail31init_lookback_scan_state_kernelINS1_19lookback_scan_stateIN3c108BFloat16ELb1ELb1EEENS1_16block_id_wrapperIjLb0EEEEEvT_jT0_jPNS9_10value_typeE.num_agpr, 0
	.set _ZN7rocprim17ROCPRIM_400000_NS6detail31init_lookback_scan_state_kernelINS1_19lookback_scan_stateIN3c108BFloat16ELb1ELb1EEENS1_16block_id_wrapperIjLb0EEEEEvT_jT0_jPNS9_10value_typeE.numbered_sgpr, 10
	.set _ZN7rocprim17ROCPRIM_400000_NS6detail31init_lookback_scan_state_kernelINS1_19lookback_scan_stateIN3c108BFloat16ELb1ELb1EEENS1_16block_id_wrapperIjLb0EEEEEvT_jT0_jPNS9_10value_typeE.num_named_barrier, 0
	.set _ZN7rocprim17ROCPRIM_400000_NS6detail31init_lookback_scan_state_kernelINS1_19lookback_scan_stateIN3c108BFloat16ELb1ELb1EEENS1_16block_id_wrapperIjLb0EEEEEvT_jT0_jPNS9_10value_typeE.private_seg_size, 0
	.set _ZN7rocprim17ROCPRIM_400000_NS6detail31init_lookback_scan_state_kernelINS1_19lookback_scan_stateIN3c108BFloat16ELb1ELb1EEENS1_16block_id_wrapperIjLb0EEEEEvT_jT0_jPNS9_10value_typeE.uses_vcc, 1
	.set _ZN7rocprim17ROCPRIM_400000_NS6detail31init_lookback_scan_state_kernelINS1_19lookback_scan_stateIN3c108BFloat16ELb1ELb1EEENS1_16block_id_wrapperIjLb0EEEEEvT_jT0_jPNS9_10value_typeE.uses_flat_scratch, 0
	.set _ZN7rocprim17ROCPRIM_400000_NS6detail31init_lookback_scan_state_kernelINS1_19lookback_scan_stateIN3c108BFloat16ELb1ELb1EEENS1_16block_id_wrapperIjLb0EEEEEvT_jT0_jPNS9_10value_typeE.has_dyn_sized_stack, 0
	.set _ZN7rocprim17ROCPRIM_400000_NS6detail31init_lookback_scan_state_kernelINS1_19lookback_scan_stateIN3c108BFloat16ELb1ELb1EEENS1_16block_id_wrapperIjLb0EEEEEvT_jT0_jPNS9_10value_typeE.has_recursion, 0
	.set _ZN7rocprim17ROCPRIM_400000_NS6detail31init_lookback_scan_state_kernelINS1_19lookback_scan_stateIN3c108BFloat16ELb1ELb1EEENS1_16block_id_wrapperIjLb0EEEEEvT_jT0_jPNS9_10value_typeE.has_indirect_call, 0
	.section	.AMDGPU.csdata,"",@progbits
; Kernel info:
; codeLenInByte = 352
; TotalNumSgprs: 12
; NumVgprs: 5
; ScratchSize: 0
; MemoryBound: 0
; FloatMode: 240
; IeeeMode: 1
; LDSByteSize: 0 bytes/workgroup (compile time only)
; SGPRBlocks: 0
; VGPRBlocks: 0
; NumSGPRsForWavesPerEU: 12
; NumVGPRsForWavesPerEU: 5
; Occupancy: 16
; WaveLimiterHint : 0
; COMPUTE_PGM_RSRC2:SCRATCH_EN: 0
; COMPUTE_PGM_RSRC2:USER_SGPR: 6
; COMPUTE_PGM_RSRC2:TRAP_HANDLER: 0
; COMPUTE_PGM_RSRC2:TGID_X_EN: 1
; COMPUTE_PGM_RSRC2:TGID_Y_EN: 0
; COMPUTE_PGM_RSRC2:TGID_Z_EN: 0
; COMPUTE_PGM_RSRC2:TIDIG_COMP_CNT: 0
	.section	.text._ZN7rocprim17ROCPRIM_400000_NS6detail17trampoline_kernelINS0_14default_configENS1_20scan_config_selectorIN3c108BFloat16EEEZZNS1_9scan_implILNS1_25lookback_scan_determinismE0ELb0ELb0ES3_PKS6_PS6_S6_ZZZN2at6native31launch_logcumsumexp_cuda_kernelERKNSD_10TensorBaseESH_lENKUlvE_clEvENKUlvE4_clEvEUlS6_S6_E_S6_EEDaPvRmT3_T4_T5_mT6_P12ihipStream_tbENKUlT_T0_E_clISt17integral_constantIbLb1EESX_IbLb0EEEEDaST_SU_EUlST_E_NS1_11comp_targetILNS1_3genE0ELNS1_11target_archE4294967295ELNS1_3gpuE0ELNS1_3repE0EEENS1_30default_config_static_selectorELNS0_4arch9wavefront6targetE0EEEvT1_,"axG",@progbits,_ZN7rocprim17ROCPRIM_400000_NS6detail17trampoline_kernelINS0_14default_configENS1_20scan_config_selectorIN3c108BFloat16EEEZZNS1_9scan_implILNS1_25lookback_scan_determinismE0ELb0ELb0ES3_PKS6_PS6_S6_ZZZN2at6native31launch_logcumsumexp_cuda_kernelERKNSD_10TensorBaseESH_lENKUlvE_clEvENKUlvE4_clEvEUlS6_S6_E_S6_EEDaPvRmT3_T4_T5_mT6_P12ihipStream_tbENKUlT_T0_E_clISt17integral_constantIbLb1EESX_IbLb0EEEEDaST_SU_EUlST_E_NS1_11comp_targetILNS1_3genE0ELNS1_11target_archE4294967295ELNS1_3gpuE0ELNS1_3repE0EEENS1_30default_config_static_selectorELNS0_4arch9wavefront6targetE0EEEvT1_,comdat
	.globl	_ZN7rocprim17ROCPRIM_400000_NS6detail17trampoline_kernelINS0_14default_configENS1_20scan_config_selectorIN3c108BFloat16EEEZZNS1_9scan_implILNS1_25lookback_scan_determinismE0ELb0ELb0ES3_PKS6_PS6_S6_ZZZN2at6native31launch_logcumsumexp_cuda_kernelERKNSD_10TensorBaseESH_lENKUlvE_clEvENKUlvE4_clEvEUlS6_S6_E_S6_EEDaPvRmT3_T4_T5_mT6_P12ihipStream_tbENKUlT_T0_E_clISt17integral_constantIbLb1EESX_IbLb0EEEEDaST_SU_EUlST_E_NS1_11comp_targetILNS1_3genE0ELNS1_11target_archE4294967295ELNS1_3gpuE0ELNS1_3repE0EEENS1_30default_config_static_selectorELNS0_4arch9wavefront6targetE0EEEvT1_ ; -- Begin function _ZN7rocprim17ROCPRIM_400000_NS6detail17trampoline_kernelINS0_14default_configENS1_20scan_config_selectorIN3c108BFloat16EEEZZNS1_9scan_implILNS1_25lookback_scan_determinismE0ELb0ELb0ES3_PKS6_PS6_S6_ZZZN2at6native31launch_logcumsumexp_cuda_kernelERKNSD_10TensorBaseESH_lENKUlvE_clEvENKUlvE4_clEvEUlS6_S6_E_S6_EEDaPvRmT3_T4_T5_mT6_P12ihipStream_tbENKUlT_T0_E_clISt17integral_constantIbLb1EESX_IbLb0EEEEDaST_SU_EUlST_E_NS1_11comp_targetILNS1_3genE0ELNS1_11target_archE4294967295ELNS1_3gpuE0ELNS1_3repE0EEENS1_30default_config_static_selectorELNS0_4arch9wavefront6targetE0EEEvT1_
	.p2align	8
	.type	_ZN7rocprim17ROCPRIM_400000_NS6detail17trampoline_kernelINS0_14default_configENS1_20scan_config_selectorIN3c108BFloat16EEEZZNS1_9scan_implILNS1_25lookback_scan_determinismE0ELb0ELb0ES3_PKS6_PS6_S6_ZZZN2at6native31launch_logcumsumexp_cuda_kernelERKNSD_10TensorBaseESH_lENKUlvE_clEvENKUlvE4_clEvEUlS6_S6_E_S6_EEDaPvRmT3_T4_T5_mT6_P12ihipStream_tbENKUlT_T0_E_clISt17integral_constantIbLb1EESX_IbLb0EEEEDaST_SU_EUlST_E_NS1_11comp_targetILNS1_3genE0ELNS1_11target_archE4294967295ELNS1_3gpuE0ELNS1_3repE0EEENS1_30default_config_static_selectorELNS0_4arch9wavefront6targetE0EEEvT1_,@function
_ZN7rocprim17ROCPRIM_400000_NS6detail17trampoline_kernelINS0_14default_configENS1_20scan_config_selectorIN3c108BFloat16EEEZZNS1_9scan_implILNS1_25lookback_scan_determinismE0ELb0ELb0ES3_PKS6_PS6_S6_ZZZN2at6native31launch_logcumsumexp_cuda_kernelERKNSD_10TensorBaseESH_lENKUlvE_clEvENKUlvE4_clEvEUlS6_S6_E_S6_EEDaPvRmT3_T4_T5_mT6_P12ihipStream_tbENKUlT_T0_E_clISt17integral_constantIbLb1EESX_IbLb0EEEEDaST_SU_EUlST_E_NS1_11comp_targetILNS1_3genE0ELNS1_11target_archE4294967295ELNS1_3gpuE0ELNS1_3repE0EEENS1_30default_config_static_selectorELNS0_4arch9wavefront6targetE0EEEvT1_: ; @_ZN7rocprim17ROCPRIM_400000_NS6detail17trampoline_kernelINS0_14default_configENS1_20scan_config_selectorIN3c108BFloat16EEEZZNS1_9scan_implILNS1_25lookback_scan_determinismE0ELb0ELb0ES3_PKS6_PS6_S6_ZZZN2at6native31launch_logcumsumexp_cuda_kernelERKNSD_10TensorBaseESH_lENKUlvE_clEvENKUlvE4_clEvEUlS6_S6_E_S6_EEDaPvRmT3_T4_T5_mT6_P12ihipStream_tbENKUlT_T0_E_clISt17integral_constantIbLb1EESX_IbLb0EEEEDaST_SU_EUlST_E_NS1_11comp_targetILNS1_3genE0ELNS1_11target_archE4294967295ELNS1_3gpuE0ELNS1_3repE0EEENS1_30default_config_static_selectorELNS0_4arch9wavefront6targetE0EEEvT1_
; %bb.0:
	.section	.rodata,"a",@progbits
	.p2align	6, 0x0
	.amdhsa_kernel _ZN7rocprim17ROCPRIM_400000_NS6detail17trampoline_kernelINS0_14default_configENS1_20scan_config_selectorIN3c108BFloat16EEEZZNS1_9scan_implILNS1_25lookback_scan_determinismE0ELb0ELb0ES3_PKS6_PS6_S6_ZZZN2at6native31launch_logcumsumexp_cuda_kernelERKNSD_10TensorBaseESH_lENKUlvE_clEvENKUlvE4_clEvEUlS6_S6_E_S6_EEDaPvRmT3_T4_T5_mT6_P12ihipStream_tbENKUlT_T0_E_clISt17integral_constantIbLb1EESX_IbLb0EEEEDaST_SU_EUlST_E_NS1_11comp_targetILNS1_3genE0ELNS1_11target_archE4294967295ELNS1_3gpuE0ELNS1_3repE0EEENS1_30default_config_static_selectorELNS0_4arch9wavefront6targetE0EEEvT1_
		.amdhsa_group_segment_fixed_size 0
		.amdhsa_private_segment_fixed_size 0
		.amdhsa_kernarg_size 96
		.amdhsa_user_sgpr_count 6
		.amdhsa_user_sgpr_private_segment_buffer 1
		.amdhsa_user_sgpr_dispatch_ptr 0
		.amdhsa_user_sgpr_queue_ptr 0
		.amdhsa_user_sgpr_kernarg_segment_ptr 1
		.amdhsa_user_sgpr_dispatch_id 0
		.amdhsa_user_sgpr_flat_scratch_init 0
		.amdhsa_user_sgpr_private_segment_size 0
		.amdhsa_wavefront_size32 1
		.amdhsa_uses_dynamic_stack 0
		.amdhsa_system_sgpr_private_segment_wavefront_offset 0
		.amdhsa_system_sgpr_workgroup_id_x 1
		.amdhsa_system_sgpr_workgroup_id_y 0
		.amdhsa_system_sgpr_workgroup_id_z 0
		.amdhsa_system_sgpr_workgroup_info 0
		.amdhsa_system_vgpr_workitem_id 0
		.amdhsa_next_free_vgpr 1
		.amdhsa_next_free_sgpr 1
		.amdhsa_reserve_vcc 0
		.amdhsa_reserve_flat_scratch 0
		.amdhsa_float_round_mode_32 0
		.amdhsa_float_round_mode_16_64 0
		.amdhsa_float_denorm_mode_32 3
		.amdhsa_float_denorm_mode_16_64 3
		.amdhsa_dx10_clamp 1
		.amdhsa_ieee_mode 1
		.amdhsa_fp16_overflow 0
		.amdhsa_workgroup_processor_mode 1
		.amdhsa_memory_ordered 1
		.amdhsa_forward_progress 1
		.amdhsa_shared_vgpr_count 0
		.amdhsa_exception_fp_ieee_invalid_op 0
		.amdhsa_exception_fp_denorm_src 0
		.amdhsa_exception_fp_ieee_div_zero 0
		.amdhsa_exception_fp_ieee_overflow 0
		.amdhsa_exception_fp_ieee_underflow 0
		.amdhsa_exception_fp_ieee_inexact 0
		.amdhsa_exception_int_div_zero 0
	.end_amdhsa_kernel
	.section	.text._ZN7rocprim17ROCPRIM_400000_NS6detail17trampoline_kernelINS0_14default_configENS1_20scan_config_selectorIN3c108BFloat16EEEZZNS1_9scan_implILNS1_25lookback_scan_determinismE0ELb0ELb0ES3_PKS6_PS6_S6_ZZZN2at6native31launch_logcumsumexp_cuda_kernelERKNSD_10TensorBaseESH_lENKUlvE_clEvENKUlvE4_clEvEUlS6_S6_E_S6_EEDaPvRmT3_T4_T5_mT6_P12ihipStream_tbENKUlT_T0_E_clISt17integral_constantIbLb1EESX_IbLb0EEEEDaST_SU_EUlST_E_NS1_11comp_targetILNS1_3genE0ELNS1_11target_archE4294967295ELNS1_3gpuE0ELNS1_3repE0EEENS1_30default_config_static_selectorELNS0_4arch9wavefront6targetE0EEEvT1_,"axG",@progbits,_ZN7rocprim17ROCPRIM_400000_NS6detail17trampoline_kernelINS0_14default_configENS1_20scan_config_selectorIN3c108BFloat16EEEZZNS1_9scan_implILNS1_25lookback_scan_determinismE0ELb0ELb0ES3_PKS6_PS6_S6_ZZZN2at6native31launch_logcumsumexp_cuda_kernelERKNSD_10TensorBaseESH_lENKUlvE_clEvENKUlvE4_clEvEUlS6_S6_E_S6_EEDaPvRmT3_T4_T5_mT6_P12ihipStream_tbENKUlT_T0_E_clISt17integral_constantIbLb1EESX_IbLb0EEEEDaST_SU_EUlST_E_NS1_11comp_targetILNS1_3genE0ELNS1_11target_archE4294967295ELNS1_3gpuE0ELNS1_3repE0EEENS1_30default_config_static_selectorELNS0_4arch9wavefront6targetE0EEEvT1_,comdat
.Lfunc_end484:
	.size	_ZN7rocprim17ROCPRIM_400000_NS6detail17trampoline_kernelINS0_14default_configENS1_20scan_config_selectorIN3c108BFloat16EEEZZNS1_9scan_implILNS1_25lookback_scan_determinismE0ELb0ELb0ES3_PKS6_PS6_S6_ZZZN2at6native31launch_logcumsumexp_cuda_kernelERKNSD_10TensorBaseESH_lENKUlvE_clEvENKUlvE4_clEvEUlS6_S6_E_S6_EEDaPvRmT3_T4_T5_mT6_P12ihipStream_tbENKUlT_T0_E_clISt17integral_constantIbLb1EESX_IbLb0EEEEDaST_SU_EUlST_E_NS1_11comp_targetILNS1_3genE0ELNS1_11target_archE4294967295ELNS1_3gpuE0ELNS1_3repE0EEENS1_30default_config_static_selectorELNS0_4arch9wavefront6targetE0EEEvT1_, .Lfunc_end484-_ZN7rocprim17ROCPRIM_400000_NS6detail17trampoline_kernelINS0_14default_configENS1_20scan_config_selectorIN3c108BFloat16EEEZZNS1_9scan_implILNS1_25lookback_scan_determinismE0ELb0ELb0ES3_PKS6_PS6_S6_ZZZN2at6native31launch_logcumsumexp_cuda_kernelERKNSD_10TensorBaseESH_lENKUlvE_clEvENKUlvE4_clEvEUlS6_S6_E_S6_EEDaPvRmT3_T4_T5_mT6_P12ihipStream_tbENKUlT_T0_E_clISt17integral_constantIbLb1EESX_IbLb0EEEEDaST_SU_EUlST_E_NS1_11comp_targetILNS1_3genE0ELNS1_11target_archE4294967295ELNS1_3gpuE0ELNS1_3repE0EEENS1_30default_config_static_selectorELNS0_4arch9wavefront6targetE0EEEvT1_
                                        ; -- End function
	.set _ZN7rocprim17ROCPRIM_400000_NS6detail17trampoline_kernelINS0_14default_configENS1_20scan_config_selectorIN3c108BFloat16EEEZZNS1_9scan_implILNS1_25lookback_scan_determinismE0ELb0ELb0ES3_PKS6_PS6_S6_ZZZN2at6native31launch_logcumsumexp_cuda_kernelERKNSD_10TensorBaseESH_lENKUlvE_clEvENKUlvE4_clEvEUlS6_S6_E_S6_EEDaPvRmT3_T4_T5_mT6_P12ihipStream_tbENKUlT_T0_E_clISt17integral_constantIbLb1EESX_IbLb0EEEEDaST_SU_EUlST_E_NS1_11comp_targetILNS1_3genE0ELNS1_11target_archE4294967295ELNS1_3gpuE0ELNS1_3repE0EEENS1_30default_config_static_selectorELNS0_4arch9wavefront6targetE0EEEvT1_.num_vgpr, 0
	.set _ZN7rocprim17ROCPRIM_400000_NS6detail17trampoline_kernelINS0_14default_configENS1_20scan_config_selectorIN3c108BFloat16EEEZZNS1_9scan_implILNS1_25lookback_scan_determinismE0ELb0ELb0ES3_PKS6_PS6_S6_ZZZN2at6native31launch_logcumsumexp_cuda_kernelERKNSD_10TensorBaseESH_lENKUlvE_clEvENKUlvE4_clEvEUlS6_S6_E_S6_EEDaPvRmT3_T4_T5_mT6_P12ihipStream_tbENKUlT_T0_E_clISt17integral_constantIbLb1EESX_IbLb0EEEEDaST_SU_EUlST_E_NS1_11comp_targetILNS1_3genE0ELNS1_11target_archE4294967295ELNS1_3gpuE0ELNS1_3repE0EEENS1_30default_config_static_selectorELNS0_4arch9wavefront6targetE0EEEvT1_.num_agpr, 0
	.set _ZN7rocprim17ROCPRIM_400000_NS6detail17trampoline_kernelINS0_14default_configENS1_20scan_config_selectorIN3c108BFloat16EEEZZNS1_9scan_implILNS1_25lookback_scan_determinismE0ELb0ELb0ES3_PKS6_PS6_S6_ZZZN2at6native31launch_logcumsumexp_cuda_kernelERKNSD_10TensorBaseESH_lENKUlvE_clEvENKUlvE4_clEvEUlS6_S6_E_S6_EEDaPvRmT3_T4_T5_mT6_P12ihipStream_tbENKUlT_T0_E_clISt17integral_constantIbLb1EESX_IbLb0EEEEDaST_SU_EUlST_E_NS1_11comp_targetILNS1_3genE0ELNS1_11target_archE4294967295ELNS1_3gpuE0ELNS1_3repE0EEENS1_30default_config_static_selectorELNS0_4arch9wavefront6targetE0EEEvT1_.numbered_sgpr, 0
	.set _ZN7rocprim17ROCPRIM_400000_NS6detail17trampoline_kernelINS0_14default_configENS1_20scan_config_selectorIN3c108BFloat16EEEZZNS1_9scan_implILNS1_25lookback_scan_determinismE0ELb0ELb0ES3_PKS6_PS6_S6_ZZZN2at6native31launch_logcumsumexp_cuda_kernelERKNSD_10TensorBaseESH_lENKUlvE_clEvENKUlvE4_clEvEUlS6_S6_E_S6_EEDaPvRmT3_T4_T5_mT6_P12ihipStream_tbENKUlT_T0_E_clISt17integral_constantIbLb1EESX_IbLb0EEEEDaST_SU_EUlST_E_NS1_11comp_targetILNS1_3genE0ELNS1_11target_archE4294967295ELNS1_3gpuE0ELNS1_3repE0EEENS1_30default_config_static_selectorELNS0_4arch9wavefront6targetE0EEEvT1_.num_named_barrier, 0
	.set _ZN7rocprim17ROCPRIM_400000_NS6detail17trampoline_kernelINS0_14default_configENS1_20scan_config_selectorIN3c108BFloat16EEEZZNS1_9scan_implILNS1_25lookback_scan_determinismE0ELb0ELb0ES3_PKS6_PS6_S6_ZZZN2at6native31launch_logcumsumexp_cuda_kernelERKNSD_10TensorBaseESH_lENKUlvE_clEvENKUlvE4_clEvEUlS6_S6_E_S6_EEDaPvRmT3_T4_T5_mT6_P12ihipStream_tbENKUlT_T0_E_clISt17integral_constantIbLb1EESX_IbLb0EEEEDaST_SU_EUlST_E_NS1_11comp_targetILNS1_3genE0ELNS1_11target_archE4294967295ELNS1_3gpuE0ELNS1_3repE0EEENS1_30default_config_static_selectorELNS0_4arch9wavefront6targetE0EEEvT1_.private_seg_size, 0
	.set _ZN7rocprim17ROCPRIM_400000_NS6detail17trampoline_kernelINS0_14default_configENS1_20scan_config_selectorIN3c108BFloat16EEEZZNS1_9scan_implILNS1_25lookback_scan_determinismE0ELb0ELb0ES3_PKS6_PS6_S6_ZZZN2at6native31launch_logcumsumexp_cuda_kernelERKNSD_10TensorBaseESH_lENKUlvE_clEvENKUlvE4_clEvEUlS6_S6_E_S6_EEDaPvRmT3_T4_T5_mT6_P12ihipStream_tbENKUlT_T0_E_clISt17integral_constantIbLb1EESX_IbLb0EEEEDaST_SU_EUlST_E_NS1_11comp_targetILNS1_3genE0ELNS1_11target_archE4294967295ELNS1_3gpuE0ELNS1_3repE0EEENS1_30default_config_static_selectorELNS0_4arch9wavefront6targetE0EEEvT1_.uses_vcc, 0
	.set _ZN7rocprim17ROCPRIM_400000_NS6detail17trampoline_kernelINS0_14default_configENS1_20scan_config_selectorIN3c108BFloat16EEEZZNS1_9scan_implILNS1_25lookback_scan_determinismE0ELb0ELb0ES3_PKS6_PS6_S6_ZZZN2at6native31launch_logcumsumexp_cuda_kernelERKNSD_10TensorBaseESH_lENKUlvE_clEvENKUlvE4_clEvEUlS6_S6_E_S6_EEDaPvRmT3_T4_T5_mT6_P12ihipStream_tbENKUlT_T0_E_clISt17integral_constantIbLb1EESX_IbLb0EEEEDaST_SU_EUlST_E_NS1_11comp_targetILNS1_3genE0ELNS1_11target_archE4294967295ELNS1_3gpuE0ELNS1_3repE0EEENS1_30default_config_static_selectorELNS0_4arch9wavefront6targetE0EEEvT1_.uses_flat_scratch, 0
	.set _ZN7rocprim17ROCPRIM_400000_NS6detail17trampoline_kernelINS0_14default_configENS1_20scan_config_selectorIN3c108BFloat16EEEZZNS1_9scan_implILNS1_25lookback_scan_determinismE0ELb0ELb0ES3_PKS6_PS6_S6_ZZZN2at6native31launch_logcumsumexp_cuda_kernelERKNSD_10TensorBaseESH_lENKUlvE_clEvENKUlvE4_clEvEUlS6_S6_E_S6_EEDaPvRmT3_T4_T5_mT6_P12ihipStream_tbENKUlT_T0_E_clISt17integral_constantIbLb1EESX_IbLb0EEEEDaST_SU_EUlST_E_NS1_11comp_targetILNS1_3genE0ELNS1_11target_archE4294967295ELNS1_3gpuE0ELNS1_3repE0EEENS1_30default_config_static_selectorELNS0_4arch9wavefront6targetE0EEEvT1_.has_dyn_sized_stack, 0
	.set _ZN7rocprim17ROCPRIM_400000_NS6detail17trampoline_kernelINS0_14default_configENS1_20scan_config_selectorIN3c108BFloat16EEEZZNS1_9scan_implILNS1_25lookback_scan_determinismE0ELb0ELb0ES3_PKS6_PS6_S6_ZZZN2at6native31launch_logcumsumexp_cuda_kernelERKNSD_10TensorBaseESH_lENKUlvE_clEvENKUlvE4_clEvEUlS6_S6_E_S6_EEDaPvRmT3_T4_T5_mT6_P12ihipStream_tbENKUlT_T0_E_clISt17integral_constantIbLb1EESX_IbLb0EEEEDaST_SU_EUlST_E_NS1_11comp_targetILNS1_3genE0ELNS1_11target_archE4294967295ELNS1_3gpuE0ELNS1_3repE0EEENS1_30default_config_static_selectorELNS0_4arch9wavefront6targetE0EEEvT1_.has_recursion, 0
	.set _ZN7rocprim17ROCPRIM_400000_NS6detail17trampoline_kernelINS0_14default_configENS1_20scan_config_selectorIN3c108BFloat16EEEZZNS1_9scan_implILNS1_25lookback_scan_determinismE0ELb0ELb0ES3_PKS6_PS6_S6_ZZZN2at6native31launch_logcumsumexp_cuda_kernelERKNSD_10TensorBaseESH_lENKUlvE_clEvENKUlvE4_clEvEUlS6_S6_E_S6_EEDaPvRmT3_T4_T5_mT6_P12ihipStream_tbENKUlT_T0_E_clISt17integral_constantIbLb1EESX_IbLb0EEEEDaST_SU_EUlST_E_NS1_11comp_targetILNS1_3genE0ELNS1_11target_archE4294967295ELNS1_3gpuE0ELNS1_3repE0EEENS1_30default_config_static_selectorELNS0_4arch9wavefront6targetE0EEEvT1_.has_indirect_call, 0
	.section	.AMDGPU.csdata,"",@progbits
; Kernel info:
; codeLenInByte = 0
; TotalNumSgprs: 0
; NumVgprs: 0
; ScratchSize: 0
; MemoryBound: 0
; FloatMode: 240
; IeeeMode: 1
; LDSByteSize: 0 bytes/workgroup (compile time only)
; SGPRBlocks: 0
; VGPRBlocks: 0
; NumSGPRsForWavesPerEU: 1
; NumVGPRsForWavesPerEU: 1
; Occupancy: 16
; WaveLimiterHint : 0
; COMPUTE_PGM_RSRC2:SCRATCH_EN: 0
; COMPUTE_PGM_RSRC2:USER_SGPR: 6
; COMPUTE_PGM_RSRC2:TRAP_HANDLER: 0
; COMPUTE_PGM_RSRC2:TGID_X_EN: 1
; COMPUTE_PGM_RSRC2:TGID_Y_EN: 0
; COMPUTE_PGM_RSRC2:TGID_Z_EN: 0
; COMPUTE_PGM_RSRC2:TIDIG_COMP_CNT: 0
	.section	.text._ZN7rocprim17ROCPRIM_400000_NS6detail17trampoline_kernelINS0_14default_configENS1_20scan_config_selectorIN3c108BFloat16EEEZZNS1_9scan_implILNS1_25lookback_scan_determinismE0ELb0ELb0ES3_PKS6_PS6_S6_ZZZN2at6native31launch_logcumsumexp_cuda_kernelERKNSD_10TensorBaseESH_lENKUlvE_clEvENKUlvE4_clEvEUlS6_S6_E_S6_EEDaPvRmT3_T4_T5_mT6_P12ihipStream_tbENKUlT_T0_E_clISt17integral_constantIbLb1EESX_IbLb0EEEEDaST_SU_EUlST_E_NS1_11comp_targetILNS1_3genE5ELNS1_11target_archE942ELNS1_3gpuE9ELNS1_3repE0EEENS1_30default_config_static_selectorELNS0_4arch9wavefront6targetE0EEEvT1_,"axG",@progbits,_ZN7rocprim17ROCPRIM_400000_NS6detail17trampoline_kernelINS0_14default_configENS1_20scan_config_selectorIN3c108BFloat16EEEZZNS1_9scan_implILNS1_25lookback_scan_determinismE0ELb0ELb0ES3_PKS6_PS6_S6_ZZZN2at6native31launch_logcumsumexp_cuda_kernelERKNSD_10TensorBaseESH_lENKUlvE_clEvENKUlvE4_clEvEUlS6_S6_E_S6_EEDaPvRmT3_T4_T5_mT6_P12ihipStream_tbENKUlT_T0_E_clISt17integral_constantIbLb1EESX_IbLb0EEEEDaST_SU_EUlST_E_NS1_11comp_targetILNS1_3genE5ELNS1_11target_archE942ELNS1_3gpuE9ELNS1_3repE0EEENS1_30default_config_static_selectorELNS0_4arch9wavefront6targetE0EEEvT1_,comdat
	.globl	_ZN7rocprim17ROCPRIM_400000_NS6detail17trampoline_kernelINS0_14default_configENS1_20scan_config_selectorIN3c108BFloat16EEEZZNS1_9scan_implILNS1_25lookback_scan_determinismE0ELb0ELb0ES3_PKS6_PS6_S6_ZZZN2at6native31launch_logcumsumexp_cuda_kernelERKNSD_10TensorBaseESH_lENKUlvE_clEvENKUlvE4_clEvEUlS6_S6_E_S6_EEDaPvRmT3_T4_T5_mT6_P12ihipStream_tbENKUlT_T0_E_clISt17integral_constantIbLb1EESX_IbLb0EEEEDaST_SU_EUlST_E_NS1_11comp_targetILNS1_3genE5ELNS1_11target_archE942ELNS1_3gpuE9ELNS1_3repE0EEENS1_30default_config_static_selectorELNS0_4arch9wavefront6targetE0EEEvT1_ ; -- Begin function _ZN7rocprim17ROCPRIM_400000_NS6detail17trampoline_kernelINS0_14default_configENS1_20scan_config_selectorIN3c108BFloat16EEEZZNS1_9scan_implILNS1_25lookback_scan_determinismE0ELb0ELb0ES3_PKS6_PS6_S6_ZZZN2at6native31launch_logcumsumexp_cuda_kernelERKNSD_10TensorBaseESH_lENKUlvE_clEvENKUlvE4_clEvEUlS6_S6_E_S6_EEDaPvRmT3_T4_T5_mT6_P12ihipStream_tbENKUlT_T0_E_clISt17integral_constantIbLb1EESX_IbLb0EEEEDaST_SU_EUlST_E_NS1_11comp_targetILNS1_3genE5ELNS1_11target_archE942ELNS1_3gpuE9ELNS1_3repE0EEENS1_30default_config_static_selectorELNS0_4arch9wavefront6targetE0EEEvT1_
	.p2align	8
	.type	_ZN7rocprim17ROCPRIM_400000_NS6detail17trampoline_kernelINS0_14default_configENS1_20scan_config_selectorIN3c108BFloat16EEEZZNS1_9scan_implILNS1_25lookback_scan_determinismE0ELb0ELb0ES3_PKS6_PS6_S6_ZZZN2at6native31launch_logcumsumexp_cuda_kernelERKNSD_10TensorBaseESH_lENKUlvE_clEvENKUlvE4_clEvEUlS6_S6_E_S6_EEDaPvRmT3_T4_T5_mT6_P12ihipStream_tbENKUlT_T0_E_clISt17integral_constantIbLb1EESX_IbLb0EEEEDaST_SU_EUlST_E_NS1_11comp_targetILNS1_3genE5ELNS1_11target_archE942ELNS1_3gpuE9ELNS1_3repE0EEENS1_30default_config_static_selectorELNS0_4arch9wavefront6targetE0EEEvT1_,@function
_ZN7rocprim17ROCPRIM_400000_NS6detail17trampoline_kernelINS0_14default_configENS1_20scan_config_selectorIN3c108BFloat16EEEZZNS1_9scan_implILNS1_25lookback_scan_determinismE0ELb0ELb0ES3_PKS6_PS6_S6_ZZZN2at6native31launch_logcumsumexp_cuda_kernelERKNSD_10TensorBaseESH_lENKUlvE_clEvENKUlvE4_clEvEUlS6_S6_E_S6_EEDaPvRmT3_T4_T5_mT6_P12ihipStream_tbENKUlT_T0_E_clISt17integral_constantIbLb1EESX_IbLb0EEEEDaST_SU_EUlST_E_NS1_11comp_targetILNS1_3genE5ELNS1_11target_archE942ELNS1_3gpuE9ELNS1_3repE0EEENS1_30default_config_static_selectorELNS0_4arch9wavefront6targetE0EEEvT1_: ; @_ZN7rocprim17ROCPRIM_400000_NS6detail17trampoline_kernelINS0_14default_configENS1_20scan_config_selectorIN3c108BFloat16EEEZZNS1_9scan_implILNS1_25lookback_scan_determinismE0ELb0ELb0ES3_PKS6_PS6_S6_ZZZN2at6native31launch_logcumsumexp_cuda_kernelERKNSD_10TensorBaseESH_lENKUlvE_clEvENKUlvE4_clEvEUlS6_S6_E_S6_EEDaPvRmT3_T4_T5_mT6_P12ihipStream_tbENKUlT_T0_E_clISt17integral_constantIbLb1EESX_IbLb0EEEEDaST_SU_EUlST_E_NS1_11comp_targetILNS1_3genE5ELNS1_11target_archE942ELNS1_3gpuE9ELNS1_3repE0EEENS1_30default_config_static_selectorELNS0_4arch9wavefront6targetE0EEEvT1_
; %bb.0:
	.section	.rodata,"a",@progbits
	.p2align	6, 0x0
	.amdhsa_kernel _ZN7rocprim17ROCPRIM_400000_NS6detail17trampoline_kernelINS0_14default_configENS1_20scan_config_selectorIN3c108BFloat16EEEZZNS1_9scan_implILNS1_25lookback_scan_determinismE0ELb0ELb0ES3_PKS6_PS6_S6_ZZZN2at6native31launch_logcumsumexp_cuda_kernelERKNSD_10TensorBaseESH_lENKUlvE_clEvENKUlvE4_clEvEUlS6_S6_E_S6_EEDaPvRmT3_T4_T5_mT6_P12ihipStream_tbENKUlT_T0_E_clISt17integral_constantIbLb1EESX_IbLb0EEEEDaST_SU_EUlST_E_NS1_11comp_targetILNS1_3genE5ELNS1_11target_archE942ELNS1_3gpuE9ELNS1_3repE0EEENS1_30default_config_static_selectorELNS0_4arch9wavefront6targetE0EEEvT1_
		.amdhsa_group_segment_fixed_size 0
		.amdhsa_private_segment_fixed_size 0
		.amdhsa_kernarg_size 96
		.amdhsa_user_sgpr_count 6
		.amdhsa_user_sgpr_private_segment_buffer 1
		.amdhsa_user_sgpr_dispatch_ptr 0
		.amdhsa_user_sgpr_queue_ptr 0
		.amdhsa_user_sgpr_kernarg_segment_ptr 1
		.amdhsa_user_sgpr_dispatch_id 0
		.amdhsa_user_sgpr_flat_scratch_init 0
		.amdhsa_user_sgpr_private_segment_size 0
		.amdhsa_wavefront_size32 1
		.amdhsa_uses_dynamic_stack 0
		.amdhsa_system_sgpr_private_segment_wavefront_offset 0
		.amdhsa_system_sgpr_workgroup_id_x 1
		.amdhsa_system_sgpr_workgroup_id_y 0
		.amdhsa_system_sgpr_workgroup_id_z 0
		.amdhsa_system_sgpr_workgroup_info 0
		.amdhsa_system_vgpr_workitem_id 0
		.amdhsa_next_free_vgpr 1
		.amdhsa_next_free_sgpr 1
		.amdhsa_reserve_vcc 0
		.amdhsa_reserve_flat_scratch 0
		.amdhsa_float_round_mode_32 0
		.amdhsa_float_round_mode_16_64 0
		.amdhsa_float_denorm_mode_32 3
		.amdhsa_float_denorm_mode_16_64 3
		.amdhsa_dx10_clamp 1
		.amdhsa_ieee_mode 1
		.amdhsa_fp16_overflow 0
		.amdhsa_workgroup_processor_mode 1
		.amdhsa_memory_ordered 1
		.amdhsa_forward_progress 1
		.amdhsa_shared_vgpr_count 0
		.amdhsa_exception_fp_ieee_invalid_op 0
		.amdhsa_exception_fp_denorm_src 0
		.amdhsa_exception_fp_ieee_div_zero 0
		.amdhsa_exception_fp_ieee_overflow 0
		.amdhsa_exception_fp_ieee_underflow 0
		.amdhsa_exception_fp_ieee_inexact 0
		.amdhsa_exception_int_div_zero 0
	.end_amdhsa_kernel
	.section	.text._ZN7rocprim17ROCPRIM_400000_NS6detail17trampoline_kernelINS0_14default_configENS1_20scan_config_selectorIN3c108BFloat16EEEZZNS1_9scan_implILNS1_25lookback_scan_determinismE0ELb0ELb0ES3_PKS6_PS6_S6_ZZZN2at6native31launch_logcumsumexp_cuda_kernelERKNSD_10TensorBaseESH_lENKUlvE_clEvENKUlvE4_clEvEUlS6_S6_E_S6_EEDaPvRmT3_T4_T5_mT6_P12ihipStream_tbENKUlT_T0_E_clISt17integral_constantIbLb1EESX_IbLb0EEEEDaST_SU_EUlST_E_NS1_11comp_targetILNS1_3genE5ELNS1_11target_archE942ELNS1_3gpuE9ELNS1_3repE0EEENS1_30default_config_static_selectorELNS0_4arch9wavefront6targetE0EEEvT1_,"axG",@progbits,_ZN7rocprim17ROCPRIM_400000_NS6detail17trampoline_kernelINS0_14default_configENS1_20scan_config_selectorIN3c108BFloat16EEEZZNS1_9scan_implILNS1_25lookback_scan_determinismE0ELb0ELb0ES3_PKS6_PS6_S6_ZZZN2at6native31launch_logcumsumexp_cuda_kernelERKNSD_10TensorBaseESH_lENKUlvE_clEvENKUlvE4_clEvEUlS6_S6_E_S6_EEDaPvRmT3_T4_T5_mT6_P12ihipStream_tbENKUlT_T0_E_clISt17integral_constantIbLb1EESX_IbLb0EEEEDaST_SU_EUlST_E_NS1_11comp_targetILNS1_3genE5ELNS1_11target_archE942ELNS1_3gpuE9ELNS1_3repE0EEENS1_30default_config_static_selectorELNS0_4arch9wavefront6targetE0EEEvT1_,comdat
.Lfunc_end485:
	.size	_ZN7rocprim17ROCPRIM_400000_NS6detail17trampoline_kernelINS0_14default_configENS1_20scan_config_selectorIN3c108BFloat16EEEZZNS1_9scan_implILNS1_25lookback_scan_determinismE0ELb0ELb0ES3_PKS6_PS6_S6_ZZZN2at6native31launch_logcumsumexp_cuda_kernelERKNSD_10TensorBaseESH_lENKUlvE_clEvENKUlvE4_clEvEUlS6_S6_E_S6_EEDaPvRmT3_T4_T5_mT6_P12ihipStream_tbENKUlT_T0_E_clISt17integral_constantIbLb1EESX_IbLb0EEEEDaST_SU_EUlST_E_NS1_11comp_targetILNS1_3genE5ELNS1_11target_archE942ELNS1_3gpuE9ELNS1_3repE0EEENS1_30default_config_static_selectorELNS0_4arch9wavefront6targetE0EEEvT1_, .Lfunc_end485-_ZN7rocprim17ROCPRIM_400000_NS6detail17trampoline_kernelINS0_14default_configENS1_20scan_config_selectorIN3c108BFloat16EEEZZNS1_9scan_implILNS1_25lookback_scan_determinismE0ELb0ELb0ES3_PKS6_PS6_S6_ZZZN2at6native31launch_logcumsumexp_cuda_kernelERKNSD_10TensorBaseESH_lENKUlvE_clEvENKUlvE4_clEvEUlS6_S6_E_S6_EEDaPvRmT3_T4_T5_mT6_P12ihipStream_tbENKUlT_T0_E_clISt17integral_constantIbLb1EESX_IbLb0EEEEDaST_SU_EUlST_E_NS1_11comp_targetILNS1_3genE5ELNS1_11target_archE942ELNS1_3gpuE9ELNS1_3repE0EEENS1_30default_config_static_selectorELNS0_4arch9wavefront6targetE0EEEvT1_
                                        ; -- End function
	.set _ZN7rocprim17ROCPRIM_400000_NS6detail17trampoline_kernelINS0_14default_configENS1_20scan_config_selectorIN3c108BFloat16EEEZZNS1_9scan_implILNS1_25lookback_scan_determinismE0ELb0ELb0ES3_PKS6_PS6_S6_ZZZN2at6native31launch_logcumsumexp_cuda_kernelERKNSD_10TensorBaseESH_lENKUlvE_clEvENKUlvE4_clEvEUlS6_S6_E_S6_EEDaPvRmT3_T4_T5_mT6_P12ihipStream_tbENKUlT_T0_E_clISt17integral_constantIbLb1EESX_IbLb0EEEEDaST_SU_EUlST_E_NS1_11comp_targetILNS1_3genE5ELNS1_11target_archE942ELNS1_3gpuE9ELNS1_3repE0EEENS1_30default_config_static_selectorELNS0_4arch9wavefront6targetE0EEEvT1_.num_vgpr, 0
	.set _ZN7rocprim17ROCPRIM_400000_NS6detail17trampoline_kernelINS0_14default_configENS1_20scan_config_selectorIN3c108BFloat16EEEZZNS1_9scan_implILNS1_25lookback_scan_determinismE0ELb0ELb0ES3_PKS6_PS6_S6_ZZZN2at6native31launch_logcumsumexp_cuda_kernelERKNSD_10TensorBaseESH_lENKUlvE_clEvENKUlvE4_clEvEUlS6_S6_E_S6_EEDaPvRmT3_T4_T5_mT6_P12ihipStream_tbENKUlT_T0_E_clISt17integral_constantIbLb1EESX_IbLb0EEEEDaST_SU_EUlST_E_NS1_11comp_targetILNS1_3genE5ELNS1_11target_archE942ELNS1_3gpuE9ELNS1_3repE0EEENS1_30default_config_static_selectorELNS0_4arch9wavefront6targetE0EEEvT1_.num_agpr, 0
	.set _ZN7rocprim17ROCPRIM_400000_NS6detail17trampoline_kernelINS0_14default_configENS1_20scan_config_selectorIN3c108BFloat16EEEZZNS1_9scan_implILNS1_25lookback_scan_determinismE0ELb0ELb0ES3_PKS6_PS6_S6_ZZZN2at6native31launch_logcumsumexp_cuda_kernelERKNSD_10TensorBaseESH_lENKUlvE_clEvENKUlvE4_clEvEUlS6_S6_E_S6_EEDaPvRmT3_T4_T5_mT6_P12ihipStream_tbENKUlT_T0_E_clISt17integral_constantIbLb1EESX_IbLb0EEEEDaST_SU_EUlST_E_NS1_11comp_targetILNS1_3genE5ELNS1_11target_archE942ELNS1_3gpuE9ELNS1_3repE0EEENS1_30default_config_static_selectorELNS0_4arch9wavefront6targetE0EEEvT1_.numbered_sgpr, 0
	.set _ZN7rocprim17ROCPRIM_400000_NS6detail17trampoline_kernelINS0_14default_configENS1_20scan_config_selectorIN3c108BFloat16EEEZZNS1_9scan_implILNS1_25lookback_scan_determinismE0ELb0ELb0ES3_PKS6_PS6_S6_ZZZN2at6native31launch_logcumsumexp_cuda_kernelERKNSD_10TensorBaseESH_lENKUlvE_clEvENKUlvE4_clEvEUlS6_S6_E_S6_EEDaPvRmT3_T4_T5_mT6_P12ihipStream_tbENKUlT_T0_E_clISt17integral_constantIbLb1EESX_IbLb0EEEEDaST_SU_EUlST_E_NS1_11comp_targetILNS1_3genE5ELNS1_11target_archE942ELNS1_3gpuE9ELNS1_3repE0EEENS1_30default_config_static_selectorELNS0_4arch9wavefront6targetE0EEEvT1_.num_named_barrier, 0
	.set _ZN7rocprim17ROCPRIM_400000_NS6detail17trampoline_kernelINS0_14default_configENS1_20scan_config_selectorIN3c108BFloat16EEEZZNS1_9scan_implILNS1_25lookback_scan_determinismE0ELb0ELb0ES3_PKS6_PS6_S6_ZZZN2at6native31launch_logcumsumexp_cuda_kernelERKNSD_10TensorBaseESH_lENKUlvE_clEvENKUlvE4_clEvEUlS6_S6_E_S6_EEDaPvRmT3_T4_T5_mT6_P12ihipStream_tbENKUlT_T0_E_clISt17integral_constantIbLb1EESX_IbLb0EEEEDaST_SU_EUlST_E_NS1_11comp_targetILNS1_3genE5ELNS1_11target_archE942ELNS1_3gpuE9ELNS1_3repE0EEENS1_30default_config_static_selectorELNS0_4arch9wavefront6targetE0EEEvT1_.private_seg_size, 0
	.set _ZN7rocprim17ROCPRIM_400000_NS6detail17trampoline_kernelINS0_14default_configENS1_20scan_config_selectorIN3c108BFloat16EEEZZNS1_9scan_implILNS1_25lookback_scan_determinismE0ELb0ELb0ES3_PKS6_PS6_S6_ZZZN2at6native31launch_logcumsumexp_cuda_kernelERKNSD_10TensorBaseESH_lENKUlvE_clEvENKUlvE4_clEvEUlS6_S6_E_S6_EEDaPvRmT3_T4_T5_mT6_P12ihipStream_tbENKUlT_T0_E_clISt17integral_constantIbLb1EESX_IbLb0EEEEDaST_SU_EUlST_E_NS1_11comp_targetILNS1_3genE5ELNS1_11target_archE942ELNS1_3gpuE9ELNS1_3repE0EEENS1_30default_config_static_selectorELNS0_4arch9wavefront6targetE0EEEvT1_.uses_vcc, 0
	.set _ZN7rocprim17ROCPRIM_400000_NS6detail17trampoline_kernelINS0_14default_configENS1_20scan_config_selectorIN3c108BFloat16EEEZZNS1_9scan_implILNS1_25lookback_scan_determinismE0ELb0ELb0ES3_PKS6_PS6_S6_ZZZN2at6native31launch_logcumsumexp_cuda_kernelERKNSD_10TensorBaseESH_lENKUlvE_clEvENKUlvE4_clEvEUlS6_S6_E_S6_EEDaPvRmT3_T4_T5_mT6_P12ihipStream_tbENKUlT_T0_E_clISt17integral_constantIbLb1EESX_IbLb0EEEEDaST_SU_EUlST_E_NS1_11comp_targetILNS1_3genE5ELNS1_11target_archE942ELNS1_3gpuE9ELNS1_3repE0EEENS1_30default_config_static_selectorELNS0_4arch9wavefront6targetE0EEEvT1_.uses_flat_scratch, 0
	.set _ZN7rocprim17ROCPRIM_400000_NS6detail17trampoline_kernelINS0_14default_configENS1_20scan_config_selectorIN3c108BFloat16EEEZZNS1_9scan_implILNS1_25lookback_scan_determinismE0ELb0ELb0ES3_PKS6_PS6_S6_ZZZN2at6native31launch_logcumsumexp_cuda_kernelERKNSD_10TensorBaseESH_lENKUlvE_clEvENKUlvE4_clEvEUlS6_S6_E_S6_EEDaPvRmT3_T4_T5_mT6_P12ihipStream_tbENKUlT_T0_E_clISt17integral_constantIbLb1EESX_IbLb0EEEEDaST_SU_EUlST_E_NS1_11comp_targetILNS1_3genE5ELNS1_11target_archE942ELNS1_3gpuE9ELNS1_3repE0EEENS1_30default_config_static_selectorELNS0_4arch9wavefront6targetE0EEEvT1_.has_dyn_sized_stack, 0
	.set _ZN7rocprim17ROCPRIM_400000_NS6detail17trampoline_kernelINS0_14default_configENS1_20scan_config_selectorIN3c108BFloat16EEEZZNS1_9scan_implILNS1_25lookback_scan_determinismE0ELb0ELb0ES3_PKS6_PS6_S6_ZZZN2at6native31launch_logcumsumexp_cuda_kernelERKNSD_10TensorBaseESH_lENKUlvE_clEvENKUlvE4_clEvEUlS6_S6_E_S6_EEDaPvRmT3_T4_T5_mT6_P12ihipStream_tbENKUlT_T0_E_clISt17integral_constantIbLb1EESX_IbLb0EEEEDaST_SU_EUlST_E_NS1_11comp_targetILNS1_3genE5ELNS1_11target_archE942ELNS1_3gpuE9ELNS1_3repE0EEENS1_30default_config_static_selectorELNS0_4arch9wavefront6targetE0EEEvT1_.has_recursion, 0
	.set _ZN7rocprim17ROCPRIM_400000_NS6detail17trampoline_kernelINS0_14default_configENS1_20scan_config_selectorIN3c108BFloat16EEEZZNS1_9scan_implILNS1_25lookback_scan_determinismE0ELb0ELb0ES3_PKS6_PS6_S6_ZZZN2at6native31launch_logcumsumexp_cuda_kernelERKNSD_10TensorBaseESH_lENKUlvE_clEvENKUlvE4_clEvEUlS6_S6_E_S6_EEDaPvRmT3_T4_T5_mT6_P12ihipStream_tbENKUlT_T0_E_clISt17integral_constantIbLb1EESX_IbLb0EEEEDaST_SU_EUlST_E_NS1_11comp_targetILNS1_3genE5ELNS1_11target_archE942ELNS1_3gpuE9ELNS1_3repE0EEENS1_30default_config_static_selectorELNS0_4arch9wavefront6targetE0EEEvT1_.has_indirect_call, 0
	.section	.AMDGPU.csdata,"",@progbits
; Kernel info:
; codeLenInByte = 0
; TotalNumSgprs: 0
; NumVgprs: 0
; ScratchSize: 0
; MemoryBound: 0
; FloatMode: 240
; IeeeMode: 1
; LDSByteSize: 0 bytes/workgroup (compile time only)
; SGPRBlocks: 0
; VGPRBlocks: 0
; NumSGPRsForWavesPerEU: 1
; NumVGPRsForWavesPerEU: 1
; Occupancy: 16
; WaveLimiterHint : 0
; COMPUTE_PGM_RSRC2:SCRATCH_EN: 0
; COMPUTE_PGM_RSRC2:USER_SGPR: 6
; COMPUTE_PGM_RSRC2:TRAP_HANDLER: 0
; COMPUTE_PGM_RSRC2:TGID_X_EN: 1
; COMPUTE_PGM_RSRC2:TGID_Y_EN: 0
; COMPUTE_PGM_RSRC2:TGID_Z_EN: 0
; COMPUTE_PGM_RSRC2:TIDIG_COMP_CNT: 0
	.section	.text._ZN7rocprim17ROCPRIM_400000_NS6detail17trampoline_kernelINS0_14default_configENS1_20scan_config_selectorIN3c108BFloat16EEEZZNS1_9scan_implILNS1_25lookback_scan_determinismE0ELb0ELb0ES3_PKS6_PS6_S6_ZZZN2at6native31launch_logcumsumexp_cuda_kernelERKNSD_10TensorBaseESH_lENKUlvE_clEvENKUlvE4_clEvEUlS6_S6_E_S6_EEDaPvRmT3_T4_T5_mT6_P12ihipStream_tbENKUlT_T0_E_clISt17integral_constantIbLb1EESX_IbLb0EEEEDaST_SU_EUlST_E_NS1_11comp_targetILNS1_3genE4ELNS1_11target_archE910ELNS1_3gpuE8ELNS1_3repE0EEENS1_30default_config_static_selectorELNS0_4arch9wavefront6targetE0EEEvT1_,"axG",@progbits,_ZN7rocprim17ROCPRIM_400000_NS6detail17trampoline_kernelINS0_14default_configENS1_20scan_config_selectorIN3c108BFloat16EEEZZNS1_9scan_implILNS1_25lookback_scan_determinismE0ELb0ELb0ES3_PKS6_PS6_S6_ZZZN2at6native31launch_logcumsumexp_cuda_kernelERKNSD_10TensorBaseESH_lENKUlvE_clEvENKUlvE4_clEvEUlS6_S6_E_S6_EEDaPvRmT3_T4_T5_mT6_P12ihipStream_tbENKUlT_T0_E_clISt17integral_constantIbLb1EESX_IbLb0EEEEDaST_SU_EUlST_E_NS1_11comp_targetILNS1_3genE4ELNS1_11target_archE910ELNS1_3gpuE8ELNS1_3repE0EEENS1_30default_config_static_selectorELNS0_4arch9wavefront6targetE0EEEvT1_,comdat
	.globl	_ZN7rocprim17ROCPRIM_400000_NS6detail17trampoline_kernelINS0_14default_configENS1_20scan_config_selectorIN3c108BFloat16EEEZZNS1_9scan_implILNS1_25lookback_scan_determinismE0ELb0ELb0ES3_PKS6_PS6_S6_ZZZN2at6native31launch_logcumsumexp_cuda_kernelERKNSD_10TensorBaseESH_lENKUlvE_clEvENKUlvE4_clEvEUlS6_S6_E_S6_EEDaPvRmT3_T4_T5_mT6_P12ihipStream_tbENKUlT_T0_E_clISt17integral_constantIbLb1EESX_IbLb0EEEEDaST_SU_EUlST_E_NS1_11comp_targetILNS1_3genE4ELNS1_11target_archE910ELNS1_3gpuE8ELNS1_3repE0EEENS1_30default_config_static_selectorELNS0_4arch9wavefront6targetE0EEEvT1_ ; -- Begin function _ZN7rocprim17ROCPRIM_400000_NS6detail17trampoline_kernelINS0_14default_configENS1_20scan_config_selectorIN3c108BFloat16EEEZZNS1_9scan_implILNS1_25lookback_scan_determinismE0ELb0ELb0ES3_PKS6_PS6_S6_ZZZN2at6native31launch_logcumsumexp_cuda_kernelERKNSD_10TensorBaseESH_lENKUlvE_clEvENKUlvE4_clEvEUlS6_S6_E_S6_EEDaPvRmT3_T4_T5_mT6_P12ihipStream_tbENKUlT_T0_E_clISt17integral_constantIbLb1EESX_IbLb0EEEEDaST_SU_EUlST_E_NS1_11comp_targetILNS1_3genE4ELNS1_11target_archE910ELNS1_3gpuE8ELNS1_3repE0EEENS1_30default_config_static_selectorELNS0_4arch9wavefront6targetE0EEEvT1_
	.p2align	8
	.type	_ZN7rocprim17ROCPRIM_400000_NS6detail17trampoline_kernelINS0_14default_configENS1_20scan_config_selectorIN3c108BFloat16EEEZZNS1_9scan_implILNS1_25lookback_scan_determinismE0ELb0ELb0ES3_PKS6_PS6_S6_ZZZN2at6native31launch_logcumsumexp_cuda_kernelERKNSD_10TensorBaseESH_lENKUlvE_clEvENKUlvE4_clEvEUlS6_S6_E_S6_EEDaPvRmT3_T4_T5_mT6_P12ihipStream_tbENKUlT_T0_E_clISt17integral_constantIbLb1EESX_IbLb0EEEEDaST_SU_EUlST_E_NS1_11comp_targetILNS1_3genE4ELNS1_11target_archE910ELNS1_3gpuE8ELNS1_3repE0EEENS1_30default_config_static_selectorELNS0_4arch9wavefront6targetE0EEEvT1_,@function
_ZN7rocprim17ROCPRIM_400000_NS6detail17trampoline_kernelINS0_14default_configENS1_20scan_config_selectorIN3c108BFloat16EEEZZNS1_9scan_implILNS1_25lookback_scan_determinismE0ELb0ELb0ES3_PKS6_PS6_S6_ZZZN2at6native31launch_logcumsumexp_cuda_kernelERKNSD_10TensorBaseESH_lENKUlvE_clEvENKUlvE4_clEvEUlS6_S6_E_S6_EEDaPvRmT3_T4_T5_mT6_P12ihipStream_tbENKUlT_T0_E_clISt17integral_constantIbLb1EESX_IbLb0EEEEDaST_SU_EUlST_E_NS1_11comp_targetILNS1_3genE4ELNS1_11target_archE910ELNS1_3gpuE8ELNS1_3repE0EEENS1_30default_config_static_selectorELNS0_4arch9wavefront6targetE0EEEvT1_: ; @_ZN7rocprim17ROCPRIM_400000_NS6detail17trampoline_kernelINS0_14default_configENS1_20scan_config_selectorIN3c108BFloat16EEEZZNS1_9scan_implILNS1_25lookback_scan_determinismE0ELb0ELb0ES3_PKS6_PS6_S6_ZZZN2at6native31launch_logcumsumexp_cuda_kernelERKNSD_10TensorBaseESH_lENKUlvE_clEvENKUlvE4_clEvEUlS6_S6_E_S6_EEDaPvRmT3_T4_T5_mT6_P12ihipStream_tbENKUlT_T0_E_clISt17integral_constantIbLb1EESX_IbLb0EEEEDaST_SU_EUlST_E_NS1_11comp_targetILNS1_3genE4ELNS1_11target_archE910ELNS1_3gpuE8ELNS1_3repE0EEENS1_30default_config_static_selectorELNS0_4arch9wavefront6targetE0EEEvT1_
; %bb.0:
	.section	.rodata,"a",@progbits
	.p2align	6, 0x0
	.amdhsa_kernel _ZN7rocprim17ROCPRIM_400000_NS6detail17trampoline_kernelINS0_14default_configENS1_20scan_config_selectorIN3c108BFloat16EEEZZNS1_9scan_implILNS1_25lookback_scan_determinismE0ELb0ELb0ES3_PKS6_PS6_S6_ZZZN2at6native31launch_logcumsumexp_cuda_kernelERKNSD_10TensorBaseESH_lENKUlvE_clEvENKUlvE4_clEvEUlS6_S6_E_S6_EEDaPvRmT3_T4_T5_mT6_P12ihipStream_tbENKUlT_T0_E_clISt17integral_constantIbLb1EESX_IbLb0EEEEDaST_SU_EUlST_E_NS1_11comp_targetILNS1_3genE4ELNS1_11target_archE910ELNS1_3gpuE8ELNS1_3repE0EEENS1_30default_config_static_selectorELNS0_4arch9wavefront6targetE0EEEvT1_
		.amdhsa_group_segment_fixed_size 0
		.amdhsa_private_segment_fixed_size 0
		.amdhsa_kernarg_size 96
		.amdhsa_user_sgpr_count 6
		.amdhsa_user_sgpr_private_segment_buffer 1
		.amdhsa_user_sgpr_dispatch_ptr 0
		.amdhsa_user_sgpr_queue_ptr 0
		.amdhsa_user_sgpr_kernarg_segment_ptr 1
		.amdhsa_user_sgpr_dispatch_id 0
		.amdhsa_user_sgpr_flat_scratch_init 0
		.amdhsa_user_sgpr_private_segment_size 0
		.amdhsa_wavefront_size32 1
		.amdhsa_uses_dynamic_stack 0
		.amdhsa_system_sgpr_private_segment_wavefront_offset 0
		.amdhsa_system_sgpr_workgroup_id_x 1
		.amdhsa_system_sgpr_workgroup_id_y 0
		.amdhsa_system_sgpr_workgroup_id_z 0
		.amdhsa_system_sgpr_workgroup_info 0
		.amdhsa_system_vgpr_workitem_id 0
		.amdhsa_next_free_vgpr 1
		.amdhsa_next_free_sgpr 1
		.amdhsa_reserve_vcc 0
		.amdhsa_reserve_flat_scratch 0
		.amdhsa_float_round_mode_32 0
		.amdhsa_float_round_mode_16_64 0
		.amdhsa_float_denorm_mode_32 3
		.amdhsa_float_denorm_mode_16_64 3
		.amdhsa_dx10_clamp 1
		.amdhsa_ieee_mode 1
		.amdhsa_fp16_overflow 0
		.amdhsa_workgroup_processor_mode 1
		.amdhsa_memory_ordered 1
		.amdhsa_forward_progress 1
		.amdhsa_shared_vgpr_count 0
		.amdhsa_exception_fp_ieee_invalid_op 0
		.amdhsa_exception_fp_denorm_src 0
		.amdhsa_exception_fp_ieee_div_zero 0
		.amdhsa_exception_fp_ieee_overflow 0
		.amdhsa_exception_fp_ieee_underflow 0
		.amdhsa_exception_fp_ieee_inexact 0
		.amdhsa_exception_int_div_zero 0
	.end_amdhsa_kernel
	.section	.text._ZN7rocprim17ROCPRIM_400000_NS6detail17trampoline_kernelINS0_14default_configENS1_20scan_config_selectorIN3c108BFloat16EEEZZNS1_9scan_implILNS1_25lookback_scan_determinismE0ELb0ELb0ES3_PKS6_PS6_S6_ZZZN2at6native31launch_logcumsumexp_cuda_kernelERKNSD_10TensorBaseESH_lENKUlvE_clEvENKUlvE4_clEvEUlS6_S6_E_S6_EEDaPvRmT3_T4_T5_mT6_P12ihipStream_tbENKUlT_T0_E_clISt17integral_constantIbLb1EESX_IbLb0EEEEDaST_SU_EUlST_E_NS1_11comp_targetILNS1_3genE4ELNS1_11target_archE910ELNS1_3gpuE8ELNS1_3repE0EEENS1_30default_config_static_selectorELNS0_4arch9wavefront6targetE0EEEvT1_,"axG",@progbits,_ZN7rocprim17ROCPRIM_400000_NS6detail17trampoline_kernelINS0_14default_configENS1_20scan_config_selectorIN3c108BFloat16EEEZZNS1_9scan_implILNS1_25lookback_scan_determinismE0ELb0ELb0ES3_PKS6_PS6_S6_ZZZN2at6native31launch_logcumsumexp_cuda_kernelERKNSD_10TensorBaseESH_lENKUlvE_clEvENKUlvE4_clEvEUlS6_S6_E_S6_EEDaPvRmT3_T4_T5_mT6_P12ihipStream_tbENKUlT_T0_E_clISt17integral_constantIbLb1EESX_IbLb0EEEEDaST_SU_EUlST_E_NS1_11comp_targetILNS1_3genE4ELNS1_11target_archE910ELNS1_3gpuE8ELNS1_3repE0EEENS1_30default_config_static_selectorELNS0_4arch9wavefront6targetE0EEEvT1_,comdat
.Lfunc_end486:
	.size	_ZN7rocprim17ROCPRIM_400000_NS6detail17trampoline_kernelINS0_14default_configENS1_20scan_config_selectorIN3c108BFloat16EEEZZNS1_9scan_implILNS1_25lookback_scan_determinismE0ELb0ELb0ES3_PKS6_PS6_S6_ZZZN2at6native31launch_logcumsumexp_cuda_kernelERKNSD_10TensorBaseESH_lENKUlvE_clEvENKUlvE4_clEvEUlS6_S6_E_S6_EEDaPvRmT3_T4_T5_mT6_P12ihipStream_tbENKUlT_T0_E_clISt17integral_constantIbLb1EESX_IbLb0EEEEDaST_SU_EUlST_E_NS1_11comp_targetILNS1_3genE4ELNS1_11target_archE910ELNS1_3gpuE8ELNS1_3repE0EEENS1_30default_config_static_selectorELNS0_4arch9wavefront6targetE0EEEvT1_, .Lfunc_end486-_ZN7rocprim17ROCPRIM_400000_NS6detail17trampoline_kernelINS0_14default_configENS1_20scan_config_selectorIN3c108BFloat16EEEZZNS1_9scan_implILNS1_25lookback_scan_determinismE0ELb0ELb0ES3_PKS6_PS6_S6_ZZZN2at6native31launch_logcumsumexp_cuda_kernelERKNSD_10TensorBaseESH_lENKUlvE_clEvENKUlvE4_clEvEUlS6_S6_E_S6_EEDaPvRmT3_T4_T5_mT6_P12ihipStream_tbENKUlT_T0_E_clISt17integral_constantIbLb1EESX_IbLb0EEEEDaST_SU_EUlST_E_NS1_11comp_targetILNS1_3genE4ELNS1_11target_archE910ELNS1_3gpuE8ELNS1_3repE0EEENS1_30default_config_static_selectorELNS0_4arch9wavefront6targetE0EEEvT1_
                                        ; -- End function
	.set _ZN7rocprim17ROCPRIM_400000_NS6detail17trampoline_kernelINS0_14default_configENS1_20scan_config_selectorIN3c108BFloat16EEEZZNS1_9scan_implILNS1_25lookback_scan_determinismE0ELb0ELb0ES3_PKS6_PS6_S6_ZZZN2at6native31launch_logcumsumexp_cuda_kernelERKNSD_10TensorBaseESH_lENKUlvE_clEvENKUlvE4_clEvEUlS6_S6_E_S6_EEDaPvRmT3_T4_T5_mT6_P12ihipStream_tbENKUlT_T0_E_clISt17integral_constantIbLb1EESX_IbLb0EEEEDaST_SU_EUlST_E_NS1_11comp_targetILNS1_3genE4ELNS1_11target_archE910ELNS1_3gpuE8ELNS1_3repE0EEENS1_30default_config_static_selectorELNS0_4arch9wavefront6targetE0EEEvT1_.num_vgpr, 0
	.set _ZN7rocprim17ROCPRIM_400000_NS6detail17trampoline_kernelINS0_14default_configENS1_20scan_config_selectorIN3c108BFloat16EEEZZNS1_9scan_implILNS1_25lookback_scan_determinismE0ELb0ELb0ES3_PKS6_PS6_S6_ZZZN2at6native31launch_logcumsumexp_cuda_kernelERKNSD_10TensorBaseESH_lENKUlvE_clEvENKUlvE4_clEvEUlS6_S6_E_S6_EEDaPvRmT3_T4_T5_mT6_P12ihipStream_tbENKUlT_T0_E_clISt17integral_constantIbLb1EESX_IbLb0EEEEDaST_SU_EUlST_E_NS1_11comp_targetILNS1_3genE4ELNS1_11target_archE910ELNS1_3gpuE8ELNS1_3repE0EEENS1_30default_config_static_selectorELNS0_4arch9wavefront6targetE0EEEvT1_.num_agpr, 0
	.set _ZN7rocprim17ROCPRIM_400000_NS6detail17trampoline_kernelINS0_14default_configENS1_20scan_config_selectorIN3c108BFloat16EEEZZNS1_9scan_implILNS1_25lookback_scan_determinismE0ELb0ELb0ES3_PKS6_PS6_S6_ZZZN2at6native31launch_logcumsumexp_cuda_kernelERKNSD_10TensorBaseESH_lENKUlvE_clEvENKUlvE4_clEvEUlS6_S6_E_S6_EEDaPvRmT3_T4_T5_mT6_P12ihipStream_tbENKUlT_T0_E_clISt17integral_constantIbLb1EESX_IbLb0EEEEDaST_SU_EUlST_E_NS1_11comp_targetILNS1_3genE4ELNS1_11target_archE910ELNS1_3gpuE8ELNS1_3repE0EEENS1_30default_config_static_selectorELNS0_4arch9wavefront6targetE0EEEvT1_.numbered_sgpr, 0
	.set _ZN7rocprim17ROCPRIM_400000_NS6detail17trampoline_kernelINS0_14default_configENS1_20scan_config_selectorIN3c108BFloat16EEEZZNS1_9scan_implILNS1_25lookback_scan_determinismE0ELb0ELb0ES3_PKS6_PS6_S6_ZZZN2at6native31launch_logcumsumexp_cuda_kernelERKNSD_10TensorBaseESH_lENKUlvE_clEvENKUlvE4_clEvEUlS6_S6_E_S6_EEDaPvRmT3_T4_T5_mT6_P12ihipStream_tbENKUlT_T0_E_clISt17integral_constantIbLb1EESX_IbLb0EEEEDaST_SU_EUlST_E_NS1_11comp_targetILNS1_3genE4ELNS1_11target_archE910ELNS1_3gpuE8ELNS1_3repE0EEENS1_30default_config_static_selectorELNS0_4arch9wavefront6targetE0EEEvT1_.num_named_barrier, 0
	.set _ZN7rocprim17ROCPRIM_400000_NS6detail17trampoline_kernelINS0_14default_configENS1_20scan_config_selectorIN3c108BFloat16EEEZZNS1_9scan_implILNS1_25lookback_scan_determinismE0ELb0ELb0ES3_PKS6_PS6_S6_ZZZN2at6native31launch_logcumsumexp_cuda_kernelERKNSD_10TensorBaseESH_lENKUlvE_clEvENKUlvE4_clEvEUlS6_S6_E_S6_EEDaPvRmT3_T4_T5_mT6_P12ihipStream_tbENKUlT_T0_E_clISt17integral_constantIbLb1EESX_IbLb0EEEEDaST_SU_EUlST_E_NS1_11comp_targetILNS1_3genE4ELNS1_11target_archE910ELNS1_3gpuE8ELNS1_3repE0EEENS1_30default_config_static_selectorELNS0_4arch9wavefront6targetE0EEEvT1_.private_seg_size, 0
	.set _ZN7rocprim17ROCPRIM_400000_NS6detail17trampoline_kernelINS0_14default_configENS1_20scan_config_selectorIN3c108BFloat16EEEZZNS1_9scan_implILNS1_25lookback_scan_determinismE0ELb0ELb0ES3_PKS6_PS6_S6_ZZZN2at6native31launch_logcumsumexp_cuda_kernelERKNSD_10TensorBaseESH_lENKUlvE_clEvENKUlvE4_clEvEUlS6_S6_E_S6_EEDaPvRmT3_T4_T5_mT6_P12ihipStream_tbENKUlT_T0_E_clISt17integral_constantIbLb1EESX_IbLb0EEEEDaST_SU_EUlST_E_NS1_11comp_targetILNS1_3genE4ELNS1_11target_archE910ELNS1_3gpuE8ELNS1_3repE0EEENS1_30default_config_static_selectorELNS0_4arch9wavefront6targetE0EEEvT1_.uses_vcc, 0
	.set _ZN7rocprim17ROCPRIM_400000_NS6detail17trampoline_kernelINS0_14default_configENS1_20scan_config_selectorIN3c108BFloat16EEEZZNS1_9scan_implILNS1_25lookback_scan_determinismE0ELb0ELb0ES3_PKS6_PS6_S6_ZZZN2at6native31launch_logcumsumexp_cuda_kernelERKNSD_10TensorBaseESH_lENKUlvE_clEvENKUlvE4_clEvEUlS6_S6_E_S6_EEDaPvRmT3_T4_T5_mT6_P12ihipStream_tbENKUlT_T0_E_clISt17integral_constantIbLb1EESX_IbLb0EEEEDaST_SU_EUlST_E_NS1_11comp_targetILNS1_3genE4ELNS1_11target_archE910ELNS1_3gpuE8ELNS1_3repE0EEENS1_30default_config_static_selectorELNS0_4arch9wavefront6targetE0EEEvT1_.uses_flat_scratch, 0
	.set _ZN7rocprim17ROCPRIM_400000_NS6detail17trampoline_kernelINS0_14default_configENS1_20scan_config_selectorIN3c108BFloat16EEEZZNS1_9scan_implILNS1_25lookback_scan_determinismE0ELb0ELb0ES3_PKS6_PS6_S6_ZZZN2at6native31launch_logcumsumexp_cuda_kernelERKNSD_10TensorBaseESH_lENKUlvE_clEvENKUlvE4_clEvEUlS6_S6_E_S6_EEDaPvRmT3_T4_T5_mT6_P12ihipStream_tbENKUlT_T0_E_clISt17integral_constantIbLb1EESX_IbLb0EEEEDaST_SU_EUlST_E_NS1_11comp_targetILNS1_3genE4ELNS1_11target_archE910ELNS1_3gpuE8ELNS1_3repE0EEENS1_30default_config_static_selectorELNS0_4arch9wavefront6targetE0EEEvT1_.has_dyn_sized_stack, 0
	.set _ZN7rocprim17ROCPRIM_400000_NS6detail17trampoline_kernelINS0_14default_configENS1_20scan_config_selectorIN3c108BFloat16EEEZZNS1_9scan_implILNS1_25lookback_scan_determinismE0ELb0ELb0ES3_PKS6_PS6_S6_ZZZN2at6native31launch_logcumsumexp_cuda_kernelERKNSD_10TensorBaseESH_lENKUlvE_clEvENKUlvE4_clEvEUlS6_S6_E_S6_EEDaPvRmT3_T4_T5_mT6_P12ihipStream_tbENKUlT_T0_E_clISt17integral_constantIbLb1EESX_IbLb0EEEEDaST_SU_EUlST_E_NS1_11comp_targetILNS1_3genE4ELNS1_11target_archE910ELNS1_3gpuE8ELNS1_3repE0EEENS1_30default_config_static_selectorELNS0_4arch9wavefront6targetE0EEEvT1_.has_recursion, 0
	.set _ZN7rocprim17ROCPRIM_400000_NS6detail17trampoline_kernelINS0_14default_configENS1_20scan_config_selectorIN3c108BFloat16EEEZZNS1_9scan_implILNS1_25lookback_scan_determinismE0ELb0ELb0ES3_PKS6_PS6_S6_ZZZN2at6native31launch_logcumsumexp_cuda_kernelERKNSD_10TensorBaseESH_lENKUlvE_clEvENKUlvE4_clEvEUlS6_S6_E_S6_EEDaPvRmT3_T4_T5_mT6_P12ihipStream_tbENKUlT_T0_E_clISt17integral_constantIbLb1EESX_IbLb0EEEEDaST_SU_EUlST_E_NS1_11comp_targetILNS1_3genE4ELNS1_11target_archE910ELNS1_3gpuE8ELNS1_3repE0EEENS1_30default_config_static_selectorELNS0_4arch9wavefront6targetE0EEEvT1_.has_indirect_call, 0
	.section	.AMDGPU.csdata,"",@progbits
; Kernel info:
; codeLenInByte = 0
; TotalNumSgprs: 0
; NumVgprs: 0
; ScratchSize: 0
; MemoryBound: 0
; FloatMode: 240
; IeeeMode: 1
; LDSByteSize: 0 bytes/workgroup (compile time only)
; SGPRBlocks: 0
; VGPRBlocks: 0
; NumSGPRsForWavesPerEU: 1
; NumVGPRsForWavesPerEU: 1
; Occupancy: 16
; WaveLimiterHint : 0
; COMPUTE_PGM_RSRC2:SCRATCH_EN: 0
; COMPUTE_PGM_RSRC2:USER_SGPR: 6
; COMPUTE_PGM_RSRC2:TRAP_HANDLER: 0
; COMPUTE_PGM_RSRC2:TGID_X_EN: 1
; COMPUTE_PGM_RSRC2:TGID_Y_EN: 0
; COMPUTE_PGM_RSRC2:TGID_Z_EN: 0
; COMPUTE_PGM_RSRC2:TIDIG_COMP_CNT: 0
	.section	.text._ZN7rocprim17ROCPRIM_400000_NS6detail17trampoline_kernelINS0_14default_configENS1_20scan_config_selectorIN3c108BFloat16EEEZZNS1_9scan_implILNS1_25lookback_scan_determinismE0ELb0ELb0ES3_PKS6_PS6_S6_ZZZN2at6native31launch_logcumsumexp_cuda_kernelERKNSD_10TensorBaseESH_lENKUlvE_clEvENKUlvE4_clEvEUlS6_S6_E_S6_EEDaPvRmT3_T4_T5_mT6_P12ihipStream_tbENKUlT_T0_E_clISt17integral_constantIbLb1EESX_IbLb0EEEEDaST_SU_EUlST_E_NS1_11comp_targetILNS1_3genE3ELNS1_11target_archE908ELNS1_3gpuE7ELNS1_3repE0EEENS1_30default_config_static_selectorELNS0_4arch9wavefront6targetE0EEEvT1_,"axG",@progbits,_ZN7rocprim17ROCPRIM_400000_NS6detail17trampoline_kernelINS0_14default_configENS1_20scan_config_selectorIN3c108BFloat16EEEZZNS1_9scan_implILNS1_25lookback_scan_determinismE0ELb0ELb0ES3_PKS6_PS6_S6_ZZZN2at6native31launch_logcumsumexp_cuda_kernelERKNSD_10TensorBaseESH_lENKUlvE_clEvENKUlvE4_clEvEUlS6_S6_E_S6_EEDaPvRmT3_T4_T5_mT6_P12ihipStream_tbENKUlT_T0_E_clISt17integral_constantIbLb1EESX_IbLb0EEEEDaST_SU_EUlST_E_NS1_11comp_targetILNS1_3genE3ELNS1_11target_archE908ELNS1_3gpuE7ELNS1_3repE0EEENS1_30default_config_static_selectorELNS0_4arch9wavefront6targetE0EEEvT1_,comdat
	.globl	_ZN7rocprim17ROCPRIM_400000_NS6detail17trampoline_kernelINS0_14default_configENS1_20scan_config_selectorIN3c108BFloat16EEEZZNS1_9scan_implILNS1_25lookback_scan_determinismE0ELb0ELb0ES3_PKS6_PS6_S6_ZZZN2at6native31launch_logcumsumexp_cuda_kernelERKNSD_10TensorBaseESH_lENKUlvE_clEvENKUlvE4_clEvEUlS6_S6_E_S6_EEDaPvRmT3_T4_T5_mT6_P12ihipStream_tbENKUlT_T0_E_clISt17integral_constantIbLb1EESX_IbLb0EEEEDaST_SU_EUlST_E_NS1_11comp_targetILNS1_3genE3ELNS1_11target_archE908ELNS1_3gpuE7ELNS1_3repE0EEENS1_30default_config_static_selectorELNS0_4arch9wavefront6targetE0EEEvT1_ ; -- Begin function _ZN7rocprim17ROCPRIM_400000_NS6detail17trampoline_kernelINS0_14default_configENS1_20scan_config_selectorIN3c108BFloat16EEEZZNS1_9scan_implILNS1_25lookback_scan_determinismE0ELb0ELb0ES3_PKS6_PS6_S6_ZZZN2at6native31launch_logcumsumexp_cuda_kernelERKNSD_10TensorBaseESH_lENKUlvE_clEvENKUlvE4_clEvEUlS6_S6_E_S6_EEDaPvRmT3_T4_T5_mT6_P12ihipStream_tbENKUlT_T0_E_clISt17integral_constantIbLb1EESX_IbLb0EEEEDaST_SU_EUlST_E_NS1_11comp_targetILNS1_3genE3ELNS1_11target_archE908ELNS1_3gpuE7ELNS1_3repE0EEENS1_30default_config_static_selectorELNS0_4arch9wavefront6targetE0EEEvT1_
	.p2align	8
	.type	_ZN7rocprim17ROCPRIM_400000_NS6detail17trampoline_kernelINS0_14default_configENS1_20scan_config_selectorIN3c108BFloat16EEEZZNS1_9scan_implILNS1_25lookback_scan_determinismE0ELb0ELb0ES3_PKS6_PS6_S6_ZZZN2at6native31launch_logcumsumexp_cuda_kernelERKNSD_10TensorBaseESH_lENKUlvE_clEvENKUlvE4_clEvEUlS6_S6_E_S6_EEDaPvRmT3_T4_T5_mT6_P12ihipStream_tbENKUlT_T0_E_clISt17integral_constantIbLb1EESX_IbLb0EEEEDaST_SU_EUlST_E_NS1_11comp_targetILNS1_3genE3ELNS1_11target_archE908ELNS1_3gpuE7ELNS1_3repE0EEENS1_30default_config_static_selectorELNS0_4arch9wavefront6targetE0EEEvT1_,@function
_ZN7rocprim17ROCPRIM_400000_NS6detail17trampoline_kernelINS0_14default_configENS1_20scan_config_selectorIN3c108BFloat16EEEZZNS1_9scan_implILNS1_25lookback_scan_determinismE0ELb0ELb0ES3_PKS6_PS6_S6_ZZZN2at6native31launch_logcumsumexp_cuda_kernelERKNSD_10TensorBaseESH_lENKUlvE_clEvENKUlvE4_clEvEUlS6_S6_E_S6_EEDaPvRmT3_T4_T5_mT6_P12ihipStream_tbENKUlT_T0_E_clISt17integral_constantIbLb1EESX_IbLb0EEEEDaST_SU_EUlST_E_NS1_11comp_targetILNS1_3genE3ELNS1_11target_archE908ELNS1_3gpuE7ELNS1_3repE0EEENS1_30default_config_static_selectorELNS0_4arch9wavefront6targetE0EEEvT1_: ; @_ZN7rocprim17ROCPRIM_400000_NS6detail17trampoline_kernelINS0_14default_configENS1_20scan_config_selectorIN3c108BFloat16EEEZZNS1_9scan_implILNS1_25lookback_scan_determinismE0ELb0ELb0ES3_PKS6_PS6_S6_ZZZN2at6native31launch_logcumsumexp_cuda_kernelERKNSD_10TensorBaseESH_lENKUlvE_clEvENKUlvE4_clEvEUlS6_S6_E_S6_EEDaPvRmT3_T4_T5_mT6_P12ihipStream_tbENKUlT_T0_E_clISt17integral_constantIbLb1EESX_IbLb0EEEEDaST_SU_EUlST_E_NS1_11comp_targetILNS1_3genE3ELNS1_11target_archE908ELNS1_3gpuE7ELNS1_3repE0EEENS1_30default_config_static_selectorELNS0_4arch9wavefront6targetE0EEEvT1_
; %bb.0:
	.section	.rodata,"a",@progbits
	.p2align	6, 0x0
	.amdhsa_kernel _ZN7rocprim17ROCPRIM_400000_NS6detail17trampoline_kernelINS0_14default_configENS1_20scan_config_selectorIN3c108BFloat16EEEZZNS1_9scan_implILNS1_25lookback_scan_determinismE0ELb0ELb0ES3_PKS6_PS6_S6_ZZZN2at6native31launch_logcumsumexp_cuda_kernelERKNSD_10TensorBaseESH_lENKUlvE_clEvENKUlvE4_clEvEUlS6_S6_E_S6_EEDaPvRmT3_T4_T5_mT6_P12ihipStream_tbENKUlT_T0_E_clISt17integral_constantIbLb1EESX_IbLb0EEEEDaST_SU_EUlST_E_NS1_11comp_targetILNS1_3genE3ELNS1_11target_archE908ELNS1_3gpuE7ELNS1_3repE0EEENS1_30default_config_static_selectorELNS0_4arch9wavefront6targetE0EEEvT1_
		.amdhsa_group_segment_fixed_size 0
		.amdhsa_private_segment_fixed_size 0
		.amdhsa_kernarg_size 96
		.amdhsa_user_sgpr_count 6
		.amdhsa_user_sgpr_private_segment_buffer 1
		.amdhsa_user_sgpr_dispatch_ptr 0
		.amdhsa_user_sgpr_queue_ptr 0
		.amdhsa_user_sgpr_kernarg_segment_ptr 1
		.amdhsa_user_sgpr_dispatch_id 0
		.amdhsa_user_sgpr_flat_scratch_init 0
		.amdhsa_user_sgpr_private_segment_size 0
		.amdhsa_wavefront_size32 1
		.amdhsa_uses_dynamic_stack 0
		.amdhsa_system_sgpr_private_segment_wavefront_offset 0
		.amdhsa_system_sgpr_workgroup_id_x 1
		.amdhsa_system_sgpr_workgroup_id_y 0
		.amdhsa_system_sgpr_workgroup_id_z 0
		.amdhsa_system_sgpr_workgroup_info 0
		.amdhsa_system_vgpr_workitem_id 0
		.amdhsa_next_free_vgpr 1
		.amdhsa_next_free_sgpr 1
		.amdhsa_reserve_vcc 0
		.amdhsa_reserve_flat_scratch 0
		.amdhsa_float_round_mode_32 0
		.amdhsa_float_round_mode_16_64 0
		.amdhsa_float_denorm_mode_32 3
		.amdhsa_float_denorm_mode_16_64 3
		.amdhsa_dx10_clamp 1
		.amdhsa_ieee_mode 1
		.amdhsa_fp16_overflow 0
		.amdhsa_workgroup_processor_mode 1
		.amdhsa_memory_ordered 1
		.amdhsa_forward_progress 1
		.amdhsa_shared_vgpr_count 0
		.amdhsa_exception_fp_ieee_invalid_op 0
		.amdhsa_exception_fp_denorm_src 0
		.amdhsa_exception_fp_ieee_div_zero 0
		.amdhsa_exception_fp_ieee_overflow 0
		.amdhsa_exception_fp_ieee_underflow 0
		.amdhsa_exception_fp_ieee_inexact 0
		.amdhsa_exception_int_div_zero 0
	.end_amdhsa_kernel
	.section	.text._ZN7rocprim17ROCPRIM_400000_NS6detail17trampoline_kernelINS0_14default_configENS1_20scan_config_selectorIN3c108BFloat16EEEZZNS1_9scan_implILNS1_25lookback_scan_determinismE0ELb0ELb0ES3_PKS6_PS6_S6_ZZZN2at6native31launch_logcumsumexp_cuda_kernelERKNSD_10TensorBaseESH_lENKUlvE_clEvENKUlvE4_clEvEUlS6_S6_E_S6_EEDaPvRmT3_T4_T5_mT6_P12ihipStream_tbENKUlT_T0_E_clISt17integral_constantIbLb1EESX_IbLb0EEEEDaST_SU_EUlST_E_NS1_11comp_targetILNS1_3genE3ELNS1_11target_archE908ELNS1_3gpuE7ELNS1_3repE0EEENS1_30default_config_static_selectorELNS0_4arch9wavefront6targetE0EEEvT1_,"axG",@progbits,_ZN7rocprim17ROCPRIM_400000_NS6detail17trampoline_kernelINS0_14default_configENS1_20scan_config_selectorIN3c108BFloat16EEEZZNS1_9scan_implILNS1_25lookback_scan_determinismE0ELb0ELb0ES3_PKS6_PS6_S6_ZZZN2at6native31launch_logcumsumexp_cuda_kernelERKNSD_10TensorBaseESH_lENKUlvE_clEvENKUlvE4_clEvEUlS6_S6_E_S6_EEDaPvRmT3_T4_T5_mT6_P12ihipStream_tbENKUlT_T0_E_clISt17integral_constantIbLb1EESX_IbLb0EEEEDaST_SU_EUlST_E_NS1_11comp_targetILNS1_3genE3ELNS1_11target_archE908ELNS1_3gpuE7ELNS1_3repE0EEENS1_30default_config_static_selectorELNS0_4arch9wavefront6targetE0EEEvT1_,comdat
.Lfunc_end487:
	.size	_ZN7rocprim17ROCPRIM_400000_NS6detail17trampoline_kernelINS0_14default_configENS1_20scan_config_selectorIN3c108BFloat16EEEZZNS1_9scan_implILNS1_25lookback_scan_determinismE0ELb0ELb0ES3_PKS6_PS6_S6_ZZZN2at6native31launch_logcumsumexp_cuda_kernelERKNSD_10TensorBaseESH_lENKUlvE_clEvENKUlvE4_clEvEUlS6_S6_E_S6_EEDaPvRmT3_T4_T5_mT6_P12ihipStream_tbENKUlT_T0_E_clISt17integral_constantIbLb1EESX_IbLb0EEEEDaST_SU_EUlST_E_NS1_11comp_targetILNS1_3genE3ELNS1_11target_archE908ELNS1_3gpuE7ELNS1_3repE0EEENS1_30default_config_static_selectorELNS0_4arch9wavefront6targetE0EEEvT1_, .Lfunc_end487-_ZN7rocprim17ROCPRIM_400000_NS6detail17trampoline_kernelINS0_14default_configENS1_20scan_config_selectorIN3c108BFloat16EEEZZNS1_9scan_implILNS1_25lookback_scan_determinismE0ELb0ELb0ES3_PKS6_PS6_S6_ZZZN2at6native31launch_logcumsumexp_cuda_kernelERKNSD_10TensorBaseESH_lENKUlvE_clEvENKUlvE4_clEvEUlS6_S6_E_S6_EEDaPvRmT3_T4_T5_mT6_P12ihipStream_tbENKUlT_T0_E_clISt17integral_constantIbLb1EESX_IbLb0EEEEDaST_SU_EUlST_E_NS1_11comp_targetILNS1_3genE3ELNS1_11target_archE908ELNS1_3gpuE7ELNS1_3repE0EEENS1_30default_config_static_selectorELNS0_4arch9wavefront6targetE0EEEvT1_
                                        ; -- End function
	.set _ZN7rocprim17ROCPRIM_400000_NS6detail17trampoline_kernelINS0_14default_configENS1_20scan_config_selectorIN3c108BFloat16EEEZZNS1_9scan_implILNS1_25lookback_scan_determinismE0ELb0ELb0ES3_PKS6_PS6_S6_ZZZN2at6native31launch_logcumsumexp_cuda_kernelERKNSD_10TensorBaseESH_lENKUlvE_clEvENKUlvE4_clEvEUlS6_S6_E_S6_EEDaPvRmT3_T4_T5_mT6_P12ihipStream_tbENKUlT_T0_E_clISt17integral_constantIbLb1EESX_IbLb0EEEEDaST_SU_EUlST_E_NS1_11comp_targetILNS1_3genE3ELNS1_11target_archE908ELNS1_3gpuE7ELNS1_3repE0EEENS1_30default_config_static_selectorELNS0_4arch9wavefront6targetE0EEEvT1_.num_vgpr, 0
	.set _ZN7rocprim17ROCPRIM_400000_NS6detail17trampoline_kernelINS0_14default_configENS1_20scan_config_selectorIN3c108BFloat16EEEZZNS1_9scan_implILNS1_25lookback_scan_determinismE0ELb0ELb0ES3_PKS6_PS6_S6_ZZZN2at6native31launch_logcumsumexp_cuda_kernelERKNSD_10TensorBaseESH_lENKUlvE_clEvENKUlvE4_clEvEUlS6_S6_E_S6_EEDaPvRmT3_T4_T5_mT6_P12ihipStream_tbENKUlT_T0_E_clISt17integral_constantIbLb1EESX_IbLb0EEEEDaST_SU_EUlST_E_NS1_11comp_targetILNS1_3genE3ELNS1_11target_archE908ELNS1_3gpuE7ELNS1_3repE0EEENS1_30default_config_static_selectorELNS0_4arch9wavefront6targetE0EEEvT1_.num_agpr, 0
	.set _ZN7rocprim17ROCPRIM_400000_NS6detail17trampoline_kernelINS0_14default_configENS1_20scan_config_selectorIN3c108BFloat16EEEZZNS1_9scan_implILNS1_25lookback_scan_determinismE0ELb0ELb0ES3_PKS6_PS6_S6_ZZZN2at6native31launch_logcumsumexp_cuda_kernelERKNSD_10TensorBaseESH_lENKUlvE_clEvENKUlvE4_clEvEUlS6_S6_E_S6_EEDaPvRmT3_T4_T5_mT6_P12ihipStream_tbENKUlT_T0_E_clISt17integral_constantIbLb1EESX_IbLb0EEEEDaST_SU_EUlST_E_NS1_11comp_targetILNS1_3genE3ELNS1_11target_archE908ELNS1_3gpuE7ELNS1_3repE0EEENS1_30default_config_static_selectorELNS0_4arch9wavefront6targetE0EEEvT1_.numbered_sgpr, 0
	.set _ZN7rocprim17ROCPRIM_400000_NS6detail17trampoline_kernelINS0_14default_configENS1_20scan_config_selectorIN3c108BFloat16EEEZZNS1_9scan_implILNS1_25lookback_scan_determinismE0ELb0ELb0ES3_PKS6_PS6_S6_ZZZN2at6native31launch_logcumsumexp_cuda_kernelERKNSD_10TensorBaseESH_lENKUlvE_clEvENKUlvE4_clEvEUlS6_S6_E_S6_EEDaPvRmT3_T4_T5_mT6_P12ihipStream_tbENKUlT_T0_E_clISt17integral_constantIbLb1EESX_IbLb0EEEEDaST_SU_EUlST_E_NS1_11comp_targetILNS1_3genE3ELNS1_11target_archE908ELNS1_3gpuE7ELNS1_3repE0EEENS1_30default_config_static_selectorELNS0_4arch9wavefront6targetE0EEEvT1_.num_named_barrier, 0
	.set _ZN7rocprim17ROCPRIM_400000_NS6detail17trampoline_kernelINS0_14default_configENS1_20scan_config_selectorIN3c108BFloat16EEEZZNS1_9scan_implILNS1_25lookback_scan_determinismE0ELb0ELb0ES3_PKS6_PS6_S6_ZZZN2at6native31launch_logcumsumexp_cuda_kernelERKNSD_10TensorBaseESH_lENKUlvE_clEvENKUlvE4_clEvEUlS6_S6_E_S6_EEDaPvRmT3_T4_T5_mT6_P12ihipStream_tbENKUlT_T0_E_clISt17integral_constantIbLb1EESX_IbLb0EEEEDaST_SU_EUlST_E_NS1_11comp_targetILNS1_3genE3ELNS1_11target_archE908ELNS1_3gpuE7ELNS1_3repE0EEENS1_30default_config_static_selectorELNS0_4arch9wavefront6targetE0EEEvT1_.private_seg_size, 0
	.set _ZN7rocprim17ROCPRIM_400000_NS6detail17trampoline_kernelINS0_14default_configENS1_20scan_config_selectorIN3c108BFloat16EEEZZNS1_9scan_implILNS1_25lookback_scan_determinismE0ELb0ELb0ES3_PKS6_PS6_S6_ZZZN2at6native31launch_logcumsumexp_cuda_kernelERKNSD_10TensorBaseESH_lENKUlvE_clEvENKUlvE4_clEvEUlS6_S6_E_S6_EEDaPvRmT3_T4_T5_mT6_P12ihipStream_tbENKUlT_T0_E_clISt17integral_constantIbLb1EESX_IbLb0EEEEDaST_SU_EUlST_E_NS1_11comp_targetILNS1_3genE3ELNS1_11target_archE908ELNS1_3gpuE7ELNS1_3repE0EEENS1_30default_config_static_selectorELNS0_4arch9wavefront6targetE0EEEvT1_.uses_vcc, 0
	.set _ZN7rocprim17ROCPRIM_400000_NS6detail17trampoline_kernelINS0_14default_configENS1_20scan_config_selectorIN3c108BFloat16EEEZZNS1_9scan_implILNS1_25lookback_scan_determinismE0ELb0ELb0ES3_PKS6_PS6_S6_ZZZN2at6native31launch_logcumsumexp_cuda_kernelERKNSD_10TensorBaseESH_lENKUlvE_clEvENKUlvE4_clEvEUlS6_S6_E_S6_EEDaPvRmT3_T4_T5_mT6_P12ihipStream_tbENKUlT_T0_E_clISt17integral_constantIbLb1EESX_IbLb0EEEEDaST_SU_EUlST_E_NS1_11comp_targetILNS1_3genE3ELNS1_11target_archE908ELNS1_3gpuE7ELNS1_3repE0EEENS1_30default_config_static_selectorELNS0_4arch9wavefront6targetE0EEEvT1_.uses_flat_scratch, 0
	.set _ZN7rocprim17ROCPRIM_400000_NS6detail17trampoline_kernelINS0_14default_configENS1_20scan_config_selectorIN3c108BFloat16EEEZZNS1_9scan_implILNS1_25lookback_scan_determinismE0ELb0ELb0ES3_PKS6_PS6_S6_ZZZN2at6native31launch_logcumsumexp_cuda_kernelERKNSD_10TensorBaseESH_lENKUlvE_clEvENKUlvE4_clEvEUlS6_S6_E_S6_EEDaPvRmT3_T4_T5_mT6_P12ihipStream_tbENKUlT_T0_E_clISt17integral_constantIbLb1EESX_IbLb0EEEEDaST_SU_EUlST_E_NS1_11comp_targetILNS1_3genE3ELNS1_11target_archE908ELNS1_3gpuE7ELNS1_3repE0EEENS1_30default_config_static_selectorELNS0_4arch9wavefront6targetE0EEEvT1_.has_dyn_sized_stack, 0
	.set _ZN7rocprim17ROCPRIM_400000_NS6detail17trampoline_kernelINS0_14default_configENS1_20scan_config_selectorIN3c108BFloat16EEEZZNS1_9scan_implILNS1_25lookback_scan_determinismE0ELb0ELb0ES3_PKS6_PS6_S6_ZZZN2at6native31launch_logcumsumexp_cuda_kernelERKNSD_10TensorBaseESH_lENKUlvE_clEvENKUlvE4_clEvEUlS6_S6_E_S6_EEDaPvRmT3_T4_T5_mT6_P12ihipStream_tbENKUlT_T0_E_clISt17integral_constantIbLb1EESX_IbLb0EEEEDaST_SU_EUlST_E_NS1_11comp_targetILNS1_3genE3ELNS1_11target_archE908ELNS1_3gpuE7ELNS1_3repE0EEENS1_30default_config_static_selectorELNS0_4arch9wavefront6targetE0EEEvT1_.has_recursion, 0
	.set _ZN7rocprim17ROCPRIM_400000_NS6detail17trampoline_kernelINS0_14default_configENS1_20scan_config_selectorIN3c108BFloat16EEEZZNS1_9scan_implILNS1_25lookback_scan_determinismE0ELb0ELb0ES3_PKS6_PS6_S6_ZZZN2at6native31launch_logcumsumexp_cuda_kernelERKNSD_10TensorBaseESH_lENKUlvE_clEvENKUlvE4_clEvEUlS6_S6_E_S6_EEDaPvRmT3_T4_T5_mT6_P12ihipStream_tbENKUlT_T0_E_clISt17integral_constantIbLb1EESX_IbLb0EEEEDaST_SU_EUlST_E_NS1_11comp_targetILNS1_3genE3ELNS1_11target_archE908ELNS1_3gpuE7ELNS1_3repE0EEENS1_30default_config_static_selectorELNS0_4arch9wavefront6targetE0EEEvT1_.has_indirect_call, 0
	.section	.AMDGPU.csdata,"",@progbits
; Kernel info:
; codeLenInByte = 0
; TotalNumSgprs: 0
; NumVgprs: 0
; ScratchSize: 0
; MemoryBound: 0
; FloatMode: 240
; IeeeMode: 1
; LDSByteSize: 0 bytes/workgroup (compile time only)
; SGPRBlocks: 0
; VGPRBlocks: 0
; NumSGPRsForWavesPerEU: 1
; NumVGPRsForWavesPerEU: 1
; Occupancy: 16
; WaveLimiterHint : 0
; COMPUTE_PGM_RSRC2:SCRATCH_EN: 0
; COMPUTE_PGM_RSRC2:USER_SGPR: 6
; COMPUTE_PGM_RSRC2:TRAP_HANDLER: 0
; COMPUTE_PGM_RSRC2:TGID_X_EN: 1
; COMPUTE_PGM_RSRC2:TGID_Y_EN: 0
; COMPUTE_PGM_RSRC2:TGID_Z_EN: 0
; COMPUTE_PGM_RSRC2:TIDIG_COMP_CNT: 0
	.section	.text._ZN7rocprim17ROCPRIM_400000_NS6detail17trampoline_kernelINS0_14default_configENS1_20scan_config_selectorIN3c108BFloat16EEEZZNS1_9scan_implILNS1_25lookback_scan_determinismE0ELb0ELb0ES3_PKS6_PS6_S6_ZZZN2at6native31launch_logcumsumexp_cuda_kernelERKNSD_10TensorBaseESH_lENKUlvE_clEvENKUlvE4_clEvEUlS6_S6_E_S6_EEDaPvRmT3_T4_T5_mT6_P12ihipStream_tbENKUlT_T0_E_clISt17integral_constantIbLb1EESX_IbLb0EEEEDaST_SU_EUlST_E_NS1_11comp_targetILNS1_3genE2ELNS1_11target_archE906ELNS1_3gpuE6ELNS1_3repE0EEENS1_30default_config_static_selectorELNS0_4arch9wavefront6targetE0EEEvT1_,"axG",@progbits,_ZN7rocprim17ROCPRIM_400000_NS6detail17trampoline_kernelINS0_14default_configENS1_20scan_config_selectorIN3c108BFloat16EEEZZNS1_9scan_implILNS1_25lookback_scan_determinismE0ELb0ELb0ES3_PKS6_PS6_S6_ZZZN2at6native31launch_logcumsumexp_cuda_kernelERKNSD_10TensorBaseESH_lENKUlvE_clEvENKUlvE4_clEvEUlS6_S6_E_S6_EEDaPvRmT3_T4_T5_mT6_P12ihipStream_tbENKUlT_T0_E_clISt17integral_constantIbLb1EESX_IbLb0EEEEDaST_SU_EUlST_E_NS1_11comp_targetILNS1_3genE2ELNS1_11target_archE906ELNS1_3gpuE6ELNS1_3repE0EEENS1_30default_config_static_selectorELNS0_4arch9wavefront6targetE0EEEvT1_,comdat
	.globl	_ZN7rocprim17ROCPRIM_400000_NS6detail17trampoline_kernelINS0_14default_configENS1_20scan_config_selectorIN3c108BFloat16EEEZZNS1_9scan_implILNS1_25lookback_scan_determinismE0ELb0ELb0ES3_PKS6_PS6_S6_ZZZN2at6native31launch_logcumsumexp_cuda_kernelERKNSD_10TensorBaseESH_lENKUlvE_clEvENKUlvE4_clEvEUlS6_S6_E_S6_EEDaPvRmT3_T4_T5_mT6_P12ihipStream_tbENKUlT_T0_E_clISt17integral_constantIbLb1EESX_IbLb0EEEEDaST_SU_EUlST_E_NS1_11comp_targetILNS1_3genE2ELNS1_11target_archE906ELNS1_3gpuE6ELNS1_3repE0EEENS1_30default_config_static_selectorELNS0_4arch9wavefront6targetE0EEEvT1_ ; -- Begin function _ZN7rocprim17ROCPRIM_400000_NS6detail17trampoline_kernelINS0_14default_configENS1_20scan_config_selectorIN3c108BFloat16EEEZZNS1_9scan_implILNS1_25lookback_scan_determinismE0ELb0ELb0ES3_PKS6_PS6_S6_ZZZN2at6native31launch_logcumsumexp_cuda_kernelERKNSD_10TensorBaseESH_lENKUlvE_clEvENKUlvE4_clEvEUlS6_S6_E_S6_EEDaPvRmT3_T4_T5_mT6_P12ihipStream_tbENKUlT_T0_E_clISt17integral_constantIbLb1EESX_IbLb0EEEEDaST_SU_EUlST_E_NS1_11comp_targetILNS1_3genE2ELNS1_11target_archE906ELNS1_3gpuE6ELNS1_3repE0EEENS1_30default_config_static_selectorELNS0_4arch9wavefront6targetE0EEEvT1_
	.p2align	8
	.type	_ZN7rocprim17ROCPRIM_400000_NS6detail17trampoline_kernelINS0_14default_configENS1_20scan_config_selectorIN3c108BFloat16EEEZZNS1_9scan_implILNS1_25lookback_scan_determinismE0ELb0ELb0ES3_PKS6_PS6_S6_ZZZN2at6native31launch_logcumsumexp_cuda_kernelERKNSD_10TensorBaseESH_lENKUlvE_clEvENKUlvE4_clEvEUlS6_S6_E_S6_EEDaPvRmT3_T4_T5_mT6_P12ihipStream_tbENKUlT_T0_E_clISt17integral_constantIbLb1EESX_IbLb0EEEEDaST_SU_EUlST_E_NS1_11comp_targetILNS1_3genE2ELNS1_11target_archE906ELNS1_3gpuE6ELNS1_3repE0EEENS1_30default_config_static_selectorELNS0_4arch9wavefront6targetE0EEEvT1_,@function
_ZN7rocprim17ROCPRIM_400000_NS6detail17trampoline_kernelINS0_14default_configENS1_20scan_config_selectorIN3c108BFloat16EEEZZNS1_9scan_implILNS1_25lookback_scan_determinismE0ELb0ELb0ES3_PKS6_PS6_S6_ZZZN2at6native31launch_logcumsumexp_cuda_kernelERKNSD_10TensorBaseESH_lENKUlvE_clEvENKUlvE4_clEvEUlS6_S6_E_S6_EEDaPvRmT3_T4_T5_mT6_P12ihipStream_tbENKUlT_T0_E_clISt17integral_constantIbLb1EESX_IbLb0EEEEDaST_SU_EUlST_E_NS1_11comp_targetILNS1_3genE2ELNS1_11target_archE906ELNS1_3gpuE6ELNS1_3repE0EEENS1_30default_config_static_selectorELNS0_4arch9wavefront6targetE0EEEvT1_: ; @_ZN7rocprim17ROCPRIM_400000_NS6detail17trampoline_kernelINS0_14default_configENS1_20scan_config_selectorIN3c108BFloat16EEEZZNS1_9scan_implILNS1_25lookback_scan_determinismE0ELb0ELb0ES3_PKS6_PS6_S6_ZZZN2at6native31launch_logcumsumexp_cuda_kernelERKNSD_10TensorBaseESH_lENKUlvE_clEvENKUlvE4_clEvEUlS6_S6_E_S6_EEDaPvRmT3_T4_T5_mT6_P12ihipStream_tbENKUlT_T0_E_clISt17integral_constantIbLb1EESX_IbLb0EEEEDaST_SU_EUlST_E_NS1_11comp_targetILNS1_3genE2ELNS1_11target_archE906ELNS1_3gpuE6ELNS1_3repE0EEENS1_30default_config_static_selectorELNS0_4arch9wavefront6targetE0EEEvT1_
; %bb.0:
	.section	.rodata,"a",@progbits
	.p2align	6, 0x0
	.amdhsa_kernel _ZN7rocprim17ROCPRIM_400000_NS6detail17trampoline_kernelINS0_14default_configENS1_20scan_config_selectorIN3c108BFloat16EEEZZNS1_9scan_implILNS1_25lookback_scan_determinismE0ELb0ELb0ES3_PKS6_PS6_S6_ZZZN2at6native31launch_logcumsumexp_cuda_kernelERKNSD_10TensorBaseESH_lENKUlvE_clEvENKUlvE4_clEvEUlS6_S6_E_S6_EEDaPvRmT3_T4_T5_mT6_P12ihipStream_tbENKUlT_T0_E_clISt17integral_constantIbLb1EESX_IbLb0EEEEDaST_SU_EUlST_E_NS1_11comp_targetILNS1_3genE2ELNS1_11target_archE906ELNS1_3gpuE6ELNS1_3repE0EEENS1_30default_config_static_selectorELNS0_4arch9wavefront6targetE0EEEvT1_
		.amdhsa_group_segment_fixed_size 0
		.amdhsa_private_segment_fixed_size 0
		.amdhsa_kernarg_size 96
		.amdhsa_user_sgpr_count 6
		.amdhsa_user_sgpr_private_segment_buffer 1
		.amdhsa_user_sgpr_dispatch_ptr 0
		.amdhsa_user_sgpr_queue_ptr 0
		.amdhsa_user_sgpr_kernarg_segment_ptr 1
		.amdhsa_user_sgpr_dispatch_id 0
		.amdhsa_user_sgpr_flat_scratch_init 0
		.amdhsa_user_sgpr_private_segment_size 0
		.amdhsa_wavefront_size32 1
		.amdhsa_uses_dynamic_stack 0
		.amdhsa_system_sgpr_private_segment_wavefront_offset 0
		.amdhsa_system_sgpr_workgroup_id_x 1
		.amdhsa_system_sgpr_workgroup_id_y 0
		.amdhsa_system_sgpr_workgroup_id_z 0
		.amdhsa_system_sgpr_workgroup_info 0
		.amdhsa_system_vgpr_workitem_id 0
		.amdhsa_next_free_vgpr 1
		.amdhsa_next_free_sgpr 1
		.amdhsa_reserve_vcc 0
		.amdhsa_reserve_flat_scratch 0
		.amdhsa_float_round_mode_32 0
		.amdhsa_float_round_mode_16_64 0
		.amdhsa_float_denorm_mode_32 3
		.amdhsa_float_denorm_mode_16_64 3
		.amdhsa_dx10_clamp 1
		.amdhsa_ieee_mode 1
		.amdhsa_fp16_overflow 0
		.amdhsa_workgroup_processor_mode 1
		.amdhsa_memory_ordered 1
		.amdhsa_forward_progress 1
		.amdhsa_shared_vgpr_count 0
		.amdhsa_exception_fp_ieee_invalid_op 0
		.amdhsa_exception_fp_denorm_src 0
		.amdhsa_exception_fp_ieee_div_zero 0
		.amdhsa_exception_fp_ieee_overflow 0
		.amdhsa_exception_fp_ieee_underflow 0
		.amdhsa_exception_fp_ieee_inexact 0
		.amdhsa_exception_int_div_zero 0
	.end_amdhsa_kernel
	.section	.text._ZN7rocprim17ROCPRIM_400000_NS6detail17trampoline_kernelINS0_14default_configENS1_20scan_config_selectorIN3c108BFloat16EEEZZNS1_9scan_implILNS1_25lookback_scan_determinismE0ELb0ELb0ES3_PKS6_PS6_S6_ZZZN2at6native31launch_logcumsumexp_cuda_kernelERKNSD_10TensorBaseESH_lENKUlvE_clEvENKUlvE4_clEvEUlS6_S6_E_S6_EEDaPvRmT3_T4_T5_mT6_P12ihipStream_tbENKUlT_T0_E_clISt17integral_constantIbLb1EESX_IbLb0EEEEDaST_SU_EUlST_E_NS1_11comp_targetILNS1_3genE2ELNS1_11target_archE906ELNS1_3gpuE6ELNS1_3repE0EEENS1_30default_config_static_selectorELNS0_4arch9wavefront6targetE0EEEvT1_,"axG",@progbits,_ZN7rocprim17ROCPRIM_400000_NS6detail17trampoline_kernelINS0_14default_configENS1_20scan_config_selectorIN3c108BFloat16EEEZZNS1_9scan_implILNS1_25lookback_scan_determinismE0ELb0ELb0ES3_PKS6_PS6_S6_ZZZN2at6native31launch_logcumsumexp_cuda_kernelERKNSD_10TensorBaseESH_lENKUlvE_clEvENKUlvE4_clEvEUlS6_S6_E_S6_EEDaPvRmT3_T4_T5_mT6_P12ihipStream_tbENKUlT_T0_E_clISt17integral_constantIbLb1EESX_IbLb0EEEEDaST_SU_EUlST_E_NS1_11comp_targetILNS1_3genE2ELNS1_11target_archE906ELNS1_3gpuE6ELNS1_3repE0EEENS1_30default_config_static_selectorELNS0_4arch9wavefront6targetE0EEEvT1_,comdat
.Lfunc_end488:
	.size	_ZN7rocprim17ROCPRIM_400000_NS6detail17trampoline_kernelINS0_14default_configENS1_20scan_config_selectorIN3c108BFloat16EEEZZNS1_9scan_implILNS1_25lookback_scan_determinismE0ELb0ELb0ES3_PKS6_PS6_S6_ZZZN2at6native31launch_logcumsumexp_cuda_kernelERKNSD_10TensorBaseESH_lENKUlvE_clEvENKUlvE4_clEvEUlS6_S6_E_S6_EEDaPvRmT3_T4_T5_mT6_P12ihipStream_tbENKUlT_T0_E_clISt17integral_constantIbLb1EESX_IbLb0EEEEDaST_SU_EUlST_E_NS1_11comp_targetILNS1_3genE2ELNS1_11target_archE906ELNS1_3gpuE6ELNS1_3repE0EEENS1_30default_config_static_selectorELNS0_4arch9wavefront6targetE0EEEvT1_, .Lfunc_end488-_ZN7rocprim17ROCPRIM_400000_NS6detail17trampoline_kernelINS0_14default_configENS1_20scan_config_selectorIN3c108BFloat16EEEZZNS1_9scan_implILNS1_25lookback_scan_determinismE0ELb0ELb0ES3_PKS6_PS6_S6_ZZZN2at6native31launch_logcumsumexp_cuda_kernelERKNSD_10TensorBaseESH_lENKUlvE_clEvENKUlvE4_clEvEUlS6_S6_E_S6_EEDaPvRmT3_T4_T5_mT6_P12ihipStream_tbENKUlT_T0_E_clISt17integral_constantIbLb1EESX_IbLb0EEEEDaST_SU_EUlST_E_NS1_11comp_targetILNS1_3genE2ELNS1_11target_archE906ELNS1_3gpuE6ELNS1_3repE0EEENS1_30default_config_static_selectorELNS0_4arch9wavefront6targetE0EEEvT1_
                                        ; -- End function
	.set _ZN7rocprim17ROCPRIM_400000_NS6detail17trampoline_kernelINS0_14default_configENS1_20scan_config_selectorIN3c108BFloat16EEEZZNS1_9scan_implILNS1_25lookback_scan_determinismE0ELb0ELb0ES3_PKS6_PS6_S6_ZZZN2at6native31launch_logcumsumexp_cuda_kernelERKNSD_10TensorBaseESH_lENKUlvE_clEvENKUlvE4_clEvEUlS6_S6_E_S6_EEDaPvRmT3_T4_T5_mT6_P12ihipStream_tbENKUlT_T0_E_clISt17integral_constantIbLb1EESX_IbLb0EEEEDaST_SU_EUlST_E_NS1_11comp_targetILNS1_3genE2ELNS1_11target_archE906ELNS1_3gpuE6ELNS1_3repE0EEENS1_30default_config_static_selectorELNS0_4arch9wavefront6targetE0EEEvT1_.num_vgpr, 0
	.set _ZN7rocprim17ROCPRIM_400000_NS6detail17trampoline_kernelINS0_14default_configENS1_20scan_config_selectorIN3c108BFloat16EEEZZNS1_9scan_implILNS1_25lookback_scan_determinismE0ELb0ELb0ES3_PKS6_PS6_S6_ZZZN2at6native31launch_logcumsumexp_cuda_kernelERKNSD_10TensorBaseESH_lENKUlvE_clEvENKUlvE4_clEvEUlS6_S6_E_S6_EEDaPvRmT3_T4_T5_mT6_P12ihipStream_tbENKUlT_T0_E_clISt17integral_constantIbLb1EESX_IbLb0EEEEDaST_SU_EUlST_E_NS1_11comp_targetILNS1_3genE2ELNS1_11target_archE906ELNS1_3gpuE6ELNS1_3repE0EEENS1_30default_config_static_selectorELNS0_4arch9wavefront6targetE0EEEvT1_.num_agpr, 0
	.set _ZN7rocprim17ROCPRIM_400000_NS6detail17trampoline_kernelINS0_14default_configENS1_20scan_config_selectorIN3c108BFloat16EEEZZNS1_9scan_implILNS1_25lookback_scan_determinismE0ELb0ELb0ES3_PKS6_PS6_S6_ZZZN2at6native31launch_logcumsumexp_cuda_kernelERKNSD_10TensorBaseESH_lENKUlvE_clEvENKUlvE4_clEvEUlS6_S6_E_S6_EEDaPvRmT3_T4_T5_mT6_P12ihipStream_tbENKUlT_T0_E_clISt17integral_constantIbLb1EESX_IbLb0EEEEDaST_SU_EUlST_E_NS1_11comp_targetILNS1_3genE2ELNS1_11target_archE906ELNS1_3gpuE6ELNS1_3repE0EEENS1_30default_config_static_selectorELNS0_4arch9wavefront6targetE0EEEvT1_.numbered_sgpr, 0
	.set _ZN7rocprim17ROCPRIM_400000_NS6detail17trampoline_kernelINS0_14default_configENS1_20scan_config_selectorIN3c108BFloat16EEEZZNS1_9scan_implILNS1_25lookback_scan_determinismE0ELb0ELb0ES3_PKS6_PS6_S6_ZZZN2at6native31launch_logcumsumexp_cuda_kernelERKNSD_10TensorBaseESH_lENKUlvE_clEvENKUlvE4_clEvEUlS6_S6_E_S6_EEDaPvRmT3_T4_T5_mT6_P12ihipStream_tbENKUlT_T0_E_clISt17integral_constantIbLb1EESX_IbLb0EEEEDaST_SU_EUlST_E_NS1_11comp_targetILNS1_3genE2ELNS1_11target_archE906ELNS1_3gpuE6ELNS1_3repE0EEENS1_30default_config_static_selectorELNS0_4arch9wavefront6targetE0EEEvT1_.num_named_barrier, 0
	.set _ZN7rocprim17ROCPRIM_400000_NS6detail17trampoline_kernelINS0_14default_configENS1_20scan_config_selectorIN3c108BFloat16EEEZZNS1_9scan_implILNS1_25lookback_scan_determinismE0ELb0ELb0ES3_PKS6_PS6_S6_ZZZN2at6native31launch_logcumsumexp_cuda_kernelERKNSD_10TensorBaseESH_lENKUlvE_clEvENKUlvE4_clEvEUlS6_S6_E_S6_EEDaPvRmT3_T4_T5_mT6_P12ihipStream_tbENKUlT_T0_E_clISt17integral_constantIbLb1EESX_IbLb0EEEEDaST_SU_EUlST_E_NS1_11comp_targetILNS1_3genE2ELNS1_11target_archE906ELNS1_3gpuE6ELNS1_3repE0EEENS1_30default_config_static_selectorELNS0_4arch9wavefront6targetE0EEEvT1_.private_seg_size, 0
	.set _ZN7rocprim17ROCPRIM_400000_NS6detail17trampoline_kernelINS0_14default_configENS1_20scan_config_selectorIN3c108BFloat16EEEZZNS1_9scan_implILNS1_25lookback_scan_determinismE0ELb0ELb0ES3_PKS6_PS6_S6_ZZZN2at6native31launch_logcumsumexp_cuda_kernelERKNSD_10TensorBaseESH_lENKUlvE_clEvENKUlvE4_clEvEUlS6_S6_E_S6_EEDaPvRmT3_T4_T5_mT6_P12ihipStream_tbENKUlT_T0_E_clISt17integral_constantIbLb1EESX_IbLb0EEEEDaST_SU_EUlST_E_NS1_11comp_targetILNS1_3genE2ELNS1_11target_archE906ELNS1_3gpuE6ELNS1_3repE0EEENS1_30default_config_static_selectorELNS0_4arch9wavefront6targetE0EEEvT1_.uses_vcc, 0
	.set _ZN7rocprim17ROCPRIM_400000_NS6detail17trampoline_kernelINS0_14default_configENS1_20scan_config_selectorIN3c108BFloat16EEEZZNS1_9scan_implILNS1_25lookback_scan_determinismE0ELb0ELb0ES3_PKS6_PS6_S6_ZZZN2at6native31launch_logcumsumexp_cuda_kernelERKNSD_10TensorBaseESH_lENKUlvE_clEvENKUlvE4_clEvEUlS6_S6_E_S6_EEDaPvRmT3_T4_T5_mT6_P12ihipStream_tbENKUlT_T0_E_clISt17integral_constantIbLb1EESX_IbLb0EEEEDaST_SU_EUlST_E_NS1_11comp_targetILNS1_3genE2ELNS1_11target_archE906ELNS1_3gpuE6ELNS1_3repE0EEENS1_30default_config_static_selectorELNS0_4arch9wavefront6targetE0EEEvT1_.uses_flat_scratch, 0
	.set _ZN7rocprim17ROCPRIM_400000_NS6detail17trampoline_kernelINS0_14default_configENS1_20scan_config_selectorIN3c108BFloat16EEEZZNS1_9scan_implILNS1_25lookback_scan_determinismE0ELb0ELb0ES3_PKS6_PS6_S6_ZZZN2at6native31launch_logcumsumexp_cuda_kernelERKNSD_10TensorBaseESH_lENKUlvE_clEvENKUlvE4_clEvEUlS6_S6_E_S6_EEDaPvRmT3_T4_T5_mT6_P12ihipStream_tbENKUlT_T0_E_clISt17integral_constantIbLb1EESX_IbLb0EEEEDaST_SU_EUlST_E_NS1_11comp_targetILNS1_3genE2ELNS1_11target_archE906ELNS1_3gpuE6ELNS1_3repE0EEENS1_30default_config_static_selectorELNS0_4arch9wavefront6targetE0EEEvT1_.has_dyn_sized_stack, 0
	.set _ZN7rocprim17ROCPRIM_400000_NS6detail17trampoline_kernelINS0_14default_configENS1_20scan_config_selectorIN3c108BFloat16EEEZZNS1_9scan_implILNS1_25lookback_scan_determinismE0ELb0ELb0ES3_PKS6_PS6_S6_ZZZN2at6native31launch_logcumsumexp_cuda_kernelERKNSD_10TensorBaseESH_lENKUlvE_clEvENKUlvE4_clEvEUlS6_S6_E_S6_EEDaPvRmT3_T4_T5_mT6_P12ihipStream_tbENKUlT_T0_E_clISt17integral_constantIbLb1EESX_IbLb0EEEEDaST_SU_EUlST_E_NS1_11comp_targetILNS1_3genE2ELNS1_11target_archE906ELNS1_3gpuE6ELNS1_3repE0EEENS1_30default_config_static_selectorELNS0_4arch9wavefront6targetE0EEEvT1_.has_recursion, 0
	.set _ZN7rocprim17ROCPRIM_400000_NS6detail17trampoline_kernelINS0_14default_configENS1_20scan_config_selectorIN3c108BFloat16EEEZZNS1_9scan_implILNS1_25lookback_scan_determinismE0ELb0ELb0ES3_PKS6_PS6_S6_ZZZN2at6native31launch_logcumsumexp_cuda_kernelERKNSD_10TensorBaseESH_lENKUlvE_clEvENKUlvE4_clEvEUlS6_S6_E_S6_EEDaPvRmT3_T4_T5_mT6_P12ihipStream_tbENKUlT_T0_E_clISt17integral_constantIbLb1EESX_IbLb0EEEEDaST_SU_EUlST_E_NS1_11comp_targetILNS1_3genE2ELNS1_11target_archE906ELNS1_3gpuE6ELNS1_3repE0EEENS1_30default_config_static_selectorELNS0_4arch9wavefront6targetE0EEEvT1_.has_indirect_call, 0
	.section	.AMDGPU.csdata,"",@progbits
; Kernel info:
; codeLenInByte = 0
; TotalNumSgprs: 0
; NumVgprs: 0
; ScratchSize: 0
; MemoryBound: 0
; FloatMode: 240
; IeeeMode: 1
; LDSByteSize: 0 bytes/workgroup (compile time only)
; SGPRBlocks: 0
; VGPRBlocks: 0
; NumSGPRsForWavesPerEU: 1
; NumVGPRsForWavesPerEU: 1
; Occupancy: 16
; WaveLimiterHint : 0
; COMPUTE_PGM_RSRC2:SCRATCH_EN: 0
; COMPUTE_PGM_RSRC2:USER_SGPR: 6
; COMPUTE_PGM_RSRC2:TRAP_HANDLER: 0
; COMPUTE_PGM_RSRC2:TGID_X_EN: 1
; COMPUTE_PGM_RSRC2:TGID_Y_EN: 0
; COMPUTE_PGM_RSRC2:TGID_Z_EN: 0
; COMPUTE_PGM_RSRC2:TIDIG_COMP_CNT: 0
	.section	.text._ZN7rocprim17ROCPRIM_400000_NS6detail17trampoline_kernelINS0_14default_configENS1_20scan_config_selectorIN3c108BFloat16EEEZZNS1_9scan_implILNS1_25lookback_scan_determinismE0ELb0ELb0ES3_PKS6_PS6_S6_ZZZN2at6native31launch_logcumsumexp_cuda_kernelERKNSD_10TensorBaseESH_lENKUlvE_clEvENKUlvE4_clEvEUlS6_S6_E_S6_EEDaPvRmT3_T4_T5_mT6_P12ihipStream_tbENKUlT_T0_E_clISt17integral_constantIbLb1EESX_IbLb0EEEEDaST_SU_EUlST_E_NS1_11comp_targetILNS1_3genE10ELNS1_11target_archE1201ELNS1_3gpuE5ELNS1_3repE0EEENS1_30default_config_static_selectorELNS0_4arch9wavefront6targetE0EEEvT1_,"axG",@progbits,_ZN7rocprim17ROCPRIM_400000_NS6detail17trampoline_kernelINS0_14default_configENS1_20scan_config_selectorIN3c108BFloat16EEEZZNS1_9scan_implILNS1_25lookback_scan_determinismE0ELb0ELb0ES3_PKS6_PS6_S6_ZZZN2at6native31launch_logcumsumexp_cuda_kernelERKNSD_10TensorBaseESH_lENKUlvE_clEvENKUlvE4_clEvEUlS6_S6_E_S6_EEDaPvRmT3_T4_T5_mT6_P12ihipStream_tbENKUlT_T0_E_clISt17integral_constantIbLb1EESX_IbLb0EEEEDaST_SU_EUlST_E_NS1_11comp_targetILNS1_3genE10ELNS1_11target_archE1201ELNS1_3gpuE5ELNS1_3repE0EEENS1_30default_config_static_selectorELNS0_4arch9wavefront6targetE0EEEvT1_,comdat
	.globl	_ZN7rocprim17ROCPRIM_400000_NS6detail17trampoline_kernelINS0_14default_configENS1_20scan_config_selectorIN3c108BFloat16EEEZZNS1_9scan_implILNS1_25lookback_scan_determinismE0ELb0ELb0ES3_PKS6_PS6_S6_ZZZN2at6native31launch_logcumsumexp_cuda_kernelERKNSD_10TensorBaseESH_lENKUlvE_clEvENKUlvE4_clEvEUlS6_S6_E_S6_EEDaPvRmT3_T4_T5_mT6_P12ihipStream_tbENKUlT_T0_E_clISt17integral_constantIbLb1EESX_IbLb0EEEEDaST_SU_EUlST_E_NS1_11comp_targetILNS1_3genE10ELNS1_11target_archE1201ELNS1_3gpuE5ELNS1_3repE0EEENS1_30default_config_static_selectorELNS0_4arch9wavefront6targetE0EEEvT1_ ; -- Begin function _ZN7rocprim17ROCPRIM_400000_NS6detail17trampoline_kernelINS0_14default_configENS1_20scan_config_selectorIN3c108BFloat16EEEZZNS1_9scan_implILNS1_25lookback_scan_determinismE0ELb0ELb0ES3_PKS6_PS6_S6_ZZZN2at6native31launch_logcumsumexp_cuda_kernelERKNSD_10TensorBaseESH_lENKUlvE_clEvENKUlvE4_clEvEUlS6_S6_E_S6_EEDaPvRmT3_T4_T5_mT6_P12ihipStream_tbENKUlT_T0_E_clISt17integral_constantIbLb1EESX_IbLb0EEEEDaST_SU_EUlST_E_NS1_11comp_targetILNS1_3genE10ELNS1_11target_archE1201ELNS1_3gpuE5ELNS1_3repE0EEENS1_30default_config_static_selectorELNS0_4arch9wavefront6targetE0EEEvT1_
	.p2align	8
	.type	_ZN7rocprim17ROCPRIM_400000_NS6detail17trampoline_kernelINS0_14default_configENS1_20scan_config_selectorIN3c108BFloat16EEEZZNS1_9scan_implILNS1_25lookback_scan_determinismE0ELb0ELb0ES3_PKS6_PS6_S6_ZZZN2at6native31launch_logcumsumexp_cuda_kernelERKNSD_10TensorBaseESH_lENKUlvE_clEvENKUlvE4_clEvEUlS6_S6_E_S6_EEDaPvRmT3_T4_T5_mT6_P12ihipStream_tbENKUlT_T0_E_clISt17integral_constantIbLb1EESX_IbLb0EEEEDaST_SU_EUlST_E_NS1_11comp_targetILNS1_3genE10ELNS1_11target_archE1201ELNS1_3gpuE5ELNS1_3repE0EEENS1_30default_config_static_selectorELNS0_4arch9wavefront6targetE0EEEvT1_,@function
_ZN7rocprim17ROCPRIM_400000_NS6detail17trampoline_kernelINS0_14default_configENS1_20scan_config_selectorIN3c108BFloat16EEEZZNS1_9scan_implILNS1_25lookback_scan_determinismE0ELb0ELb0ES3_PKS6_PS6_S6_ZZZN2at6native31launch_logcumsumexp_cuda_kernelERKNSD_10TensorBaseESH_lENKUlvE_clEvENKUlvE4_clEvEUlS6_S6_E_S6_EEDaPvRmT3_T4_T5_mT6_P12ihipStream_tbENKUlT_T0_E_clISt17integral_constantIbLb1EESX_IbLb0EEEEDaST_SU_EUlST_E_NS1_11comp_targetILNS1_3genE10ELNS1_11target_archE1201ELNS1_3gpuE5ELNS1_3repE0EEENS1_30default_config_static_selectorELNS0_4arch9wavefront6targetE0EEEvT1_: ; @_ZN7rocprim17ROCPRIM_400000_NS6detail17trampoline_kernelINS0_14default_configENS1_20scan_config_selectorIN3c108BFloat16EEEZZNS1_9scan_implILNS1_25lookback_scan_determinismE0ELb0ELb0ES3_PKS6_PS6_S6_ZZZN2at6native31launch_logcumsumexp_cuda_kernelERKNSD_10TensorBaseESH_lENKUlvE_clEvENKUlvE4_clEvEUlS6_S6_E_S6_EEDaPvRmT3_T4_T5_mT6_P12ihipStream_tbENKUlT_T0_E_clISt17integral_constantIbLb1EESX_IbLb0EEEEDaST_SU_EUlST_E_NS1_11comp_targetILNS1_3genE10ELNS1_11target_archE1201ELNS1_3gpuE5ELNS1_3repE0EEENS1_30default_config_static_selectorELNS0_4arch9wavefront6targetE0EEEvT1_
; %bb.0:
	.section	.rodata,"a",@progbits
	.p2align	6, 0x0
	.amdhsa_kernel _ZN7rocprim17ROCPRIM_400000_NS6detail17trampoline_kernelINS0_14default_configENS1_20scan_config_selectorIN3c108BFloat16EEEZZNS1_9scan_implILNS1_25lookback_scan_determinismE0ELb0ELb0ES3_PKS6_PS6_S6_ZZZN2at6native31launch_logcumsumexp_cuda_kernelERKNSD_10TensorBaseESH_lENKUlvE_clEvENKUlvE4_clEvEUlS6_S6_E_S6_EEDaPvRmT3_T4_T5_mT6_P12ihipStream_tbENKUlT_T0_E_clISt17integral_constantIbLb1EESX_IbLb0EEEEDaST_SU_EUlST_E_NS1_11comp_targetILNS1_3genE10ELNS1_11target_archE1201ELNS1_3gpuE5ELNS1_3repE0EEENS1_30default_config_static_selectorELNS0_4arch9wavefront6targetE0EEEvT1_
		.amdhsa_group_segment_fixed_size 0
		.amdhsa_private_segment_fixed_size 0
		.amdhsa_kernarg_size 96
		.amdhsa_user_sgpr_count 6
		.amdhsa_user_sgpr_private_segment_buffer 1
		.amdhsa_user_sgpr_dispatch_ptr 0
		.amdhsa_user_sgpr_queue_ptr 0
		.amdhsa_user_sgpr_kernarg_segment_ptr 1
		.amdhsa_user_sgpr_dispatch_id 0
		.amdhsa_user_sgpr_flat_scratch_init 0
		.amdhsa_user_sgpr_private_segment_size 0
		.amdhsa_wavefront_size32 1
		.amdhsa_uses_dynamic_stack 0
		.amdhsa_system_sgpr_private_segment_wavefront_offset 0
		.amdhsa_system_sgpr_workgroup_id_x 1
		.amdhsa_system_sgpr_workgroup_id_y 0
		.amdhsa_system_sgpr_workgroup_id_z 0
		.amdhsa_system_sgpr_workgroup_info 0
		.amdhsa_system_vgpr_workitem_id 0
		.amdhsa_next_free_vgpr 1
		.amdhsa_next_free_sgpr 1
		.amdhsa_reserve_vcc 0
		.amdhsa_reserve_flat_scratch 0
		.amdhsa_float_round_mode_32 0
		.amdhsa_float_round_mode_16_64 0
		.amdhsa_float_denorm_mode_32 3
		.amdhsa_float_denorm_mode_16_64 3
		.amdhsa_dx10_clamp 1
		.amdhsa_ieee_mode 1
		.amdhsa_fp16_overflow 0
		.amdhsa_workgroup_processor_mode 1
		.amdhsa_memory_ordered 1
		.amdhsa_forward_progress 1
		.amdhsa_shared_vgpr_count 0
		.amdhsa_exception_fp_ieee_invalid_op 0
		.amdhsa_exception_fp_denorm_src 0
		.amdhsa_exception_fp_ieee_div_zero 0
		.amdhsa_exception_fp_ieee_overflow 0
		.amdhsa_exception_fp_ieee_underflow 0
		.amdhsa_exception_fp_ieee_inexact 0
		.amdhsa_exception_int_div_zero 0
	.end_amdhsa_kernel
	.section	.text._ZN7rocprim17ROCPRIM_400000_NS6detail17trampoline_kernelINS0_14default_configENS1_20scan_config_selectorIN3c108BFloat16EEEZZNS1_9scan_implILNS1_25lookback_scan_determinismE0ELb0ELb0ES3_PKS6_PS6_S6_ZZZN2at6native31launch_logcumsumexp_cuda_kernelERKNSD_10TensorBaseESH_lENKUlvE_clEvENKUlvE4_clEvEUlS6_S6_E_S6_EEDaPvRmT3_T4_T5_mT6_P12ihipStream_tbENKUlT_T0_E_clISt17integral_constantIbLb1EESX_IbLb0EEEEDaST_SU_EUlST_E_NS1_11comp_targetILNS1_3genE10ELNS1_11target_archE1201ELNS1_3gpuE5ELNS1_3repE0EEENS1_30default_config_static_selectorELNS0_4arch9wavefront6targetE0EEEvT1_,"axG",@progbits,_ZN7rocprim17ROCPRIM_400000_NS6detail17trampoline_kernelINS0_14default_configENS1_20scan_config_selectorIN3c108BFloat16EEEZZNS1_9scan_implILNS1_25lookback_scan_determinismE0ELb0ELb0ES3_PKS6_PS6_S6_ZZZN2at6native31launch_logcumsumexp_cuda_kernelERKNSD_10TensorBaseESH_lENKUlvE_clEvENKUlvE4_clEvEUlS6_S6_E_S6_EEDaPvRmT3_T4_T5_mT6_P12ihipStream_tbENKUlT_T0_E_clISt17integral_constantIbLb1EESX_IbLb0EEEEDaST_SU_EUlST_E_NS1_11comp_targetILNS1_3genE10ELNS1_11target_archE1201ELNS1_3gpuE5ELNS1_3repE0EEENS1_30default_config_static_selectorELNS0_4arch9wavefront6targetE0EEEvT1_,comdat
.Lfunc_end489:
	.size	_ZN7rocprim17ROCPRIM_400000_NS6detail17trampoline_kernelINS0_14default_configENS1_20scan_config_selectorIN3c108BFloat16EEEZZNS1_9scan_implILNS1_25lookback_scan_determinismE0ELb0ELb0ES3_PKS6_PS6_S6_ZZZN2at6native31launch_logcumsumexp_cuda_kernelERKNSD_10TensorBaseESH_lENKUlvE_clEvENKUlvE4_clEvEUlS6_S6_E_S6_EEDaPvRmT3_T4_T5_mT6_P12ihipStream_tbENKUlT_T0_E_clISt17integral_constantIbLb1EESX_IbLb0EEEEDaST_SU_EUlST_E_NS1_11comp_targetILNS1_3genE10ELNS1_11target_archE1201ELNS1_3gpuE5ELNS1_3repE0EEENS1_30default_config_static_selectorELNS0_4arch9wavefront6targetE0EEEvT1_, .Lfunc_end489-_ZN7rocprim17ROCPRIM_400000_NS6detail17trampoline_kernelINS0_14default_configENS1_20scan_config_selectorIN3c108BFloat16EEEZZNS1_9scan_implILNS1_25lookback_scan_determinismE0ELb0ELb0ES3_PKS6_PS6_S6_ZZZN2at6native31launch_logcumsumexp_cuda_kernelERKNSD_10TensorBaseESH_lENKUlvE_clEvENKUlvE4_clEvEUlS6_S6_E_S6_EEDaPvRmT3_T4_T5_mT6_P12ihipStream_tbENKUlT_T0_E_clISt17integral_constantIbLb1EESX_IbLb0EEEEDaST_SU_EUlST_E_NS1_11comp_targetILNS1_3genE10ELNS1_11target_archE1201ELNS1_3gpuE5ELNS1_3repE0EEENS1_30default_config_static_selectorELNS0_4arch9wavefront6targetE0EEEvT1_
                                        ; -- End function
	.set _ZN7rocprim17ROCPRIM_400000_NS6detail17trampoline_kernelINS0_14default_configENS1_20scan_config_selectorIN3c108BFloat16EEEZZNS1_9scan_implILNS1_25lookback_scan_determinismE0ELb0ELb0ES3_PKS6_PS6_S6_ZZZN2at6native31launch_logcumsumexp_cuda_kernelERKNSD_10TensorBaseESH_lENKUlvE_clEvENKUlvE4_clEvEUlS6_S6_E_S6_EEDaPvRmT3_T4_T5_mT6_P12ihipStream_tbENKUlT_T0_E_clISt17integral_constantIbLb1EESX_IbLb0EEEEDaST_SU_EUlST_E_NS1_11comp_targetILNS1_3genE10ELNS1_11target_archE1201ELNS1_3gpuE5ELNS1_3repE0EEENS1_30default_config_static_selectorELNS0_4arch9wavefront6targetE0EEEvT1_.num_vgpr, 0
	.set _ZN7rocprim17ROCPRIM_400000_NS6detail17trampoline_kernelINS0_14default_configENS1_20scan_config_selectorIN3c108BFloat16EEEZZNS1_9scan_implILNS1_25lookback_scan_determinismE0ELb0ELb0ES3_PKS6_PS6_S6_ZZZN2at6native31launch_logcumsumexp_cuda_kernelERKNSD_10TensorBaseESH_lENKUlvE_clEvENKUlvE4_clEvEUlS6_S6_E_S6_EEDaPvRmT3_T4_T5_mT6_P12ihipStream_tbENKUlT_T0_E_clISt17integral_constantIbLb1EESX_IbLb0EEEEDaST_SU_EUlST_E_NS1_11comp_targetILNS1_3genE10ELNS1_11target_archE1201ELNS1_3gpuE5ELNS1_3repE0EEENS1_30default_config_static_selectorELNS0_4arch9wavefront6targetE0EEEvT1_.num_agpr, 0
	.set _ZN7rocprim17ROCPRIM_400000_NS6detail17trampoline_kernelINS0_14default_configENS1_20scan_config_selectorIN3c108BFloat16EEEZZNS1_9scan_implILNS1_25lookback_scan_determinismE0ELb0ELb0ES3_PKS6_PS6_S6_ZZZN2at6native31launch_logcumsumexp_cuda_kernelERKNSD_10TensorBaseESH_lENKUlvE_clEvENKUlvE4_clEvEUlS6_S6_E_S6_EEDaPvRmT3_T4_T5_mT6_P12ihipStream_tbENKUlT_T0_E_clISt17integral_constantIbLb1EESX_IbLb0EEEEDaST_SU_EUlST_E_NS1_11comp_targetILNS1_3genE10ELNS1_11target_archE1201ELNS1_3gpuE5ELNS1_3repE0EEENS1_30default_config_static_selectorELNS0_4arch9wavefront6targetE0EEEvT1_.numbered_sgpr, 0
	.set _ZN7rocprim17ROCPRIM_400000_NS6detail17trampoline_kernelINS0_14default_configENS1_20scan_config_selectorIN3c108BFloat16EEEZZNS1_9scan_implILNS1_25lookback_scan_determinismE0ELb0ELb0ES3_PKS6_PS6_S6_ZZZN2at6native31launch_logcumsumexp_cuda_kernelERKNSD_10TensorBaseESH_lENKUlvE_clEvENKUlvE4_clEvEUlS6_S6_E_S6_EEDaPvRmT3_T4_T5_mT6_P12ihipStream_tbENKUlT_T0_E_clISt17integral_constantIbLb1EESX_IbLb0EEEEDaST_SU_EUlST_E_NS1_11comp_targetILNS1_3genE10ELNS1_11target_archE1201ELNS1_3gpuE5ELNS1_3repE0EEENS1_30default_config_static_selectorELNS0_4arch9wavefront6targetE0EEEvT1_.num_named_barrier, 0
	.set _ZN7rocprim17ROCPRIM_400000_NS6detail17trampoline_kernelINS0_14default_configENS1_20scan_config_selectorIN3c108BFloat16EEEZZNS1_9scan_implILNS1_25lookback_scan_determinismE0ELb0ELb0ES3_PKS6_PS6_S6_ZZZN2at6native31launch_logcumsumexp_cuda_kernelERKNSD_10TensorBaseESH_lENKUlvE_clEvENKUlvE4_clEvEUlS6_S6_E_S6_EEDaPvRmT3_T4_T5_mT6_P12ihipStream_tbENKUlT_T0_E_clISt17integral_constantIbLb1EESX_IbLb0EEEEDaST_SU_EUlST_E_NS1_11comp_targetILNS1_3genE10ELNS1_11target_archE1201ELNS1_3gpuE5ELNS1_3repE0EEENS1_30default_config_static_selectorELNS0_4arch9wavefront6targetE0EEEvT1_.private_seg_size, 0
	.set _ZN7rocprim17ROCPRIM_400000_NS6detail17trampoline_kernelINS0_14default_configENS1_20scan_config_selectorIN3c108BFloat16EEEZZNS1_9scan_implILNS1_25lookback_scan_determinismE0ELb0ELb0ES3_PKS6_PS6_S6_ZZZN2at6native31launch_logcumsumexp_cuda_kernelERKNSD_10TensorBaseESH_lENKUlvE_clEvENKUlvE4_clEvEUlS6_S6_E_S6_EEDaPvRmT3_T4_T5_mT6_P12ihipStream_tbENKUlT_T0_E_clISt17integral_constantIbLb1EESX_IbLb0EEEEDaST_SU_EUlST_E_NS1_11comp_targetILNS1_3genE10ELNS1_11target_archE1201ELNS1_3gpuE5ELNS1_3repE0EEENS1_30default_config_static_selectorELNS0_4arch9wavefront6targetE0EEEvT1_.uses_vcc, 0
	.set _ZN7rocprim17ROCPRIM_400000_NS6detail17trampoline_kernelINS0_14default_configENS1_20scan_config_selectorIN3c108BFloat16EEEZZNS1_9scan_implILNS1_25lookback_scan_determinismE0ELb0ELb0ES3_PKS6_PS6_S6_ZZZN2at6native31launch_logcumsumexp_cuda_kernelERKNSD_10TensorBaseESH_lENKUlvE_clEvENKUlvE4_clEvEUlS6_S6_E_S6_EEDaPvRmT3_T4_T5_mT6_P12ihipStream_tbENKUlT_T0_E_clISt17integral_constantIbLb1EESX_IbLb0EEEEDaST_SU_EUlST_E_NS1_11comp_targetILNS1_3genE10ELNS1_11target_archE1201ELNS1_3gpuE5ELNS1_3repE0EEENS1_30default_config_static_selectorELNS0_4arch9wavefront6targetE0EEEvT1_.uses_flat_scratch, 0
	.set _ZN7rocprim17ROCPRIM_400000_NS6detail17trampoline_kernelINS0_14default_configENS1_20scan_config_selectorIN3c108BFloat16EEEZZNS1_9scan_implILNS1_25lookback_scan_determinismE0ELb0ELb0ES3_PKS6_PS6_S6_ZZZN2at6native31launch_logcumsumexp_cuda_kernelERKNSD_10TensorBaseESH_lENKUlvE_clEvENKUlvE4_clEvEUlS6_S6_E_S6_EEDaPvRmT3_T4_T5_mT6_P12ihipStream_tbENKUlT_T0_E_clISt17integral_constantIbLb1EESX_IbLb0EEEEDaST_SU_EUlST_E_NS1_11comp_targetILNS1_3genE10ELNS1_11target_archE1201ELNS1_3gpuE5ELNS1_3repE0EEENS1_30default_config_static_selectorELNS0_4arch9wavefront6targetE0EEEvT1_.has_dyn_sized_stack, 0
	.set _ZN7rocprim17ROCPRIM_400000_NS6detail17trampoline_kernelINS0_14default_configENS1_20scan_config_selectorIN3c108BFloat16EEEZZNS1_9scan_implILNS1_25lookback_scan_determinismE0ELb0ELb0ES3_PKS6_PS6_S6_ZZZN2at6native31launch_logcumsumexp_cuda_kernelERKNSD_10TensorBaseESH_lENKUlvE_clEvENKUlvE4_clEvEUlS6_S6_E_S6_EEDaPvRmT3_T4_T5_mT6_P12ihipStream_tbENKUlT_T0_E_clISt17integral_constantIbLb1EESX_IbLb0EEEEDaST_SU_EUlST_E_NS1_11comp_targetILNS1_3genE10ELNS1_11target_archE1201ELNS1_3gpuE5ELNS1_3repE0EEENS1_30default_config_static_selectorELNS0_4arch9wavefront6targetE0EEEvT1_.has_recursion, 0
	.set _ZN7rocprim17ROCPRIM_400000_NS6detail17trampoline_kernelINS0_14default_configENS1_20scan_config_selectorIN3c108BFloat16EEEZZNS1_9scan_implILNS1_25lookback_scan_determinismE0ELb0ELb0ES3_PKS6_PS6_S6_ZZZN2at6native31launch_logcumsumexp_cuda_kernelERKNSD_10TensorBaseESH_lENKUlvE_clEvENKUlvE4_clEvEUlS6_S6_E_S6_EEDaPvRmT3_T4_T5_mT6_P12ihipStream_tbENKUlT_T0_E_clISt17integral_constantIbLb1EESX_IbLb0EEEEDaST_SU_EUlST_E_NS1_11comp_targetILNS1_3genE10ELNS1_11target_archE1201ELNS1_3gpuE5ELNS1_3repE0EEENS1_30default_config_static_selectorELNS0_4arch9wavefront6targetE0EEEvT1_.has_indirect_call, 0
	.section	.AMDGPU.csdata,"",@progbits
; Kernel info:
; codeLenInByte = 0
; TotalNumSgprs: 0
; NumVgprs: 0
; ScratchSize: 0
; MemoryBound: 0
; FloatMode: 240
; IeeeMode: 1
; LDSByteSize: 0 bytes/workgroup (compile time only)
; SGPRBlocks: 0
; VGPRBlocks: 0
; NumSGPRsForWavesPerEU: 1
; NumVGPRsForWavesPerEU: 1
; Occupancy: 16
; WaveLimiterHint : 0
; COMPUTE_PGM_RSRC2:SCRATCH_EN: 0
; COMPUTE_PGM_RSRC2:USER_SGPR: 6
; COMPUTE_PGM_RSRC2:TRAP_HANDLER: 0
; COMPUTE_PGM_RSRC2:TGID_X_EN: 1
; COMPUTE_PGM_RSRC2:TGID_Y_EN: 0
; COMPUTE_PGM_RSRC2:TGID_Z_EN: 0
; COMPUTE_PGM_RSRC2:TIDIG_COMP_CNT: 0
	.section	.text._ZN7rocprim17ROCPRIM_400000_NS6detail17trampoline_kernelINS0_14default_configENS1_20scan_config_selectorIN3c108BFloat16EEEZZNS1_9scan_implILNS1_25lookback_scan_determinismE0ELb0ELb0ES3_PKS6_PS6_S6_ZZZN2at6native31launch_logcumsumexp_cuda_kernelERKNSD_10TensorBaseESH_lENKUlvE_clEvENKUlvE4_clEvEUlS6_S6_E_S6_EEDaPvRmT3_T4_T5_mT6_P12ihipStream_tbENKUlT_T0_E_clISt17integral_constantIbLb1EESX_IbLb0EEEEDaST_SU_EUlST_E_NS1_11comp_targetILNS1_3genE10ELNS1_11target_archE1200ELNS1_3gpuE4ELNS1_3repE0EEENS1_30default_config_static_selectorELNS0_4arch9wavefront6targetE0EEEvT1_,"axG",@progbits,_ZN7rocprim17ROCPRIM_400000_NS6detail17trampoline_kernelINS0_14default_configENS1_20scan_config_selectorIN3c108BFloat16EEEZZNS1_9scan_implILNS1_25lookback_scan_determinismE0ELb0ELb0ES3_PKS6_PS6_S6_ZZZN2at6native31launch_logcumsumexp_cuda_kernelERKNSD_10TensorBaseESH_lENKUlvE_clEvENKUlvE4_clEvEUlS6_S6_E_S6_EEDaPvRmT3_T4_T5_mT6_P12ihipStream_tbENKUlT_T0_E_clISt17integral_constantIbLb1EESX_IbLb0EEEEDaST_SU_EUlST_E_NS1_11comp_targetILNS1_3genE10ELNS1_11target_archE1200ELNS1_3gpuE4ELNS1_3repE0EEENS1_30default_config_static_selectorELNS0_4arch9wavefront6targetE0EEEvT1_,comdat
	.globl	_ZN7rocprim17ROCPRIM_400000_NS6detail17trampoline_kernelINS0_14default_configENS1_20scan_config_selectorIN3c108BFloat16EEEZZNS1_9scan_implILNS1_25lookback_scan_determinismE0ELb0ELb0ES3_PKS6_PS6_S6_ZZZN2at6native31launch_logcumsumexp_cuda_kernelERKNSD_10TensorBaseESH_lENKUlvE_clEvENKUlvE4_clEvEUlS6_S6_E_S6_EEDaPvRmT3_T4_T5_mT6_P12ihipStream_tbENKUlT_T0_E_clISt17integral_constantIbLb1EESX_IbLb0EEEEDaST_SU_EUlST_E_NS1_11comp_targetILNS1_3genE10ELNS1_11target_archE1200ELNS1_3gpuE4ELNS1_3repE0EEENS1_30default_config_static_selectorELNS0_4arch9wavefront6targetE0EEEvT1_ ; -- Begin function _ZN7rocprim17ROCPRIM_400000_NS6detail17trampoline_kernelINS0_14default_configENS1_20scan_config_selectorIN3c108BFloat16EEEZZNS1_9scan_implILNS1_25lookback_scan_determinismE0ELb0ELb0ES3_PKS6_PS6_S6_ZZZN2at6native31launch_logcumsumexp_cuda_kernelERKNSD_10TensorBaseESH_lENKUlvE_clEvENKUlvE4_clEvEUlS6_S6_E_S6_EEDaPvRmT3_T4_T5_mT6_P12ihipStream_tbENKUlT_T0_E_clISt17integral_constantIbLb1EESX_IbLb0EEEEDaST_SU_EUlST_E_NS1_11comp_targetILNS1_3genE10ELNS1_11target_archE1200ELNS1_3gpuE4ELNS1_3repE0EEENS1_30default_config_static_selectorELNS0_4arch9wavefront6targetE0EEEvT1_
	.p2align	8
	.type	_ZN7rocprim17ROCPRIM_400000_NS6detail17trampoline_kernelINS0_14default_configENS1_20scan_config_selectorIN3c108BFloat16EEEZZNS1_9scan_implILNS1_25lookback_scan_determinismE0ELb0ELb0ES3_PKS6_PS6_S6_ZZZN2at6native31launch_logcumsumexp_cuda_kernelERKNSD_10TensorBaseESH_lENKUlvE_clEvENKUlvE4_clEvEUlS6_S6_E_S6_EEDaPvRmT3_T4_T5_mT6_P12ihipStream_tbENKUlT_T0_E_clISt17integral_constantIbLb1EESX_IbLb0EEEEDaST_SU_EUlST_E_NS1_11comp_targetILNS1_3genE10ELNS1_11target_archE1200ELNS1_3gpuE4ELNS1_3repE0EEENS1_30default_config_static_selectorELNS0_4arch9wavefront6targetE0EEEvT1_,@function
_ZN7rocprim17ROCPRIM_400000_NS6detail17trampoline_kernelINS0_14default_configENS1_20scan_config_selectorIN3c108BFloat16EEEZZNS1_9scan_implILNS1_25lookback_scan_determinismE0ELb0ELb0ES3_PKS6_PS6_S6_ZZZN2at6native31launch_logcumsumexp_cuda_kernelERKNSD_10TensorBaseESH_lENKUlvE_clEvENKUlvE4_clEvEUlS6_S6_E_S6_EEDaPvRmT3_T4_T5_mT6_P12ihipStream_tbENKUlT_T0_E_clISt17integral_constantIbLb1EESX_IbLb0EEEEDaST_SU_EUlST_E_NS1_11comp_targetILNS1_3genE10ELNS1_11target_archE1200ELNS1_3gpuE4ELNS1_3repE0EEENS1_30default_config_static_selectorELNS0_4arch9wavefront6targetE0EEEvT1_: ; @_ZN7rocprim17ROCPRIM_400000_NS6detail17trampoline_kernelINS0_14default_configENS1_20scan_config_selectorIN3c108BFloat16EEEZZNS1_9scan_implILNS1_25lookback_scan_determinismE0ELb0ELb0ES3_PKS6_PS6_S6_ZZZN2at6native31launch_logcumsumexp_cuda_kernelERKNSD_10TensorBaseESH_lENKUlvE_clEvENKUlvE4_clEvEUlS6_S6_E_S6_EEDaPvRmT3_T4_T5_mT6_P12ihipStream_tbENKUlT_T0_E_clISt17integral_constantIbLb1EESX_IbLb0EEEEDaST_SU_EUlST_E_NS1_11comp_targetILNS1_3genE10ELNS1_11target_archE1200ELNS1_3gpuE4ELNS1_3repE0EEENS1_30default_config_static_selectorELNS0_4arch9wavefront6targetE0EEEvT1_
; %bb.0:
	.section	.rodata,"a",@progbits
	.p2align	6, 0x0
	.amdhsa_kernel _ZN7rocprim17ROCPRIM_400000_NS6detail17trampoline_kernelINS0_14default_configENS1_20scan_config_selectorIN3c108BFloat16EEEZZNS1_9scan_implILNS1_25lookback_scan_determinismE0ELb0ELb0ES3_PKS6_PS6_S6_ZZZN2at6native31launch_logcumsumexp_cuda_kernelERKNSD_10TensorBaseESH_lENKUlvE_clEvENKUlvE4_clEvEUlS6_S6_E_S6_EEDaPvRmT3_T4_T5_mT6_P12ihipStream_tbENKUlT_T0_E_clISt17integral_constantIbLb1EESX_IbLb0EEEEDaST_SU_EUlST_E_NS1_11comp_targetILNS1_3genE10ELNS1_11target_archE1200ELNS1_3gpuE4ELNS1_3repE0EEENS1_30default_config_static_selectorELNS0_4arch9wavefront6targetE0EEEvT1_
		.amdhsa_group_segment_fixed_size 0
		.amdhsa_private_segment_fixed_size 0
		.amdhsa_kernarg_size 96
		.amdhsa_user_sgpr_count 6
		.amdhsa_user_sgpr_private_segment_buffer 1
		.amdhsa_user_sgpr_dispatch_ptr 0
		.amdhsa_user_sgpr_queue_ptr 0
		.amdhsa_user_sgpr_kernarg_segment_ptr 1
		.amdhsa_user_sgpr_dispatch_id 0
		.amdhsa_user_sgpr_flat_scratch_init 0
		.amdhsa_user_sgpr_private_segment_size 0
		.amdhsa_wavefront_size32 1
		.amdhsa_uses_dynamic_stack 0
		.amdhsa_system_sgpr_private_segment_wavefront_offset 0
		.amdhsa_system_sgpr_workgroup_id_x 1
		.amdhsa_system_sgpr_workgroup_id_y 0
		.amdhsa_system_sgpr_workgroup_id_z 0
		.amdhsa_system_sgpr_workgroup_info 0
		.amdhsa_system_vgpr_workitem_id 0
		.amdhsa_next_free_vgpr 1
		.amdhsa_next_free_sgpr 1
		.amdhsa_reserve_vcc 0
		.amdhsa_reserve_flat_scratch 0
		.amdhsa_float_round_mode_32 0
		.amdhsa_float_round_mode_16_64 0
		.amdhsa_float_denorm_mode_32 3
		.amdhsa_float_denorm_mode_16_64 3
		.amdhsa_dx10_clamp 1
		.amdhsa_ieee_mode 1
		.amdhsa_fp16_overflow 0
		.amdhsa_workgroup_processor_mode 1
		.amdhsa_memory_ordered 1
		.amdhsa_forward_progress 1
		.amdhsa_shared_vgpr_count 0
		.amdhsa_exception_fp_ieee_invalid_op 0
		.amdhsa_exception_fp_denorm_src 0
		.amdhsa_exception_fp_ieee_div_zero 0
		.amdhsa_exception_fp_ieee_overflow 0
		.amdhsa_exception_fp_ieee_underflow 0
		.amdhsa_exception_fp_ieee_inexact 0
		.amdhsa_exception_int_div_zero 0
	.end_amdhsa_kernel
	.section	.text._ZN7rocprim17ROCPRIM_400000_NS6detail17trampoline_kernelINS0_14default_configENS1_20scan_config_selectorIN3c108BFloat16EEEZZNS1_9scan_implILNS1_25lookback_scan_determinismE0ELb0ELb0ES3_PKS6_PS6_S6_ZZZN2at6native31launch_logcumsumexp_cuda_kernelERKNSD_10TensorBaseESH_lENKUlvE_clEvENKUlvE4_clEvEUlS6_S6_E_S6_EEDaPvRmT3_T4_T5_mT6_P12ihipStream_tbENKUlT_T0_E_clISt17integral_constantIbLb1EESX_IbLb0EEEEDaST_SU_EUlST_E_NS1_11comp_targetILNS1_3genE10ELNS1_11target_archE1200ELNS1_3gpuE4ELNS1_3repE0EEENS1_30default_config_static_selectorELNS0_4arch9wavefront6targetE0EEEvT1_,"axG",@progbits,_ZN7rocprim17ROCPRIM_400000_NS6detail17trampoline_kernelINS0_14default_configENS1_20scan_config_selectorIN3c108BFloat16EEEZZNS1_9scan_implILNS1_25lookback_scan_determinismE0ELb0ELb0ES3_PKS6_PS6_S6_ZZZN2at6native31launch_logcumsumexp_cuda_kernelERKNSD_10TensorBaseESH_lENKUlvE_clEvENKUlvE4_clEvEUlS6_S6_E_S6_EEDaPvRmT3_T4_T5_mT6_P12ihipStream_tbENKUlT_T0_E_clISt17integral_constantIbLb1EESX_IbLb0EEEEDaST_SU_EUlST_E_NS1_11comp_targetILNS1_3genE10ELNS1_11target_archE1200ELNS1_3gpuE4ELNS1_3repE0EEENS1_30default_config_static_selectorELNS0_4arch9wavefront6targetE0EEEvT1_,comdat
.Lfunc_end490:
	.size	_ZN7rocprim17ROCPRIM_400000_NS6detail17trampoline_kernelINS0_14default_configENS1_20scan_config_selectorIN3c108BFloat16EEEZZNS1_9scan_implILNS1_25lookback_scan_determinismE0ELb0ELb0ES3_PKS6_PS6_S6_ZZZN2at6native31launch_logcumsumexp_cuda_kernelERKNSD_10TensorBaseESH_lENKUlvE_clEvENKUlvE4_clEvEUlS6_S6_E_S6_EEDaPvRmT3_T4_T5_mT6_P12ihipStream_tbENKUlT_T0_E_clISt17integral_constantIbLb1EESX_IbLb0EEEEDaST_SU_EUlST_E_NS1_11comp_targetILNS1_3genE10ELNS1_11target_archE1200ELNS1_3gpuE4ELNS1_3repE0EEENS1_30default_config_static_selectorELNS0_4arch9wavefront6targetE0EEEvT1_, .Lfunc_end490-_ZN7rocprim17ROCPRIM_400000_NS6detail17trampoline_kernelINS0_14default_configENS1_20scan_config_selectorIN3c108BFloat16EEEZZNS1_9scan_implILNS1_25lookback_scan_determinismE0ELb0ELb0ES3_PKS6_PS6_S6_ZZZN2at6native31launch_logcumsumexp_cuda_kernelERKNSD_10TensorBaseESH_lENKUlvE_clEvENKUlvE4_clEvEUlS6_S6_E_S6_EEDaPvRmT3_T4_T5_mT6_P12ihipStream_tbENKUlT_T0_E_clISt17integral_constantIbLb1EESX_IbLb0EEEEDaST_SU_EUlST_E_NS1_11comp_targetILNS1_3genE10ELNS1_11target_archE1200ELNS1_3gpuE4ELNS1_3repE0EEENS1_30default_config_static_selectorELNS0_4arch9wavefront6targetE0EEEvT1_
                                        ; -- End function
	.set _ZN7rocprim17ROCPRIM_400000_NS6detail17trampoline_kernelINS0_14default_configENS1_20scan_config_selectorIN3c108BFloat16EEEZZNS1_9scan_implILNS1_25lookback_scan_determinismE0ELb0ELb0ES3_PKS6_PS6_S6_ZZZN2at6native31launch_logcumsumexp_cuda_kernelERKNSD_10TensorBaseESH_lENKUlvE_clEvENKUlvE4_clEvEUlS6_S6_E_S6_EEDaPvRmT3_T4_T5_mT6_P12ihipStream_tbENKUlT_T0_E_clISt17integral_constantIbLb1EESX_IbLb0EEEEDaST_SU_EUlST_E_NS1_11comp_targetILNS1_3genE10ELNS1_11target_archE1200ELNS1_3gpuE4ELNS1_3repE0EEENS1_30default_config_static_selectorELNS0_4arch9wavefront6targetE0EEEvT1_.num_vgpr, 0
	.set _ZN7rocprim17ROCPRIM_400000_NS6detail17trampoline_kernelINS0_14default_configENS1_20scan_config_selectorIN3c108BFloat16EEEZZNS1_9scan_implILNS1_25lookback_scan_determinismE0ELb0ELb0ES3_PKS6_PS6_S6_ZZZN2at6native31launch_logcumsumexp_cuda_kernelERKNSD_10TensorBaseESH_lENKUlvE_clEvENKUlvE4_clEvEUlS6_S6_E_S6_EEDaPvRmT3_T4_T5_mT6_P12ihipStream_tbENKUlT_T0_E_clISt17integral_constantIbLb1EESX_IbLb0EEEEDaST_SU_EUlST_E_NS1_11comp_targetILNS1_3genE10ELNS1_11target_archE1200ELNS1_3gpuE4ELNS1_3repE0EEENS1_30default_config_static_selectorELNS0_4arch9wavefront6targetE0EEEvT1_.num_agpr, 0
	.set _ZN7rocprim17ROCPRIM_400000_NS6detail17trampoline_kernelINS0_14default_configENS1_20scan_config_selectorIN3c108BFloat16EEEZZNS1_9scan_implILNS1_25lookback_scan_determinismE0ELb0ELb0ES3_PKS6_PS6_S6_ZZZN2at6native31launch_logcumsumexp_cuda_kernelERKNSD_10TensorBaseESH_lENKUlvE_clEvENKUlvE4_clEvEUlS6_S6_E_S6_EEDaPvRmT3_T4_T5_mT6_P12ihipStream_tbENKUlT_T0_E_clISt17integral_constantIbLb1EESX_IbLb0EEEEDaST_SU_EUlST_E_NS1_11comp_targetILNS1_3genE10ELNS1_11target_archE1200ELNS1_3gpuE4ELNS1_3repE0EEENS1_30default_config_static_selectorELNS0_4arch9wavefront6targetE0EEEvT1_.numbered_sgpr, 0
	.set _ZN7rocprim17ROCPRIM_400000_NS6detail17trampoline_kernelINS0_14default_configENS1_20scan_config_selectorIN3c108BFloat16EEEZZNS1_9scan_implILNS1_25lookback_scan_determinismE0ELb0ELb0ES3_PKS6_PS6_S6_ZZZN2at6native31launch_logcumsumexp_cuda_kernelERKNSD_10TensorBaseESH_lENKUlvE_clEvENKUlvE4_clEvEUlS6_S6_E_S6_EEDaPvRmT3_T4_T5_mT6_P12ihipStream_tbENKUlT_T0_E_clISt17integral_constantIbLb1EESX_IbLb0EEEEDaST_SU_EUlST_E_NS1_11comp_targetILNS1_3genE10ELNS1_11target_archE1200ELNS1_3gpuE4ELNS1_3repE0EEENS1_30default_config_static_selectorELNS0_4arch9wavefront6targetE0EEEvT1_.num_named_barrier, 0
	.set _ZN7rocprim17ROCPRIM_400000_NS6detail17trampoline_kernelINS0_14default_configENS1_20scan_config_selectorIN3c108BFloat16EEEZZNS1_9scan_implILNS1_25lookback_scan_determinismE0ELb0ELb0ES3_PKS6_PS6_S6_ZZZN2at6native31launch_logcumsumexp_cuda_kernelERKNSD_10TensorBaseESH_lENKUlvE_clEvENKUlvE4_clEvEUlS6_S6_E_S6_EEDaPvRmT3_T4_T5_mT6_P12ihipStream_tbENKUlT_T0_E_clISt17integral_constantIbLb1EESX_IbLb0EEEEDaST_SU_EUlST_E_NS1_11comp_targetILNS1_3genE10ELNS1_11target_archE1200ELNS1_3gpuE4ELNS1_3repE0EEENS1_30default_config_static_selectorELNS0_4arch9wavefront6targetE0EEEvT1_.private_seg_size, 0
	.set _ZN7rocprim17ROCPRIM_400000_NS6detail17trampoline_kernelINS0_14default_configENS1_20scan_config_selectorIN3c108BFloat16EEEZZNS1_9scan_implILNS1_25lookback_scan_determinismE0ELb0ELb0ES3_PKS6_PS6_S6_ZZZN2at6native31launch_logcumsumexp_cuda_kernelERKNSD_10TensorBaseESH_lENKUlvE_clEvENKUlvE4_clEvEUlS6_S6_E_S6_EEDaPvRmT3_T4_T5_mT6_P12ihipStream_tbENKUlT_T0_E_clISt17integral_constantIbLb1EESX_IbLb0EEEEDaST_SU_EUlST_E_NS1_11comp_targetILNS1_3genE10ELNS1_11target_archE1200ELNS1_3gpuE4ELNS1_3repE0EEENS1_30default_config_static_selectorELNS0_4arch9wavefront6targetE0EEEvT1_.uses_vcc, 0
	.set _ZN7rocprim17ROCPRIM_400000_NS6detail17trampoline_kernelINS0_14default_configENS1_20scan_config_selectorIN3c108BFloat16EEEZZNS1_9scan_implILNS1_25lookback_scan_determinismE0ELb0ELb0ES3_PKS6_PS6_S6_ZZZN2at6native31launch_logcumsumexp_cuda_kernelERKNSD_10TensorBaseESH_lENKUlvE_clEvENKUlvE4_clEvEUlS6_S6_E_S6_EEDaPvRmT3_T4_T5_mT6_P12ihipStream_tbENKUlT_T0_E_clISt17integral_constantIbLb1EESX_IbLb0EEEEDaST_SU_EUlST_E_NS1_11comp_targetILNS1_3genE10ELNS1_11target_archE1200ELNS1_3gpuE4ELNS1_3repE0EEENS1_30default_config_static_selectorELNS0_4arch9wavefront6targetE0EEEvT1_.uses_flat_scratch, 0
	.set _ZN7rocprim17ROCPRIM_400000_NS6detail17trampoline_kernelINS0_14default_configENS1_20scan_config_selectorIN3c108BFloat16EEEZZNS1_9scan_implILNS1_25lookback_scan_determinismE0ELb0ELb0ES3_PKS6_PS6_S6_ZZZN2at6native31launch_logcumsumexp_cuda_kernelERKNSD_10TensorBaseESH_lENKUlvE_clEvENKUlvE4_clEvEUlS6_S6_E_S6_EEDaPvRmT3_T4_T5_mT6_P12ihipStream_tbENKUlT_T0_E_clISt17integral_constantIbLb1EESX_IbLb0EEEEDaST_SU_EUlST_E_NS1_11comp_targetILNS1_3genE10ELNS1_11target_archE1200ELNS1_3gpuE4ELNS1_3repE0EEENS1_30default_config_static_selectorELNS0_4arch9wavefront6targetE0EEEvT1_.has_dyn_sized_stack, 0
	.set _ZN7rocprim17ROCPRIM_400000_NS6detail17trampoline_kernelINS0_14default_configENS1_20scan_config_selectorIN3c108BFloat16EEEZZNS1_9scan_implILNS1_25lookback_scan_determinismE0ELb0ELb0ES3_PKS6_PS6_S6_ZZZN2at6native31launch_logcumsumexp_cuda_kernelERKNSD_10TensorBaseESH_lENKUlvE_clEvENKUlvE4_clEvEUlS6_S6_E_S6_EEDaPvRmT3_T4_T5_mT6_P12ihipStream_tbENKUlT_T0_E_clISt17integral_constantIbLb1EESX_IbLb0EEEEDaST_SU_EUlST_E_NS1_11comp_targetILNS1_3genE10ELNS1_11target_archE1200ELNS1_3gpuE4ELNS1_3repE0EEENS1_30default_config_static_selectorELNS0_4arch9wavefront6targetE0EEEvT1_.has_recursion, 0
	.set _ZN7rocprim17ROCPRIM_400000_NS6detail17trampoline_kernelINS0_14default_configENS1_20scan_config_selectorIN3c108BFloat16EEEZZNS1_9scan_implILNS1_25lookback_scan_determinismE0ELb0ELb0ES3_PKS6_PS6_S6_ZZZN2at6native31launch_logcumsumexp_cuda_kernelERKNSD_10TensorBaseESH_lENKUlvE_clEvENKUlvE4_clEvEUlS6_S6_E_S6_EEDaPvRmT3_T4_T5_mT6_P12ihipStream_tbENKUlT_T0_E_clISt17integral_constantIbLb1EESX_IbLb0EEEEDaST_SU_EUlST_E_NS1_11comp_targetILNS1_3genE10ELNS1_11target_archE1200ELNS1_3gpuE4ELNS1_3repE0EEENS1_30default_config_static_selectorELNS0_4arch9wavefront6targetE0EEEvT1_.has_indirect_call, 0
	.section	.AMDGPU.csdata,"",@progbits
; Kernel info:
; codeLenInByte = 0
; TotalNumSgprs: 0
; NumVgprs: 0
; ScratchSize: 0
; MemoryBound: 0
; FloatMode: 240
; IeeeMode: 1
; LDSByteSize: 0 bytes/workgroup (compile time only)
; SGPRBlocks: 0
; VGPRBlocks: 0
; NumSGPRsForWavesPerEU: 1
; NumVGPRsForWavesPerEU: 1
; Occupancy: 16
; WaveLimiterHint : 0
; COMPUTE_PGM_RSRC2:SCRATCH_EN: 0
; COMPUTE_PGM_RSRC2:USER_SGPR: 6
; COMPUTE_PGM_RSRC2:TRAP_HANDLER: 0
; COMPUTE_PGM_RSRC2:TGID_X_EN: 1
; COMPUTE_PGM_RSRC2:TGID_Y_EN: 0
; COMPUTE_PGM_RSRC2:TGID_Z_EN: 0
; COMPUTE_PGM_RSRC2:TIDIG_COMP_CNT: 0
	.section	.text._ZN7rocprim17ROCPRIM_400000_NS6detail17trampoline_kernelINS0_14default_configENS1_20scan_config_selectorIN3c108BFloat16EEEZZNS1_9scan_implILNS1_25lookback_scan_determinismE0ELb0ELb0ES3_PKS6_PS6_S6_ZZZN2at6native31launch_logcumsumexp_cuda_kernelERKNSD_10TensorBaseESH_lENKUlvE_clEvENKUlvE4_clEvEUlS6_S6_E_S6_EEDaPvRmT3_T4_T5_mT6_P12ihipStream_tbENKUlT_T0_E_clISt17integral_constantIbLb1EESX_IbLb0EEEEDaST_SU_EUlST_E_NS1_11comp_targetILNS1_3genE9ELNS1_11target_archE1100ELNS1_3gpuE3ELNS1_3repE0EEENS1_30default_config_static_selectorELNS0_4arch9wavefront6targetE0EEEvT1_,"axG",@progbits,_ZN7rocprim17ROCPRIM_400000_NS6detail17trampoline_kernelINS0_14default_configENS1_20scan_config_selectorIN3c108BFloat16EEEZZNS1_9scan_implILNS1_25lookback_scan_determinismE0ELb0ELb0ES3_PKS6_PS6_S6_ZZZN2at6native31launch_logcumsumexp_cuda_kernelERKNSD_10TensorBaseESH_lENKUlvE_clEvENKUlvE4_clEvEUlS6_S6_E_S6_EEDaPvRmT3_T4_T5_mT6_P12ihipStream_tbENKUlT_T0_E_clISt17integral_constantIbLb1EESX_IbLb0EEEEDaST_SU_EUlST_E_NS1_11comp_targetILNS1_3genE9ELNS1_11target_archE1100ELNS1_3gpuE3ELNS1_3repE0EEENS1_30default_config_static_selectorELNS0_4arch9wavefront6targetE0EEEvT1_,comdat
	.globl	_ZN7rocprim17ROCPRIM_400000_NS6detail17trampoline_kernelINS0_14default_configENS1_20scan_config_selectorIN3c108BFloat16EEEZZNS1_9scan_implILNS1_25lookback_scan_determinismE0ELb0ELb0ES3_PKS6_PS6_S6_ZZZN2at6native31launch_logcumsumexp_cuda_kernelERKNSD_10TensorBaseESH_lENKUlvE_clEvENKUlvE4_clEvEUlS6_S6_E_S6_EEDaPvRmT3_T4_T5_mT6_P12ihipStream_tbENKUlT_T0_E_clISt17integral_constantIbLb1EESX_IbLb0EEEEDaST_SU_EUlST_E_NS1_11comp_targetILNS1_3genE9ELNS1_11target_archE1100ELNS1_3gpuE3ELNS1_3repE0EEENS1_30default_config_static_selectorELNS0_4arch9wavefront6targetE0EEEvT1_ ; -- Begin function _ZN7rocprim17ROCPRIM_400000_NS6detail17trampoline_kernelINS0_14default_configENS1_20scan_config_selectorIN3c108BFloat16EEEZZNS1_9scan_implILNS1_25lookback_scan_determinismE0ELb0ELb0ES3_PKS6_PS6_S6_ZZZN2at6native31launch_logcumsumexp_cuda_kernelERKNSD_10TensorBaseESH_lENKUlvE_clEvENKUlvE4_clEvEUlS6_S6_E_S6_EEDaPvRmT3_T4_T5_mT6_P12ihipStream_tbENKUlT_T0_E_clISt17integral_constantIbLb1EESX_IbLb0EEEEDaST_SU_EUlST_E_NS1_11comp_targetILNS1_3genE9ELNS1_11target_archE1100ELNS1_3gpuE3ELNS1_3repE0EEENS1_30default_config_static_selectorELNS0_4arch9wavefront6targetE0EEEvT1_
	.p2align	8
	.type	_ZN7rocprim17ROCPRIM_400000_NS6detail17trampoline_kernelINS0_14default_configENS1_20scan_config_selectorIN3c108BFloat16EEEZZNS1_9scan_implILNS1_25lookback_scan_determinismE0ELb0ELb0ES3_PKS6_PS6_S6_ZZZN2at6native31launch_logcumsumexp_cuda_kernelERKNSD_10TensorBaseESH_lENKUlvE_clEvENKUlvE4_clEvEUlS6_S6_E_S6_EEDaPvRmT3_T4_T5_mT6_P12ihipStream_tbENKUlT_T0_E_clISt17integral_constantIbLb1EESX_IbLb0EEEEDaST_SU_EUlST_E_NS1_11comp_targetILNS1_3genE9ELNS1_11target_archE1100ELNS1_3gpuE3ELNS1_3repE0EEENS1_30default_config_static_selectorELNS0_4arch9wavefront6targetE0EEEvT1_,@function
_ZN7rocprim17ROCPRIM_400000_NS6detail17trampoline_kernelINS0_14default_configENS1_20scan_config_selectorIN3c108BFloat16EEEZZNS1_9scan_implILNS1_25lookback_scan_determinismE0ELb0ELb0ES3_PKS6_PS6_S6_ZZZN2at6native31launch_logcumsumexp_cuda_kernelERKNSD_10TensorBaseESH_lENKUlvE_clEvENKUlvE4_clEvEUlS6_S6_E_S6_EEDaPvRmT3_T4_T5_mT6_P12ihipStream_tbENKUlT_T0_E_clISt17integral_constantIbLb1EESX_IbLb0EEEEDaST_SU_EUlST_E_NS1_11comp_targetILNS1_3genE9ELNS1_11target_archE1100ELNS1_3gpuE3ELNS1_3repE0EEENS1_30default_config_static_selectorELNS0_4arch9wavefront6targetE0EEEvT1_: ; @_ZN7rocprim17ROCPRIM_400000_NS6detail17trampoline_kernelINS0_14default_configENS1_20scan_config_selectorIN3c108BFloat16EEEZZNS1_9scan_implILNS1_25lookback_scan_determinismE0ELb0ELb0ES3_PKS6_PS6_S6_ZZZN2at6native31launch_logcumsumexp_cuda_kernelERKNSD_10TensorBaseESH_lENKUlvE_clEvENKUlvE4_clEvEUlS6_S6_E_S6_EEDaPvRmT3_T4_T5_mT6_P12ihipStream_tbENKUlT_T0_E_clISt17integral_constantIbLb1EESX_IbLb0EEEEDaST_SU_EUlST_E_NS1_11comp_targetILNS1_3genE9ELNS1_11target_archE1100ELNS1_3gpuE3ELNS1_3repE0EEENS1_30default_config_static_selectorELNS0_4arch9wavefront6targetE0EEEvT1_
; %bb.0:
	.section	.rodata,"a",@progbits
	.p2align	6, 0x0
	.amdhsa_kernel _ZN7rocprim17ROCPRIM_400000_NS6detail17trampoline_kernelINS0_14default_configENS1_20scan_config_selectorIN3c108BFloat16EEEZZNS1_9scan_implILNS1_25lookback_scan_determinismE0ELb0ELb0ES3_PKS6_PS6_S6_ZZZN2at6native31launch_logcumsumexp_cuda_kernelERKNSD_10TensorBaseESH_lENKUlvE_clEvENKUlvE4_clEvEUlS6_S6_E_S6_EEDaPvRmT3_T4_T5_mT6_P12ihipStream_tbENKUlT_T0_E_clISt17integral_constantIbLb1EESX_IbLb0EEEEDaST_SU_EUlST_E_NS1_11comp_targetILNS1_3genE9ELNS1_11target_archE1100ELNS1_3gpuE3ELNS1_3repE0EEENS1_30default_config_static_selectorELNS0_4arch9wavefront6targetE0EEEvT1_
		.amdhsa_group_segment_fixed_size 0
		.amdhsa_private_segment_fixed_size 0
		.amdhsa_kernarg_size 96
		.amdhsa_user_sgpr_count 6
		.amdhsa_user_sgpr_private_segment_buffer 1
		.amdhsa_user_sgpr_dispatch_ptr 0
		.amdhsa_user_sgpr_queue_ptr 0
		.amdhsa_user_sgpr_kernarg_segment_ptr 1
		.amdhsa_user_sgpr_dispatch_id 0
		.amdhsa_user_sgpr_flat_scratch_init 0
		.amdhsa_user_sgpr_private_segment_size 0
		.amdhsa_wavefront_size32 1
		.amdhsa_uses_dynamic_stack 0
		.amdhsa_system_sgpr_private_segment_wavefront_offset 0
		.amdhsa_system_sgpr_workgroup_id_x 1
		.amdhsa_system_sgpr_workgroup_id_y 0
		.amdhsa_system_sgpr_workgroup_id_z 0
		.amdhsa_system_sgpr_workgroup_info 0
		.amdhsa_system_vgpr_workitem_id 0
		.amdhsa_next_free_vgpr 1
		.amdhsa_next_free_sgpr 1
		.amdhsa_reserve_vcc 0
		.amdhsa_reserve_flat_scratch 0
		.amdhsa_float_round_mode_32 0
		.amdhsa_float_round_mode_16_64 0
		.amdhsa_float_denorm_mode_32 3
		.amdhsa_float_denorm_mode_16_64 3
		.amdhsa_dx10_clamp 1
		.amdhsa_ieee_mode 1
		.amdhsa_fp16_overflow 0
		.amdhsa_workgroup_processor_mode 1
		.amdhsa_memory_ordered 1
		.amdhsa_forward_progress 1
		.amdhsa_shared_vgpr_count 0
		.amdhsa_exception_fp_ieee_invalid_op 0
		.amdhsa_exception_fp_denorm_src 0
		.amdhsa_exception_fp_ieee_div_zero 0
		.amdhsa_exception_fp_ieee_overflow 0
		.amdhsa_exception_fp_ieee_underflow 0
		.amdhsa_exception_fp_ieee_inexact 0
		.amdhsa_exception_int_div_zero 0
	.end_amdhsa_kernel
	.section	.text._ZN7rocprim17ROCPRIM_400000_NS6detail17trampoline_kernelINS0_14default_configENS1_20scan_config_selectorIN3c108BFloat16EEEZZNS1_9scan_implILNS1_25lookback_scan_determinismE0ELb0ELb0ES3_PKS6_PS6_S6_ZZZN2at6native31launch_logcumsumexp_cuda_kernelERKNSD_10TensorBaseESH_lENKUlvE_clEvENKUlvE4_clEvEUlS6_S6_E_S6_EEDaPvRmT3_T4_T5_mT6_P12ihipStream_tbENKUlT_T0_E_clISt17integral_constantIbLb1EESX_IbLb0EEEEDaST_SU_EUlST_E_NS1_11comp_targetILNS1_3genE9ELNS1_11target_archE1100ELNS1_3gpuE3ELNS1_3repE0EEENS1_30default_config_static_selectorELNS0_4arch9wavefront6targetE0EEEvT1_,"axG",@progbits,_ZN7rocprim17ROCPRIM_400000_NS6detail17trampoline_kernelINS0_14default_configENS1_20scan_config_selectorIN3c108BFloat16EEEZZNS1_9scan_implILNS1_25lookback_scan_determinismE0ELb0ELb0ES3_PKS6_PS6_S6_ZZZN2at6native31launch_logcumsumexp_cuda_kernelERKNSD_10TensorBaseESH_lENKUlvE_clEvENKUlvE4_clEvEUlS6_S6_E_S6_EEDaPvRmT3_T4_T5_mT6_P12ihipStream_tbENKUlT_T0_E_clISt17integral_constantIbLb1EESX_IbLb0EEEEDaST_SU_EUlST_E_NS1_11comp_targetILNS1_3genE9ELNS1_11target_archE1100ELNS1_3gpuE3ELNS1_3repE0EEENS1_30default_config_static_selectorELNS0_4arch9wavefront6targetE0EEEvT1_,comdat
.Lfunc_end491:
	.size	_ZN7rocprim17ROCPRIM_400000_NS6detail17trampoline_kernelINS0_14default_configENS1_20scan_config_selectorIN3c108BFloat16EEEZZNS1_9scan_implILNS1_25lookback_scan_determinismE0ELb0ELb0ES3_PKS6_PS6_S6_ZZZN2at6native31launch_logcumsumexp_cuda_kernelERKNSD_10TensorBaseESH_lENKUlvE_clEvENKUlvE4_clEvEUlS6_S6_E_S6_EEDaPvRmT3_T4_T5_mT6_P12ihipStream_tbENKUlT_T0_E_clISt17integral_constantIbLb1EESX_IbLb0EEEEDaST_SU_EUlST_E_NS1_11comp_targetILNS1_3genE9ELNS1_11target_archE1100ELNS1_3gpuE3ELNS1_3repE0EEENS1_30default_config_static_selectorELNS0_4arch9wavefront6targetE0EEEvT1_, .Lfunc_end491-_ZN7rocprim17ROCPRIM_400000_NS6detail17trampoline_kernelINS0_14default_configENS1_20scan_config_selectorIN3c108BFloat16EEEZZNS1_9scan_implILNS1_25lookback_scan_determinismE0ELb0ELb0ES3_PKS6_PS6_S6_ZZZN2at6native31launch_logcumsumexp_cuda_kernelERKNSD_10TensorBaseESH_lENKUlvE_clEvENKUlvE4_clEvEUlS6_S6_E_S6_EEDaPvRmT3_T4_T5_mT6_P12ihipStream_tbENKUlT_T0_E_clISt17integral_constantIbLb1EESX_IbLb0EEEEDaST_SU_EUlST_E_NS1_11comp_targetILNS1_3genE9ELNS1_11target_archE1100ELNS1_3gpuE3ELNS1_3repE0EEENS1_30default_config_static_selectorELNS0_4arch9wavefront6targetE0EEEvT1_
                                        ; -- End function
	.set _ZN7rocprim17ROCPRIM_400000_NS6detail17trampoline_kernelINS0_14default_configENS1_20scan_config_selectorIN3c108BFloat16EEEZZNS1_9scan_implILNS1_25lookback_scan_determinismE0ELb0ELb0ES3_PKS6_PS6_S6_ZZZN2at6native31launch_logcumsumexp_cuda_kernelERKNSD_10TensorBaseESH_lENKUlvE_clEvENKUlvE4_clEvEUlS6_S6_E_S6_EEDaPvRmT3_T4_T5_mT6_P12ihipStream_tbENKUlT_T0_E_clISt17integral_constantIbLb1EESX_IbLb0EEEEDaST_SU_EUlST_E_NS1_11comp_targetILNS1_3genE9ELNS1_11target_archE1100ELNS1_3gpuE3ELNS1_3repE0EEENS1_30default_config_static_selectorELNS0_4arch9wavefront6targetE0EEEvT1_.num_vgpr, 0
	.set _ZN7rocprim17ROCPRIM_400000_NS6detail17trampoline_kernelINS0_14default_configENS1_20scan_config_selectorIN3c108BFloat16EEEZZNS1_9scan_implILNS1_25lookback_scan_determinismE0ELb0ELb0ES3_PKS6_PS6_S6_ZZZN2at6native31launch_logcumsumexp_cuda_kernelERKNSD_10TensorBaseESH_lENKUlvE_clEvENKUlvE4_clEvEUlS6_S6_E_S6_EEDaPvRmT3_T4_T5_mT6_P12ihipStream_tbENKUlT_T0_E_clISt17integral_constantIbLb1EESX_IbLb0EEEEDaST_SU_EUlST_E_NS1_11comp_targetILNS1_3genE9ELNS1_11target_archE1100ELNS1_3gpuE3ELNS1_3repE0EEENS1_30default_config_static_selectorELNS0_4arch9wavefront6targetE0EEEvT1_.num_agpr, 0
	.set _ZN7rocprim17ROCPRIM_400000_NS6detail17trampoline_kernelINS0_14default_configENS1_20scan_config_selectorIN3c108BFloat16EEEZZNS1_9scan_implILNS1_25lookback_scan_determinismE0ELb0ELb0ES3_PKS6_PS6_S6_ZZZN2at6native31launch_logcumsumexp_cuda_kernelERKNSD_10TensorBaseESH_lENKUlvE_clEvENKUlvE4_clEvEUlS6_S6_E_S6_EEDaPvRmT3_T4_T5_mT6_P12ihipStream_tbENKUlT_T0_E_clISt17integral_constantIbLb1EESX_IbLb0EEEEDaST_SU_EUlST_E_NS1_11comp_targetILNS1_3genE9ELNS1_11target_archE1100ELNS1_3gpuE3ELNS1_3repE0EEENS1_30default_config_static_selectorELNS0_4arch9wavefront6targetE0EEEvT1_.numbered_sgpr, 0
	.set _ZN7rocprim17ROCPRIM_400000_NS6detail17trampoline_kernelINS0_14default_configENS1_20scan_config_selectorIN3c108BFloat16EEEZZNS1_9scan_implILNS1_25lookback_scan_determinismE0ELb0ELb0ES3_PKS6_PS6_S6_ZZZN2at6native31launch_logcumsumexp_cuda_kernelERKNSD_10TensorBaseESH_lENKUlvE_clEvENKUlvE4_clEvEUlS6_S6_E_S6_EEDaPvRmT3_T4_T5_mT6_P12ihipStream_tbENKUlT_T0_E_clISt17integral_constantIbLb1EESX_IbLb0EEEEDaST_SU_EUlST_E_NS1_11comp_targetILNS1_3genE9ELNS1_11target_archE1100ELNS1_3gpuE3ELNS1_3repE0EEENS1_30default_config_static_selectorELNS0_4arch9wavefront6targetE0EEEvT1_.num_named_barrier, 0
	.set _ZN7rocprim17ROCPRIM_400000_NS6detail17trampoline_kernelINS0_14default_configENS1_20scan_config_selectorIN3c108BFloat16EEEZZNS1_9scan_implILNS1_25lookback_scan_determinismE0ELb0ELb0ES3_PKS6_PS6_S6_ZZZN2at6native31launch_logcumsumexp_cuda_kernelERKNSD_10TensorBaseESH_lENKUlvE_clEvENKUlvE4_clEvEUlS6_S6_E_S6_EEDaPvRmT3_T4_T5_mT6_P12ihipStream_tbENKUlT_T0_E_clISt17integral_constantIbLb1EESX_IbLb0EEEEDaST_SU_EUlST_E_NS1_11comp_targetILNS1_3genE9ELNS1_11target_archE1100ELNS1_3gpuE3ELNS1_3repE0EEENS1_30default_config_static_selectorELNS0_4arch9wavefront6targetE0EEEvT1_.private_seg_size, 0
	.set _ZN7rocprim17ROCPRIM_400000_NS6detail17trampoline_kernelINS0_14default_configENS1_20scan_config_selectorIN3c108BFloat16EEEZZNS1_9scan_implILNS1_25lookback_scan_determinismE0ELb0ELb0ES3_PKS6_PS6_S6_ZZZN2at6native31launch_logcumsumexp_cuda_kernelERKNSD_10TensorBaseESH_lENKUlvE_clEvENKUlvE4_clEvEUlS6_S6_E_S6_EEDaPvRmT3_T4_T5_mT6_P12ihipStream_tbENKUlT_T0_E_clISt17integral_constantIbLb1EESX_IbLb0EEEEDaST_SU_EUlST_E_NS1_11comp_targetILNS1_3genE9ELNS1_11target_archE1100ELNS1_3gpuE3ELNS1_3repE0EEENS1_30default_config_static_selectorELNS0_4arch9wavefront6targetE0EEEvT1_.uses_vcc, 0
	.set _ZN7rocprim17ROCPRIM_400000_NS6detail17trampoline_kernelINS0_14default_configENS1_20scan_config_selectorIN3c108BFloat16EEEZZNS1_9scan_implILNS1_25lookback_scan_determinismE0ELb0ELb0ES3_PKS6_PS6_S6_ZZZN2at6native31launch_logcumsumexp_cuda_kernelERKNSD_10TensorBaseESH_lENKUlvE_clEvENKUlvE4_clEvEUlS6_S6_E_S6_EEDaPvRmT3_T4_T5_mT6_P12ihipStream_tbENKUlT_T0_E_clISt17integral_constantIbLb1EESX_IbLb0EEEEDaST_SU_EUlST_E_NS1_11comp_targetILNS1_3genE9ELNS1_11target_archE1100ELNS1_3gpuE3ELNS1_3repE0EEENS1_30default_config_static_selectorELNS0_4arch9wavefront6targetE0EEEvT1_.uses_flat_scratch, 0
	.set _ZN7rocprim17ROCPRIM_400000_NS6detail17trampoline_kernelINS0_14default_configENS1_20scan_config_selectorIN3c108BFloat16EEEZZNS1_9scan_implILNS1_25lookback_scan_determinismE0ELb0ELb0ES3_PKS6_PS6_S6_ZZZN2at6native31launch_logcumsumexp_cuda_kernelERKNSD_10TensorBaseESH_lENKUlvE_clEvENKUlvE4_clEvEUlS6_S6_E_S6_EEDaPvRmT3_T4_T5_mT6_P12ihipStream_tbENKUlT_T0_E_clISt17integral_constantIbLb1EESX_IbLb0EEEEDaST_SU_EUlST_E_NS1_11comp_targetILNS1_3genE9ELNS1_11target_archE1100ELNS1_3gpuE3ELNS1_3repE0EEENS1_30default_config_static_selectorELNS0_4arch9wavefront6targetE0EEEvT1_.has_dyn_sized_stack, 0
	.set _ZN7rocprim17ROCPRIM_400000_NS6detail17trampoline_kernelINS0_14default_configENS1_20scan_config_selectorIN3c108BFloat16EEEZZNS1_9scan_implILNS1_25lookback_scan_determinismE0ELb0ELb0ES3_PKS6_PS6_S6_ZZZN2at6native31launch_logcumsumexp_cuda_kernelERKNSD_10TensorBaseESH_lENKUlvE_clEvENKUlvE4_clEvEUlS6_S6_E_S6_EEDaPvRmT3_T4_T5_mT6_P12ihipStream_tbENKUlT_T0_E_clISt17integral_constantIbLb1EESX_IbLb0EEEEDaST_SU_EUlST_E_NS1_11comp_targetILNS1_3genE9ELNS1_11target_archE1100ELNS1_3gpuE3ELNS1_3repE0EEENS1_30default_config_static_selectorELNS0_4arch9wavefront6targetE0EEEvT1_.has_recursion, 0
	.set _ZN7rocprim17ROCPRIM_400000_NS6detail17trampoline_kernelINS0_14default_configENS1_20scan_config_selectorIN3c108BFloat16EEEZZNS1_9scan_implILNS1_25lookback_scan_determinismE0ELb0ELb0ES3_PKS6_PS6_S6_ZZZN2at6native31launch_logcumsumexp_cuda_kernelERKNSD_10TensorBaseESH_lENKUlvE_clEvENKUlvE4_clEvEUlS6_S6_E_S6_EEDaPvRmT3_T4_T5_mT6_P12ihipStream_tbENKUlT_T0_E_clISt17integral_constantIbLb1EESX_IbLb0EEEEDaST_SU_EUlST_E_NS1_11comp_targetILNS1_3genE9ELNS1_11target_archE1100ELNS1_3gpuE3ELNS1_3repE0EEENS1_30default_config_static_selectorELNS0_4arch9wavefront6targetE0EEEvT1_.has_indirect_call, 0
	.section	.AMDGPU.csdata,"",@progbits
; Kernel info:
; codeLenInByte = 0
; TotalNumSgprs: 0
; NumVgprs: 0
; ScratchSize: 0
; MemoryBound: 0
; FloatMode: 240
; IeeeMode: 1
; LDSByteSize: 0 bytes/workgroup (compile time only)
; SGPRBlocks: 0
; VGPRBlocks: 0
; NumSGPRsForWavesPerEU: 1
; NumVGPRsForWavesPerEU: 1
; Occupancy: 16
; WaveLimiterHint : 0
; COMPUTE_PGM_RSRC2:SCRATCH_EN: 0
; COMPUTE_PGM_RSRC2:USER_SGPR: 6
; COMPUTE_PGM_RSRC2:TRAP_HANDLER: 0
; COMPUTE_PGM_RSRC2:TGID_X_EN: 1
; COMPUTE_PGM_RSRC2:TGID_Y_EN: 0
; COMPUTE_PGM_RSRC2:TGID_Z_EN: 0
; COMPUTE_PGM_RSRC2:TIDIG_COMP_CNT: 0
	.section	.text._ZN7rocprim17ROCPRIM_400000_NS6detail17trampoline_kernelINS0_14default_configENS1_20scan_config_selectorIN3c108BFloat16EEEZZNS1_9scan_implILNS1_25lookback_scan_determinismE0ELb0ELb0ES3_PKS6_PS6_S6_ZZZN2at6native31launch_logcumsumexp_cuda_kernelERKNSD_10TensorBaseESH_lENKUlvE_clEvENKUlvE4_clEvEUlS6_S6_E_S6_EEDaPvRmT3_T4_T5_mT6_P12ihipStream_tbENKUlT_T0_E_clISt17integral_constantIbLb1EESX_IbLb0EEEEDaST_SU_EUlST_E_NS1_11comp_targetILNS1_3genE8ELNS1_11target_archE1030ELNS1_3gpuE2ELNS1_3repE0EEENS1_30default_config_static_selectorELNS0_4arch9wavefront6targetE0EEEvT1_,"axG",@progbits,_ZN7rocprim17ROCPRIM_400000_NS6detail17trampoline_kernelINS0_14default_configENS1_20scan_config_selectorIN3c108BFloat16EEEZZNS1_9scan_implILNS1_25lookback_scan_determinismE0ELb0ELb0ES3_PKS6_PS6_S6_ZZZN2at6native31launch_logcumsumexp_cuda_kernelERKNSD_10TensorBaseESH_lENKUlvE_clEvENKUlvE4_clEvEUlS6_S6_E_S6_EEDaPvRmT3_T4_T5_mT6_P12ihipStream_tbENKUlT_T0_E_clISt17integral_constantIbLb1EESX_IbLb0EEEEDaST_SU_EUlST_E_NS1_11comp_targetILNS1_3genE8ELNS1_11target_archE1030ELNS1_3gpuE2ELNS1_3repE0EEENS1_30default_config_static_selectorELNS0_4arch9wavefront6targetE0EEEvT1_,comdat
	.globl	_ZN7rocprim17ROCPRIM_400000_NS6detail17trampoline_kernelINS0_14default_configENS1_20scan_config_selectorIN3c108BFloat16EEEZZNS1_9scan_implILNS1_25lookback_scan_determinismE0ELb0ELb0ES3_PKS6_PS6_S6_ZZZN2at6native31launch_logcumsumexp_cuda_kernelERKNSD_10TensorBaseESH_lENKUlvE_clEvENKUlvE4_clEvEUlS6_S6_E_S6_EEDaPvRmT3_T4_T5_mT6_P12ihipStream_tbENKUlT_T0_E_clISt17integral_constantIbLb1EESX_IbLb0EEEEDaST_SU_EUlST_E_NS1_11comp_targetILNS1_3genE8ELNS1_11target_archE1030ELNS1_3gpuE2ELNS1_3repE0EEENS1_30default_config_static_selectorELNS0_4arch9wavefront6targetE0EEEvT1_ ; -- Begin function _ZN7rocprim17ROCPRIM_400000_NS6detail17trampoline_kernelINS0_14default_configENS1_20scan_config_selectorIN3c108BFloat16EEEZZNS1_9scan_implILNS1_25lookback_scan_determinismE0ELb0ELb0ES3_PKS6_PS6_S6_ZZZN2at6native31launch_logcumsumexp_cuda_kernelERKNSD_10TensorBaseESH_lENKUlvE_clEvENKUlvE4_clEvEUlS6_S6_E_S6_EEDaPvRmT3_T4_T5_mT6_P12ihipStream_tbENKUlT_T0_E_clISt17integral_constantIbLb1EESX_IbLb0EEEEDaST_SU_EUlST_E_NS1_11comp_targetILNS1_3genE8ELNS1_11target_archE1030ELNS1_3gpuE2ELNS1_3repE0EEENS1_30default_config_static_selectorELNS0_4arch9wavefront6targetE0EEEvT1_
	.p2align	8
	.type	_ZN7rocprim17ROCPRIM_400000_NS6detail17trampoline_kernelINS0_14default_configENS1_20scan_config_selectorIN3c108BFloat16EEEZZNS1_9scan_implILNS1_25lookback_scan_determinismE0ELb0ELb0ES3_PKS6_PS6_S6_ZZZN2at6native31launch_logcumsumexp_cuda_kernelERKNSD_10TensorBaseESH_lENKUlvE_clEvENKUlvE4_clEvEUlS6_S6_E_S6_EEDaPvRmT3_T4_T5_mT6_P12ihipStream_tbENKUlT_T0_E_clISt17integral_constantIbLb1EESX_IbLb0EEEEDaST_SU_EUlST_E_NS1_11comp_targetILNS1_3genE8ELNS1_11target_archE1030ELNS1_3gpuE2ELNS1_3repE0EEENS1_30default_config_static_selectorELNS0_4arch9wavefront6targetE0EEEvT1_,@function
_ZN7rocprim17ROCPRIM_400000_NS6detail17trampoline_kernelINS0_14default_configENS1_20scan_config_selectorIN3c108BFloat16EEEZZNS1_9scan_implILNS1_25lookback_scan_determinismE0ELb0ELb0ES3_PKS6_PS6_S6_ZZZN2at6native31launch_logcumsumexp_cuda_kernelERKNSD_10TensorBaseESH_lENKUlvE_clEvENKUlvE4_clEvEUlS6_S6_E_S6_EEDaPvRmT3_T4_T5_mT6_P12ihipStream_tbENKUlT_T0_E_clISt17integral_constantIbLb1EESX_IbLb0EEEEDaST_SU_EUlST_E_NS1_11comp_targetILNS1_3genE8ELNS1_11target_archE1030ELNS1_3gpuE2ELNS1_3repE0EEENS1_30default_config_static_selectorELNS0_4arch9wavefront6targetE0EEEvT1_: ; @_ZN7rocprim17ROCPRIM_400000_NS6detail17trampoline_kernelINS0_14default_configENS1_20scan_config_selectorIN3c108BFloat16EEEZZNS1_9scan_implILNS1_25lookback_scan_determinismE0ELb0ELb0ES3_PKS6_PS6_S6_ZZZN2at6native31launch_logcumsumexp_cuda_kernelERKNSD_10TensorBaseESH_lENKUlvE_clEvENKUlvE4_clEvEUlS6_S6_E_S6_EEDaPvRmT3_T4_T5_mT6_P12ihipStream_tbENKUlT_T0_E_clISt17integral_constantIbLb1EESX_IbLb0EEEEDaST_SU_EUlST_E_NS1_11comp_targetILNS1_3genE8ELNS1_11target_archE1030ELNS1_3gpuE2ELNS1_3repE0EEENS1_30default_config_static_selectorELNS0_4arch9wavefront6targetE0EEEvT1_
; %bb.0:
	s_endpgm
	.section	.rodata,"a",@progbits
	.p2align	6, 0x0
	.amdhsa_kernel _ZN7rocprim17ROCPRIM_400000_NS6detail17trampoline_kernelINS0_14default_configENS1_20scan_config_selectorIN3c108BFloat16EEEZZNS1_9scan_implILNS1_25lookback_scan_determinismE0ELb0ELb0ES3_PKS6_PS6_S6_ZZZN2at6native31launch_logcumsumexp_cuda_kernelERKNSD_10TensorBaseESH_lENKUlvE_clEvENKUlvE4_clEvEUlS6_S6_E_S6_EEDaPvRmT3_T4_T5_mT6_P12ihipStream_tbENKUlT_T0_E_clISt17integral_constantIbLb1EESX_IbLb0EEEEDaST_SU_EUlST_E_NS1_11comp_targetILNS1_3genE8ELNS1_11target_archE1030ELNS1_3gpuE2ELNS1_3repE0EEENS1_30default_config_static_selectorELNS0_4arch9wavefront6targetE0EEEvT1_
		.amdhsa_group_segment_fixed_size 0
		.amdhsa_private_segment_fixed_size 0
		.amdhsa_kernarg_size 96
		.amdhsa_user_sgpr_count 6
		.amdhsa_user_sgpr_private_segment_buffer 1
		.amdhsa_user_sgpr_dispatch_ptr 0
		.amdhsa_user_sgpr_queue_ptr 0
		.amdhsa_user_sgpr_kernarg_segment_ptr 1
		.amdhsa_user_sgpr_dispatch_id 0
		.amdhsa_user_sgpr_flat_scratch_init 0
		.amdhsa_user_sgpr_private_segment_size 0
		.amdhsa_wavefront_size32 1
		.amdhsa_uses_dynamic_stack 0
		.amdhsa_system_sgpr_private_segment_wavefront_offset 0
		.amdhsa_system_sgpr_workgroup_id_x 1
		.amdhsa_system_sgpr_workgroup_id_y 0
		.amdhsa_system_sgpr_workgroup_id_z 0
		.amdhsa_system_sgpr_workgroup_info 0
		.amdhsa_system_vgpr_workitem_id 0
		.amdhsa_next_free_vgpr 1
		.amdhsa_next_free_sgpr 1
		.amdhsa_reserve_vcc 0
		.amdhsa_reserve_flat_scratch 0
		.amdhsa_float_round_mode_32 0
		.amdhsa_float_round_mode_16_64 0
		.amdhsa_float_denorm_mode_32 3
		.amdhsa_float_denorm_mode_16_64 3
		.amdhsa_dx10_clamp 1
		.amdhsa_ieee_mode 1
		.amdhsa_fp16_overflow 0
		.amdhsa_workgroup_processor_mode 1
		.amdhsa_memory_ordered 1
		.amdhsa_forward_progress 1
		.amdhsa_shared_vgpr_count 0
		.amdhsa_exception_fp_ieee_invalid_op 0
		.amdhsa_exception_fp_denorm_src 0
		.amdhsa_exception_fp_ieee_div_zero 0
		.amdhsa_exception_fp_ieee_overflow 0
		.amdhsa_exception_fp_ieee_underflow 0
		.amdhsa_exception_fp_ieee_inexact 0
		.amdhsa_exception_int_div_zero 0
	.end_amdhsa_kernel
	.section	.text._ZN7rocprim17ROCPRIM_400000_NS6detail17trampoline_kernelINS0_14default_configENS1_20scan_config_selectorIN3c108BFloat16EEEZZNS1_9scan_implILNS1_25lookback_scan_determinismE0ELb0ELb0ES3_PKS6_PS6_S6_ZZZN2at6native31launch_logcumsumexp_cuda_kernelERKNSD_10TensorBaseESH_lENKUlvE_clEvENKUlvE4_clEvEUlS6_S6_E_S6_EEDaPvRmT3_T4_T5_mT6_P12ihipStream_tbENKUlT_T0_E_clISt17integral_constantIbLb1EESX_IbLb0EEEEDaST_SU_EUlST_E_NS1_11comp_targetILNS1_3genE8ELNS1_11target_archE1030ELNS1_3gpuE2ELNS1_3repE0EEENS1_30default_config_static_selectorELNS0_4arch9wavefront6targetE0EEEvT1_,"axG",@progbits,_ZN7rocprim17ROCPRIM_400000_NS6detail17trampoline_kernelINS0_14default_configENS1_20scan_config_selectorIN3c108BFloat16EEEZZNS1_9scan_implILNS1_25lookback_scan_determinismE0ELb0ELb0ES3_PKS6_PS6_S6_ZZZN2at6native31launch_logcumsumexp_cuda_kernelERKNSD_10TensorBaseESH_lENKUlvE_clEvENKUlvE4_clEvEUlS6_S6_E_S6_EEDaPvRmT3_T4_T5_mT6_P12ihipStream_tbENKUlT_T0_E_clISt17integral_constantIbLb1EESX_IbLb0EEEEDaST_SU_EUlST_E_NS1_11comp_targetILNS1_3genE8ELNS1_11target_archE1030ELNS1_3gpuE2ELNS1_3repE0EEENS1_30default_config_static_selectorELNS0_4arch9wavefront6targetE0EEEvT1_,comdat
.Lfunc_end492:
	.size	_ZN7rocprim17ROCPRIM_400000_NS6detail17trampoline_kernelINS0_14default_configENS1_20scan_config_selectorIN3c108BFloat16EEEZZNS1_9scan_implILNS1_25lookback_scan_determinismE0ELb0ELb0ES3_PKS6_PS6_S6_ZZZN2at6native31launch_logcumsumexp_cuda_kernelERKNSD_10TensorBaseESH_lENKUlvE_clEvENKUlvE4_clEvEUlS6_S6_E_S6_EEDaPvRmT3_T4_T5_mT6_P12ihipStream_tbENKUlT_T0_E_clISt17integral_constantIbLb1EESX_IbLb0EEEEDaST_SU_EUlST_E_NS1_11comp_targetILNS1_3genE8ELNS1_11target_archE1030ELNS1_3gpuE2ELNS1_3repE0EEENS1_30default_config_static_selectorELNS0_4arch9wavefront6targetE0EEEvT1_, .Lfunc_end492-_ZN7rocprim17ROCPRIM_400000_NS6detail17trampoline_kernelINS0_14default_configENS1_20scan_config_selectorIN3c108BFloat16EEEZZNS1_9scan_implILNS1_25lookback_scan_determinismE0ELb0ELb0ES3_PKS6_PS6_S6_ZZZN2at6native31launch_logcumsumexp_cuda_kernelERKNSD_10TensorBaseESH_lENKUlvE_clEvENKUlvE4_clEvEUlS6_S6_E_S6_EEDaPvRmT3_T4_T5_mT6_P12ihipStream_tbENKUlT_T0_E_clISt17integral_constantIbLb1EESX_IbLb0EEEEDaST_SU_EUlST_E_NS1_11comp_targetILNS1_3genE8ELNS1_11target_archE1030ELNS1_3gpuE2ELNS1_3repE0EEENS1_30default_config_static_selectorELNS0_4arch9wavefront6targetE0EEEvT1_
                                        ; -- End function
	.set _ZN7rocprim17ROCPRIM_400000_NS6detail17trampoline_kernelINS0_14default_configENS1_20scan_config_selectorIN3c108BFloat16EEEZZNS1_9scan_implILNS1_25lookback_scan_determinismE0ELb0ELb0ES3_PKS6_PS6_S6_ZZZN2at6native31launch_logcumsumexp_cuda_kernelERKNSD_10TensorBaseESH_lENKUlvE_clEvENKUlvE4_clEvEUlS6_S6_E_S6_EEDaPvRmT3_T4_T5_mT6_P12ihipStream_tbENKUlT_T0_E_clISt17integral_constantIbLb1EESX_IbLb0EEEEDaST_SU_EUlST_E_NS1_11comp_targetILNS1_3genE8ELNS1_11target_archE1030ELNS1_3gpuE2ELNS1_3repE0EEENS1_30default_config_static_selectorELNS0_4arch9wavefront6targetE0EEEvT1_.num_vgpr, 0
	.set _ZN7rocprim17ROCPRIM_400000_NS6detail17trampoline_kernelINS0_14default_configENS1_20scan_config_selectorIN3c108BFloat16EEEZZNS1_9scan_implILNS1_25lookback_scan_determinismE0ELb0ELb0ES3_PKS6_PS6_S6_ZZZN2at6native31launch_logcumsumexp_cuda_kernelERKNSD_10TensorBaseESH_lENKUlvE_clEvENKUlvE4_clEvEUlS6_S6_E_S6_EEDaPvRmT3_T4_T5_mT6_P12ihipStream_tbENKUlT_T0_E_clISt17integral_constantIbLb1EESX_IbLb0EEEEDaST_SU_EUlST_E_NS1_11comp_targetILNS1_3genE8ELNS1_11target_archE1030ELNS1_3gpuE2ELNS1_3repE0EEENS1_30default_config_static_selectorELNS0_4arch9wavefront6targetE0EEEvT1_.num_agpr, 0
	.set _ZN7rocprim17ROCPRIM_400000_NS6detail17trampoline_kernelINS0_14default_configENS1_20scan_config_selectorIN3c108BFloat16EEEZZNS1_9scan_implILNS1_25lookback_scan_determinismE0ELb0ELb0ES3_PKS6_PS6_S6_ZZZN2at6native31launch_logcumsumexp_cuda_kernelERKNSD_10TensorBaseESH_lENKUlvE_clEvENKUlvE4_clEvEUlS6_S6_E_S6_EEDaPvRmT3_T4_T5_mT6_P12ihipStream_tbENKUlT_T0_E_clISt17integral_constantIbLb1EESX_IbLb0EEEEDaST_SU_EUlST_E_NS1_11comp_targetILNS1_3genE8ELNS1_11target_archE1030ELNS1_3gpuE2ELNS1_3repE0EEENS1_30default_config_static_selectorELNS0_4arch9wavefront6targetE0EEEvT1_.numbered_sgpr, 0
	.set _ZN7rocprim17ROCPRIM_400000_NS6detail17trampoline_kernelINS0_14default_configENS1_20scan_config_selectorIN3c108BFloat16EEEZZNS1_9scan_implILNS1_25lookback_scan_determinismE0ELb0ELb0ES3_PKS6_PS6_S6_ZZZN2at6native31launch_logcumsumexp_cuda_kernelERKNSD_10TensorBaseESH_lENKUlvE_clEvENKUlvE4_clEvEUlS6_S6_E_S6_EEDaPvRmT3_T4_T5_mT6_P12ihipStream_tbENKUlT_T0_E_clISt17integral_constantIbLb1EESX_IbLb0EEEEDaST_SU_EUlST_E_NS1_11comp_targetILNS1_3genE8ELNS1_11target_archE1030ELNS1_3gpuE2ELNS1_3repE0EEENS1_30default_config_static_selectorELNS0_4arch9wavefront6targetE0EEEvT1_.num_named_barrier, 0
	.set _ZN7rocprim17ROCPRIM_400000_NS6detail17trampoline_kernelINS0_14default_configENS1_20scan_config_selectorIN3c108BFloat16EEEZZNS1_9scan_implILNS1_25lookback_scan_determinismE0ELb0ELb0ES3_PKS6_PS6_S6_ZZZN2at6native31launch_logcumsumexp_cuda_kernelERKNSD_10TensorBaseESH_lENKUlvE_clEvENKUlvE4_clEvEUlS6_S6_E_S6_EEDaPvRmT3_T4_T5_mT6_P12ihipStream_tbENKUlT_T0_E_clISt17integral_constantIbLb1EESX_IbLb0EEEEDaST_SU_EUlST_E_NS1_11comp_targetILNS1_3genE8ELNS1_11target_archE1030ELNS1_3gpuE2ELNS1_3repE0EEENS1_30default_config_static_selectorELNS0_4arch9wavefront6targetE0EEEvT1_.private_seg_size, 0
	.set _ZN7rocprim17ROCPRIM_400000_NS6detail17trampoline_kernelINS0_14default_configENS1_20scan_config_selectorIN3c108BFloat16EEEZZNS1_9scan_implILNS1_25lookback_scan_determinismE0ELb0ELb0ES3_PKS6_PS6_S6_ZZZN2at6native31launch_logcumsumexp_cuda_kernelERKNSD_10TensorBaseESH_lENKUlvE_clEvENKUlvE4_clEvEUlS6_S6_E_S6_EEDaPvRmT3_T4_T5_mT6_P12ihipStream_tbENKUlT_T0_E_clISt17integral_constantIbLb1EESX_IbLb0EEEEDaST_SU_EUlST_E_NS1_11comp_targetILNS1_3genE8ELNS1_11target_archE1030ELNS1_3gpuE2ELNS1_3repE0EEENS1_30default_config_static_selectorELNS0_4arch9wavefront6targetE0EEEvT1_.uses_vcc, 0
	.set _ZN7rocprim17ROCPRIM_400000_NS6detail17trampoline_kernelINS0_14default_configENS1_20scan_config_selectorIN3c108BFloat16EEEZZNS1_9scan_implILNS1_25lookback_scan_determinismE0ELb0ELb0ES3_PKS6_PS6_S6_ZZZN2at6native31launch_logcumsumexp_cuda_kernelERKNSD_10TensorBaseESH_lENKUlvE_clEvENKUlvE4_clEvEUlS6_S6_E_S6_EEDaPvRmT3_T4_T5_mT6_P12ihipStream_tbENKUlT_T0_E_clISt17integral_constantIbLb1EESX_IbLb0EEEEDaST_SU_EUlST_E_NS1_11comp_targetILNS1_3genE8ELNS1_11target_archE1030ELNS1_3gpuE2ELNS1_3repE0EEENS1_30default_config_static_selectorELNS0_4arch9wavefront6targetE0EEEvT1_.uses_flat_scratch, 0
	.set _ZN7rocprim17ROCPRIM_400000_NS6detail17trampoline_kernelINS0_14default_configENS1_20scan_config_selectorIN3c108BFloat16EEEZZNS1_9scan_implILNS1_25lookback_scan_determinismE0ELb0ELb0ES3_PKS6_PS6_S6_ZZZN2at6native31launch_logcumsumexp_cuda_kernelERKNSD_10TensorBaseESH_lENKUlvE_clEvENKUlvE4_clEvEUlS6_S6_E_S6_EEDaPvRmT3_T4_T5_mT6_P12ihipStream_tbENKUlT_T0_E_clISt17integral_constantIbLb1EESX_IbLb0EEEEDaST_SU_EUlST_E_NS1_11comp_targetILNS1_3genE8ELNS1_11target_archE1030ELNS1_3gpuE2ELNS1_3repE0EEENS1_30default_config_static_selectorELNS0_4arch9wavefront6targetE0EEEvT1_.has_dyn_sized_stack, 0
	.set _ZN7rocprim17ROCPRIM_400000_NS6detail17trampoline_kernelINS0_14default_configENS1_20scan_config_selectorIN3c108BFloat16EEEZZNS1_9scan_implILNS1_25lookback_scan_determinismE0ELb0ELb0ES3_PKS6_PS6_S6_ZZZN2at6native31launch_logcumsumexp_cuda_kernelERKNSD_10TensorBaseESH_lENKUlvE_clEvENKUlvE4_clEvEUlS6_S6_E_S6_EEDaPvRmT3_T4_T5_mT6_P12ihipStream_tbENKUlT_T0_E_clISt17integral_constantIbLb1EESX_IbLb0EEEEDaST_SU_EUlST_E_NS1_11comp_targetILNS1_3genE8ELNS1_11target_archE1030ELNS1_3gpuE2ELNS1_3repE0EEENS1_30default_config_static_selectorELNS0_4arch9wavefront6targetE0EEEvT1_.has_recursion, 0
	.set _ZN7rocprim17ROCPRIM_400000_NS6detail17trampoline_kernelINS0_14default_configENS1_20scan_config_selectorIN3c108BFloat16EEEZZNS1_9scan_implILNS1_25lookback_scan_determinismE0ELb0ELb0ES3_PKS6_PS6_S6_ZZZN2at6native31launch_logcumsumexp_cuda_kernelERKNSD_10TensorBaseESH_lENKUlvE_clEvENKUlvE4_clEvEUlS6_S6_E_S6_EEDaPvRmT3_T4_T5_mT6_P12ihipStream_tbENKUlT_T0_E_clISt17integral_constantIbLb1EESX_IbLb0EEEEDaST_SU_EUlST_E_NS1_11comp_targetILNS1_3genE8ELNS1_11target_archE1030ELNS1_3gpuE2ELNS1_3repE0EEENS1_30default_config_static_selectorELNS0_4arch9wavefront6targetE0EEEvT1_.has_indirect_call, 0
	.section	.AMDGPU.csdata,"",@progbits
; Kernel info:
; codeLenInByte = 4
; TotalNumSgprs: 0
; NumVgprs: 0
; ScratchSize: 0
; MemoryBound: 0
; FloatMode: 240
; IeeeMode: 1
; LDSByteSize: 0 bytes/workgroup (compile time only)
; SGPRBlocks: 0
; VGPRBlocks: 0
; NumSGPRsForWavesPerEU: 1
; NumVGPRsForWavesPerEU: 1
; Occupancy: 16
; WaveLimiterHint : 0
; COMPUTE_PGM_RSRC2:SCRATCH_EN: 0
; COMPUTE_PGM_RSRC2:USER_SGPR: 6
; COMPUTE_PGM_RSRC2:TRAP_HANDLER: 0
; COMPUTE_PGM_RSRC2:TGID_X_EN: 1
; COMPUTE_PGM_RSRC2:TGID_Y_EN: 0
; COMPUTE_PGM_RSRC2:TGID_Z_EN: 0
; COMPUTE_PGM_RSRC2:TIDIG_COMP_CNT: 0
	.section	.text._ZN7rocprim17ROCPRIM_400000_NS6detail17trampoline_kernelINS0_14default_configENS1_20scan_config_selectorIN3c108BFloat16EEEZZNS1_9scan_implILNS1_25lookback_scan_determinismE0ELb0ELb0ES3_PKS6_PS6_S6_ZZZN2at6native31launch_logcumsumexp_cuda_kernelERKNSD_10TensorBaseESH_lENKUlvE_clEvENKUlvE4_clEvEUlS6_S6_E_S6_EEDaPvRmT3_T4_T5_mT6_P12ihipStream_tbENKUlT_T0_E_clISt17integral_constantIbLb1EESX_IbLb0EEEEDaST_SU_EUlST_E0_NS1_11comp_targetILNS1_3genE0ELNS1_11target_archE4294967295ELNS1_3gpuE0ELNS1_3repE0EEENS1_30default_config_static_selectorELNS0_4arch9wavefront6targetE0EEEvT1_,"axG",@progbits,_ZN7rocprim17ROCPRIM_400000_NS6detail17trampoline_kernelINS0_14default_configENS1_20scan_config_selectorIN3c108BFloat16EEEZZNS1_9scan_implILNS1_25lookback_scan_determinismE0ELb0ELb0ES3_PKS6_PS6_S6_ZZZN2at6native31launch_logcumsumexp_cuda_kernelERKNSD_10TensorBaseESH_lENKUlvE_clEvENKUlvE4_clEvEUlS6_S6_E_S6_EEDaPvRmT3_T4_T5_mT6_P12ihipStream_tbENKUlT_T0_E_clISt17integral_constantIbLb1EESX_IbLb0EEEEDaST_SU_EUlST_E0_NS1_11comp_targetILNS1_3genE0ELNS1_11target_archE4294967295ELNS1_3gpuE0ELNS1_3repE0EEENS1_30default_config_static_selectorELNS0_4arch9wavefront6targetE0EEEvT1_,comdat
	.globl	_ZN7rocprim17ROCPRIM_400000_NS6detail17trampoline_kernelINS0_14default_configENS1_20scan_config_selectorIN3c108BFloat16EEEZZNS1_9scan_implILNS1_25lookback_scan_determinismE0ELb0ELb0ES3_PKS6_PS6_S6_ZZZN2at6native31launch_logcumsumexp_cuda_kernelERKNSD_10TensorBaseESH_lENKUlvE_clEvENKUlvE4_clEvEUlS6_S6_E_S6_EEDaPvRmT3_T4_T5_mT6_P12ihipStream_tbENKUlT_T0_E_clISt17integral_constantIbLb1EESX_IbLb0EEEEDaST_SU_EUlST_E0_NS1_11comp_targetILNS1_3genE0ELNS1_11target_archE4294967295ELNS1_3gpuE0ELNS1_3repE0EEENS1_30default_config_static_selectorELNS0_4arch9wavefront6targetE0EEEvT1_ ; -- Begin function _ZN7rocprim17ROCPRIM_400000_NS6detail17trampoline_kernelINS0_14default_configENS1_20scan_config_selectorIN3c108BFloat16EEEZZNS1_9scan_implILNS1_25lookback_scan_determinismE0ELb0ELb0ES3_PKS6_PS6_S6_ZZZN2at6native31launch_logcumsumexp_cuda_kernelERKNSD_10TensorBaseESH_lENKUlvE_clEvENKUlvE4_clEvEUlS6_S6_E_S6_EEDaPvRmT3_T4_T5_mT6_P12ihipStream_tbENKUlT_T0_E_clISt17integral_constantIbLb1EESX_IbLb0EEEEDaST_SU_EUlST_E0_NS1_11comp_targetILNS1_3genE0ELNS1_11target_archE4294967295ELNS1_3gpuE0ELNS1_3repE0EEENS1_30default_config_static_selectorELNS0_4arch9wavefront6targetE0EEEvT1_
	.p2align	8
	.type	_ZN7rocprim17ROCPRIM_400000_NS6detail17trampoline_kernelINS0_14default_configENS1_20scan_config_selectorIN3c108BFloat16EEEZZNS1_9scan_implILNS1_25lookback_scan_determinismE0ELb0ELb0ES3_PKS6_PS6_S6_ZZZN2at6native31launch_logcumsumexp_cuda_kernelERKNSD_10TensorBaseESH_lENKUlvE_clEvENKUlvE4_clEvEUlS6_S6_E_S6_EEDaPvRmT3_T4_T5_mT6_P12ihipStream_tbENKUlT_T0_E_clISt17integral_constantIbLb1EESX_IbLb0EEEEDaST_SU_EUlST_E0_NS1_11comp_targetILNS1_3genE0ELNS1_11target_archE4294967295ELNS1_3gpuE0ELNS1_3repE0EEENS1_30default_config_static_selectorELNS0_4arch9wavefront6targetE0EEEvT1_,@function
_ZN7rocprim17ROCPRIM_400000_NS6detail17trampoline_kernelINS0_14default_configENS1_20scan_config_selectorIN3c108BFloat16EEEZZNS1_9scan_implILNS1_25lookback_scan_determinismE0ELb0ELb0ES3_PKS6_PS6_S6_ZZZN2at6native31launch_logcumsumexp_cuda_kernelERKNSD_10TensorBaseESH_lENKUlvE_clEvENKUlvE4_clEvEUlS6_S6_E_S6_EEDaPvRmT3_T4_T5_mT6_P12ihipStream_tbENKUlT_T0_E_clISt17integral_constantIbLb1EESX_IbLb0EEEEDaST_SU_EUlST_E0_NS1_11comp_targetILNS1_3genE0ELNS1_11target_archE4294967295ELNS1_3gpuE0ELNS1_3repE0EEENS1_30default_config_static_selectorELNS0_4arch9wavefront6targetE0EEEvT1_: ; @_ZN7rocprim17ROCPRIM_400000_NS6detail17trampoline_kernelINS0_14default_configENS1_20scan_config_selectorIN3c108BFloat16EEEZZNS1_9scan_implILNS1_25lookback_scan_determinismE0ELb0ELb0ES3_PKS6_PS6_S6_ZZZN2at6native31launch_logcumsumexp_cuda_kernelERKNSD_10TensorBaseESH_lENKUlvE_clEvENKUlvE4_clEvEUlS6_S6_E_S6_EEDaPvRmT3_T4_T5_mT6_P12ihipStream_tbENKUlT_T0_E_clISt17integral_constantIbLb1EESX_IbLb0EEEEDaST_SU_EUlST_E0_NS1_11comp_targetILNS1_3genE0ELNS1_11target_archE4294967295ELNS1_3gpuE0ELNS1_3repE0EEENS1_30default_config_static_selectorELNS0_4arch9wavefront6targetE0EEEvT1_
; %bb.0:
	.section	.rodata,"a",@progbits
	.p2align	6, 0x0
	.amdhsa_kernel _ZN7rocprim17ROCPRIM_400000_NS6detail17trampoline_kernelINS0_14default_configENS1_20scan_config_selectorIN3c108BFloat16EEEZZNS1_9scan_implILNS1_25lookback_scan_determinismE0ELb0ELb0ES3_PKS6_PS6_S6_ZZZN2at6native31launch_logcumsumexp_cuda_kernelERKNSD_10TensorBaseESH_lENKUlvE_clEvENKUlvE4_clEvEUlS6_S6_E_S6_EEDaPvRmT3_T4_T5_mT6_P12ihipStream_tbENKUlT_T0_E_clISt17integral_constantIbLb1EESX_IbLb0EEEEDaST_SU_EUlST_E0_NS1_11comp_targetILNS1_3genE0ELNS1_11target_archE4294967295ELNS1_3gpuE0ELNS1_3repE0EEENS1_30default_config_static_selectorELNS0_4arch9wavefront6targetE0EEEvT1_
		.amdhsa_group_segment_fixed_size 0
		.amdhsa_private_segment_fixed_size 0
		.amdhsa_kernarg_size 32
		.amdhsa_user_sgpr_count 6
		.amdhsa_user_sgpr_private_segment_buffer 1
		.amdhsa_user_sgpr_dispatch_ptr 0
		.amdhsa_user_sgpr_queue_ptr 0
		.amdhsa_user_sgpr_kernarg_segment_ptr 1
		.amdhsa_user_sgpr_dispatch_id 0
		.amdhsa_user_sgpr_flat_scratch_init 0
		.amdhsa_user_sgpr_private_segment_size 0
		.amdhsa_wavefront_size32 1
		.amdhsa_uses_dynamic_stack 0
		.amdhsa_system_sgpr_private_segment_wavefront_offset 0
		.amdhsa_system_sgpr_workgroup_id_x 1
		.amdhsa_system_sgpr_workgroup_id_y 0
		.amdhsa_system_sgpr_workgroup_id_z 0
		.amdhsa_system_sgpr_workgroup_info 0
		.amdhsa_system_vgpr_workitem_id 0
		.amdhsa_next_free_vgpr 1
		.amdhsa_next_free_sgpr 1
		.amdhsa_reserve_vcc 0
		.amdhsa_reserve_flat_scratch 0
		.amdhsa_float_round_mode_32 0
		.amdhsa_float_round_mode_16_64 0
		.amdhsa_float_denorm_mode_32 3
		.amdhsa_float_denorm_mode_16_64 3
		.amdhsa_dx10_clamp 1
		.amdhsa_ieee_mode 1
		.amdhsa_fp16_overflow 0
		.amdhsa_workgroup_processor_mode 1
		.amdhsa_memory_ordered 1
		.amdhsa_forward_progress 1
		.amdhsa_shared_vgpr_count 0
		.amdhsa_exception_fp_ieee_invalid_op 0
		.amdhsa_exception_fp_denorm_src 0
		.amdhsa_exception_fp_ieee_div_zero 0
		.amdhsa_exception_fp_ieee_overflow 0
		.amdhsa_exception_fp_ieee_underflow 0
		.amdhsa_exception_fp_ieee_inexact 0
		.amdhsa_exception_int_div_zero 0
	.end_amdhsa_kernel
	.section	.text._ZN7rocprim17ROCPRIM_400000_NS6detail17trampoline_kernelINS0_14default_configENS1_20scan_config_selectorIN3c108BFloat16EEEZZNS1_9scan_implILNS1_25lookback_scan_determinismE0ELb0ELb0ES3_PKS6_PS6_S6_ZZZN2at6native31launch_logcumsumexp_cuda_kernelERKNSD_10TensorBaseESH_lENKUlvE_clEvENKUlvE4_clEvEUlS6_S6_E_S6_EEDaPvRmT3_T4_T5_mT6_P12ihipStream_tbENKUlT_T0_E_clISt17integral_constantIbLb1EESX_IbLb0EEEEDaST_SU_EUlST_E0_NS1_11comp_targetILNS1_3genE0ELNS1_11target_archE4294967295ELNS1_3gpuE0ELNS1_3repE0EEENS1_30default_config_static_selectorELNS0_4arch9wavefront6targetE0EEEvT1_,"axG",@progbits,_ZN7rocprim17ROCPRIM_400000_NS6detail17trampoline_kernelINS0_14default_configENS1_20scan_config_selectorIN3c108BFloat16EEEZZNS1_9scan_implILNS1_25lookback_scan_determinismE0ELb0ELb0ES3_PKS6_PS6_S6_ZZZN2at6native31launch_logcumsumexp_cuda_kernelERKNSD_10TensorBaseESH_lENKUlvE_clEvENKUlvE4_clEvEUlS6_S6_E_S6_EEDaPvRmT3_T4_T5_mT6_P12ihipStream_tbENKUlT_T0_E_clISt17integral_constantIbLb1EESX_IbLb0EEEEDaST_SU_EUlST_E0_NS1_11comp_targetILNS1_3genE0ELNS1_11target_archE4294967295ELNS1_3gpuE0ELNS1_3repE0EEENS1_30default_config_static_selectorELNS0_4arch9wavefront6targetE0EEEvT1_,comdat
.Lfunc_end493:
	.size	_ZN7rocprim17ROCPRIM_400000_NS6detail17trampoline_kernelINS0_14default_configENS1_20scan_config_selectorIN3c108BFloat16EEEZZNS1_9scan_implILNS1_25lookback_scan_determinismE0ELb0ELb0ES3_PKS6_PS6_S6_ZZZN2at6native31launch_logcumsumexp_cuda_kernelERKNSD_10TensorBaseESH_lENKUlvE_clEvENKUlvE4_clEvEUlS6_S6_E_S6_EEDaPvRmT3_T4_T5_mT6_P12ihipStream_tbENKUlT_T0_E_clISt17integral_constantIbLb1EESX_IbLb0EEEEDaST_SU_EUlST_E0_NS1_11comp_targetILNS1_3genE0ELNS1_11target_archE4294967295ELNS1_3gpuE0ELNS1_3repE0EEENS1_30default_config_static_selectorELNS0_4arch9wavefront6targetE0EEEvT1_, .Lfunc_end493-_ZN7rocprim17ROCPRIM_400000_NS6detail17trampoline_kernelINS0_14default_configENS1_20scan_config_selectorIN3c108BFloat16EEEZZNS1_9scan_implILNS1_25lookback_scan_determinismE0ELb0ELb0ES3_PKS6_PS6_S6_ZZZN2at6native31launch_logcumsumexp_cuda_kernelERKNSD_10TensorBaseESH_lENKUlvE_clEvENKUlvE4_clEvEUlS6_S6_E_S6_EEDaPvRmT3_T4_T5_mT6_P12ihipStream_tbENKUlT_T0_E_clISt17integral_constantIbLb1EESX_IbLb0EEEEDaST_SU_EUlST_E0_NS1_11comp_targetILNS1_3genE0ELNS1_11target_archE4294967295ELNS1_3gpuE0ELNS1_3repE0EEENS1_30default_config_static_selectorELNS0_4arch9wavefront6targetE0EEEvT1_
                                        ; -- End function
	.set _ZN7rocprim17ROCPRIM_400000_NS6detail17trampoline_kernelINS0_14default_configENS1_20scan_config_selectorIN3c108BFloat16EEEZZNS1_9scan_implILNS1_25lookback_scan_determinismE0ELb0ELb0ES3_PKS6_PS6_S6_ZZZN2at6native31launch_logcumsumexp_cuda_kernelERKNSD_10TensorBaseESH_lENKUlvE_clEvENKUlvE4_clEvEUlS6_S6_E_S6_EEDaPvRmT3_T4_T5_mT6_P12ihipStream_tbENKUlT_T0_E_clISt17integral_constantIbLb1EESX_IbLb0EEEEDaST_SU_EUlST_E0_NS1_11comp_targetILNS1_3genE0ELNS1_11target_archE4294967295ELNS1_3gpuE0ELNS1_3repE0EEENS1_30default_config_static_selectorELNS0_4arch9wavefront6targetE0EEEvT1_.num_vgpr, 0
	.set _ZN7rocprim17ROCPRIM_400000_NS6detail17trampoline_kernelINS0_14default_configENS1_20scan_config_selectorIN3c108BFloat16EEEZZNS1_9scan_implILNS1_25lookback_scan_determinismE0ELb0ELb0ES3_PKS6_PS6_S6_ZZZN2at6native31launch_logcumsumexp_cuda_kernelERKNSD_10TensorBaseESH_lENKUlvE_clEvENKUlvE4_clEvEUlS6_S6_E_S6_EEDaPvRmT3_T4_T5_mT6_P12ihipStream_tbENKUlT_T0_E_clISt17integral_constantIbLb1EESX_IbLb0EEEEDaST_SU_EUlST_E0_NS1_11comp_targetILNS1_3genE0ELNS1_11target_archE4294967295ELNS1_3gpuE0ELNS1_3repE0EEENS1_30default_config_static_selectorELNS0_4arch9wavefront6targetE0EEEvT1_.num_agpr, 0
	.set _ZN7rocprim17ROCPRIM_400000_NS6detail17trampoline_kernelINS0_14default_configENS1_20scan_config_selectorIN3c108BFloat16EEEZZNS1_9scan_implILNS1_25lookback_scan_determinismE0ELb0ELb0ES3_PKS6_PS6_S6_ZZZN2at6native31launch_logcumsumexp_cuda_kernelERKNSD_10TensorBaseESH_lENKUlvE_clEvENKUlvE4_clEvEUlS6_S6_E_S6_EEDaPvRmT3_T4_T5_mT6_P12ihipStream_tbENKUlT_T0_E_clISt17integral_constantIbLb1EESX_IbLb0EEEEDaST_SU_EUlST_E0_NS1_11comp_targetILNS1_3genE0ELNS1_11target_archE4294967295ELNS1_3gpuE0ELNS1_3repE0EEENS1_30default_config_static_selectorELNS0_4arch9wavefront6targetE0EEEvT1_.numbered_sgpr, 0
	.set _ZN7rocprim17ROCPRIM_400000_NS6detail17trampoline_kernelINS0_14default_configENS1_20scan_config_selectorIN3c108BFloat16EEEZZNS1_9scan_implILNS1_25lookback_scan_determinismE0ELb0ELb0ES3_PKS6_PS6_S6_ZZZN2at6native31launch_logcumsumexp_cuda_kernelERKNSD_10TensorBaseESH_lENKUlvE_clEvENKUlvE4_clEvEUlS6_S6_E_S6_EEDaPvRmT3_T4_T5_mT6_P12ihipStream_tbENKUlT_T0_E_clISt17integral_constantIbLb1EESX_IbLb0EEEEDaST_SU_EUlST_E0_NS1_11comp_targetILNS1_3genE0ELNS1_11target_archE4294967295ELNS1_3gpuE0ELNS1_3repE0EEENS1_30default_config_static_selectorELNS0_4arch9wavefront6targetE0EEEvT1_.num_named_barrier, 0
	.set _ZN7rocprim17ROCPRIM_400000_NS6detail17trampoline_kernelINS0_14default_configENS1_20scan_config_selectorIN3c108BFloat16EEEZZNS1_9scan_implILNS1_25lookback_scan_determinismE0ELb0ELb0ES3_PKS6_PS6_S6_ZZZN2at6native31launch_logcumsumexp_cuda_kernelERKNSD_10TensorBaseESH_lENKUlvE_clEvENKUlvE4_clEvEUlS6_S6_E_S6_EEDaPvRmT3_T4_T5_mT6_P12ihipStream_tbENKUlT_T0_E_clISt17integral_constantIbLb1EESX_IbLb0EEEEDaST_SU_EUlST_E0_NS1_11comp_targetILNS1_3genE0ELNS1_11target_archE4294967295ELNS1_3gpuE0ELNS1_3repE0EEENS1_30default_config_static_selectorELNS0_4arch9wavefront6targetE0EEEvT1_.private_seg_size, 0
	.set _ZN7rocprim17ROCPRIM_400000_NS6detail17trampoline_kernelINS0_14default_configENS1_20scan_config_selectorIN3c108BFloat16EEEZZNS1_9scan_implILNS1_25lookback_scan_determinismE0ELb0ELb0ES3_PKS6_PS6_S6_ZZZN2at6native31launch_logcumsumexp_cuda_kernelERKNSD_10TensorBaseESH_lENKUlvE_clEvENKUlvE4_clEvEUlS6_S6_E_S6_EEDaPvRmT3_T4_T5_mT6_P12ihipStream_tbENKUlT_T0_E_clISt17integral_constantIbLb1EESX_IbLb0EEEEDaST_SU_EUlST_E0_NS1_11comp_targetILNS1_3genE0ELNS1_11target_archE4294967295ELNS1_3gpuE0ELNS1_3repE0EEENS1_30default_config_static_selectorELNS0_4arch9wavefront6targetE0EEEvT1_.uses_vcc, 0
	.set _ZN7rocprim17ROCPRIM_400000_NS6detail17trampoline_kernelINS0_14default_configENS1_20scan_config_selectorIN3c108BFloat16EEEZZNS1_9scan_implILNS1_25lookback_scan_determinismE0ELb0ELb0ES3_PKS6_PS6_S6_ZZZN2at6native31launch_logcumsumexp_cuda_kernelERKNSD_10TensorBaseESH_lENKUlvE_clEvENKUlvE4_clEvEUlS6_S6_E_S6_EEDaPvRmT3_T4_T5_mT6_P12ihipStream_tbENKUlT_T0_E_clISt17integral_constantIbLb1EESX_IbLb0EEEEDaST_SU_EUlST_E0_NS1_11comp_targetILNS1_3genE0ELNS1_11target_archE4294967295ELNS1_3gpuE0ELNS1_3repE0EEENS1_30default_config_static_selectorELNS0_4arch9wavefront6targetE0EEEvT1_.uses_flat_scratch, 0
	.set _ZN7rocprim17ROCPRIM_400000_NS6detail17trampoline_kernelINS0_14default_configENS1_20scan_config_selectorIN3c108BFloat16EEEZZNS1_9scan_implILNS1_25lookback_scan_determinismE0ELb0ELb0ES3_PKS6_PS6_S6_ZZZN2at6native31launch_logcumsumexp_cuda_kernelERKNSD_10TensorBaseESH_lENKUlvE_clEvENKUlvE4_clEvEUlS6_S6_E_S6_EEDaPvRmT3_T4_T5_mT6_P12ihipStream_tbENKUlT_T0_E_clISt17integral_constantIbLb1EESX_IbLb0EEEEDaST_SU_EUlST_E0_NS1_11comp_targetILNS1_3genE0ELNS1_11target_archE4294967295ELNS1_3gpuE0ELNS1_3repE0EEENS1_30default_config_static_selectorELNS0_4arch9wavefront6targetE0EEEvT1_.has_dyn_sized_stack, 0
	.set _ZN7rocprim17ROCPRIM_400000_NS6detail17trampoline_kernelINS0_14default_configENS1_20scan_config_selectorIN3c108BFloat16EEEZZNS1_9scan_implILNS1_25lookback_scan_determinismE0ELb0ELb0ES3_PKS6_PS6_S6_ZZZN2at6native31launch_logcumsumexp_cuda_kernelERKNSD_10TensorBaseESH_lENKUlvE_clEvENKUlvE4_clEvEUlS6_S6_E_S6_EEDaPvRmT3_T4_T5_mT6_P12ihipStream_tbENKUlT_T0_E_clISt17integral_constantIbLb1EESX_IbLb0EEEEDaST_SU_EUlST_E0_NS1_11comp_targetILNS1_3genE0ELNS1_11target_archE4294967295ELNS1_3gpuE0ELNS1_3repE0EEENS1_30default_config_static_selectorELNS0_4arch9wavefront6targetE0EEEvT1_.has_recursion, 0
	.set _ZN7rocprim17ROCPRIM_400000_NS6detail17trampoline_kernelINS0_14default_configENS1_20scan_config_selectorIN3c108BFloat16EEEZZNS1_9scan_implILNS1_25lookback_scan_determinismE0ELb0ELb0ES3_PKS6_PS6_S6_ZZZN2at6native31launch_logcumsumexp_cuda_kernelERKNSD_10TensorBaseESH_lENKUlvE_clEvENKUlvE4_clEvEUlS6_S6_E_S6_EEDaPvRmT3_T4_T5_mT6_P12ihipStream_tbENKUlT_T0_E_clISt17integral_constantIbLb1EESX_IbLb0EEEEDaST_SU_EUlST_E0_NS1_11comp_targetILNS1_3genE0ELNS1_11target_archE4294967295ELNS1_3gpuE0ELNS1_3repE0EEENS1_30default_config_static_selectorELNS0_4arch9wavefront6targetE0EEEvT1_.has_indirect_call, 0
	.section	.AMDGPU.csdata,"",@progbits
; Kernel info:
; codeLenInByte = 0
; TotalNumSgprs: 0
; NumVgprs: 0
; ScratchSize: 0
; MemoryBound: 0
; FloatMode: 240
; IeeeMode: 1
; LDSByteSize: 0 bytes/workgroup (compile time only)
; SGPRBlocks: 0
; VGPRBlocks: 0
; NumSGPRsForWavesPerEU: 1
; NumVGPRsForWavesPerEU: 1
; Occupancy: 16
; WaveLimiterHint : 0
; COMPUTE_PGM_RSRC2:SCRATCH_EN: 0
; COMPUTE_PGM_RSRC2:USER_SGPR: 6
; COMPUTE_PGM_RSRC2:TRAP_HANDLER: 0
; COMPUTE_PGM_RSRC2:TGID_X_EN: 1
; COMPUTE_PGM_RSRC2:TGID_Y_EN: 0
; COMPUTE_PGM_RSRC2:TGID_Z_EN: 0
; COMPUTE_PGM_RSRC2:TIDIG_COMP_CNT: 0
	.section	.text._ZN7rocprim17ROCPRIM_400000_NS6detail17trampoline_kernelINS0_14default_configENS1_20scan_config_selectorIN3c108BFloat16EEEZZNS1_9scan_implILNS1_25lookback_scan_determinismE0ELb0ELb0ES3_PKS6_PS6_S6_ZZZN2at6native31launch_logcumsumexp_cuda_kernelERKNSD_10TensorBaseESH_lENKUlvE_clEvENKUlvE4_clEvEUlS6_S6_E_S6_EEDaPvRmT3_T4_T5_mT6_P12ihipStream_tbENKUlT_T0_E_clISt17integral_constantIbLb1EESX_IbLb0EEEEDaST_SU_EUlST_E0_NS1_11comp_targetILNS1_3genE5ELNS1_11target_archE942ELNS1_3gpuE9ELNS1_3repE0EEENS1_30default_config_static_selectorELNS0_4arch9wavefront6targetE0EEEvT1_,"axG",@progbits,_ZN7rocprim17ROCPRIM_400000_NS6detail17trampoline_kernelINS0_14default_configENS1_20scan_config_selectorIN3c108BFloat16EEEZZNS1_9scan_implILNS1_25lookback_scan_determinismE0ELb0ELb0ES3_PKS6_PS6_S6_ZZZN2at6native31launch_logcumsumexp_cuda_kernelERKNSD_10TensorBaseESH_lENKUlvE_clEvENKUlvE4_clEvEUlS6_S6_E_S6_EEDaPvRmT3_T4_T5_mT6_P12ihipStream_tbENKUlT_T0_E_clISt17integral_constantIbLb1EESX_IbLb0EEEEDaST_SU_EUlST_E0_NS1_11comp_targetILNS1_3genE5ELNS1_11target_archE942ELNS1_3gpuE9ELNS1_3repE0EEENS1_30default_config_static_selectorELNS0_4arch9wavefront6targetE0EEEvT1_,comdat
	.globl	_ZN7rocprim17ROCPRIM_400000_NS6detail17trampoline_kernelINS0_14default_configENS1_20scan_config_selectorIN3c108BFloat16EEEZZNS1_9scan_implILNS1_25lookback_scan_determinismE0ELb0ELb0ES3_PKS6_PS6_S6_ZZZN2at6native31launch_logcumsumexp_cuda_kernelERKNSD_10TensorBaseESH_lENKUlvE_clEvENKUlvE4_clEvEUlS6_S6_E_S6_EEDaPvRmT3_T4_T5_mT6_P12ihipStream_tbENKUlT_T0_E_clISt17integral_constantIbLb1EESX_IbLb0EEEEDaST_SU_EUlST_E0_NS1_11comp_targetILNS1_3genE5ELNS1_11target_archE942ELNS1_3gpuE9ELNS1_3repE0EEENS1_30default_config_static_selectorELNS0_4arch9wavefront6targetE0EEEvT1_ ; -- Begin function _ZN7rocprim17ROCPRIM_400000_NS6detail17trampoline_kernelINS0_14default_configENS1_20scan_config_selectorIN3c108BFloat16EEEZZNS1_9scan_implILNS1_25lookback_scan_determinismE0ELb0ELb0ES3_PKS6_PS6_S6_ZZZN2at6native31launch_logcumsumexp_cuda_kernelERKNSD_10TensorBaseESH_lENKUlvE_clEvENKUlvE4_clEvEUlS6_S6_E_S6_EEDaPvRmT3_T4_T5_mT6_P12ihipStream_tbENKUlT_T0_E_clISt17integral_constantIbLb1EESX_IbLb0EEEEDaST_SU_EUlST_E0_NS1_11comp_targetILNS1_3genE5ELNS1_11target_archE942ELNS1_3gpuE9ELNS1_3repE0EEENS1_30default_config_static_selectorELNS0_4arch9wavefront6targetE0EEEvT1_
	.p2align	8
	.type	_ZN7rocprim17ROCPRIM_400000_NS6detail17trampoline_kernelINS0_14default_configENS1_20scan_config_selectorIN3c108BFloat16EEEZZNS1_9scan_implILNS1_25lookback_scan_determinismE0ELb0ELb0ES3_PKS6_PS6_S6_ZZZN2at6native31launch_logcumsumexp_cuda_kernelERKNSD_10TensorBaseESH_lENKUlvE_clEvENKUlvE4_clEvEUlS6_S6_E_S6_EEDaPvRmT3_T4_T5_mT6_P12ihipStream_tbENKUlT_T0_E_clISt17integral_constantIbLb1EESX_IbLb0EEEEDaST_SU_EUlST_E0_NS1_11comp_targetILNS1_3genE5ELNS1_11target_archE942ELNS1_3gpuE9ELNS1_3repE0EEENS1_30default_config_static_selectorELNS0_4arch9wavefront6targetE0EEEvT1_,@function
_ZN7rocprim17ROCPRIM_400000_NS6detail17trampoline_kernelINS0_14default_configENS1_20scan_config_selectorIN3c108BFloat16EEEZZNS1_9scan_implILNS1_25lookback_scan_determinismE0ELb0ELb0ES3_PKS6_PS6_S6_ZZZN2at6native31launch_logcumsumexp_cuda_kernelERKNSD_10TensorBaseESH_lENKUlvE_clEvENKUlvE4_clEvEUlS6_S6_E_S6_EEDaPvRmT3_T4_T5_mT6_P12ihipStream_tbENKUlT_T0_E_clISt17integral_constantIbLb1EESX_IbLb0EEEEDaST_SU_EUlST_E0_NS1_11comp_targetILNS1_3genE5ELNS1_11target_archE942ELNS1_3gpuE9ELNS1_3repE0EEENS1_30default_config_static_selectorELNS0_4arch9wavefront6targetE0EEEvT1_: ; @_ZN7rocprim17ROCPRIM_400000_NS6detail17trampoline_kernelINS0_14default_configENS1_20scan_config_selectorIN3c108BFloat16EEEZZNS1_9scan_implILNS1_25lookback_scan_determinismE0ELb0ELb0ES3_PKS6_PS6_S6_ZZZN2at6native31launch_logcumsumexp_cuda_kernelERKNSD_10TensorBaseESH_lENKUlvE_clEvENKUlvE4_clEvEUlS6_S6_E_S6_EEDaPvRmT3_T4_T5_mT6_P12ihipStream_tbENKUlT_T0_E_clISt17integral_constantIbLb1EESX_IbLb0EEEEDaST_SU_EUlST_E0_NS1_11comp_targetILNS1_3genE5ELNS1_11target_archE942ELNS1_3gpuE9ELNS1_3repE0EEENS1_30default_config_static_selectorELNS0_4arch9wavefront6targetE0EEEvT1_
; %bb.0:
	.section	.rodata,"a",@progbits
	.p2align	6, 0x0
	.amdhsa_kernel _ZN7rocprim17ROCPRIM_400000_NS6detail17trampoline_kernelINS0_14default_configENS1_20scan_config_selectorIN3c108BFloat16EEEZZNS1_9scan_implILNS1_25lookback_scan_determinismE0ELb0ELb0ES3_PKS6_PS6_S6_ZZZN2at6native31launch_logcumsumexp_cuda_kernelERKNSD_10TensorBaseESH_lENKUlvE_clEvENKUlvE4_clEvEUlS6_S6_E_S6_EEDaPvRmT3_T4_T5_mT6_P12ihipStream_tbENKUlT_T0_E_clISt17integral_constantIbLb1EESX_IbLb0EEEEDaST_SU_EUlST_E0_NS1_11comp_targetILNS1_3genE5ELNS1_11target_archE942ELNS1_3gpuE9ELNS1_3repE0EEENS1_30default_config_static_selectorELNS0_4arch9wavefront6targetE0EEEvT1_
		.amdhsa_group_segment_fixed_size 0
		.amdhsa_private_segment_fixed_size 0
		.amdhsa_kernarg_size 32
		.amdhsa_user_sgpr_count 6
		.amdhsa_user_sgpr_private_segment_buffer 1
		.amdhsa_user_sgpr_dispatch_ptr 0
		.amdhsa_user_sgpr_queue_ptr 0
		.amdhsa_user_sgpr_kernarg_segment_ptr 1
		.amdhsa_user_sgpr_dispatch_id 0
		.amdhsa_user_sgpr_flat_scratch_init 0
		.amdhsa_user_sgpr_private_segment_size 0
		.amdhsa_wavefront_size32 1
		.amdhsa_uses_dynamic_stack 0
		.amdhsa_system_sgpr_private_segment_wavefront_offset 0
		.amdhsa_system_sgpr_workgroup_id_x 1
		.amdhsa_system_sgpr_workgroup_id_y 0
		.amdhsa_system_sgpr_workgroup_id_z 0
		.amdhsa_system_sgpr_workgroup_info 0
		.amdhsa_system_vgpr_workitem_id 0
		.amdhsa_next_free_vgpr 1
		.amdhsa_next_free_sgpr 1
		.amdhsa_reserve_vcc 0
		.amdhsa_reserve_flat_scratch 0
		.amdhsa_float_round_mode_32 0
		.amdhsa_float_round_mode_16_64 0
		.amdhsa_float_denorm_mode_32 3
		.amdhsa_float_denorm_mode_16_64 3
		.amdhsa_dx10_clamp 1
		.amdhsa_ieee_mode 1
		.amdhsa_fp16_overflow 0
		.amdhsa_workgroup_processor_mode 1
		.amdhsa_memory_ordered 1
		.amdhsa_forward_progress 1
		.amdhsa_shared_vgpr_count 0
		.amdhsa_exception_fp_ieee_invalid_op 0
		.amdhsa_exception_fp_denorm_src 0
		.amdhsa_exception_fp_ieee_div_zero 0
		.amdhsa_exception_fp_ieee_overflow 0
		.amdhsa_exception_fp_ieee_underflow 0
		.amdhsa_exception_fp_ieee_inexact 0
		.amdhsa_exception_int_div_zero 0
	.end_amdhsa_kernel
	.section	.text._ZN7rocprim17ROCPRIM_400000_NS6detail17trampoline_kernelINS0_14default_configENS1_20scan_config_selectorIN3c108BFloat16EEEZZNS1_9scan_implILNS1_25lookback_scan_determinismE0ELb0ELb0ES3_PKS6_PS6_S6_ZZZN2at6native31launch_logcumsumexp_cuda_kernelERKNSD_10TensorBaseESH_lENKUlvE_clEvENKUlvE4_clEvEUlS6_S6_E_S6_EEDaPvRmT3_T4_T5_mT6_P12ihipStream_tbENKUlT_T0_E_clISt17integral_constantIbLb1EESX_IbLb0EEEEDaST_SU_EUlST_E0_NS1_11comp_targetILNS1_3genE5ELNS1_11target_archE942ELNS1_3gpuE9ELNS1_3repE0EEENS1_30default_config_static_selectorELNS0_4arch9wavefront6targetE0EEEvT1_,"axG",@progbits,_ZN7rocprim17ROCPRIM_400000_NS6detail17trampoline_kernelINS0_14default_configENS1_20scan_config_selectorIN3c108BFloat16EEEZZNS1_9scan_implILNS1_25lookback_scan_determinismE0ELb0ELb0ES3_PKS6_PS6_S6_ZZZN2at6native31launch_logcumsumexp_cuda_kernelERKNSD_10TensorBaseESH_lENKUlvE_clEvENKUlvE4_clEvEUlS6_S6_E_S6_EEDaPvRmT3_T4_T5_mT6_P12ihipStream_tbENKUlT_T0_E_clISt17integral_constantIbLb1EESX_IbLb0EEEEDaST_SU_EUlST_E0_NS1_11comp_targetILNS1_3genE5ELNS1_11target_archE942ELNS1_3gpuE9ELNS1_3repE0EEENS1_30default_config_static_selectorELNS0_4arch9wavefront6targetE0EEEvT1_,comdat
.Lfunc_end494:
	.size	_ZN7rocprim17ROCPRIM_400000_NS6detail17trampoline_kernelINS0_14default_configENS1_20scan_config_selectorIN3c108BFloat16EEEZZNS1_9scan_implILNS1_25lookback_scan_determinismE0ELb0ELb0ES3_PKS6_PS6_S6_ZZZN2at6native31launch_logcumsumexp_cuda_kernelERKNSD_10TensorBaseESH_lENKUlvE_clEvENKUlvE4_clEvEUlS6_S6_E_S6_EEDaPvRmT3_T4_T5_mT6_P12ihipStream_tbENKUlT_T0_E_clISt17integral_constantIbLb1EESX_IbLb0EEEEDaST_SU_EUlST_E0_NS1_11comp_targetILNS1_3genE5ELNS1_11target_archE942ELNS1_3gpuE9ELNS1_3repE0EEENS1_30default_config_static_selectorELNS0_4arch9wavefront6targetE0EEEvT1_, .Lfunc_end494-_ZN7rocprim17ROCPRIM_400000_NS6detail17trampoline_kernelINS0_14default_configENS1_20scan_config_selectorIN3c108BFloat16EEEZZNS1_9scan_implILNS1_25lookback_scan_determinismE0ELb0ELb0ES3_PKS6_PS6_S6_ZZZN2at6native31launch_logcumsumexp_cuda_kernelERKNSD_10TensorBaseESH_lENKUlvE_clEvENKUlvE4_clEvEUlS6_S6_E_S6_EEDaPvRmT3_T4_T5_mT6_P12ihipStream_tbENKUlT_T0_E_clISt17integral_constantIbLb1EESX_IbLb0EEEEDaST_SU_EUlST_E0_NS1_11comp_targetILNS1_3genE5ELNS1_11target_archE942ELNS1_3gpuE9ELNS1_3repE0EEENS1_30default_config_static_selectorELNS0_4arch9wavefront6targetE0EEEvT1_
                                        ; -- End function
	.set _ZN7rocprim17ROCPRIM_400000_NS6detail17trampoline_kernelINS0_14default_configENS1_20scan_config_selectorIN3c108BFloat16EEEZZNS1_9scan_implILNS1_25lookback_scan_determinismE0ELb0ELb0ES3_PKS6_PS6_S6_ZZZN2at6native31launch_logcumsumexp_cuda_kernelERKNSD_10TensorBaseESH_lENKUlvE_clEvENKUlvE4_clEvEUlS6_S6_E_S6_EEDaPvRmT3_T4_T5_mT6_P12ihipStream_tbENKUlT_T0_E_clISt17integral_constantIbLb1EESX_IbLb0EEEEDaST_SU_EUlST_E0_NS1_11comp_targetILNS1_3genE5ELNS1_11target_archE942ELNS1_3gpuE9ELNS1_3repE0EEENS1_30default_config_static_selectorELNS0_4arch9wavefront6targetE0EEEvT1_.num_vgpr, 0
	.set _ZN7rocprim17ROCPRIM_400000_NS6detail17trampoline_kernelINS0_14default_configENS1_20scan_config_selectorIN3c108BFloat16EEEZZNS1_9scan_implILNS1_25lookback_scan_determinismE0ELb0ELb0ES3_PKS6_PS6_S6_ZZZN2at6native31launch_logcumsumexp_cuda_kernelERKNSD_10TensorBaseESH_lENKUlvE_clEvENKUlvE4_clEvEUlS6_S6_E_S6_EEDaPvRmT3_T4_T5_mT6_P12ihipStream_tbENKUlT_T0_E_clISt17integral_constantIbLb1EESX_IbLb0EEEEDaST_SU_EUlST_E0_NS1_11comp_targetILNS1_3genE5ELNS1_11target_archE942ELNS1_3gpuE9ELNS1_3repE0EEENS1_30default_config_static_selectorELNS0_4arch9wavefront6targetE0EEEvT1_.num_agpr, 0
	.set _ZN7rocprim17ROCPRIM_400000_NS6detail17trampoline_kernelINS0_14default_configENS1_20scan_config_selectorIN3c108BFloat16EEEZZNS1_9scan_implILNS1_25lookback_scan_determinismE0ELb0ELb0ES3_PKS6_PS6_S6_ZZZN2at6native31launch_logcumsumexp_cuda_kernelERKNSD_10TensorBaseESH_lENKUlvE_clEvENKUlvE4_clEvEUlS6_S6_E_S6_EEDaPvRmT3_T4_T5_mT6_P12ihipStream_tbENKUlT_T0_E_clISt17integral_constantIbLb1EESX_IbLb0EEEEDaST_SU_EUlST_E0_NS1_11comp_targetILNS1_3genE5ELNS1_11target_archE942ELNS1_3gpuE9ELNS1_3repE0EEENS1_30default_config_static_selectorELNS0_4arch9wavefront6targetE0EEEvT1_.numbered_sgpr, 0
	.set _ZN7rocprim17ROCPRIM_400000_NS6detail17trampoline_kernelINS0_14default_configENS1_20scan_config_selectorIN3c108BFloat16EEEZZNS1_9scan_implILNS1_25lookback_scan_determinismE0ELb0ELb0ES3_PKS6_PS6_S6_ZZZN2at6native31launch_logcumsumexp_cuda_kernelERKNSD_10TensorBaseESH_lENKUlvE_clEvENKUlvE4_clEvEUlS6_S6_E_S6_EEDaPvRmT3_T4_T5_mT6_P12ihipStream_tbENKUlT_T0_E_clISt17integral_constantIbLb1EESX_IbLb0EEEEDaST_SU_EUlST_E0_NS1_11comp_targetILNS1_3genE5ELNS1_11target_archE942ELNS1_3gpuE9ELNS1_3repE0EEENS1_30default_config_static_selectorELNS0_4arch9wavefront6targetE0EEEvT1_.num_named_barrier, 0
	.set _ZN7rocprim17ROCPRIM_400000_NS6detail17trampoline_kernelINS0_14default_configENS1_20scan_config_selectorIN3c108BFloat16EEEZZNS1_9scan_implILNS1_25lookback_scan_determinismE0ELb0ELb0ES3_PKS6_PS6_S6_ZZZN2at6native31launch_logcumsumexp_cuda_kernelERKNSD_10TensorBaseESH_lENKUlvE_clEvENKUlvE4_clEvEUlS6_S6_E_S6_EEDaPvRmT3_T4_T5_mT6_P12ihipStream_tbENKUlT_T0_E_clISt17integral_constantIbLb1EESX_IbLb0EEEEDaST_SU_EUlST_E0_NS1_11comp_targetILNS1_3genE5ELNS1_11target_archE942ELNS1_3gpuE9ELNS1_3repE0EEENS1_30default_config_static_selectorELNS0_4arch9wavefront6targetE0EEEvT1_.private_seg_size, 0
	.set _ZN7rocprim17ROCPRIM_400000_NS6detail17trampoline_kernelINS0_14default_configENS1_20scan_config_selectorIN3c108BFloat16EEEZZNS1_9scan_implILNS1_25lookback_scan_determinismE0ELb0ELb0ES3_PKS6_PS6_S6_ZZZN2at6native31launch_logcumsumexp_cuda_kernelERKNSD_10TensorBaseESH_lENKUlvE_clEvENKUlvE4_clEvEUlS6_S6_E_S6_EEDaPvRmT3_T4_T5_mT6_P12ihipStream_tbENKUlT_T0_E_clISt17integral_constantIbLb1EESX_IbLb0EEEEDaST_SU_EUlST_E0_NS1_11comp_targetILNS1_3genE5ELNS1_11target_archE942ELNS1_3gpuE9ELNS1_3repE0EEENS1_30default_config_static_selectorELNS0_4arch9wavefront6targetE0EEEvT1_.uses_vcc, 0
	.set _ZN7rocprim17ROCPRIM_400000_NS6detail17trampoline_kernelINS0_14default_configENS1_20scan_config_selectorIN3c108BFloat16EEEZZNS1_9scan_implILNS1_25lookback_scan_determinismE0ELb0ELb0ES3_PKS6_PS6_S6_ZZZN2at6native31launch_logcumsumexp_cuda_kernelERKNSD_10TensorBaseESH_lENKUlvE_clEvENKUlvE4_clEvEUlS6_S6_E_S6_EEDaPvRmT3_T4_T5_mT6_P12ihipStream_tbENKUlT_T0_E_clISt17integral_constantIbLb1EESX_IbLb0EEEEDaST_SU_EUlST_E0_NS1_11comp_targetILNS1_3genE5ELNS1_11target_archE942ELNS1_3gpuE9ELNS1_3repE0EEENS1_30default_config_static_selectorELNS0_4arch9wavefront6targetE0EEEvT1_.uses_flat_scratch, 0
	.set _ZN7rocprim17ROCPRIM_400000_NS6detail17trampoline_kernelINS0_14default_configENS1_20scan_config_selectorIN3c108BFloat16EEEZZNS1_9scan_implILNS1_25lookback_scan_determinismE0ELb0ELb0ES3_PKS6_PS6_S6_ZZZN2at6native31launch_logcumsumexp_cuda_kernelERKNSD_10TensorBaseESH_lENKUlvE_clEvENKUlvE4_clEvEUlS6_S6_E_S6_EEDaPvRmT3_T4_T5_mT6_P12ihipStream_tbENKUlT_T0_E_clISt17integral_constantIbLb1EESX_IbLb0EEEEDaST_SU_EUlST_E0_NS1_11comp_targetILNS1_3genE5ELNS1_11target_archE942ELNS1_3gpuE9ELNS1_3repE0EEENS1_30default_config_static_selectorELNS0_4arch9wavefront6targetE0EEEvT1_.has_dyn_sized_stack, 0
	.set _ZN7rocprim17ROCPRIM_400000_NS6detail17trampoline_kernelINS0_14default_configENS1_20scan_config_selectorIN3c108BFloat16EEEZZNS1_9scan_implILNS1_25lookback_scan_determinismE0ELb0ELb0ES3_PKS6_PS6_S6_ZZZN2at6native31launch_logcumsumexp_cuda_kernelERKNSD_10TensorBaseESH_lENKUlvE_clEvENKUlvE4_clEvEUlS6_S6_E_S6_EEDaPvRmT3_T4_T5_mT6_P12ihipStream_tbENKUlT_T0_E_clISt17integral_constantIbLb1EESX_IbLb0EEEEDaST_SU_EUlST_E0_NS1_11comp_targetILNS1_3genE5ELNS1_11target_archE942ELNS1_3gpuE9ELNS1_3repE0EEENS1_30default_config_static_selectorELNS0_4arch9wavefront6targetE0EEEvT1_.has_recursion, 0
	.set _ZN7rocprim17ROCPRIM_400000_NS6detail17trampoline_kernelINS0_14default_configENS1_20scan_config_selectorIN3c108BFloat16EEEZZNS1_9scan_implILNS1_25lookback_scan_determinismE0ELb0ELb0ES3_PKS6_PS6_S6_ZZZN2at6native31launch_logcumsumexp_cuda_kernelERKNSD_10TensorBaseESH_lENKUlvE_clEvENKUlvE4_clEvEUlS6_S6_E_S6_EEDaPvRmT3_T4_T5_mT6_P12ihipStream_tbENKUlT_T0_E_clISt17integral_constantIbLb1EESX_IbLb0EEEEDaST_SU_EUlST_E0_NS1_11comp_targetILNS1_3genE5ELNS1_11target_archE942ELNS1_3gpuE9ELNS1_3repE0EEENS1_30default_config_static_selectorELNS0_4arch9wavefront6targetE0EEEvT1_.has_indirect_call, 0
	.section	.AMDGPU.csdata,"",@progbits
; Kernel info:
; codeLenInByte = 0
; TotalNumSgprs: 0
; NumVgprs: 0
; ScratchSize: 0
; MemoryBound: 0
; FloatMode: 240
; IeeeMode: 1
; LDSByteSize: 0 bytes/workgroup (compile time only)
; SGPRBlocks: 0
; VGPRBlocks: 0
; NumSGPRsForWavesPerEU: 1
; NumVGPRsForWavesPerEU: 1
; Occupancy: 16
; WaveLimiterHint : 0
; COMPUTE_PGM_RSRC2:SCRATCH_EN: 0
; COMPUTE_PGM_RSRC2:USER_SGPR: 6
; COMPUTE_PGM_RSRC2:TRAP_HANDLER: 0
; COMPUTE_PGM_RSRC2:TGID_X_EN: 1
; COMPUTE_PGM_RSRC2:TGID_Y_EN: 0
; COMPUTE_PGM_RSRC2:TGID_Z_EN: 0
; COMPUTE_PGM_RSRC2:TIDIG_COMP_CNT: 0
	.section	.text._ZN7rocprim17ROCPRIM_400000_NS6detail17trampoline_kernelINS0_14default_configENS1_20scan_config_selectorIN3c108BFloat16EEEZZNS1_9scan_implILNS1_25lookback_scan_determinismE0ELb0ELb0ES3_PKS6_PS6_S6_ZZZN2at6native31launch_logcumsumexp_cuda_kernelERKNSD_10TensorBaseESH_lENKUlvE_clEvENKUlvE4_clEvEUlS6_S6_E_S6_EEDaPvRmT3_T4_T5_mT6_P12ihipStream_tbENKUlT_T0_E_clISt17integral_constantIbLb1EESX_IbLb0EEEEDaST_SU_EUlST_E0_NS1_11comp_targetILNS1_3genE4ELNS1_11target_archE910ELNS1_3gpuE8ELNS1_3repE0EEENS1_30default_config_static_selectorELNS0_4arch9wavefront6targetE0EEEvT1_,"axG",@progbits,_ZN7rocprim17ROCPRIM_400000_NS6detail17trampoline_kernelINS0_14default_configENS1_20scan_config_selectorIN3c108BFloat16EEEZZNS1_9scan_implILNS1_25lookback_scan_determinismE0ELb0ELb0ES3_PKS6_PS6_S6_ZZZN2at6native31launch_logcumsumexp_cuda_kernelERKNSD_10TensorBaseESH_lENKUlvE_clEvENKUlvE4_clEvEUlS6_S6_E_S6_EEDaPvRmT3_T4_T5_mT6_P12ihipStream_tbENKUlT_T0_E_clISt17integral_constantIbLb1EESX_IbLb0EEEEDaST_SU_EUlST_E0_NS1_11comp_targetILNS1_3genE4ELNS1_11target_archE910ELNS1_3gpuE8ELNS1_3repE0EEENS1_30default_config_static_selectorELNS0_4arch9wavefront6targetE0EEEvT1_,comdat
	.globl	_ZN7rocprim17ROCPRIM_400000_NS6detail17trampoline_kernelINS0_14default_configENS1_20scan_config_selectorIN3c108BFloat16EEEZZNS1_9scan_implILNS1_25lookback_scan_determinismE0ELb0ELb0ES3_PKS6_PS6_S6_ZZZN2at6native31launch_logcumsumexp_cuda_kernelERKNSD_10TensorBaseESH_lENKUlvE_clEvENKUlvE4_clEvEUlS6_S6_E_S6_EEDaPvRmT3_T4_T5_mT6_P12ihipStream_tbENKUlT_T0_E_clISt17integral_constantIbLb1EESX_IbLb0EEEEDaST_SU_EUlST_E0_NS1_11comp_targetILNS1_3genE4ELNS1_11target_archE910ELNS1_3gpuE8ELNS1_3repE0EEENS1_30default_config_static_selectorELNS0_4arch9wavefront6targetE0EEEvT1_ ; -- Begin function _ZN7rocprim17ROCPRIM_400000_NS6detail17trampoline_kernelINS0_14default_configENS1_20scan_config_selectorIN3c108BFloat16EEEZZNS1_9scan_implILNS1_25lookback_scan_determinismE0ELb0ELb0ES3_PKS6_PS6_S6_ZZZN2at6native31launch_logcumsumexp_cuda_kernelERKNSD_10TensorBaseESH_lENKUlvE_clEvENKUlvE4_clEvEUlS6_S6_E_S6_EEDaPvRmT3_T4_T5_mT6_P12ihipStream_tbENKUlT_T0_E_clISt17integral_constantIbLb1EESX_IbLb0EEEEDaST_SU_EUlST_E0_NS1_11comp_targetILNS1_3genE4ELNS1_11target_archE910ELNS1_3gpuE8ELNS1_3repE0EEENS1_30default_config_static_selectorELNS0_4arch9wavefront6targetE0EEEvT1_
	.p2align	8
	.type	_ZN7rocprim17ROCPRIM_400000_NS6detail17trampoline_kernelINS0_14default_configENS1_20scan_config_selectorIN3c108BFloat16EEEZZNS1_9scan_implILNS1_25lookback_scan_determinismE0ELb0ELb0ES3_PKS6_PS6_S6_ZZZN2at6native31launch_logcumsumexp_cuda_kernelERKNSD_10TensorBaseESH_lENKUlvE_clEvENKUlvE4_clEvEUlS6_S6_E_S6_EEDaPvRmT3_T4_T5_mT6_P12ihipStream_tbENKUlT_T0_E_clISt17integral_constantIbLb1EESX_IbLb0EEEEDaST_SU_EUlST_E0_NS1_11comp_targetILNS1_3genE4ELNS1_11target_archE910ELNS1_3gpuE8ELNS1_3repE0EEENS1_30default_config_static_selectorELNS0_4arch9wavefront6targetE0EEEvT1_,@function
_ZN7rocprim17ROCPRIM_400000_NS6detail17trampoline_kernelINS0_14default_configENS1_20scan_config_selectorIN3c108BFloat16EEEZZNS1_9scan_implILNS1_25lookback_scan_determinismE0ELb0ELb0ES3_PKS6_PS6_S6_ZZZN2at6native31launch_logcumsumexp_cuda_kernelERKNSD_10TensorBaseESH_lENKUlvE_clEvENKUlvE4_clEvEUlS6_S6_E_S6_EEDaPvRmT3_T4_T5_mT6_P12ihipStream_tbENKUlT_T0_E_clISt17integral_constantIbLb1EESX_IbLb0EEEEDaST_SU_EUlST_E0_NS1_11comp_targetILNS1_3genE4ELNS1_11target_archE910ELNS1_3gpuE8ELNS1_3repE0EEENS1_30default_config_static_selectorELNS0_4arch9wavefront6targetE0EEEvT1_: ; @_ZN7rocprim17ROCPRIM_400000_NS6detail17trampoline_kernelINS0_14default_configENS1_20scan_config_selectorIN3c108BFloat16EEEZZNS1_9scan_implILNS1_25lookback_scan_determinismE0ELb0ELb0ES3_PKS6_PS6_S6_ZZZN2at6native31launch_logcumsumexp_cuda_kernelERKNSD_10TensorBaseESH_lENKUlvE_clEvENKUlvE4_clEvEUlS6_S6_E_S6_EEDaPvRmT3_T4_T5_mT6_P12ihipStream_tbENKUlT_T0_E_clISt17integral_constantIbLb1EESX_IbLb0EEEEDaST_SU_EUlST_E0_NS1_11comp_targetILNS1_3genE4ELNS1_11target_archE910ELNS1_3gpuE8ELNS1_3repE0EEENS1_30default_config_static_selectorELNS0_4arch9wavefront6targetE0EEEvT1_
; %bb.0:
	.section	.rodata,"a",@progbits
	.p2align	6, 0x0
	.amdhsa_kernel _ZN7rocprim17ROCPRIM_400000_NS6detail17trampoline_kernelINS0_14default_configENS1_20scan_config_selectorIN3c108BFloat16EEEZZNS1_9scan_implILNS1_25lookback_scan_determinismE0ELb0ELb0ES3_PKS6_PS6_S6_ZZZN2at6native31launch_logcumsumexp_cuda_kernelERKNSD_10TensorBaseESH_lENKUlvE_clEvENKUlvE4_clEvEUlS6_S6_E_S6_EEDaPvRmT3_T4_T5_mT6_P12ihipStream_tbENKUlT_T0_E_clISt17integral_constantIbLb1EESX_IbLb0EEEEDaST_SU_EUlST_E0_NS1_11comp_targetILNS1_3genE4ELNS1_11target_archE910ELNS1_3gpuE8ELNS1_3repE0EEENS1_30default_config_static_selectorELNS0_4arch9wavefront6targetE0EEEvT1_
		.amdhsa_group_segment_fixed_size 0
		.amdhsa_private_segment_fixed_size 0
		.amdhsa_kernarg_size 32
		.amdhsa_user_sgpr_count 6
		.amdhsa_user_sgpr_private_segment_buffer 1
		.amdhsa_user_sgpr_dispatch_ptr 0
		.amdhsa_user_sgpr_queue_ptr 0
		.amdhsa_user_sgpr_kernarg_segment_ptr 1
		.amdhsa_user_sgpr_dispatch_id 0
		.amdhsa_user_sgpr_flat_scratch_init 0
		.amdhsa_user_sgpr_private_segment_size 0
		.amdhsa_wavefront_size32 1
		.amdhsa_uses_dynamic_stack 0
		.amdhsa_system_sgpr_private_segment_wavefront_offset 0
		.amdhsa_system_sgpr_workgroup_id_x 1
		.amdhsa_system_sgpr_workgroup_id_y 0
		.amdhsa_system_sgpr_workgroup_id_z 0
		.amdhsa_system_sgpr_workgroup_info 0
		.amdhsa_system_vgpr_workitem_id 0
		.amdhsa_next_free_vgpr 1
		.amdhsa_next_free_sgpr 1
		.amdhsa_reserve_vcc 0
		.amdhsa_reserve_flat_scratch 0
		.amdhsa_float_round_mode_32 0
		.amdhsa_float_round_mode_16_64 0
		.amdhsa_float_denorm_mode_32 3
		.amdhsa_float_denorm_mode_16_64 3
		.amdhsa_dx10_clamp 1
		.amdhsa_ieee_mode 1
		.amdhsa_fp16_overflow 0
		.amdhsa_workgroup_processor_mode 1
		.amdhsa_memory_ordered 1
		.amdhsa_forward_progress 1
		.amdhsa_shared_vgpr_count 0
		.amdhsa_exception_fp_ieee_invalid_op 0
		.amdhsa_exception_fp_denorm_src 0
		.amdhsa_exception_fp_ieee_div_zero 0
		.amdhsa_exception_fp_ieee_overflow 0
		.amdhsa_exception_fp_ieee_underflow 0
		.amdhsa_exception_fp_ieee_inexact 0
		.amdhsa_exception_int_div_zero 0
	.end_amdhsa_kernel
	.section	.text._ZN7rocprim17ROCPRIM_400000_NS6detail17trampoline_kernelINS0_14default_configENS1_20scan_config_selectorIN3c108BFloat16EEEZZNS1_9scan_implILNS1_25lookback_scan_determinismE0ELb0ELb0ES3_PKS6_PS6_S6_ZZZN2at6native31launch_logcumsumexp_cuda_kernelERKNSD_10TensorBaseESH_lENKUlvE_clEvENKUlvE4_clEvEUlS6_S6_E_S6_EEDaPvRmT3_T4_T5_mT6_P12ihipStream_tbENKUlT_T0_E_clISt17integral_constantIbLb1EESX_IbLb0EEEEDaST_SU_EUlST_E0_NS1_11comp_targetILNS1_3genE4ELNS1_11target_archE910ELNS1_3gpuE8ELNS1_3repE0EEENS1_30default_config_static_selectorELNS0_4arch9wavefront6targetE0EEEvT1_,"axG",@progbits,_ZN7rocprim17ROCPRIM_400000_NS6detail17trampoline_kernelINS0_14default_configENS1_20scan_config_selectorIN3c108BFloat16EEEZZNS1_9scan_implILNS1_25lookback_scan_determinismE0ELb0ELb0ES3_PKS6_PS6_S6_ZZZN2at6native31launch_logcumsumexp_cuda_kernelERKNSD_10TensorBaseESH_lENKUlvE_clEvENKUlvE4_clEvEUlS6_S6_E_S6_EEDaPvRmT3_T4_T5_mT6_P12ihipStream_tbENKUlT_T0_E_clISt17integral_constantIbLb1EESX_IbLb0EEEEDaST_SU_EUlST_E0_NS1_11comp_targetILNS1_3genE4ELNS1_11target_archE910ELNS1_3gpuE8ELNS1_3repE0EEENS1_30default_config_static_selectorELNS0_4arch9wavefront6targetE0EEEvT1_,comdat
.Lfunc_end495:
	.size	_ZN7rocprim17ROCPRIM_400000_NS6detail17trampoline_kernelINS0_14default_configENS1_20scan_config_selectorIN3c108BFloat16EEEZZNS1_9scan_implILNS1_25lookback_scan_determinismE0ELb0ELb0ES3_PKS6_PS6_S6_ZZZN2at6native31launch_logcumsumexp_cuda_kernelERKNSD_10TensorBaseESH_lENKUlvE_clEvENKUlvE4_clEvEUlS6_S6_E_S6_EEDaPvRmT3_T4_T5_mT6_P12ihipStream_tbENKUlT_T0_E_clISt17integral_constantIbLb1EESX_IbLb0EEEEDaST_SU_EUlST_E0_NS1_11comp_targetILNS1_3genE4ELNS1_11target_archE910ELNS1_3gpuE8ELNS1_3repE0EEENS1_30default_config_static_selectorELNS0_4arch9wavefront6targetE0EEEvT1_, .Lfunc_end495-_ZN7rocprim17ROCPRIM_400000_NS6detail17trampoline_kernelINS0_14default_configENS1_20scan_config_selectorIN3c108BFloat16EEEZZNS1_9scan_implILNS1_25lookback_scan_determinismE0ELb0ELb0ES3_PKS6_PS6_S6_ZZZN2at6native31launch_logcumsumexp_cuda_kernelERKNSD_10TensorBaseESH_lENKUlvE_clEvENKUlvE4_clEvEUlS6_S6_E_S6_EEDaPvRmT3_T4_T5_mT6_P12ihipStream_tbENKUlT_T0_E_clISt17integral_constantIbLb1EESX_IbLb0EEEEDaST_SU_EUlST_E0_NS1_11comp_targetILNS1_3genE4ELNS1_11target_archE910ELNS1_3gpuE8ELNS1_3repE0EEENS1_30default_config_static_selectorELNS0_4arch9wavefront6targetE0EEEvT1_
                                        ; -- End function
	.set _ZN7rocprim17ROCPRIM_400000_NS6detail17trampoline_kernelINS0_14default_configENS1_20scan_config_selectorIN3c108BFloat16EEEZZNS1_9scan_implILNS1_25lookback_scan_determinismE0ELb0ELb0ES3_PKS6_PS6_S6_ZZZN2at6native31launch_logcumsumexp_cuda_kernelERKNSD_10TensorBaseESH_lENKUlvE_clEvENKUlvE4_clEvEUlS6_S6_E_S6_EEDaPvRmT3_T4_T5_mT6_P12ihipStream_tbENKUlT_T0_E_clISt17integral_constantIbLb1EESX_IbLb0EEEEDaST_SU_EUlST_E0_NS1_11comp_targetILNS1_3genE4ELNS1_11target_archE910ELNS1_3gpuE8ELNS1_3repE0EEENS1_30default_config_static_selectorELNS0_4arch9wavefront6targetE0EEEvT1_.num_vgpr, 0
	.set _ZN7rocprim17ROCPRIM_400000_NS6detail17trampoline_kernelINS0_14default_configENS1_20scan_config_selectorIN3c108BFloat16EEEZZNS1_9scan_implILNS1_25lookback_scan_determinismE0ELb0ELb0ES3_PKS6_PS6_S6_ZZZN2at6native31launch_logcumsumexp_cuda_kernelERKNSD_10TensorBaseESH_lENKUlvE_clEvENKUlvE4_clEvEUlS6_S6_E_S6_EEDaPvRmT3_T4_T5_mT6_P12ihipStream_tbENKUlT_T0_E_clISt17integral_constantIbLb1EESX_IbLb0EEEEDaST_SU_EUlST_E0_NS1_11comp_targetILNS1_3genE4ELNS1_11target_archE910ELNS1_3gpuE8ELNS1_3repE0EEENS1_30default_config_static_selectorELNS0_4arch9wavefront6targetE0EEEvT1_.num_agpr, 0
	.set _ZN7rocprim17ROCPRIM_400000_NS6detail17trampoline_kernelINS0_14default_configENS1_20scan_config_selectorIN3c108BFloat16EEEZZNS1_9scan_implILNS1_25lookback_scan_determinismE0ELb0ELb0ES3_PKS6_PS6_S6_ZZZN2at6native31launch_logcumsumexp_cuda_kernelERKNSD_10TensorBaseESH_lENKUlvE_clEvENKUlvE4_clEvEUlS6_S6_E_S6_EEDaPvRmT3_T4_T5_mT6_P12ihipStream_tbENKUlT_T0_E_clISt17integral_constantIbLb1EESX_IbLb0EEEEDaST_SU_EUlST_E0_NS1_11comp_targetILNS1_3genE4ELNS1_11target_archE910ELNS1_3gpuE8ELNS1_3repE0EEENS1_30default_config_static_selectorELNS0_4arch9wavefront6targetE0EEEvT1_.numbered_sgpr, 0
	.set _ZN7rocprim17ROCPRIM_400000_NS6detail17trampoline_kernelINS0_14default_configENS1_20scan_config_selectorIN3c108BFloat16EEEZZNS1_9scan_implILNS1_25lookback_scan_determinismE0ELb0ELb0ES3_PKS6_PS6_S6_ZZZN2at6native31launch_logcumsumexp_cuda_kernelERKNSD_10TensorBaseESH_lENKUlvE_clEvENKUlvE4_clEvEUlS6_S6_E_S6_EEDaPvRmT3_T4_T5_mT6_P12ihipStream_tbENKUlT_T0_E_clISt17integral_constantIbLb1EESX_IbLb0EEEEDaST_SU_EUlST_E0_NS1_11comp_targetILNS1_3genE4ELNS1_11target_archE910ELNS1_3gpuE8ELNS1_3repE0EEENS1_30default_config_static_selectorELNS0_4arch9wavefront6targetE0EEEvT1_.num_named_barrier, 0
	.set _ZN7rocprim17ROCPRIM_400000_NS6detail17trampoline_kernelINS0_14default_configENS1_20scan_config_selectorIN3c108BFloat16EEEZZNS1_9scan_implILNS1_25lookback_scan_determinismE0ELb0ELb0ES3_PKS6_PS6_S6_ZZZN2at6native31launch_logcumsumexp_cuda_kernelERKNSD_10TensorBaseESH_lENKUlvE_clEvENKUlvE4_clEvEUlS6_S6_E_S6_EEDaPvRmT3_T4_T5_mT6_P12ihipStream_tbENKUlT_T0_E_clISt17integral_constantIbLb1EESX_IbLb0EEEEDaST_SU_EUlST_E0_NS1_11comp_targetILNS1_3genE4ELNS1_11target_archE910ELNS1_3gpuE8ELNS1_3repE0EEENS1_30default_config_static_selectorELNS0_4arch9wavefront6targetE0EEEvT1_.private_seg_size, 0
	.set _ZN7rocprim17ROCPRIM_400000_NS6detail17trampoline_kernelINS0_14default_configENS1_20scan_config_selectorIN3c108BFloat16EEEZZNS1_9scan_implILNS1_25lookback_scan_determinismE0ELb0ELb0ES3_PKS6_PS6_S6_ZZZN2at6native31launch_logcumsumexp_cuda_kernelERKNSD_10TensorBaseESH_lENKUlvE_clEvENKUlvE4_clEvEUlS6_S6_E_S6_EEDaPvRmT3_T4_T5_mT6_P12ihipStream_tbENKUlT_T0_E_clISt17integral_constantIbLb1EESX_IbLb0EEEEDaST_SU_EUlST_E0_NS1_11comp_targetILNS1_3genE4ELNS1_11target_archE910ELNS1_3gpuE8ELNS1_3repE0EEENS1_30default_config_static_selectorELNS0_4arch9wavefront6targetE0EEEvT1_.uses_vcc, 0
	.set _ZN7rocprim17ROCPRIM_400000_NS6detail17trampoline_kernelINS0_14default_configENS1_20scan_config_selectorIN3c108BFloat16EEEZZNS1_9scan_implILNS1_25lookback_scan_determinismE0ELb0ELb0ES3_PKS6_PS6_S6_ZZZN2at6native31launch_logcumsumexp_cuda_kernelERKNSD_10TensorBaseESH_lENKUlvE_clEvENKUlvE4_clEvEUlS6_S6_E_S6_EEDaPvRmT3_T4_T5_mT6_P12ihipStream_tbENKUlT_T0_E_clISt17integral_constantIbLb1EESX_IbLb0EEEEDaST_SU_EUlST_E0_NS1_11comp_targetILNS1_3genE4ELNS1_11target_archE910ELNS1_3gpuE8ELNS1_3repE0EEENS1_30default_config_static_selectorELNS0_4arch9wavefront6targetE0EEEvT1_.uses_flat_scratch, 0
	.set _ZN7rocprim17ROCPRIM_400000_NS6detail17trampoline_kernelINS0_14default_configENS1_20scan_config_selectorIN3c108BFloat16EEEZZNS1_9scan_implILNS1_25lookback_scan_determinismE0ELb0ELb0ES3_PKS6_PS6_S6_ZZZN2at6native31launch_logcumsumexp_cuda_kernelERKNSD_10TensorBaseESH_lENKUlvE_clEvENKUlvE4_clEvEUlS6_S6_E_S6_EEDaPvRmT3_T4_T5_mT6_P12ihipStream_tbENKUlT_T0_E_clISt17integral_constantIbLb1EESX_IbLb0EEEEDaST_SU_EUlST_E0_NS1_11comp_targetILNS1_3genE4ELNS1_11target_archE910ELNS1_3gpuE8ELNS1_3repE0EEENS1_30default_config_static_selectorELNS0_4arch9wavefront6targetE0EEEvT1_.has_dyn_sized_stack, 0
	.set _ZN7rocprim17ROCPRIM_400000_NS6detail17trampoline_kernelINS0_14default_configENS1_20scan_config_selectorIN3c108BFloat16EEEZZNS1_9scan_implILNS1_25lookback_scan_determinismE0ELb0ELb0ES3_PKS6_PS6_S6_ZZZN2at6native31launch_logcumsumexp_cuda_kernelERKNSD_10TensorBaseESH_lENKUlvE_clEvENKUlvE4_clEvEUlS6_S6_E_S6_EEDaPvRmT3_T4_T5_mT6_P12ihipStream_tbENKUlT_T0_E_clISt17integral_constantIbLb1EESX_IbLb0EEEEDaST_SU_EUlST_E0_NS1_11comp_targetILNS1_3genE4ELNS1_11target_archE910ELNS1_3gpuE8ELNS1_3repE0EEENS1_30default_config_static_selectorELNS0_4arch9wavefront6targetE0EEEvT1_.has_recursion, 0
	.set _ZN7rocprim17ROCPRIM_400000_NS6detail17trampoline_kernelINS0_14default_configENS1_20scan_config_selectorIN3c108BFloat16EEEZZNS1_9scan_implILNS1_25lookback_scan_determinismE0ELb0ELb0ES3_PKS6_PS6_S6_ZZZN2at6native31launch_logcumsumexp_cuda_kernelERKNSD_10TensorBaseESH_lENKUlvE_clEvENKUlvE4_clEvEUlS6_S6_E_S6_EEDaPvRmT3_T4_T5_mT6_P12ihipStream_tbENKUlT_T0_E_clISt17integral_constantIbLb1EESX_IbLb0EEEEDaST_SU_EUlST_E0_NS1_11comp_targetILNS1_3genE4ELNS1_11target_archE910ELNS1_3gpuE8ELNS1_3repE0EEENS1_30default_config_static_selectorELNS0_4arch9wavefront6targetE0EEEvT1_.has_indirect_call, 0
	.section	.AMDGPU.csdata,"",@progbits
; Kernel info:
; codeLenInByte = 0
; TotalNumSgprs: 0
; NumVgprs: 0
; ScratchSize: 0
; MemoryBound: 0
; FloatMode: 240
; IeeeMode: 1
; LDSByteSize: 0 bytes/workgroup (compile time only)
; SGPRBlocks: 0
; VGPRBlocks: 0
; NumSGPRsForWavesPerEU: 1
; NumVGPRsForWavesPerEU: 1
; Occupancy: 16
; WaveLimiterHint : 0
; COMPUTE_PGM_RSRC2:SCRATCH_EN: 0
; COMPUTE_PGM_RSRC2:USER_SGPR: 6
; COMPUTE_PGM_RSRC2:TRAP_HANDLER: 0
; COMPUTE_PGM_RSRC2:TGID_X_EN: 1
; COMPUTE_PGM_RSRC2:TGID_Y_EN: 0
; COMPUTE_PGM_RSRC2:TGID_Z_EN: 0
; COMPUTE_PGM_RSRC2:TIDIG_COMP_CNT: 0
	.section	.text._ZN7rocprim17ROCPRIM_400000_NS6detail17trampoline_kernelINS0_14default_configENS1_20scan_config_selectorIN3c108BFloat16EEEZZNS1_9scan_implILNS1_25lookback_scan_determinismE0ELb0ELb0ES3_PKS6_PS6_S6_ZZZN2at6native31launch_logcumsumexp_cuda_kernelERKNSD_10TensorBaseESH_lENKUlvE_clEvENKUlvE4_clEvEUlS6_S6_E_S6_EEDaPvRmT3_T4_T5_mT6_P12ihipStream_tbENKUlT_T0_E_clISt17integral_constantIbLb1EESX_IbLb0EEEEDaST_SU_EUlST_E0_NS1_11comp_targetILNS1_3genE3ELNS1_11target_archE908ELNS1_3gpuE7ELNS1_3repE0EEENS1_30default_config_static_selectorELNS0_4arch9wavefront6targetE0EEEvT1_,"axG",@progbits,_ZN7rocprim17ROCPRIM_400000_NS6detail17trampoline_kernelINS0_14default_configENS1_20scan_config_selectorIN3c108BFloat16EEEZZNS1_9scan_implILNS1_25lookback_scan_determinismE0ELb0ELb0ES3_PKS6_PS6_S6_ZZZN2at6native31launch_logcumsumexp_cuda_kernelERKNSD_10TensorBaseESH_lENKUlvE_clEvENKUlvE4_clEvEUlS6_S6_E_S6_EEDaPvRmT3_T4_T5_mT6_P12ihipStream_tbENKUlT_T0_E_clISt17integral_constantIbLb1EESX_IbLb0EEEEDaST_SU_EUlST_E0_NS1_11comp_targetILNS1_3genE3ELNS1_11target_archE908ELNS1_3gpuE7ELNS1_3repE0EEENS1_30default_config_static_selectorELNS0_4arch9wavefront6targetE0EEEvT1_,comdat
	.globl	_ZN7rocprim17ROCPRIM_400000_NS6detail17trampoline_kernelINS0_14default_configENS1_20scan_config_selectorIN3c108BFloat16EEEZZNS1_9scan_implILNS1_25lookback_scan_determinismE0ELb0ELb0ES3_PKS6_PS6_S6_ZZZN2at6native31launch_logcumsumexp_cuda_kernelERKNSD_10TensorBaseESH_lENKUlvE_clEvENKUlvE4_clEvEUlS6_S6_E_S6_EEDaPvRmT3_T4_T5_mT6_P12ihipStream_tbENKUlT_T0_E_clISt17integral_constantIbLb1EESX_IbLb0EEEEDaST_SU_EUlST_E0_NS1_11comp_targetILNS1_3genE3ELNS1_11target_archE908ELNS1_3gpuE7ELNS1_3repE0EEENS1_30default_config_static_selectorELNS0_4arch9wavefront6targetE0EEEvT1_ ; -- Begin function _ZN7rocprim17ROCPRIM_400000_NS6detail17trampoline_kernelINS0_14default_configENS1_20scan_config_selectorIN3c108BFloat16EEEZZNS1_9scan_implILNS1_25lookback_scan_determinismE0ELb0ELb0ES3_PKS6_PS6_S6_ZZZN2at6native31launch_logcumsumexp_cuda_kernelERKNSD_10TensorBaseESH_lENKUlvE_clEvENKUlvE4_clEvEUlS6_S6_E_S6_EEDaPvRmT3_T4_T5_mT6_P12ihipStream_tbENKUlT_T0_E_clISt17integral_constantIbLb1EESX_IbLb0EEEEDaST_SU_EUlST_E0_NS1_11comp_targetILNS1_3genE3ELNS1_11target_archE908ELNS1_3gpuE7ELNS1_3repE0EEENS1_30default_config_static_selectorELNS0_4arch9wavefront6targetE0EEEvT1_
	.p2align	8
	.type	_ZN7rocprim17ROCPRIM_400000_NS6detail17trampoline_kernelINS0_14default_configENS1_20scan_config_selectorIN3c108BFloat16EEEZZNS1_9scan_implILNS1_25lookback_scan_determinismE0ELb0ELb0ES3_PKS6_PS6_S6_ZZZN2at6native31launch_logcumsumexp_cuda_kernelERKNSD_10TensorBaseESH_lENKUlvE_clEvENKUlvE4_clEvEUlS6_S6_E_S6_EEDaPvRmT3_T4_T5_mT6_P12ihipStream_tbENKUlT_T0_E_clISt17integral_constantIbLb1EESX_IbLb0EEEEDaST_SU_EUlST_E0_NS1_11comp_targetILNS1_3genE3ELNS1_11target_archE908ELNS1_3gpuE7ELNS1_3repE0EEENS1_30default_config_static_selectorELNS0_4arch9wavefront6targetE0EEEvT1_,@function
_ZN7rocprim17ROCPRIM_400000_NS6detail17trampoline_kernelINS0_14default_configENS1_20scan_config_selectorIN3c108BFloat16EEEZZNS1_9scan_implILNS1_25lookback_scan_determinismE0ELb0ELb0ES3_PKS6_PS6_S6_ZZZN2at6native31launch_logcumsumexp_cuda_kernelERKNSD_10TensorBaseESH_lENKUlvE_clEvENKUlvE4_clEvEUlS6_S6_E_S6_EEDaPvRmT3_T4_T5_mT6_P12ihipStream_tbENKUlT_T0_E_clISt17integral_constantIbLb1EESX_IbLb0EEEEDaST_SU_EUlST_E0_NS1_11comp_targetILNS1_3genE3ELNS1_11target_archE908ELNS1_3gpuE7ELNS1_3repE0EEENS1_30default_config_static_selectorELNS0_4arch9wavefront6targetE0EEEvT1_: ; @_ZN7rocprim17ROCPRIM_400000_NS6detail17trampoline_kernelINS0_14default_configENS1_20scan_config_selectorIN3c108BFloat16EEEZZNS1_9scan_implILNS1_25lookback_scan_determinismE0ELb0ELb0ES3_PKS6_PS6_S6_ZZZN2at6native31launch_logcumsumexp_cuda_kernelERKNSD_10TensorBaseESH_lENKUlvE_clEvENKUlvE4_clEvEUlS6_S6_E_S6_EEDaPvRmT3_T4_T5_mT6_P12ihipStream_tbENKUlT_T0_E_clISt17integral_constantIbLb1EESX_IbLb0EEEEDaST_SU_EUlST_E0_NS1_11comp_targetILNS1_3genE3ELNS1_11target_archE908ELNS1_3gpuE7ELNS1_3repE0EEENS1_30default_config_static_selectorELNS0_4arch9wavefront6targetE0EEEvT1_
; %bb.0:
	.section	.rodata,"a",@progbits
	.p2align	6, 0x0
	.amdhsa_kernel _ZN7rocprim17ROCPRIM_400000_NS6detail17trampoline_kernelINS0_14default_configENS1_20scan_config_selectorIN3c108BFloat16EEEZZNS1_9scan_implILNS1_25lookback_scan_determinismE0ELb0ELb0ES3_PKS6_PS6_S6_ZZZN2at6native31launch_logcumsumexp_cuda_kernelERKNSD_10TensorBaseESH_lENKUlvE_clEvENKUlvE4_clEvEUlS6_S6_E_S6_EEDaPvRmT3_T4_T5_mT6_P12ihipStream_tbENKUlT_T0_E_clISt17integral_constantIbLb1EESX_IbLb0EEEEDaST_SU_EUlST_E0_NS1_11comp_targetILNS1_3genE3ELNS1_11target_archE908ELNS1_3gpuE7ELNS1_3repE0EEENS1_30default_config_static_selectorELNS0_4arch9wavefront6targetE0EEEvT1_
		.amdhsa_group_segment_fixed_size 0
		.amdhsa_private_segment_fixed_size 0
		.amdhsa_kernarg_size 32
		.amdhsa_user_sgpr_count 6
		.amdhsa_user_sgpr_private_segment_buffer 1
		.amdhsa_user_sgpr_dispatch_ptr 0
		.amdhsa_user_sgpr_queue_ptr 0
		.amdhsa_user_sgpr_kernarg_segment_ptr 1
		.amdhsa_user_sgpr_dispatch_id 0
		.amdhsa_user_sgpr_flat_scratch_init 0
		.amdhsa_user_sgpr_private_segment_size 0
		.amdhsa_wavefront_size32 1
		.amdhsa_uses_dynamic_stack 0
		.amdhsa_system_sgpr_private_segment_wavefront_offset 0
		.amdhsa_system_sgpr_workgroup_id_x 1
		.amdhsa_system_sgpr_workgroup_id_y 0
		.amdhsa_system_sgpr_workgroup_id_z 0
		.amdhsa_system_sgpr_workgroup_info 0
		.amdhsa_system_vgpr_workitem_id 0
		.amdhsa_next_free_vgpr 1
		.amdhsa_next_free_sgpr 1
		.amdhsa_reserve_vcc 0
		.amdhsa_reserve_flat_scratch 0
		.amdhsa_float_round_mode_32 0
		.amdhsa_float_round_mode_16_64 0
		.amdhsa_float_denorm_mode_32 3
		.amdhsa_float_denorm_mode_16_64 3
		.amdhsa_dx10_clamp 1
		.amdhsa_ieee_mode 1
		.amdhsa_fp16_overflow 0
		.amdhsa_workgroup_processor_mode 1
		.amdhsa_memory_ordered 1
		.amdhsa_forward_progress 1
		.amdhsa_shared_vgpr_count 0
		.amdhsa_exception_fp_ieee_invalid_op 0
		.amdhsa_exception_fp_denorm_src 0
		.amdhsa_exception_fp_ieee_div_zero 0
		.amdhsa_exception_fp_ieee_overflow 0
		.amdhsa_exception_fp_ieee_underflow 0
		.amdhsa_exception_fp_ieee_inexact 0
		.amdhsa_exception_int_div_zero 0
	.end_amdhsa_kernel
	.section	.text._ZN7rocprim17ROCPRIM_400000_NS6detail17trampoline_kernelINS0_14default_configENS1_20scan_config_selectorIN3c108BFloat16EEEZZNS1_9scan_implILNS1_25lookback_scan_determinismE0ELb0ELb0ES3_PKS6_PS6_S6_ZZZN2at6native31launch_logcumsumexp_cuda_kernelERKNSD_10TensorBaseESH_lENKUlvE_clEvENKUlvE4_clEvEUlS6_S6_E_S6_EEDaPvRmT3_T4_T5_mT6_P12ihipStream_tbENKUlT_T0_E_clISt17integral_constantIbLb1EESX_IbLb0EEEEDaST_SU_EUlST_E0_NS1_11comp_targetILNS1_3genE3ELNS1_11target_archE908ELNS1_3gpuE7ELNS1_3repE0EEENS1_30default_config_static_selectorELNS0_4arch9wavefront6targetE0EEEvT1_,"axG",@progbits,_ZN7rocprim17ROCPRIM_400000_NS6detail17trampoline_kernelINS0_14default_configENS1_20scan_config_selectorIN3c108BFloat16EEEZZNS1_9scan_implILNS1_25lookback_scan_determinismE0ELb0ELb0ES3_PKS6_PS6_S6_ZZZN2at6native31launch_logcumsumexp_cuda_kernelERKNSD_10TensorBaseESH_lENKUlvE_clEvENKUlvE4_clEvEUlS6_S6_E_S6_EEDaPvRmT3_T4_T5_mT6_P12ihipStream_tbENKUlT_T0_E_clISt17integral_constantIbLb1EESX_IbLb0EEEEDaST_SU_EUlST_E0_NS1_11comp_targetILNS1_3genE3ELNS1_11target_archE908ELNS1_3gpuE7ELNS1_3repE0EEENS1_30default_config_static_selectorELNS0_4arch9wavefront6targetE0EEEvT1_,comdat
.Lfunc_end496:
	.size	_ZN7rocprim17ROCPRIM_400000_NS6detail17trampoline_kernelINS0_14default_configENS1_20scan_config_selectorIN3c108BFloat16EEEZZNS1_9scan_implILNS1_25lookback_scan_determinismE0ELb0ELb0ES3_PKS6_PS6_S6_ZZZN2at6native31launch_logcumsumexp_cuda_kernelERKNSD_10TensorBaseESH_lENKUlvE_clEvENKUlvE4_clEvEUlS6_S6_E_S6_EEDaPvRmT3_T4_T5_mT6_P12ihipStream_tbENKUlT_T0_E_clISt17integral_constantIbLb1EESX_IbLb0EEEEDaST_SU_EUlST_E0_NS1_11comp_targetILNS1_3genE3ELNS1_11target_archE908ELNS1_3gpuE7ELNS1_3repE0EEENS1_30default_config_static_selectorELNS0_4arch9wavefront6targetE0EEEvT1_, .Lfunc_end496-_ZN7rocprim17ROCPRIM_400000_NS6detail17trampoline_kernelINS0_14default_configENS1_20scan_config_selectorIN3c108BFloat16EEEZZNS1_9scan_implILNS1_25lookback_scan_determinismE0ELb0ELb0ES3_PKS6_PS6_S6_ZZZN2at6native31launch_logcumsumexp_cuda_kernelERKNSD_10TensorBaseESH_lENKUlvE_clEvENKUlvE4_clEvEUlS6_S6_E_S6_EEDaPvRmT3_T4_T5_mT6_P12ihipStream_tbENKUlT_T0_E_clISt17integral_constantIbLb1EESX_IbLb0EEEEDaST_SU_EUlST_E0_NS1_11comp_targetILNS1_3genE3ELNS1_11target_archE908ELNS1_3gpuE7ELNS1_3repE0EEENS1_30default_config_static_selectorELNS0_4arch9wavefront6targetE0EEEvT1_
                                        ; -- End function
	.set _ZN7rocprim17ROCPRIM_400000_NS6detail17trampoline_kernelINS0_14default_configENS1_20scan_config_selectorIN3c108BFloat16EEEZZNS1_9scan_implILNS1_25lookback_scan_determinismE0ELb0ELb0ES3_PKS6_PS6_S6_ZZZN2at6native31launch_logcumsumexp_cuda_kernelERKNSD_10TensorBaseESH_lENKUlvE_clEvENKUlvE4_clEvEUlS6_S6_E_S6_EEDaPvRmT3_T4_T5_mT6_P12ihipStream_tbENKUlT_T0_E_clISt17integral_constantIbLb1EESX_IbLb0EEEEDaST_SU_EUlST_E0_NS1_11comp_targetILNS1_3genE3ELNS1_11target_archE908ELNS1_3gpuE7ELNS1_3repE0EEENS1_30default_config_static_selectorELNS0_4arch9wavefront6targetE0EEEvT1_.num_vgpr, 0
	.set _ZN7rocprim17ROCPRIM_400000_NS6detail17trampoline_kernelINS0_14default_configENS1_20scan_config_selectorIN3c108BFloat16EEEZZNS1_9scan_implILNS1_25lookback_scan_determinismE0ELb0ELb0ES3_PKS6_PS6_S6_ZZZN2at6native31launch_logcumsumexp_cuda_kernelERKNSD_10TensorBaseESH_lENKUlvE_clEvENKUlvE4_clEvEUlS6_S6_E_S6_EEDaPvRmT3_T4_T5_mT6_P12ihipStream_tbENKUlT_T0_E_clISt17integral_constantIbLb1EESX_IbLb0EEEEDaST_SU_EUlST_E0_NS1_11comp_targetILNS1_3genE3ELNS1_11target_archE908ELNS1_3gpuE7ELNS1_3repE0EEENS1_30default_config_static_selectorELNS0_4arch9wavefront6targetE0EEEvT1_.num_agpr, 0
	.set _ZN7rocprim17ROCPRIM_400000_NS6detail17trampoline_kernelINS0_14default_configENS1_20scan_config_selectorIN3c108BFloat16EEEZZNS1_9scan_implILNS1_25lookback_scan_determinismE0ELb0ELb0ES3_PKS6_PS6_S6_ZZZN2at6native31launch_logcumsumexp_cuda_kernelERKNSD_10TensorBaseESH_lENKUlvE_clEvENKUlvE4_clEvEUlS6_S6_E_S6_EEDaPvRmT3_T4_T5_mT6_P12ihipStream_tbENKUlT_T0_E_clISt17integral_constantIbLb1EESX_IbLb0EEEEDaST_SU_EUlST_E0_NS1_11comp_targetILNS1_3genE3ELNS1_11target_archE908ELNS1_3gpuE7ELNS1_3repE0EEENS1_30default_config_static_selectorELNS0_4arch9wavefront6targetE0EEEvT1_.numbered_sgpr, 0
	.set _ZN7rocprim17ROCPRIM_400000_NS6detail17trampoline_kernelINS0_14default_configENS1_20scan_config_selectorIN3c108BFloat16EEEZZNS1_9scan_implILNS1_25lookback_scan_determinismE0ELb0ELb0ES3_PKS6_PS6_S6_ZZZN2at6native31launch_logcumsumexp_cuda_kernelERKNSD_10TensorBaseESH_lENKUlvE_clEvENKUlvE4_clEvEUlS6_S6_E_S6_EEDaPvRmT3_T4_T5_mT6_P12ihipStream_tbENKUlT_T0_E_clISt17integral_constantIbLb1EESX_IbLb0EEEEDaST_SU_EUlST_E0_NS1_11comp_targetILNS1_3genE3ELNS1_11target_archE908ELNS1_3gpuE7ELNS1_3repE0EEENS1_30default_config_static_selectorELNS0_4arch9wavefront6targetE0EEEvT1_.num_named_barrier, 0
	.set _ZN7rocprim17ROCPRIM_400000_NS6detail17trampoline_kernelINS0_14default_configENS1_20scan_config_selectorIN3c108BFloat16EEEZZNS1_9scan_implILNS1_25lookback_scan_determinismE0ELb0ELb0ES3_PKS6_PS6_S6_ZZZN2at6native31launch_logcumsumexp_cuda_kernelERKNSD_10TensorBaseESH_lENKUlvE_clEvENKUlvE4_clEvEUlS6_S6_E_S6_EEDaPvRmT3_T4_T5_mT6_P12ihipStream_tbENKUlT_T0_E_clISt17integral_constantIbLb1EESX_IbLb0EEEEDaST_SU_EUlST_E0_NS1_11comp_targetILNS1_3genE3ELNS1_11target_archE908ELNS1_3gpuE7ELNS1_3repE0EEENS1_30default_config_static_selectorELNS0_4arch9wavefront6targetE0EEEvT1_.private_seg_size, 0
	.set _ZN7rocprim17ROCPRIM_400000_NS6detail17trampoline_kernelINS0_14default_configENS1_20scan_config_selectorIN3c108BFloat16EEEZZNS1_9scan_implILNS1_25lookback_scan_determinismE0ELb0ELb0ES3_PKS6_PS6_S6_ZZZN2at6native31launch_logcumsumexp_cuda_kernelERKNSD_10TensorBaseESH_lENKUlvE_clEvENKUlvE4_clEvEUlS6_S6_E_S6_EEDaPvRmT3_T4_T5_mT6_P12ihipStream_tbENKUlT_T0_E_clISt17integral_constantIbLb1EESX_IbLb0EEEEDaST_SU_EUlST_E0_NS1_11comp_targetILNS1_3genE3ELNS1_11target_archE908ELNS1_3gpuE7ELNS1_3repE0EEENS1_30default_config_static_selectorELNS0_4arch9wavefront6targetE0EEEvT1_.uses_vcc, 0
	.set _ZN7rocprim17ROCPRIM_400000_NS6detail17trampoline_kernelINS0_14default_configENS1_20scan_config_selectorIN3c108BFloat16EEEZZNS1_9scan_implILNS1_25lookback_scan_determinismE0ELb0ELb0ES3_PKS6_PS6_S6_ZZZN2at6native31launch_logcumsumexp_cuda_kernelERKNSD_10TensorBaseESH_lENKUlvE_clEvENKUlvE4_clEvEUlS6_S6_E_S6_EEDaPvRmT3_T4_T5_mT6_P12ihipStream_tbENKUlT_T0_E_clISt17integral_constantIbLb1EESX_IbLb0EEEEDaST_SU_EUlST_E0_NS1_11comp_targetILNS1_3genE3ELNS1_11target_archE908ELNS1_3gpuE7ELNS1_3repE0EEENS1_30default_config_static_selectorELNS0_4arch9wavefront6targetE0EEEvT1_.uses_flat_scratch, 0
	.set _ZN7rocprim17ROCPRIM_400000_NS6detail17trampoline_kernelINS0_14default_configENS1_20scan_config_selectorIN3c108BFloat16EEEZZNS1_9scan_implILNS1_25lookback_scan_determinismE0ELb0ELb0ES3_PKS6_PS6_S6_ZZZN2at6native31launch_logcumsumexp_cuda_kernelERKNSD_10TensorBaseESH_lENKUlvE_clEvENKUlvE4_clEvEUlS6_S6_E_S6_EEDaPvRmT3_T4_T5_mT6_P12ihipStream_tbENKUlT_T0_E_clISt17integral_constantIbLb1EESX_IbLb0EEEEDaST_SU_EUlST_E0_NS1_11comp_targetILNS1_3genE3ELNS1_11target_archE908ELNS1_3gpuE7ELNS1_3repE0EEENS1_30default_config_static_selectorELNS0_4arch9wavefront6targetE0EEEvT1_.has_dyn_sized_stack, 0
	.set _ZN7rocprim17ROCPRIM_400000_NS6detail17trampoline_kernelINS0_14default_configENS1_20scan_config_selectorIN3c108BFloat16EEEZZNS1_9scan_implILNS1_25lookback_scan_determinismE0ELb0ELb0ES3_PKS6_PS6_S6_ZZZN2at6native31launch_logcumsumexp_cuda_kernelERKNSD_10TensorBaseESH_lENKUlvE_clEvENKUlvE4_clEvEUlS6_S6_E_S6_EEDaPvRmT3_T4_T5_mT6_P12ihipStream_tbENKUlT_T0_E_clISt17integral_constantIbLb1EESX_IbLb0EEEEDaST_SU_EUlST_E0_NS1_11comp_targetILNS1_3genE3ELNS1_11target_archE908ELNS1_3gpuE7ELNS1_3repE0EEENS1_30default_config_static_selectorELNS0_4arch9wavefront6targetE0EEEvT1_.has_recursion, 0
	.set _ZN7rocprim17ROCPRIM_400000_NS6detail17trampoline_kernelINS0_14default_configENS1_20scan_config_selectorIN3c108BFloat16EEEZZNS1_9scan_implILNS1_25lookback_scan_determinismE0ELb0ELb0ES3_PKS6_PS6_S6_ZZZN2at6native31launch_logcumsumexp_cuda_kernelERKNSD_10TensorBaseESH_lENKUlvE_clEvENKUlvE4_clEvEUlS6_S6_E_S6_EEDaPvRmT3_T4_T5_mT6_P12ihipStream_tbENKUlT_T0_E_clISt17integral_constantIbLb1EESX_IbLb0EEEEDaST_SU_EUlST_E0_NS1_11comp_targetILNS1_3genE3ELNS1_11target_archE908ELNS1_3gpuE7ELNS1_3repE0EEENS1_30default_config_static_selectorELNS0_4arch9wavefront6targetE0EEEvT1_.has_indirect_call, 0
	.section	.AMDGPU.csdata,"",@progbits
; Kernel info:
; codeLenInByte = 0
; TotalNumSgprs: 0
; NumVgprs: 0
; ScratchSize: 0
; MemoryBound: 0
; FloatMode: 240
; IeeeMode: 1
; LDSByteSize: 0 bytes/workgroup (compile time only)
; SGPRBlocks: 0
; VGPRBlocks: 0
; NumSGPRsForWavesPerEU: 1
; NumVGPRsForWavesPerEU: 1
; Occupancy: 16
; WaveLimiterHint : 0
; COMPUTE_PGM_RSRC2:SCRATCH_EN: 0
; COMPUTE_PGM_RSRC2:USER_SGPR: 6
; COMPUTE_PGM_RSRC2:TRAP_HANDLER: 0
; COMPUTE_PGM_RSRC2:TGID_X_EN: 1
; COMPUTE_PGM_RSRC2:TGID_Y_EN: 0
; COMPUTE_PGM_RSRC2:TGID_Z_EN: 0
; COMPUTE_PGM_RSRC2:TIDIG_COMP_CNT: 0
	.section	.text._ZN7rocprim17ROCPRIM_400000_NS6detail17trampoline_kernelINS0_14default_configENS1_20scan_config_selectorIN3c108BFloat16EEEZZNS1_9scan_implILNS1_25lookback_scan_determinismE0ELb0ELb0ES3_PKS6_PS6_S6_ZZZN2at6native31launch_logcumsumexp_cuda_kernelERKNSD_10TensorBaseESH_lENKUlvE_clEvENKUlvE4_clEvEUlS6_S6_E_S6_EEDaPvRmT3_T4_T5_mT6_P12ihipStream_tbENKUlT_T0_E_clISt17integral_constantIbLb1EESX_IbLb0EEEEDaST_SU_EUlST_E0_NS1_11comp_targetILNS1_3genE2ELNS1_11target_archE906ELNS1_3gpuE6ELNS1_3repE0EEENS1_30default_config_static_selectorELNS0_4arch9wavefront6targetE0EEEvT1_,"axG",@progbits,_ZN7rocprim17ROCPRIM_400000_NS6detail17trampoline_kernelINS0_14default_configENS1_20scan_config_selectorIN3c108BFloat16EEEZZNS1_9scan_implILNS1_25lookback_scan_determinismE0ELb0ELb0ES3_PKS6_PS6_S6_ZZZN2at6native31launch_logcumsumexp_cuda_kernelERKNSD_10TensorBaseESH_lENKUlvE_clEvENKUlvE4_clEvEUlS6_S6_E_S6_EEDaPvRmT3_T4_T5_mT6_P12ihipStream_tbENKUlT_T0_E_clISt17integral_constantIbLb1EESX_IbLb0EEEEDaST_SU_EUlST_E0_NS1_11comp_targetILNS1_3genE2ELNS1_11target_archE906ELNS1_3gpuE6ELNS1_3repE0EEENS1_30default_config_static_selectorELNS0_4arch9wavefront6targetE0EEEvT1_,comdat
	.globl	_ZN7rocprim17ROCPRIM_400000_NS6detail17trampoline_kernelINS0_14default_configENS1_20scan_config_selectorIN3c108BFloat16EEEZZNS1_9scan_implILNS1_25lookback_scan_determinismE0ELb0ELb0ES3_PKS6_PS6_S6_ZZZN2at6native31launch_logcumsumexp_cuda_kernelERKNSD_10TensorBaseESH_lENKUlvE_clEvENKUlvE4_clEvEUlS6_S6_E_S6_EEDaPvRmT3_T4_T5_mT6_P12ihipStream_tbENKUlT_T0_E_clISt17integral_constantIbLb1EESX_IbLb0EEEEDaST_SU_EUlST_E0_NS1_11comp_targetILNS1_3genE2ELNS1_11target_archE906ELNS1_3gpuE6ELNS1_3repE0EEENS1_30default_config_static_selectorELNS0_4arch9wavefront6targetE0EEEvT1_ ; -- Begin function _ZN7rocprim17ROCPRIM_400000_NS6detail17trampoline_kernelINS0_14default_configENS1_20scan_config_selectorIN3c108BFloat16EEEZZNS1_9scan_implILNS1_25lookback_scan_determinismE0ELb0ELb0ES3_PKS6_PS6_S6_ZZZN2at6native31launch_logcumsumexp_cuda_kernelERKNSD_10TensorBaseESH_lENKUlvE_clEvENKUlvE4_clEvEUlS6_S6_E_S6_EEDaPvRmT3_T4_T5_mT6_P12ihipStream_tbENKUlT_T0_E_clISt17integral_constantIbLb1EESX_IbLb0EEEEDaST_SU_EUlST_E0_NS1_11comp_targetILNS1_3genE2ELNS1_11target_archE906ELNS1_3gpuE6ELNS1_3repE0EEENS1_30default_config_static_selectorELNS0_4arch9wavefront6targetE0EEEvT1_
	.p2align	8
	.type	_ZN7rocprim17ROCPRIM_400000_NS6detail17trampoline_kernelINS0_14default_configENS1_20scan_config_selectorIN3c108BFloat16EEEZZNS1_9scan_implILNS1_25lookback_scan_determinismE0ELb0ELb0ES3_PKS6_PS6_S6_ZZZN2at6native31launch_logcumsumexp_cuda_kernelERKNSD_10TensorBaseESH_lENKUlvE_clEvENKUlvE4_clEvEUlS6_S6_E_S6_EEDaPvRmT3_T4_T5_mT6_P12ihipStream_tbENKUlT_T0_E_clISt17integral_constantIbLb1EESX_IbLb0EEEEDaST_SU_EUlST_E0_NS1_11comp_targetILNS1_3genE2ELNS1_11target_archE906ELNS1_3gpuE6ELNS1_3repE0EEENS1_30default_config_static_selectorELNS0_4arch9wavefront6targetE0EEEvT1_,@function
_ZN7rocprim17ROCPRIM_400000_NS6detail17trampoline_kernelINS0_14default_configENS1_20scan_config_selectorIN3c108BFloat16EEEZZNS1_9scan_implILNS1_25lookback_scan_determinismE0ELb0ELb0ES3_PKS6_PS6_S6_ZZZN2at6native31launch_logcumsumexp_cuda_kernelERKNSD_10TensorBaseESH_lENKUlvE_clEvENKUlvE4_clEvEUlS6_S6_E_S6_EEDaPvRmT3_T4_T5_mT6_P12ihipStream_tbENKUlT_T0_E_clISt17integral_constantIbLb1EESX_IbLb0EEEEDaST_SU_EUlST_E0_NS1_11comp_targetILNS1_3genE2ELNS1_11target_archE906ELNS1_3gpuE6ELNS1_3repE0EEENS1_30default_config_static_selectorELNS0_4arch9wavefront6targetE0EEEvT1_: ; @_ZN7rocprim17ROCPRIM_400000_NS6detail17trampoline_kernelINS0_14default_configENS1_20scan_config_selectorIN3c108BFloat16EEEZZNS1_9scan_implILNS1_25lookback_scan_determinismE0ELb0ELb0ES3_PKS6_PS6_S6_ZZZN2at6native31launch_logcumsumexp_cuda_kernelERKNSD_10TensorBaseESH_lENKUlvE_clEvENKUlvE4_clEvEUlS6_S6_E_S6_EEDaPvRmT3_T4_T5_mT6_P12ihipStream_tbENKUlT_T0_E_clISt17integral_constantIbLb1EESX_IbLb0EEEEDaST_SU_EUlST_E0_NS1_11comp_targetILNS1_3genE2ELNS1_11target_archE906ELNS1_3gpuE6ELNS1_3repE0EEENS1_30default_config_static_selectorELNS0_4arch9wavefront6targetE0EEEvT1_
; %bb.0:
	.section	.rodata,"a",@progbits
	.p2align	6, 0x0
	.amdhsa_kernel _ZN7rocprim17ROCPRIM_400000_NS6detail17trampoline_kernelINS0_14default_configENS1_20scan_config_selectorIN3c108BFloat16EEEZZNS1_9scan_implILNS1_25lookback_scan_determinismE0ELb0ELb0ES3_PKS6_PS6_S6_ZZZN2at6native31launch_logcumsumexp_cuda_kernelERKNSD_10TensorBaseESH_lENKUlvE_clEvENKUlvE4_clEvEUlS6_S6_E_S6_EEDaPvRmT3_T4_T5_mT6_P12ihipStream_tbENKUlT_T0_E_clISt17integral_constantIbLb1EESX_IbLb0EEEEDaST_SU_EUlST_E0_NS1_11comp_targetILNS1_3genE2ELNS1_11target_archE906ELNS1_3gpuE6ELNS1_3repE0EEENS1_30default_config_static_selectorELNS0_4arch9wavefront6targetE0EEEvT1_
		.amdhsa_group_segment_fixed_size 0
		.amdhsa_private_segment_fixed_size 0
		.amdhsa_kernarg_size 32
		.amdhsa_user_sgpr_count 6
		.amdhsa_user_sgpr_private_segment_buffer 1
		.amdhsa_user_sgpr_dispatch_ptr 0
		.amdhsa_user_sgpr_queue_ptr 0
		.amdhsa_user_sgpr_kernarg_segment_ptr 1
		.amdhsa_user_sgpr_dispatch_id 0
		.amdhsa_user_sgpr_flat_scratch_init 0
		.amdhsa_user_sgpr_private_segment_size 0
		.amdhsa_wavefront_size32 1
		.amdhsa_uses_dynamic_stack 0
		.amdhsa_system_sgpr_private_segment_wavefront_offset 0
		.amdhsa_system_sgpr_workgroup_id_x 1
		.amdhsa_system_sgpr_workgroup_id_y 0
		.amdhsa_system_sgpr_workgroup_id_z 0
		.amdhsa_system_sgpr_workgroup_info 0
		.amdhsa_system_vgpr_workitem_id 0
		.amdhsa_next_free_vgpr 1
		.amdhsa_next_free_sgpr 1
		.amdhsa_reserve_vcc 0
		.amdhsa_reserve_flat_scratch 0
		.amdhsa_float_round_mode_32 0
		.amdhsa_float_round_mode_16_64 0
		.amdhsa_float_denorm_mode_32 3
		.amdhsa_float_denorm_mode_16_64 3
		.amdhsa_dx10_clamp 1
		.amdhsa_ieee_mode 1
		.amdhsa_fp16_overflow 0
		.amdhsa_workgroup_processor_mode 1
		.amdhsa_memory_ordered 1
		.amdhsa_forward_progress 1
		.amdhsa_shared_vgpr_count 0
		.amdhsa_exception_fp_ieee_invalid_op 0
		.amdhsa_exception_fp_denorm_src 0
		.amdhsa_exception_fp_ieee_div_zero 0
		.amdhsa_exception_fp_ieee_overflow 0
		.amdhsa_exception_fp_ieee_underflow 0
		.amdhsa_exception_fp_ieee_inexact 0
		.amdhsa_exception_int_div_zero 0
	.end_amdhsa_kernel
	.section	.text._ZN7rocprim17ROCPRIM_400000_NS6detail17trampoline_kernelINS0_14default_configENS1_20scan_config_selectorIN3c108BFloat16EEEZZNS1_9scan_implILNS1_25lookback_scan_determinismE0ELb0ELb0ES3_PKS6_PS6_S6_ZZZN2at6native31launch_logcumsumexp_cuda_kernelERKNSD_10TensorBaseESH_lENKUlvE_clEvENKUlvE4_clEvEUlS6_S6_E_S6_EEDaPvRmT3_T4_T5_mT6_P12ihipStream_tbENKUlT_T0_E_clISt17integral_constantIbLb1EESX_IbLb0EEEEDaST_SU_EUlST_E0_NS1_11comp_targetILNS1_3genE2ELNS1_11target_archE906ELNS1_3gpuE6ELNS1_3repE0EEENS1_30default_config_static_selectorELNS0_4arch9wavefront6targetE0EEEvT1_,"axG",@progbits,_ZN7rocprim17ROCPRIM_400000_NS6detail17trampoline_kernelINS0_14default_configENS1_20scan_config_selectorIN3c108BFloat16EEEZZNS1_9scan_implILNS1_25lookback_scan_determinismE0ELb0ELb0ES3_PKS6_PS6_S6_ZZZN2at6native31launch_logcumsumexp_cuda_kernelERKNSD_10TensorBaseESH_lENKUlvE_clEvENKUlvE4_clEvEUlS6_S6_E_S6_EEDaPvRmT3_T4_T5_mT6_P12ihipStream_tbENKUlT_T0_E_clISt17integral_constantIbLb1EESX_IbLb0EEEEDaST_SU_EUlST_E0_NS1_11comp_targetILNS1_3genE2ELNS1_11target_archE906ELNS1_3gpuE6ELNS1_3repE0EEENS1_30default_config_static_selectorELNS0_4arch9wavefront6targetE0EEEvT1_,comdat
.Lfunc_end497:
	.size	_ZN7rocprim17ROCPRIM_400000_NS6detail17trampoline_kernelINS0_14default_configENS1_20scan_config_selectorIN3c108BFloat16EEEZZNS1_9scan_implILNS1_25lookback_scan_determinismE0ELb0ELb0ES3_PKS6_PS6_S6_ZZZN2at6native31launch_logcumsumexp_cuda_kernelERKNSD_10TensorBaseESH_lENKUlvE_clEvENKUlvE4_clEvEUlS6_S6_E_S6_EEDaPvRmT3_T4_T5_mT6_P12ihipStream_tbENKUlT_T0_E_clISt17integral_constantIbLb1EESX_IbLb0EEEEDaST_SU_EUlST_E0_NS1_11comp_targetILNS1_3genE2ELNS1_11target_archE906ELNS1_3gpuE6ELNS1_3repE0EEENS1_30default_config_static_selectorELNS0_4arch9wavefront6targetE0EEEvT1_, .Lfunc_end497-_ZN7rocprim17ROCPRIM_400000_NS6detail17trampoline_kernelINS0_14default_configENS1_20scan_config_selectorIN3c108BFloat16EEEZZNS1_9scan_implILNS1_25lookback_scan_determinismE0ELb0ELb0ES3_PKS6_PS6_S6_ZZZN2at6native31launch_logcumsumexp_cuda_kernelERKNSD_10TensorBaseESH_lENKUlvE_clEvENKUlvE4_clEvEUlS6_S6_E_S6_EEDaPvRmT3_T4_T5_mT6_P12ihipStream_tbENKUlT_T0_E_clISt17integral_constantIbLb1EESX_IbLb0EEEEDaST_SU_EUlST_E0_NS1_11comp_targetILNS1_3genE2ELNS1_11target_archE906ELNS1_3gpuE6ELNS1_3repE0EEENS1_30default_config_static_selectorELNS0_4arch9wavefront6targetE0EEEvT1_
                                        ; -- End function
	.set _ZN7rocprim17ROCPRIM_400000_NS6detail17trampoline_kernelINS0_14default_configENS1_20scan_config_selectorIN3c108BFloat16EEEZZNS1_9scan_implILNS1_25lookback_scan_determinismE0ELb0ELb0ES3_PKS6_PS6_S6_ZZZN2at6native31launch_logcumsumexp_cuda_kernelERKNSD_10TensorBaseESH_lENKUlvE_clEvENKUlvE4_clEvEUlS6_S6_E_S6_EEDaPvRmT3_T4_T5_mT6_P12ihipStream_tbENKUlT_T0_E_clISt17integral_constantIbLb1EESX_IbLb0EEEEDaST_SU_EUlST_E0_NS1_11comp_targetILNS1_3genE2ELNS1_11target_archE906ELNS1_3gpuE6ELNS1_3repE0EEENS1_30default_config_static_selectorELNS0_4arch9wavefront6targetE0EEEvT1_.num_vgpr, 0
	.set _ZN7rocprim17ROCPRIM_400000_NS6detail17trampoline_kernelINS0_14default_configENS1_20scan_config_selectorIN3c108BFloat16EEEZZNS1_9scan_implILNS1_25lookback_scan_determinismE0ELb0ELb0ES3_PKS6_PS6_S6_ZZZN2at6native31launch_logcumsumexp_cuda_kernelERKNSD_10TensorBaseESH_lENKUlvE_clEvENKUlvE4_clEvEUlS6_S6_E_S6_EEDaPvRmT3_T4_T5_mT6_P12ihipStream_tbENKUlT_T0_E_clISt17integral_constantIbLb1EESX_IbLb0EEEEDaST_SU_EUlST_E0_NS1_11comp_targetILNS1_3genE2ELNS1_11target_archE906ELNS1_3gpuE6ELNS1_3repE0EEENS1_30default_config_static_selectorELNS0_4arch9wavefront6targetE0EEEvT1_.num_agpr, 0
	.set _ZN7rocprim17ROCPRIM_400000_NS6detail17trampoline_kernelINS0_14default_configENS1_20scan_config_selectorIN3c108BFloat16EEEZZNS1_9scan_implILNS1_25lookback_scan_determinismE0ELb0ELb0ES3_PKS6_PS6_S6_ZZZN2at6native31launch_logcumsumexp_cuda_kernelERKNSD_10TensorBaseESH_lENKUlvE_clEvENKUlvE4_clEvEUlS6_S6_E_S6_EEDaPvRmT3_T4_T5_mT6_P12ihipStream_tbENKUlT_T0_E_clISt17integral_constantIbLb1EESX_IbLb0EEEEDaST_SU_EUlST_E0_NS1_11comp_targetILNS1_3genE2ELNS1_11target_archE906ELNS1_3gpuE6ELNS1_3repE0EEENS1_30default_config_static_selectorELNS0_4arch9wavefront6targetE0EEEvT1_.numbered_sgpr, 0
	.set _ZN7rocprim17ROCPRIM_400000_NS6detail17trampoline_kernelINS0_14default_configENS1_20scan_config_selectorIN3c108BFloat16EEEZZNS1_9scan_implILNS1_25lookback_scan_determinismE0ELb0ELb0ES3_PKS6_PS6_S6_ZZZN2at6native31launch_logcumsumexp_cuda_kernelERKNSD_10TensorBaseESH_lENKUlvE_clEvENKUlvE4_clEvEUlS6_S6_E_S6_EEDaPvRmT3_T4_T5_mT6_P12ihipStream_tbENKUlT_T0_E_clISt17integral_constantIbLb1EESX_IbLb0EEEEDaST_SU_EUlST_E0_NS1_11comp_targetILNS1_3genE2ELNS1_11target_archE906ELNS1_3gpuE6ELNS1_3repE0EEENS1_30default_config_static_selectorELNS0_4arch9wavefront6targetE0EEEvT1_.num_named_barrier, 0
	.set _ZN7rocprim17ROCPRIM_400000_NS6detail17trampoline_kernelINS0_14default_configENS1_20scan_config_selectorIN3c108BFloat16EEEZZNS1_9scan_implILNS1_25lookback_scan_determinismE0ELb0ELb0ES3_PKS6_PS6_S6_ZZZN2at6native31launch_logcumsumexp_cuda_kernelERKNSD_10TensorBaseESH_lENKUlvE_clEvENKUlvE4_clEvEUlS6_S6_E_S6_EEDaPvRmT3_T4_T5_mT6_P12ihipStream_tbENKUlT_T0_E_clISt17integral_constantIbLb1EESX_IbLb0EEEEDaST_SU_EUlST_E0_NS1_11comp_targetILNS1_3genE2ELNS1_11target_archE906ELNS1_3gpuE6ELNS1_3repE0EEENS1_30default_config_static_selectorELNS0_4arch9wavefront6targetE0EEEvT1_.private_seg_size, 0
	.set _ZN7rocprim17ROCPRIM_400000_NS6detail17trampoline_kernelINS0_14default_configENS1_20scan_config_selectorIN3c108BFloat16EEEZZNS1_9scan_implILNS1_25lookback_scan_determinismE0ELb0ELb0ES3_PKS6_PS6_S6_ZZZN2at6native31launch_logcumsumexp_cuda_kernelERKNSD_10TensorBaseESH_lENKUlvE_clEvENKUlvE4_clEvEUlS6_S6_E_S6_EEDaPvRmT3_T4_T5_mT6_P12ihipStream_tbENKUlT_T0_E_clISt17integral_constantIbLb1EESX_IbLb0EEEEDaST_SU_EUlST_E0_NS1_11comp_targetILNS1_3genE2ELNS1_11target_archE906ELNS1_3gpuE6ELNS1_3repE0EEENS1_30default_config_static_selectorELNS0_4arch9wavefront6targetE0EEEvT1_.uses_vcc, 0
	.set _ZN7rocprim17ROCPRIM_400000_NS6detail17trampoline_kernelINS0_14default_configENS1_20scan_config_selectorIN3c108BFloat16EEEZZNS1_9scan_implILNS1_25lookback_scan_determinismE0ELb0ELb0ES3_PKS6_PS6_S6_ZZZN2at6native31launch_logcumsumexp_cuda_kernelERKNSD_10TensorBaseESH_lENKUlvE_clEvENKUlvE4_clEvEUlS6_S6_E_S6_EEDaPvRmT3_T4_T5_mT6_P12ihipStream_tbENKUlT_T0_E_clISt17integral_constantIbLb1EESX_IbLb0EEEEDaST_SU_EUlST_E0_NS1_11comp_targetILNS1_3genE2ELNS1_11target_archE906ELNS1_3gpuE6ELNS1_3repE0EEENS1_30default_config_static_selectorELNS0_4arch9wavefront6targetE0EEEvT1_.uses_flat_scratch, 0
	.set _ZN7rocprim17ROCPRIM_400000_NS6detail17trampoline_kernelINS0_14default_configENS1_20scan_config_selectorIN3c108BFloat16EEEZZNS1_9scan_implILNS1_25lookback_scan_determinismE0ELb0ELb0ES3_PKS6_PS6_S6_ZZZN2at6native31launch_logcumsumexp_cuda_kernelERKNSD_10TensorBaseESH_lENKUlvE_clEvENKUlvE4_clEvEUlS6_S6_E_S6_EEDaPvRmT3_T4_T5_mT6_P12ihipStream_tbENKUlT_T0_E_clISt17integral_constantIbLb1EESX_IbLb0EEEEDaST_SU_EUlST_E0_NS1_11comp_targetILNS1_3genE2ELNS1_11target_archE906ELNS1_3gpuE6ELNS1_3repE0EEENS1_30default_config_static_selectorELNS0_4arch9wavefront6targetE0EEEvT1_.has_dyn_sized_stack, 0
	.set _ZN7rocprim17ROCPRIM_400000_NS6detail17trampoline_kernelINS0_14default_configENS1_20scan_config_selectorIN3c108BFloat16EEEZZNS1_9scan_implILNS1_25lookback_scan_determinismE0ELb0ELb0ES3_PKS6_PS6_S6_ZZZN2at6native31launch_logcumsumexp_cuda_kernelERKNSD_10TensorBaseESH_lENKUlvE_clEvENKUlvE4_clEvEUlS6_S6_E_S6_EEDaPvRmT3_T4_T5_mT6_P12ihipStream_tbENKUlT_T0_E_clISt17integral_constantIbLb1EESX_IbLb0EEEEDaST_SU_EUlST_E0_NS1_11comp_targetILNS1_3genE2ELNS1_11target_archE906ELNS1_3gpuE6ELNS1_3repE0EEENS1_30default_config_static_selectorELNS0_4arch9wavefront6targetE0EEEvT1_.has_recursion, 0
	.set _ZN7rocprim17ROCPRIM_400000_NS6detail17trampoline_kernelINS0_14default_configENS1_20scan_config_selectorIN3c108BFloat16EEEZZNS1_9scan_implILNS1_25lookback_scan_determinismE0ELb0ELb0ES3_PKS6_PS6_S6_ZZZN2at6native31launch_logcumsumexp_cuda_kernelERKNSD_10TensorBaseESH_lENKUlvE_clEvENKUlvE4_clEvEUlS6_S6_E_S6_EEDaPvRmT3_T4_T5_mT6_P12ihipStream_tbENKUlT_T0_E_clISt17integral_constantIbLb1EESX_IbLb0EEEEDaST_SU_EUlST_E0_NS1_11comp_targetILNS1_3genE2ELNS1_11target_archE906ELNS1_3gpuE6ELNS1_3repE0EEENS1_30default_config_static_selectorELNS0_4arch9wavefront6targetE0EEEvT1_.has_indirect_call, 0
	.section	.AMDGPU.csdata,"",@progbits
; Kernel info:
; codeLenInByte = 0
; TotalNumSgprs: 0
; NumVgprs: 0
; ScratchSize: 0
; MemoryBound: 0
; FloatMode: 240
; IeeeMode: 1
; LDSByteSize: 0 bytes/workgroup (compile time only)
; SGPRBlocks: 0
; VGPRBlocks: 0
; NumSGPRsForWavesPerEU: 1
; NumVGPRsForWavesPerEU: 1
; Occupancy: 16
; WaveLimiterHint : 0
; COMPUTE_PGM_RSRC2:SCRATCH_EN: 0
; COMPUTE_PGM_RSRC2:USER_SGPR: 6
; COMPUTE_PGM_RSRC2:TRAP_HANDLER: 0
; COMPUTE_PGM_RSRC2:TGID_X_EN: 1
; COMPUTE_PGM_RSRC2:TGID_Y_EN: 0
; COMPUTE_PGM_RSRC2:TGID_Z_EN: 0
; COMPUTE_PGM_RSRC2:TIDIG_COMP_CNT: 0
	.section	.text._ZN7rocprim17ROCPRIM_400000_NS6detail17trampoline_kernelINS0_14default_configENS1_20scan_config_selectorIN3c108BFloat16EEEZZNS1_9scan_implILNS1_25lookback_scan_determinismE0ELb0ELb0ES3_PKS6_PS6_S6_ZZZN2at6native31launch_logcumsumexp_cuda_kernelERKNSD_10TensorBaseESH_lENKUlvE_clEvENKUlvE4_clEvEUlS6_S6_E_S6_EEDaPvRmT3_T4_T5_mT6_P12ihipStream_tbENKUlT_T0_E_clISt17integral_constantIbLb1EESX_IbLb0EEEEDaST_SU_EUlST_E0_NS1_11comp_targetILNS1_3genE10ELNS1_11target_archE1201ELNS1_3gpuE5ELNS1_3repE0EEENS1_30default_config_static_selectorELNS0_4arch9wavefront6targetE0EEEvT1_,"axG",@progbits,_ZN7rocprim17ROCPRIM_400000_NS6detail17trampoline_kernelINS0_14default_configENS1_20scan_config_selectorIN3c108BFloat16EEEZZNS1_9scan_implILNS1_25lookback_scan_determinismE0ELb0ELb0ES3_PKS6_PS6_S6_ZZZN2at6native31launch_logcumsumexp_cuda_kernelERKNSD_10TensorBaseESH_lENKUlvE_clEvENKUlvE4_clEvEUlS6_S6_E_S6_EEDaPvRmT3_T4_T5_mT6_P12ihipStream_tbENKUlT_T0_E_clISt17integral_constantIbLb1EESX_IbLb0EEEEDaST_SU_EUlST_E0_NS1_11comp_targetILNS1_3genE10ELNS1_11target_archE1201ELNS1_3gpuE5ELNS1_3repE0EEENS1_30default_config_static_selectorELNS0_4arch9wavefront6targetE0EEEvT1_,comdat
	.globl	_ZN7rocprim17ROCPRIM_400000_NS6detail17trampoline_kernelINS0_14default_configENS1_20scan_config_selectorIN3c108BFloat16EEEZZNS1_9scan_implILNS1_25lookback_scan_determinismE0ELb0ELb0ES3_PKS6_PS6_S6_ZZZN2at6native31launch_logcumsumexp_cuda_kernelERKNSD_10TensorBaseESH_lENKUlvE_clEvENKUlvE4_clEvEUlS6_S6_E_S6_EEDaPvRmT3_T4_T5_mT6_P12ihipStream_tbENKUlT_T0_E_clISt17integral_constantIbLb1EESX_IbLb0EEEEDaST_SU_EUlST_E0_NS1_11comp_targetILNS1_3genE10ELNS1_11target_archE1201ELNS1_3gpuE5ELNS1_3repE0EEENS1_30default_config_static_selectorELNS0_4arch9wavefront6targetE0EEEvT1_ ; -- Begin function _ZN7rocprim17ROCPRIM_400000_NS6detail17trampoline_kernelINS0_14default_configENS1_20scan_config_selectorIN3c108BFloat16EEEZZNS1_9scan_implILNS1_25lookback_scan_determinismE0ELb0ELb0ES3_PKS6_PS6_S6_ZZZN2at6native31launch_logcumsumexp_cuda_kernelERKNSD_10TensorBaseESH_lENKUlvE_clEvENKUlvE4_clEvEUlS6_S6_E_S6_EEDaPvRmT3_T4_T5_mT6_P12ihipStream_tbENKUlT_T0_E_clISt17integral_constantIbLb1EESX_IbLb0EEEEDaST_SU_EUlST_E0_NS1_11comp_targetILNS1_3genE10ELNS1_11target_archE1201ELNS1_3gpuE5ELNS1_3repE0EEENS1_30default_config_static_selectorELNS0_4arch9wavefront6targetE0EEEvT1_
	.p2align	8
	.type	_ZN7rocprim17ROCPRIM_400000_NS6detail17trampoline_kernelINS0_14default_configENS1_20scan_config_selectorIN3c108BFloat16EEEZZNS1_9scan_implILNS1_25lookback_scan_determinismE0ELb0ELb0ES3_PKS6_PS6_S6_ZZZN2at6native31launch_logcumsumexp_cuda_kernelERKNSD_10TensorBaseESH_lENKUlvE_clEvENKUlvE4_clEvEUlS6_S6_E_S6_EEDaPvRmT3_T4_T5_mT6_P12ihipStream_tbENKUlT_T0_E_clISt17integral_constantIbLb1EESX_IbLb0EEEEDaST_SU_EUlST_E0_NS1_11comp_targetILNS1_3genE10ELNS1_11target_archE1201ELNS1_3gpuE5ELNS1_3repE0EEENS1_30default_config_static_selectorELNS0_4arch9wavefront6targetE0EEEvT1_,@function
_ZN7rocprim17ROCPRIM_400000_NS6detail17trampoline_kernelINS0_14default_configENS1_20scan_config_selectorIN3c108BFloat16EEEZZNS1_9scan_implILNS1_25lookback_scan_determinismE0ELb0ELb0ES3_PKS6_PS6_S6_ZZZN2at6native31launch_logcumsumexp_cuda_kernelERKNSD_10TensorBaseESH_lENKUlvE_clEvENKUlvE4_clEvEUlS6_S6_E_S6_EEDaPvRmT3_T4_T5_mT6_P12ihipStream_tbENKUlT_T0_E_clISt17integral_constantIbLb1EESX_IbLb0EEEEDaST_SU_EUlST_E0_NS1_11comp_targetILNS1_3genE10ELNS1_11target_archE1201ELNS1_3gpuE5ELNS1_3repE0EEENS1_30default_config_static_selectorELNS0_4arch9wavefront6targetE0EEEvT1_: ; @_ZN7rocprim17ROCPRIM_400000_NS6detail17trampoline_kernelINS0_14default_configENS1_20scan_config_selectorIN3c108BFloat16EEEZZNS1_9scan_implILNS1_25lookback_scan_determinismE0ELb0ELb0ES3_PKS6_PS6_S6_ZZZN2at6native31launch_logcumsumexp_cuda_kernelERKNSD_10TensorBaseESH_lENKUlvE_clEvENKUlvE4_clEvEUlS6_S6_E_S6_EEDaPvRmT3_T4_T5_mT6_P12ihipStream_tbENKUlT_T0_E_clISt17integral_constantIbLb1EESX_IbLb0EEEEDaST_SU_EUlST_E0_NS1_11comp_targetILNS1_3genE10ELNS1_11target_archE1201ELNS1_3gpuE5ELNS1_3repE0EEENS1_30default_config_static_selectorELNS0_4arch9wavefront6targetE0EEEvT1_
; %bb.0:
	.section	.rodata,"a",@progbits
	.p2align	6, 0x0
	.amdhsa_kernel _ZN7rocprim17ROCPRIM_400000_NS6detail17trampoline_kernelINS0_14default_configENS1_20scan_config_selectorIN3c108BFloat16EEEZZNS1_9scan_implILNS1_25lookback_scan_determinismE0ELb0ELb0ES3_PKS6_PS6_S6_ZZZN2at6native31launch_logcumsumexp_cuda_kernelERKNSD_10TensorBaseESH_lENKUlvE_clEvENKUlvE4_clEvEUlS6_S6_E_S6_EEDaPvRmT3_T4_T5_mT6_P12ihipStream_tbENKUlT_T0_E_clISt17integral_constantIbLb1EESX_IbLb0EEEEDaST_SU_EUlST_E0_NS1_11comp_targetILNS1_3genE10ELNS1_11target_archE1201ELNS1_3gpuE5ELNS1_3repE0EEENS1_30default_config_static_selectorELNS0_4arch9wavefront6targetE0EEEvT1_
		.amdhsa_group_segment_fixed_size 0
		.amdhsa_private_segment_fixed_size 0
		.amdhsa_kernarg_size 32
		.amdhsa_user_sgpr_count 6
		.amdhsa_user_sgpr_private_segment_buffer 1
		.amdhsa_user_sgpr_dispatch_ptr 0
		.amdhsa_user_sgpr_queue_ptr 0
		.amdhsa_user_sgpr_kernarg_segment_ptr 1
		.amdhsa_user_sgpr_dispatch_id 0
		.amdhsa_user_sgpr_flat_scratch_init 0
		.amdhsa_user_sgpr_private_segment_size 0
		.amdhsa_wavefront_size32 1
		.amdhsa_uses_dynamic_stack 0
		.amdhsa_system_sgpr_private_segment_wavefront_offset 0
		.amdhsa_system_sgpr_workgroup_id_x 1
		.amdhsa_system_sgpr_workgroup_id_y 0
		.amdhsa_system_sgpr_workgroup_id_z 0
		.amdhsa_system_sgpr_workgroup_info 0
		.amdhsa_system_vgpr_workitem_id 0
		.amdhsa_next_free_vgpr 1
		.amdhsa_next_free_sgpr 1
		.amdhsa_reserve_vcc 0
		.amdhsa_reserve_flat_scratch 0
		.amdhsa_float_round_mode_32 0
		.amdhsa_float_round_mode_16_64 0
		.amdhsa_float_denorm_mode_32 3
		.amdhsa_float_denorm_mode_16_64 3
		.amdhsa_dx10_clamp 1
		.amdhsa_ieee_mode 1
		.amdhsa_fp16_overflow 0
		.amdhsa_workgroup_processor_mode 1
		.amdhsa_memory_ordered 1
		.amdhsa_forward_progress 1
		.amdhsa_shared_vgpr_count 0
		.amdhsa_exception_fp_ieee_invalid_op 0
		.amdhsa_exception_fp_denorm_src 0
		.amdhsa_exception_fp_ieee_div_zero 0
		.amdhsa_exception_fp_ieee_overflow 0
		.amdhsa_exception_fp_ieee_underflow 0
		.amdhsa_exception_fp_ieee_inexact 0
		.amdhsa_exception_int_div_zero 0
	.end_amdhsa_kernel
	.section	.text._ZN7rocprim17ROCPRIM_400000_NS6detail17trampoline_kernelINS0_14default_configENS1_20scan_config_selectorIN3c108BFloat16EEEZZNS1_9scan_implILNS1_25lookback_scan_determinismE0ELb0ELb0ES3_PKS6_PS6_S6_ZZZN2at6native31launch_logcumsumexp_cuda_kernelERKNSD_10TensorBaseESH_lENKUlvE_clEvENKUlvE4_clEvEUlS6_S6_E_S6_EEDaPvRmT3_T4_T5_mT6_P12ihipStream_tbENKUlT_T0_E_clISt17integral_constantIbLb1EESX_IbLb0EEEEDaST_SU_EUlST_E0_NS1_11comp_targetILNS1_3genE10ELNS1_11target_archE1201ELNS1_3gpuE5ELNS1_3repE0EEENS1_30default_config_static_selectorELNS0_4arch9wavefront6targetE0EEEvT1_,"axG",@progbits,_ZN7rocprim17ROCPRIM_400000_NS6detail17trampoline_kernelINS0_14default_configENS1_20scan_config_selectorIN3c108BFloat16EEEZZNS1_9scan_implILNS1_25lookback_scan_determinismE0ELb0ELb0ES3_PKS6_PS6_S6_ZZZN2at6native31launch_logcumsumexp_cuda_kernelERKNSD_10TensorBaseESH_lENKUlvE_clEvENKUlvE4_clEvEUlS6_S6_E_S6_EEDaPvRmT3_T4_T5_mT6_P12ihipStream_tbENKUlT_T0_E_clISt17integral_constantIbLb1EESX_IbLb0EEEEDaST_SU_EUlST_E0_NS1_11comp_targetILNS1_3genE10ELNS1_11target_archE1201ELNS1_3gpuE5ELNS1_3repE0EEENS1_30default_config_static_selectorELNS0_4arch9wavefront6targetE0EEEvT1_,comdat
.Lfunc_end498:
	.size	_ZN7rocprim17ROCPRIM_400000_NS6detail17trampoline_kernelINS0_14default_configENS1_20scan_config_selectorIN3c108BFloat16EEEZZNS1_9scan_implILNS1_25lookback_scan_determinismE0ELb0ELb0ES3_PKS6_PS6_S6_ZZZN2at6native31launch_logcumsumexp_cuda_kernelERKNSD_10TensorBaseESH_lENKUlvE_clEvENKUlvE4_clEvEUlS6_S6_E_S6_EEDaPvRmT3_T4_T5_mT6_P12ihipStream_tbENKUlT_T0_E_clISt17integral_constantIbLb1EESX_IbLb0EEEEDaST_SU_EUlST_E0_NS1_11comp_targetILNS1_3genE10ELNS1_11target_archE1201ELNS1_3gpuE5ELNS1_3repE0EEENS1_30default_config_static_selectorELNS0_4arch9wavefront6targetE0EEEvT1_, .Lfunc_end498-_ZN7rocprim17ROCPRIM_400000_NS6detail17trampoline_kernelINS0_14default_configENS1_20scan_config_selectorIN3c108BFloat16EEEZZNS1_9scan_implILNS1_25lookback_scan_determinismE0ELb0ELb0ES3_PKS6_PS6_S6_ZZZN2at6native31launch_logcumsumexp_cuda_kernelERKNSD_10TensorBaseESH_lENKUlvE_clEvENKUlvE4_clEvEUlS6_S6_E_S6_EEDaPvRmT3_T4_T5_mT6_P12ihipStream_tbENKUlT_T0_E_clISt17integral_constantIbLb1EESX_IbLb0EEEEDaST_SU_EUlST_E0_NS1_11comp_targetILNS1_3genE10ELNS1_11target_archE1201ELNS1_3gpuE5ELNS1_3repE0EEENS1_30default_config_static_selectorELNS0_4arch9wavefront6targetE0EEEvT1_
                                        ; -- End function
	.set _ZN7rocprim17ROCPRIM_400000_NS6detail17trampoline_kernelINS0_14default_configENS1_20scan_config_selectorIN3c108BFloat16EEEZZNS1_9scan_implILNS1_25lookback_scan_determinismE0ELb0ELb0ES3_PKS6_PS6_S6_ZZZN2at6native31launch_logcumsumexp_cuda_kernelERKNSD_10TensorBaseESH_lENKUlvE_clEvENKUlvE4_clEvEUlS6_S6_E_S6_EEDaPvRmT3_T4_T5_mT6_P12ihipStream_tbENKUlT_T0_E_clISt17integral_constantIbLb1EESX_IbLb0EEEEDaST_SU_EUlST_E0_NS1_11comp_targetILNS1_3genE10ELNS1_11target_archE1201ELNS1_3gpuE5ELNS1_3repE0EEENS1_30default_config_static_selectorELNS0_4arch9wavefront6targetE0EEEvT1_.num_vgpr, 0
	.set _ZN7rocprim17ROCPRIM_400000_NS6detail17trampoline_kernelINS0_14default_configENS1_20scan_config_selectorIN3c108BFloat16EEEZZNS1_9scan_implILNS1_25lookback_scan_determinismE0ELb0ELb0ES3_PKS6_PS6_S6_ZZZN2at6native31launch_logcumsumexp_cuda_kernelERKNSD_10TensorBaseESH_lENKUlvE_clEvENKUlvE4_clEvEUlS6_S6_E_S6_EEDaPvRmT3_T4_T5_mT6_P12ihipStream_tbENKUlT_T0_E_clISt17integral_constantIbLb1EESX_IbLb0EEEEDaST_SU_EUlST_E0_NS1_11comp_targetILNS1_3genE10ELNS1_11target_archE1201ELNS1_3gpuE5ELNS1_3repE0EEENS1_30default_config_static_selectorELNS0_4arch9wavefront6targetE0EEEvT1_.num_agpr, 0
	.set _ZN7rocprim17ROCPRIM_400000_NS6detail17trampoline_kernelINS0_14default_configENS1_20scan_config_selectorIN3c108BFloat16EEEZZNS1_9scan_implILNS1_25lookback_scan_determinismE0ELb0ELb0ES3_PKS6_PS6_S6_ZZZN2at6native31launch_logcumsumexp_cuda_kernelERKNSD_10TensorBaseESH_lENKUlvE_clEvENKUlvE4_clEvEUlS6_S6_E_S6_EEDaPvRmT3_T4_T5_mT6_P12ihipStream_tbENKUlT_T0_E_clISt17integral_constantIbLb1EESX_IbLb0EEEEDaST_SU_EUlST_E0_NS1_11comp_targetILNS1_3genE10ELNS1_11target_archE1201ELNS1_3gpuE5ELNS1_3repE0EEENS1_30default_config_static_selectorELNS0_4arch9wavefront6targetE0EEEvT1_.numbered_sgpr, 0
	.set _ZN7rocprim17ROCPRIM_400000_NS6detail17trampoline_kernelINS0_14default_configENS1_20scan_config_selectorIN3c108BFloat16EEEZZNS1_9scan_implILNS1_25lookback_scan_determinismE0ELb0ELb0ES3_PKS6_PS6_S6_ZZZN2at6native31launch_logcumsumexp_cuda_kernelERKNSD_10TensorBaseESH_lENKUlvE_clEvENKUlvE4_clEvEUlS6_S6_E_S6_EEDaPvRmT3_T4_T5_mT6_P12ihipStream_tbENKUlT_T0_E_clISt17integral_constantIbLb1EESX_IbLb0EEEEDaST_SU_EUlST_E0_NS1_11comp_targetILNS1_3genE10ELNS1_11target_archE1201ELNS1_3gpuE5ELNS1_3repE0EEENS1_30default_config_static_selectorELNS0_4arch9wavefront6targetE0EEEvT1_.num_named_barrier, 0
	.set _ZN7rocprim17ROCPRIM_400000_NS6detail17trampoline_kernelINS0_14default_configENS1_20scan_config_selectorIN3c108BFloat16EEEZZNS1_9scan_implILNS1_25lookback_scan_determinismE0ELb0ELb0ES3_PKS6_PS6_S6_ZZZN2at6native31launch_logcumsumexp_cuda_kernelERKNSD_10TensorBaseESH_lENKUlvE_clEvENKUlvE4_clEvEUlS6_S6_E_S6_EEDaPvRmT3_T4_T5_mT6_P12ihipStream_tbENKUlT_T0_E_clISt17integral_constantIbLb1EESX_IbLb0EEEEDaST_SU_EUlST_E0_NS1_11comp_targetILNS1_3genE10ELNS1_11target_archE1201ELNS1_3gpuE5ELNS1_3repE0EEENS1_30default_config_static_selectorELNS0_4arch9wavefront6targetE0EEEvT1_.private_seg_size, 0
	.set _ZN7rocprim17ROCPRIM_400000_NS6detail17trampoline_kernelINS0_14default_configENS1_20scan_config_selectorIN3c108BFloat16EEEZZNS1_9scan_implILNS1_25lookback_scan_determinismE0ELb0ELb0ES3_PKS6_PS6_S6_ZZZN2at6native31launch_logcumsumexp_cuda_kernelERKNSD_10TensorBaseESH_lENKUlvE_clEvENKUlvE4_clEvEUlS6_S6_E_S6_EEDaPvRmT3_T4_T5_mT6_P12ihipStream_tbENKUlT_T0_E_clISt17integral_constantIbLb1EESX_IbLb0EEEEDaST_SU_EUlST_E0_NS1_11comp_targetILNS1_3genE10ELNS1_11target_archE1201ELNS1_3gpuE5ELNS1_3repE0EEENS1_30default_config_static_selectorELNS0_4arch9wavefront6targetE0EEEvT1_.uses_vcc, 0
	.set _ZN7rocprim17ROCPRIM_400000_NS6detail17trampoline_kernelINS0_14default_configENS1_20scan_config_selectorIN3c108BFloat16EEEZZNS1_9scan_implILNS1_25lookback_scan_determinismE0ELb0ELb0ES3_PKS6_PS6_S6_ZZZN2at6native31launch_logcumsumexp_cuda_kernelERKNSD_10TensorBaseESH_lENKUlvE_clEvENKUlvE4_clEvEUlS6_S6_E_S6_EEDaPvRmT3_T4_T5_mT6_P12ihipStream_tbENKUlT_T0_E_clISt17integral_constantIbLb1EESX_IbLb0EEEEDaST_SU_EUlST_E0_NS1_11comp_targetILNS1_3genE10ELNS1_11target_archE1201ELNS1_3gpuE5ELNS1_3repE0EEENS1_30default_config_static_selectorELNS0_4arch9wavefront6targetE0EEEvT1_.uses_flat_scratch, 0
	.set _ZN7rocprim17ROCPRIM_400000_NS6detail17trampoline_kernelINS0_14default_configENS1_20scan_config_selectorIN3c108BFloat16EEEZZNS1_9scan_implILNS1_25lookback_scan_determinismE0ELb0ELb0ES3_PKS6_PS6_S6_ZZZN2at6native31launch_logcumsumexp_cuda_kernelERKNSD_10TensorBaseESH_lENKUlvE_clEvENKUlvE4_clEvEUlS6_S6_E_S6_EEDaPvRmT3_T4_T5_mT6_P12ihipStream_tbENKUlT_T0_E_clISt17integral_constantIbLb1EESX_IbLb0EEEEDaST_SU_EUlST_E0_NS1_11comp_targetILNS1_3genE10ELNS1_11target_archE1201ELNS1_3gpuE5ELNS1_3repE0EEENS1_30default_config_static_selectorELNS0_4arch9wavefront6targetE0EEEvT1_.has_dyn_sized_stack, 0
	.set _ZN7rocprim17ROCPRIM_400000_NS6detail17trampoline_kernelINS0_14default_configENS1_20scan_config_selectorIN3c108BFloat16EEEZZNS1_9scan_implILNS1_25lookback_scan_determinismE0ELb0ELb0ES3_PKS6_PS6_S6_ZZZN2at6native31launch_logcumsumexp_cuda_kernelERKNSD_10TensorBaseESH_lENKUlvE_clEvENKUlvE4_clEvEUlS6_S6_E_S6_EEDaPvRmT3_T4_T5_mT6_P12ihipStream_tbENKUlT_T0_E_clISt17integral_constantIbLb1EESX_IbLb0EEEEDaST_SU_EUlST_E0_NS1_11comp_targetILNS1_3genE10ELNS1_11target_archE1201ELNS1_3gpuE5ELNS1_3repE0EEENS1_30default_config_static_selectorELNS0_4arch9wavefront6targetE0EEEvT1_.has_recursion, 0
	.set _ZN7rocprim17ROCPRIM_400000_NS6detail17trampoline_kernelINS0_14default_configENS1_20scan_config_selectorIN3c108BFloat16EEEZZNS1_9scan_implILNS1_25lookback_scan_determinismE0ELb0ELb0ES3_PKS6_PS6_S6_ZZZN2at6native31launch_logcumsumexp_cuda_kernelERKNSD_10TensorBaseESH_lENKUlvE_clEvENKUlvE4_clEvEUlS6_S6_E_S6_EEDaPvRmT3_T4_T5_mT6_P12ihipStream_tbENKUlT_T0_E_clISt17integral_constantIbLb1EESX_IbLb0EEEEDaST_SU_EUlST_E0_NS1_11comp_targetILNS1_3genE10ELNS1_11target_archE1201ELNS1_3gpuE5ELNS1_3repE0EEENS1_30default_config_static_selectorELNS0_4arch9wavefront6targetE0EEEvT1_.has_indirect_call, 0
	.section	.AMDGPU.csdata,"",@progbits
; Kernel info:
; codeLenInByte = 0
; TotalNumSgprs: 0
; NumVgprs: 0
; ScratchSize: 0
; MemoryBound: 0
; FloatMode: 240
; IeeeMode: 1
; LDSByteSize: 0 bytes/workgroup (compile time only)
; SGPRBlocks: 0
; VGPRBlocks: 0
; NumSGPRsForWavesPerEU: 1
; NumVGPRsForWavesPerEU: 1
; Occupancy: 16
; WaveLimiterHint : 0
; COMPUTE_PGM_RSRC2:SCRATCH_EN: 0
; COMPUTE_PGM_RSRC2:USER_SGPR: 6
; COMPUTE_PGM_RSRC2:TRAP_HANDLER: 0
; COMPUTE_PGM_RSRC2:TGID_X_EN: 1
; COMPUTE_PGM_RSRC2:TGID_Y_EN: 0
; COMPUTE_PGM_RSRC2:TGID_Z_EN: 0
; COMPUTE_PGM_RSRC2:TIDIG_COMP_CNT: 0
	.section	.text._ZN7rocprim17ROCPRIM_400000_NS6detail17trampoline_kernelINS0_14default_configENS1_20scan_config_selectorIN3c108BFloat16EEEZZNS1_9scan_implILNS1_25lookback_scan_determinismE0ELb0ELb0ES3_PKS6_PS6_S6_ZZZN2at6native31launch_logcumsumexp_cuda_kernelERKNSD_10TensorBaseESH_lENKUlvE_clEvENKUlvE4_clEvEUlS6_S6_E_S6_EEDaPvRmT3_T4_T5_mT6_P12ihipStream_tbENKUlT_T0_E_clISt17integral_constantIbLb1EESX_IbLb0EEEEDaST_SU_EUlST_E0_NS1_11comp_targetILNS1_3genE10ELNS1_11target_archE1200ELNS1_3gpuE4ELNS1_3repE0EEENS1_30default_config_static_selectorELNS0_4arch9wavefront6targetE0EEEvT1_,"axG",@progbits,_ZN7rocprim17ROCPRIM_400000_NS6detail17trampoline_kernelINS0_14default_configENS1_20scan_config_selectorIN3c108BFloat16EEEZZNS1_9scan_implILNS1_25lookback_scan_determinismE0ELb0ELb0ES3_PKS6_PS6_S6_ZZZN2at6native31launch_logcumsumexp_cuda_kernelERKNSD_10TensorBaseESH_lENKUlvE_clEvENKUlvE4_clEvEUlS6_S6_E_S6_EEDaPvRmT3_T4_T5_mT6_P12ihipStream_tbENKUlT_T0_E_clISt17integral_constantIbLb1EESX_IbLb0EEEEDaST_SU_EUlST_E0_NS1_11comp_targetILNS1_3genE10ELNS1_11target_archE1200ELNS1_3gpuE4ELNS1_3repE0EEENS1_30default_config_static_selectorELNS0_4arch9wavefront6targetE0EEEvT1_,comdat
	.globl	_ZN7rocprim17ROCPRIM_400000_NS6detail17trampoline_kernelINS0_14default_configENS1_20scan_config_selectorIN3c108BFloat16EEEZZNS1_9scan_implILNS1_25lookback_scan_determinismE0ELb0ELb0ES3_PKS6_PS6_S6_ZZZN2at6native31launch_logcumsumexp_cuda_kernelERKNSD_10TensorBaseESH_lENKUlvE_clEvENKUlvE4_clEvEUlS6_S6_E_S6_EEDaPvRmT3_T4_T5_mT6_P12ihipStream_tbENKUlT_T0_E_clISt17integral_constantIbLb1EESX_IbLb0EEEEDaST_SU_EUlST_E0_NS1_11comp_targetILNS1_3genE10ELNS1_11target_archE1200ELNS1_3gpuE4ELNS1_3repE0EEENS1_30default_config_static_selectorELNS0_4arch9wavefront6targetE0EEEvT1_ ; -- Begin function _ZN7rocprim17ROCPRIM_400000_NS6detail17trampoline_kernelINS0_14default_configENS1_20scan_config_selectorIN3c108BFloat16EEEZZNS1_9scan_implILNS1_25lookback_scan_determinismE0ELb0ELb0ES3_PKS6_PS6_S6_ZZZN2at6native31launch_logcumsumexp_cuda_kernelERKNSD_10TensorBaseESH_lENKUlvE_clEvENKUlvE4_clEvEUlS6_S6_E_S6_EEDaPvRmT3_T4_T5_mT6_P12ihipStream_tbENKUlT_T0_E_clISt17integral_constantIbLb1EESX_IbLb0EEEEDaST_SU_EUlST_E0_NS1_11comp_targetILNS1_3genE10ELNS1_11target_archE1200ELNS1_3gpuE4ELNS1_3repE0EEENS1_30default_config_static_selectorELNS0_4arch9wavefront6targetE0EEEvT1_
	.p2align	8
	.type	_ZN7rocprim17ROCPRIM_400000_NS6detail17trampoline_kernelINS0_14default_configENS1_20scan_config_selectorIN3c108BFloat16EEEZZNS1_9scan_implILNS1_25lookback_scan_determinismE0ELb0ELb0ES3_PKS6_PS6_S6_ZZZN2at6native31launch_logcumsumexp_cuda_kernelERKNSD_10TensorBaseESH_lENKUlvE_clEvENKUlvE4_clEvEUlS6_S6_E_S6_EEDaPvRmT3_T4_T5_mT6_P12ihipStream_tbENKUlT_T0_E_clISt17integral_constantIbLb1EESX_IbLb0EEEEDaST_SU_EUlST_E0_NS1_11comp_targetILNS1_3genE10ELNS1_11target_archE1200ELNS1_3gpuE4ELNS1_3repE0EEENS1_30default_config_static_selectorELNS0_4arch9wavefront6targetE0EEEvT1_,@function
_ZN7rocprim17ROCPRIM_400000_NS6detail17trampoline_kernelINS0_14default_configENS1_20scan_config_selectorIN3c108BFloat16EEEZZNS1_9scan_implILNS1_25lookback_scan_determinismE0ELb0ELb0ES3_PKS6_PS6_S6_ZZZN2at6native31launch_logcumsumexp_cuda_kernelERKNSD_10TensorBaseESH_lENKUlvE_clEvENKUlvE4_clEvEUlS6_S6_E_S6_EEDaPvRmT3_T4_T5_mT6_P12ihipStream_tbENKUlT_T0_E_clISt17integral_constantIbLb1EESX_IbLb0EEEEDaST_SU_EUlST_E0_NS1_11comp_targetILNS1_3genE10ELNS1_11target_archE1200ELNS1_3gpuE4ELNS1_3repE0EEENS1_30default_config_static_selectorELNS0_4arch9wavefront6targetE0EEEvT1_: ; @_ZN7rocprim17ROCPRIM_400000_NS6detail17trampoline_kernelINS0_14default_configENS1_20scan_config_selectorIN3c108BFloat16EEEZZNS1_9scan_implILNS1_25lookback_scan_determinismE0ELb0ELb0ES3_PKS6_PS6_S6_ZZZN2at6native31launch_logcumsumexp_cuda_kernelERKNSD_10TensorBaseESH_lENKUlvE_clEvENKUlvE4_clEvEUlS6_S6_E_S6_EEDaPvRmT3_T4_T5_mT6_P12ihipStream_tbENKUlT_T0_E_clISt17integral_constantIbLb1EESX_IbLb0EEEEDaST_SU_EUlST_E0_NS1_11comp_targetILNS1_3genE10ELNS1_11target_archE1200ELNS1_3gpuE4ELNS1_3repE0EEENS1_30default_config_static_selectorELNS0_4arch9wavefront6targetE0EEEvT1_
; %bb.0:
	.section	.rodata,"a",@progbits
	.p2align	6, 0x0
	.amdhsa_kernel _ZN7rocprim17ROCPRIM_400000_NS6detail17trampoline_kernelINS0_14default_configENS1_20scan_config_selectorIN3c108BFloat16EEEZZNS1_9scan_implILNS1_25lookback_scan_determinismE0ELb0ELb0ES3_PKS6_PS6_S6_ZZZN2at6native31launch_logcumsumexp_cuda_kernelERKNSD_10TensorBaseESH_lENKUlvE_clEvENKUlvE4_clEvEUlS6_S6_E_S6_EEDaPvRmT3_T4_T5_mT6_P12ihipStream_tbENKUlT_T0_E_clISt17integral_constantIbLb1EESX_IbLb0EEEEDaST_SU_EUlST_E0_NS1_11comp_targetILNS1_3genE10ELNS1_11target_archE1200ELNS1_3gpuE4ELNS1_3repE0EEENS1_30default_config_static_selectorELNS0_4arch9wavefront6targetE0EEEvT1_
		.amdhsa_group_segment_fixed_size 0
		.amdhsa_private_segment_fixed_size 0
		.amdhsa_kernarg_size 32
		.amdhsa_user_sgpr_count 6
		.amdhsa_user_sgpr_private_segment_buffer 1
		.amdhsa_user_sgpr_dispatch_ptr 0
		.amdhsa_user_sgpr_queue_ptr 0
		.amdhsa_user_sgpr_kernarg_segment_ptr 1
		.amdhsa_user_sgpr_dispatch_id 0
		.amdhsa_user_sgpr_flat_scratch_init 0
		.amdhsa_user_sgpr_private_segment_size 0
		.amdhsa_wavefront_size32 1
		.amdhsa_uses_dynamic_stack 0
		.amdhsa_system_sgpr_private_segment_wavefront_offset 0
		.amdhsa_system_sgpr_workgroup_id_x 1
		.amdhsa_system_sgpr_workgroup_id_y 0
		.amdhsa_system_sgpr_workgroup_id_z 0
		.amdhsa_system_sgpr_workgroup_info 0
		.amdhsa_system_vgpr_workitem_id 0
		.amdhsa_next_free_vgpr 1
		.amdhsa_next_free_sgpr 1
		.amdhsa_reserve_vcc 0
		.amdhsa_reserve_flat_scratch 0
		.amdhsa_float_round_mode_32 0
		.amdhsa_float_round_mode_16_64 0
		.amdhsa_float_denorm_mode_32 3
		.amdhsa_float_denorm_mode_16_64 3
		.amdhsa_dx10_clamp 1
		.amdhsa_ieee_mode 1
		.amdhsa_fp16_overflow 0
		.amdhsa_workgroup_processor_mode 1
		.amdhsa_memory_ordered 1
		.amdhsa_forward_progress 1
		.amdhsa_shared_vgpr_count 0
		.amdhsa_exception_fp_ieee_invalid_op 0
		.amdhsa_exception_fp_denorm_src 0
		.amdhsa_exception_fp_ieee_div_zero 0
		.amdhsa_exception_fp_ieee_overflow 0
		.amdhsa_exception_fp_ieee_underflow 0
		.amdhsa_exception_fp_ieee_inexact 0
		.amdhsa_exception_int_div_zero 0
	.end_amdhsa_kernel
	.section	.text._ZN7rocprim17ROCPRIM_400000_NS6detail17trampoline_kernelINS0_14default_configENS1_20scan_config_selectorIN3c108BFloat16EEEZZNS1_9scan_implILNS1_25lookback_scan_determinismE0ELb0ELb0ES3_PKS6_PS6_S6_ZZZN2at6native31launch_logcumsumexp_cuda_kernelERKNSD_10TensorBaseESH_lENKUlvE_clEvENKUlvE4_clEvEUlS6_S6_E_S6_EEDaPvRmT3_T4_T5_mT6_P12ihipStream_tbENKUlT_T0_E_clISt17integral_constantIbLb1EESX_IbLb0EEEEDaST_SU_EUlST_E0_NS1_11comp_targetILNS1_3genE10ELNS1_11target_archE1200ELNS1_3gpuE4ELNS1_3repE0EEENS1_30default_config_static_selectorELNS0_4arch9wavefront6targetE0EEEvT1_,"axG",@progbits,_ZN7rocprim17ROCPRIM_400000_NS6detail17trampoline_kernelINS0_14default_configENS1_20scan_config_selectorIN3c108BFloat16EEEZZNS1_9scan_implILNS1_25lookback_scan_determinismE0ELb0ELb0ES3_PKS6_PS6_S6_ZZZN2at6native31launch_logcumsumexp_cuda_kernelERKNSD_10TensorBaseESH_lENKUlvE_clEvENKUlvE4_clEvEUlS6_S6_E_S6_EEDaPvRmT3_T4_T5_mT6_P12ihipStream_tbENKUlT_T0_E_clISt17integral_constantIbLb1EESX_IbLb0EEEEDaST_SU_EUlST_E0_NS1_11comp_targetILNS1_3genE10ELNS1_11target_archE1200ELNS1_3gpuE4ELNS1_3repE0EEENS1_30default_config_static_selectorELNS0_4arch9wavefront6targetE0EEEvT1_,comdat
.Lfunc_end499:
	.size	_ZN7rocprim17ROCPRIM_400000_NS6detail17trampoline_kernelINS0_14default_configENS1_20scan_config_selectorIN3c108BFloat16EEEZZNS1_9scan_implILNS1_25lookback_scan_determinismE0ELb0ELb0ES3_PKS6_PS6_S6_ZZZN2at6native31launch_logcumsumexp_cuda_kernelERKNSD_10TensorBaseESH_lENKUlvE_clEvENKUlvE4_clEvEUlS6_S6_E_S6_EEDaPvRmT3_T4_T5_mT6_P12ihipStream_tbENKUlT_T0_E_clISt17integral_constantIbLb1EESX_IbLb0EEEEDaST_SU_EUlST_E0_NS1_11comp_targetILNS1_3genE10ELNS1_11target_archE1200ELNS1_3gpuE4ELNS1_3repE0EEENS1_30default_config_static_selectorELNS0_4arch9wavefront6targetE0EEEvT1_, .Lfunc_end499-_ZN7rocprim17ROCPRIM_400000_NS6detail17trampoline_kernelINS0_14default_configENS1_20scan_config_selectorIN3c108BFloat16EEEZZNS1_9scan_implILNS1_25lookback_scan_determinismE0ELb0ELb0ES3_PKS6_PS6_S6_ZZZN2at6native31launch_logcumsumexp_cuda_kernelERKNSD_10TensorBaseESH_lENKUlvE_clEvENKUlvE4_clEvEUlS6_S6_E_S6_EEDaPvRmT3_T4_T5_mT6_P12ihipStream_tbENKUlT_T0_E_clISt17integral_constantIbLb1EESX_IbLb0EEEEDaST_SU_EUlST_E0_NS1_11comp_targetILNS1_3genE10ELNS1_11target_archE1200ELNS1_3gpuE4ELNS1_3repE0EEENS1_30default_config_static_selectorELNS0_4arch9wavefront6targetE0EEEvT1_
                                        ; -- End function
	.set _ZN7rocprim17ROCPRIM_400000_NS6detail17trampoline_kernelINS0_14default_configENS1_20scan_config_selectorIN3c108BFloat16EEEZZNS1_9scan_implILNS1_25lookback_scan_determinismE0ELb0ELb0ES3_PKS6_PS6_S6_ZZZN2at6native31launch_logcumsumexp_cuda_kernelERKNSD_10TensorBaseESH_lENKUlvE_clEvENKUlvE4_clEvEUlS6_S6_E_S6_EEDaPvRmT3_T4_T5_mT6_P12ihipStream_tbENKUlT_T0_E_clISt17integral_constantIbLb1EESX_IbLb0EEEEDaST_SU_EUlST_E0_NS1_11comp_targetILNS1_3genE10ELNS1_11target_archE1200ELNS1_3gpuE4ELNS1_3repE0EEENS1_30default_config_static_selectorELNS0_4arch9wavefront6targetE0EEEvT1_.num_vgpr, 0
	.set _ZN7rocprim17ROCPRIM_400000_NS6detail17trampoline_kernelINS0_14default_configENS1_20scan_config_selectorIN3c108BFloat16EEEZZNS1_9scan_implILNS1_25lookback_scan_determinismE0ELb0ELb0ES3_PKS6_PS6_S6_ZZZN2at6native31launch_logcumsumexp_cuda_kernelERKNSD_10TensorBaseESH_lENKUlvE_clEvENKUlvE4_clEvEUlS6_S6_E_S6_EEDaPvRmT3_T4_T5_mT6_P12ihipStream_tbENKUlT_T0_E_clISt17integral_constantIbLb1EESX_IbLb0EEEEDaST_SU_EUlST_E0_NS1_11comp_targetILNS1_3genE10ELNS1_11target_archE1200ELNS1_3gpuE4ELNS1_3repE0EEENS1_30default_config_static_selectorELNS0_4arch9wavefront6targetE0EEEvT1_.num_agpr, 0
	.set _ZN7rocprim17ROCPRIM_400000_NS6detail17trampoline_kernelINS0_14default_configENS1_20scan_config_selectorIN3c108BFloat16EEEZZNS1_9scan_implILNS1_25lookback_scan_determinismE0ELb0ELb0ES3_PKS6_PS6_S6_ZZZN2at6native31launch_logcumsumexp_cuda_kernelERKNSD_10TensorBaseESH_lENKUlvE_clEvENKUlvE4_clEvEUlS6_S6_E_S6_EEDaPvRmT3_T4_T5_mT6_P12ihipStream_tbENKUlT_T0_E_clISt17integral_constantIbLb1EESX_IbLb0EEEEDaST_SU_EUlST_E0_NS1_11comp_targetILNS1_3genE10ELNS1_11target_archE1200ELNS1_3gpuE4ELNS1_3repE0EEENS1_30default_config_static_selectorELNS0_4arch9wavefront6targetE0EEEvT1_.numbered_sgpr, 0
	.set _ZN7rocprim17ROCPRIM_400000_NS6detail17trampoline_kernelINS0_14default_configENS1_20scan_config_selectorIN3c108BFloat16EEEZZNS1_9scan_implILNS1_25lookback_scan_determinismE0ELb0ELb0ES3_PKS6_PS6_S6_ZZZN2at6native31launch_logcumsumexp_cuda_kernelERKNSD_10TensorBaseESH_lENKUlvE_clEvENKUlvE4_clEvEUlS6_S6_E_S6_EEDaPvRmT3_T4_T5_mT6_P12ihipStream_tbENKUlT_T0_E_clISt17integral_constantIbLb1EESX_IbLb0EEEEDaST_SU_EUlST_E0_NS1_11comp_targetILNS1_3genE10ELNS1_11target_archE1200ELNS1_3gpuE4ELNS1_3repE0EEENS1_30default_config_static_selectorELNS0_4arch9wavefront6targetE0EEEvT1_.num_named_barrier, 0
	.set _ZN7rocprim17ROCPRIM_400000_NS6detail17trampoline_kernelINS0_14default_configENS1_20scan_config_selectorIN3c108BFloat16EEEZZNS1_9scan_implILNS1_25lookback_scan_determinismE0ELb0ELb0ES3_PKS6_PS6_S6_ZZZN2at6native31launch_logcumsumexp_cuda_kernelERKNSD_10TensorBaseESH_lENKUlvE_clEvENKUlvE4_clEvEUlS6_S6_E_S6_EEDaPvRmT3_T4_T5_mT6_P12ihipStream_tbENKUlT_T0_E_clISt17integral_constantIbLb1EESX_IbLb0EEEEDaST_SU_EUlST_E0_NS1_11comp_targetILNS1_3genE10ELNS1_11target_archE1200ELNS1_3gpuE4ELNS1_3repE0EEENS1_30default_config_static_selectorELNS0_4arch9wavefront6targetE0EEEvT1_.private_seg_size, 0
	.set _ZN7rocprim17ROCPRIM_400000_NS6detail17trampoline_kernelINS0_14default_configENS1_20scan_config_selectorIN3c108BFloat16EEEZZNS1_9scan_implILNS1_25lookback_scan_determinismE0ELb0ELb0ES3_PKS6_PS6_S6_ZZZN2at6native31launch_logcumsumexp_cuda_kernelERKNSD_10TensorBaseESH_lENKUlvE_clEvENKUlvE4_clEvEUlS6_S6_E_S6_EEDaPvRmT3_T4_T5_mT6_P12ihipStream_tbENKUlT_T0_E_clISt17integral_constantIbLb1EESX_IbLb0EEEEDaST_SU_EUlST_E0_NS1_11comp_targetILNS1_3genE10ELNS1_11target_archE1200ELNS1_3gpuE4ELNS1_3repE0EEENS1_30default_config_static_selectorELNS0_4arch9wavefront6targetE0EEEvT1_.uses_vcc, 0
	.set _ZN7rocprim17ROCPRIM_400000_NS6detail17trampoline_kernelINS0_14default_configENS1_20scan_config_selectorIN3c108BFloat16EEEZZNS1_9scan_implILNS1_25lookback_scan_determinismE0ELb0ELb0ES3_PKS6_PS6_S6_ZZZN2at6native31launch_logcumsumexp_cuda_kernelERKNSD_10TensorBaseESH_lENKUlvE_clEvENKUlvE4_clEvEUlS6_S6_E_S6_EEDaPvRmT3_T4_T5_mT6_P12ihipStream_tbENKUlT_T0_E_clISt17integral_constantIbLb1EESX_IbLb0EEEEDaST_SU_EUlST_E0_NS1_11comp_targetILNS1_3genE10ELNS1_11target_archE1200ELNS1_3gpuE4ELNS1_3repE0EEENS1_30default_config_static_selectorELNS0_4arch9wavefront6targetE0EEEvT1_.uses_flat_scratch, 0
	.set _ZN7rocprim17ROCPRIM_400000_NS6detail17trampoline_kernelINS0_14default_configENS1_20scan_config_selectorIN3c108BFloat16EEEZZNS1_9scan_implILNS1_25lookback_scan_determinismE0ELb0ELb0ES3_PKS6_PS6_S6_ZZZN2at6native31launch_logcumsumexp_cuda_kernelERKNSD_10TensorBaseESH_lENKUlvE_clEvENKUlvE4_clEvEUlS6_S6_E_S6_EEDaPvRmT3_T4_T5_mT6_P12ihipStream_tbENKUlT_T0_E_clISt17integral_constantIbLb1EESX_IbLb0EEEEDaST_SU_EUlST_E0_NS1_11comp_targetILNS1_3genE10ELNS1_11target_archE1200ELNS1_3gpuE4ELNS1_3repE0EEENS1_30default_config_static_selectorELNS0_4arch9wavefront6targetE0EEEvT1_.has_dyn_sized_stack, 0
	.set _ZN7rocprim17ROCPRIM_400000_NS6detail17trampoline_kernelINS0_14default_configENS1_20scan_config_selectorIN3c108BFloat16EEEZZNS1_9scan_implILNS1_25lookback_scan_determinismE0ELb0ELb0ES3_PKS6_PS6_S6_ZZZN2at6native31launch_logcumsumexp_cuda_kernelERKNSD_10TensorBaseESH_lENKUlvE_clEvENKUlvE4_clEvEUlS6_S6_E_S6_EEDaPvRmT3_T4_T5_mT6_P12ihipStream_tbENKUlT_T0_E_clISt17integral_constantIbLb1EESX_IbLb0EEEEDaST_SU_EUlST_E0_NS1_11comp_targetILNS1_3genE10ELNS1_11target_archE1200ELNS1_3gpuE4ELNS1_3repE0EEENS1_30default_config_static_selectorELNS0_4arch9wavefront6targetE0EEEvT1_.has_recursion, 0
	.set _ZN7rocprim17ROCPRIM_400000_NS6detail17trampoline_kernelINS0_14default_configENS1_20scan_config_selectorIN3c108BFloat16EEEZZNS1_9scan_implILNS1_25lookback_scan_determinismE0ELb0ELb0ES3_PKS6_PS6_S6_ZZZN2at6native31launch_logcumsumexp_cuda_kernelERKNSD_10TensorBaseESH_lENKUlvE_clEvENKUlvE4_clEvEUlS6_S6_E_S6_EEDaPvRmT3_T4_T5_mT6_P12ihipStream_tbENKUlT_T0_E_clISt17integral_constantIbLb1EESX_IbLb0EEEEDaST_SU_EUlST_E0_NS1_11comp_targetILNS1_3genE10ELNS1_11target_archE1200ELNS1_3gpuE4ELNS1_3repE0EEENS1_30default_config_static_selectorELNS0_4arch9wavefront6targetE0EEEvT1_.has_indirect_call, 0
	.section	.AMDGPU.csdata,"",@progbits
; Kernel info:
; codeLenInByte = 0
; TotalNumSgprs: 0
; NumVgprs: 0
; ScratchSize: 0
; MemoryBound: 0
; FloatMode: 240
; IeeeMode: 1
; LDSByteSize: 0 bytes/workgroup (compile time only)
; SGPRBlocks: 0
; VGPRBlocks: 0
; NumSGPRsForWavesPerEU: 1
; NumVGPRsForWavesPerEU: 1
; Occupancy: 16
; WaveLimiterHint : 0
; COMPUTE_PGM_RSRC2:SCRATCH_EN: 0
; COMPUTE_PGM_RSRC2:USER_SGPR: 6
; COMPUTE_PGM_RSRC2:TRAP_HANDLER: 0
; COMPUTE_PGM_RSRC2:TGID_X_EN: 1
; COMPUTE_PGM_RSRC2:TGID_Y_EN: 0
; COMPUTE_PGM_RSRC2:TGID_Z_EN: 0
; COMPUTE_PGM_RSRC2:TIDIG_COMP_CNT: 0
	.section	.text._ZN7rocprim17ROCPRIM_400000_NS6detail17trampoline_kernelINS0_14default_configENS1_20scan_config_selectorIN3c108BFloat16EEEZZNS1_9scan_implILNS1_25lookback_scan_determinismE0ELb0ELb0ES3_PKS6_PS6_S6_ZZZN2at6native31launch_logcumsumexp_cuda_kernelERKNSD_10TensorBaseESH_lENKUlvE_clEvENKUlvE4_clEvEUlS6_S6_E_S6_EEDaPvRmT3_T4_T5_mT6_P12ihipStream_tbENKUlT_T0_E_clISt17integral_constantIbLb1EESX_IbLb0EEEEDaST_SU_EUlST_E0_NS1_11comp_targetILNS1_3genE9ELNS1_11target_archE1100ELNS1_3gpuE3ELNS1_3repE0EEENS1_30default_config_static_selectorELNS0_4arch9wavefront6targetE0EEEvT1_,"axG",@progbits,_ZN7rocprim17ROCPRIM_400000_NS6detail17trampoline_kernelINS0_14default_configENS1_20scan_config_selectorIN3c108BFloat16EEEZZNS1_9scan_implILNS1_25lookback_scan_determinismE0ELb0ELb0ES3_PKS6_PS6_S6_ZZZN2at6native31launch_logcumsumexp_cuda_kernelERKNSD_10TensorBaseESH_lENKUlvE_clEvENKUlvE4_clEvEUlS6_S6_E_S6_EEDaPvRmT3_T4_T5_mT6_P12ihipStream_tbENKUlT_T0_E_clISt17integral_constantIbLb1EESX_IbLb0EEEEDaST_SU_EUlST_E0_NS1_11comp_targetILNS1_3genE9ELNS1_11target_archE1100ELNS1_3gpuE3ELNS1_3repE0EEENS1_30default_config_static_selectorELNS0_4arch9wavefront6targetE0EEEvT1_,comdat
	.globl	_ZN7rocprim17ROCPRIM_400000_NS6detail17trampoline_kernelINS0_14default_configENS1_20scan_config_selectorIN3c108BFloat16EEEZZNS1_9scan_implILNS1_25lookback_scan_determinismE0ELb0ELb0ES3_PKS6_PS6_S6_ZZZN2at6native31launch_logcumsumexp_cuda_kernelERKNSD_10TensorBaseESH_lENKUlvE_clEvENKUlvE4_clEvEUlS6_S6_E_S6_EEDaPvRmT3_T4_T5_mT6_P12ihipStream_tbENKUlT_T0_E_clISt17integral_constantIbLb1EESX_IbLb0EEEEDaST_SU_EUlST_E0_NS1_11comp_targetILNS1_3genE9ELNS1_11target_archE1100ELNS1_3gpuE3ELNS1_3repE0EEENS1_30default_config_static_selectorELNS0_4arch9wavefront6targetE0EEEvT1_ ; -- Begin function _ZN7rocprim17ROCPRIM_400000_NS6detail17trampoline_kernelINS0_14default_configENS1_20scan_config_selectorIN3c108BFloat16EEEZZNS1_9scan_implILNS1_25lookback_scan_determinismE0ELb0ELb0ES3_PKS6_PS6_S6_ZZZN2at6native31launch_logcumsumexp_cuda_kernelERKNSD_10TensorBaseESH_lENKUlvE_clEvENKUlvE4_clEvEUlS6_S6_E_S6_EEDaPvRmT3_T4_T5_mT6_P12ihipStream_tbENKUlT_T0_E_clISt17integral_constantIbLb1EESX_IbLb0EEEEDaST_SU_EUlST_E0_NS1_11comp_targetILNS1_3genE9ELNS1_11target_archE1100ELNS1_3gpuE3ELNS1_3repE0EEENS1_30default_config_static_selectorELNS0_4arch9wavefront6targetE0EEEvT1_
	.p2align	8
	.type	_ZN7rocprim17ROCPRIM_400000_NS6detail17trampoline_kernelINS0_14default_configENS1_20scan_config_selectorIN3c108BFloat16EEEZZNS1_9scan_implILNS1_25lookback_scan_determinismE0ELb0ELb0ES3_PKS6_PS6_S6_ZZZN2at6native31launch_logcumsumexp_cuda_kernelERKNSD_10TensorBaseESH_lENKUlvE_clEvENKUlvE4_clEvEUlS6_S6_E_S6_EEDaPvRmT3_T4_T5_mT6_P12ihipStream_tbENKUlT_T0_E_clISt17integral_constantIbLb1EESX_IbLb0EEEEDaST_SU_EUlST_E0_NS1_11comp_targetILNS1_3genE9ELNS1_11target_archE1100ELNS1_3gpuE3ELNS1_3repE0EEENS1_30default_config_static_selectorELNS0_4arch9wavefront6targetE0EEEvT1_,@function
_ZN7rocprim17ROCPRIM_400000_NS6detail17trampoline_kernelINS0_14default_configENS1_20scan_config_selectorIN3c108BFloat16EEEZZNS1_9scan_implILNS1_25lookback_scan_determinismE0ELb0ELb0ES3_PKS6_PS6_S6_ZZZN2at6native31launch_logcumsumexp_cuda_kernelERKNSD_10TensorBaseESH_lENKUlvE_clEvENKUlvE4_clEvEUlS6_S6_E_S6_EEDaPvRmT3_T4_T5_mT6_P12ihipStream_tbENKUlT_T0_E_clISt17integral_constantIbLb1EESX_IbLb0EEEEDaST_SU_EUlST_E0_NS1_11comp_targetILNS1_3genE9ELNS1_11target_archE1100ELNS1_3gpuE3ELNS1_3repE0EEENS1_30default_config_static_selectorELNS0_4arch9wavefront6targetE0EEEvT1_: ; @_ZN7rocprim17ROCPRIM_400000_NS6detail17trampoline_kernelINS0_14default_configENS1_20scan_config_selectorIN3c108BFloat16EEEZZNS1_9scan_implILNS1_25lookback_scan_determinismE0ELb0ELb0ES3_PKS6_PS6_S6_ZZZN2at6native31launch_logcumsumexp_cuda_kernelERKNSD_10TensorBaseESH_lENKUlvE_clEvENKUlvE4_clEvEUlS6_S6_E_S6_EEDaPvRmT3_T4_T5_mT6_P12ihipStream_tbENKUlT_T0_E_clISt17integral_constantIbLb1EESX_IbLb0EEEEDaST_SU_EUlST_E0_NS1_11comp_targetILNS1_3genE9ELNS1_11target_archE1100ELNS1_3gpuE3ELNS1_3repE0EEENS1_30default_config_static_selectorELNS0_4arch9wavefront6targetE0EEEvT1_
; %bb.0:
	.section	.rodata,"a",@progbits
	.p2align	6, 0x0
	.amdhsa_kernel _ZN7rocprim17ROCPRIM_400000_NS6detail17trampoline_kernelINS0_14default_configENS1_20scan_config_selectorIN3c108BFloat16EEEZZNS1_9scan_implILNS1_25lookback_scan_determinismE0ELb0ELb0ES3_PKS6_PS6_S6_ZZZN2at6native31launch_logcumsumexp_cuda_kernelERKNSD_10TensorBaseESH_lENKUlvE_clEvENKUlvE4_clEvEUlS6_S6_E_S6_EEDaPvRmT3_T4_T5_mT6_P12ihipStream_tbENKUlT_T0_E_clISt17integral_constantIbLb1EESX_IbLb0EEEEDaST_SU_EUlST_E0_NS1_11comp_targetILNS1_3genE9ELNS1_11target_archE1100ELNS1_3gpuE3ELNS1_3repE0EEENS1_30default_config_static_selectorELNS0_4arch9wavefront6targetE0EEEvT1_
		.amdhsa_group_segment_fixed_size 0
		.amdhsa_private_segment_fixed_size 0
		.amdhsa_kernarg_size 32
		.amdhsa_user_sgpr_count 6
		.amdhsa_user_sgpr_private_segment_buffer 1
		.amdhsa_user_sgpr_dispatch_ptr 0
		.amdhsa_user_sgpr_queue_ptr 0
		.amdhsa_user_sgpr_kernarg_segment_ptr 1
		.amdhsa_user_sgpr_dispatch_id 0
		.amdhsa_user_sgpr_flat_scratch_init 0
		.amdhsa_user_sgpr_private_segment_size 0
		.amdhsa_wavefront_size32 1
		.amdhsa_uses_dynamic_stack 0
		.amdhsa_system_sgpr_private_segment_wavefront_offset 0
		.amdhsa_system_sgpr_workgroup_id_x 1
		.amdhsa_system_sgpr_workgroup_id_y 0
		.amdhsa_system_sgpr_workgroup_id_z 0
		.amdhsa_system_sgpr_workgroup_info 0
		.amdhsa_system_vgpr_workitem_id 0
		.amdhsa_next_free_vgpr 1
		.amdhsa_next_free_sgpr 1
		.amdhsa_reserve_vcc 0
		.amdhsa_reserve_flat_scratch 0
		.amdhsa_float_round_mode_32 0
		.amdhsa_float_round_mode_16_64 0
		.amdhsa_float_denorm_mode_32 3
		.amdhsa_float_denorm_mode_16_64 3
		.amdhsa_dx10_clamp 1
		.amdhsa_ieee_mode 1
		.amdhsa_fp16_overflow 0
		.amdhsa_workgroup_processor_mode 1
		.amdhsa_memory_ordered 1
		.amdhsa_forward_progress 1
		.amdhsa_shared_vgpr_count 0
		.amdhsa_exception_fp_ieee_invalid_op 0
		.amdhsa_exception_fp_denorm_src 0
		.amdhsa_exception_fp_ieee_div_zero 0
		.amdhsa_exception_fp_ieee_overflow 0
		.amdhsa_exception_fp_ieee_underflow 0
		.amdhsa_exception_fp_ieee_inexact 0
		.amdhsa_exception_int_div_zero 0
	.end_amdhsa_kernel
	.section	.text._ZN7rocprim17ROCPRIM_400000_NS6detail17trampoline_kernelINS0_14default_configENS1_20scan_config_selectorIN3c108BFloat16EEEZZNS1_9scan_implILNS1_25lookback_scan_determinismE0ELb0ELb0ES3_PKS6_PS6_S6_ZZZN2at6native31launch_logcumsumexp_cuda_kernelERKNSD_10TensorBaseESH_lENKUlvE_clEvENKUlvE4_clEvEUlS6_S6_E_S6_EEDaPvRmT3_T4_T5_mT6_P12ihipStream_tbENKUlT_T0_E_clISt17integral_constantIbLb1EESX_IbLb0EEEEDaST_SU_EUlST_E0_NS1_11comp_targetILNS1_3genE9ELNS1_11target_archE1100ELNS1_3gpuE3ELNS1_3repE0EEENS1_30default_config_static_selectorELNS0_4arch9wavefront6targetE0EEEvT1_,"axG",@progbits,_ZN7rocprim17ROCPRIM_400000_NS6detail17trampoline_kernelINS0_14default_configENS1_20scan_config_selectorIN3c108BFloat16EEEZZNS1_9scan_implILNS1_25lookback_scan_determinismE0ELb0ELb0ES3_PKS6_PS6_S6_ZZZN2at6native31launch_logcumsumexp_cuda_kernelERKNSD_10TensorBaseESH_lENKUlvE_clEvENKUlvE4_clEvEUlS6_S6_E_S6_EEDaPvRmT3_T4_T5_mT6_P12ihipStream_tbENKUlT_T0_E_clISt17integral_constantIbLb1EESX_IbLb0EEEEDaST_SU_EUlST_E0_NS1_11comp_targetILNS1_3genE9ELNS1_11target_archE1100ELNS1_3gpuE3ELNS1_3repE0EEENS1_30default_config_static_selectorELNS0_4arch9wavefront6targetE0EEEvT1_,comdat
.Lfunc_end500:
	.size	_ZN7rocprim17ROCPRIM_400000_NS6detail17trampoline_kernelINS0_14default_configENS1_20scan_config_selectorIN3c108BFloat16EEEZZNS1_9scan_implILNS1_25lookback_scan_determinismE0ELb0ELb0ES3_PKS6_PS6_S6_ZZZN2at6native31launch_logcumsumexp_cuda_kernelERKNSD_10TensorBaseESH_lENKUlvE_clEvENKUlvE4_clEvEUlS6_S6_E_S6_EEDaPvRmT3_T4_T5_mT6_P12ihipStream_tbENKUlT_T0_E_clISt17integral_constantIbLb1EESX_IbLb0EEEEDaST_SU_EUlST_E0_NS1_11comp_targetILNS1_3genE9ELNS1_11target_archE1100ELNS1_3gpuE3ELNS1_3repE0EEENS1_30default_config_static_selectorELNS0_4arch9wavefront6targetE0EEEvT1_, .Lfunc_end500-_ZN7rocprim17ROCPRIM_400000_NS6detail17trampoline_kernelINS0_14default_configENS1_20scan_config_selectorIN3c108BFloat16EEEZZNS1_9scan_implILNS1_25lookback_scan_determinismE0ELb0ELb0ES3_PKS6_PS6_S6_ZZZN2at6native31launch_logcumsumexp_cuda_kernelERKNSD_10TensorBaseESH_lENKUlvE_clEvENKUlvE4_clEvEUlS6_S6_E_S6_EEDaPvRmT3_T4_T5_mT6_P12ihipStream_tbENKUlT_T0_E_clISt17integral_constantIbLb1EESX_IbLb0EEEEDaST_SU_EUlST_E0_NS1_11comp_targetILNS1_3genE9ELNS1_11target_archE1100ELNS1_3gpuE3ELNS1_3repE0EEENS1_30default_config_static_selectorELNS0_4arch9wavefront6targetE0EEEvT1_
                                        ; -- End function
	.set _ZN7rocprim17ROCPRIM_400000_NS6detail17trampoline_kernelINS0_14default_configENS1_20scan_config_selectorIN3c108BFloat16EEEZZNS1_9scan_implILNS1_25lookback_scan_determinismE0ELb0ELb0ES3_PKS6_PS6_S6_ZZZN2at6native31launch_logcumsumexp_cuda_kernelERKNSD_10TensorBaseESH_lENKUlvE_clEvENKUlvE4_clEvEUlS6_S6_E_S6_EEDaPvRmT3_T4_T5_mT6_P12ihipStream_tbENKUlT_T0_E_clISt17integral_constantIbLb1EESX_IbLb0EEEEDaST_SU_EUlST_E0_NS1_11comp_targetILNS1_3genE9ELNS1_11target_archE1100ELNS1_3gpuE3ELNS1_3repE0EEENS1_30default_config_static_selectorELNS0_4arch9wavefront6targetE0EEEvT1_.num_vgpr, 0
	.set _ZN7rocprim17ROCPRIM_400000_NS6detail17trampoline_kernelINS0_14default_configENS1_20scan_config_selectorIN3c108BFloat16EEEZZNS1_9scan_implILNS1_25lookback_scan_determinismE0ELb0ELb0ES3_PKS6_PS6_S6_ZZZN2at6native31launch_logcumsumexp_cuda_kernelERKNSD_10TensorBaseESH_lENKUlvE_clEvENKUlvE4_clEvEUlS6_S6_E_S6_EEDaPvRmT3_T4_T5_mT6_P12ihipStream_tbENKUlT_T0_E_clISt17integral_constantIbLb1EESX_IbLb0EEEEDaST_SU_EUlST_E0_NS1_11comp_targetILNS1_3genE9ELNS1_11target_archE1100ELNS1_3gpuE3ELNS1_3repE0EEENS1_30default_config_static_selectorELNS0_4arch9wavefront6targetE0EEEvT1_.num_agpr, 0
	.set _ZN7rocprim17ROCPRIM_400000_NS6detail17trampoline_kernelINS0_14default_configENS1_20scan_config_selectorIN3c108BFloat16EEEZZNS1_9scan_implILNS1_25lookback_scan_determinismE0ELb0ELb0ES3_PKS6_PS6_S6_ZZZN2at6native31launch_logcumsumexp_cuda_kernelERKNSD_10TensorBaseESH_lENKUlvE_clEvENKUlvE4_clEvEUlS6_S6_E_S6_EEDaPvRmT3_T4_T5_mT6_P12ihipStream_tbENKUlT_T0_E_clISt17integral_constantIbLb1EESX_IbLb0EEEEDaST_SU_EUlST_E0_NS1_11comp_targetILNS1_3genE9ELNS1_11target_archE1100ELNS1_3gpuE3ELNS1_3repE0EEENS1_30default_config_static_selectorELNS0_4arch9wavefront6targetE0EEEvT1_.numbered_sgpr, 0
	.set _ZN7rocprim17ROCPRIM_400000_NS6detail17trampoline_kernelINS0_14default_configENS1_20scan_config_selectorIN3c108BFloat16EEEZZNS1_9scan_implILNS1_25lookback_scan_determinismE0ELb0ELb0ES3_PKS6_PS6_S6_ZZZN2at6native31launch_logcumsumexp_cuda_kernelERKNSD_10TensorBaseESH_lENKUlvE_clEvENKUlvE4_clEvEUlS6_S6_E_S6_EEDaPvRmT3_T4_T5_mT6_P12ihipStream_tbENKUlT_T0_E_clISt17integral_constantIbLb1EESX_IbLb0EEEEDaST_SU_EUlST_E0_NS1_11comp_targetILNS1_3genE9ELNS1_11target_archE1100ELNS1_3gpuE3ELNS1_3repE0EEENS1_30default_config_static_selectorELNS0_4arch9wavefront6targetE0EEEvT1_.num_named_barrier, 0
	.set _ZN7rocprim17ROCPRIM_400000_NS6detail17trampoline_kernelINS0_14default_configENS1_20scan_config_selectorIN3c108BFloat16EEEZZNS1_9scan_implILNS1_25lookback_scan_determinismE0ELb0ELb0ES3_PKS6_PS6_S6_ZZZN2at6native31launch_logcumsumexp_cuda_kernelERKNSD_10TensorBaseESH_lENKUlvE_clEvENKUlvE4_clEvEUlS6_S6_E_S6_EEDaPvRmT3_T4_T5_mT6_P12ihipStream_tbENKUlT_T0_E_clISt17integral_constantIbLb1EESX_IbLb0EEEEDaST_SU_EUlST_E0_NS1_11comp_targetILNS1_3genE9ELNS1_11target_archE1100ELNS1_3gpuE3ELNS1_3repE0EEENS1_30default_config_static_selectorELNS0_4arch9wavefront6targetE0EEEvT1_.private_seg_size, 0
	.set _ZN7rocprim17ROCPRIM_400000_NS6detail17trampoline_kernelINS0_14default_configENS1_20scan_config_selectorIN3c108BFloat16EEEZZNS1_9scan_implILNS1_25lookback_scan_determinismE0ELb0ELb0ES3_PKS6_PS6_S6_ZZZN2at6native31launch_logcumsumexp_cuda_kernelERKNSD_10TensorBaseESH_lENKUlvE_clEvENKUlvE4_clEvEUlS6_S6_E_S6_EEDaPvRmT3_T4_T5_mT6_P12ihipStream_tbENKUlT_T0_E_clISt17integral_constantIbLb1EESX_IbLb0EEEEDaST_SU_EUlST_E0_NS1_11comp_targetILNS1_3genE9ELNS1_11target_archE1100ELNS1_3gpuE3ELNS1_3repE0EEENS1_30default_config_static_selectorELNS0_4arch9wavefront6targetE0EEEvT1_.uses_vcc, 0
	.set _ZN7rocprim17ROCPRIM_400000_NS6detail17trampoline_kernelINS0_14default_configENS1_20scan_config_selectorIN3c108BFloat16EEEZZNS1_9scan_implILNS1_25lookback_scan_determinismE0ELb0ELb0ES3_PKS6_PS6_S6_ZZZN2at6native31launch_logcumsumexp_cuda_kernelERKNSD_10TensorBaseESH_lENKUlvE_clEvENKUlvE4_clEvEUlS6_S6_E_S6_EEDaPvRmT3_T4_T5_mT6_P12ihipStream_tbENKUlT_T0_E_clISt17integral_constantIbLb1EESX_IbLb0EEEEDaST_SU_EUlST_E0_NS1_11comp_targetILNS1_3genE9ELNS1_11target_archE1100ELNS1_3gpuE3ELNS1_3repE0EEENS1_30default_config_static_selectorELNS0_4arch9wavefront6targetE0EEEvT1_.uses_flat_scratch, 0
	.set _ZN7rocprim17ROCPRIM_400000_NS6detail17trampoline_kernelINS0_14default_configENS1_20scan_config_selectorIN3c108BFloat16EEEZZNS1_9scan_implILNS1_25lookback_scan_determinismE0ELb0ELb0ES3_PKS6_PS6_S6_ZZZN2at6native31launch_logcumsumexp_cuda_kernelERKNSD_10TensorBaseESH_lENKUlvE_clEvENKUlvE4_clEvEUlS6_S6_E_S6_EEDaPvRmT3_T4_T5_mT6_P12ihipStream_tbENKUlT_T0_E_clISt17integral_constantIbLb1EESX_IbLb0EEEEDaST_SU_EUlST_E0_NS1_11comp_targetILNS1_3genE9ELNS1_11target_archE1100ELNS1_3gpuE3ELNS1_3repE0EEENS1_30default_config_static_selectorELNS0_4arch9wavefront6targetE0EEEvT1_.has_dyn_sized_stack, 0
	.set _ZN7rocprim17ROCPRIM_400000_NS6detail17trampoline_kernelINS0_14default_configENS1_20scan_config_selectorIN3c108BFloat16EEEZZNS1_9scan_implILNS1_25lookback_scan_determinismE0ELb0ELb0ES3_PKS6_PS6_S6_ZZZN2at6native31launch_logcumsumexp_cuda_kernelERKNSD_10TensorBaseESH_lENKUlvE_clEvENKUlvE4_clEvEUlS6_S6_E_S6_EEDaPvRmT3_T4_T5_mT6_P12ihipStream_tbENKUlT_T0_E_clISt17integral_constantIbLb1EESX_IbLb0EEEEDaST_SU_EUlST_E0_NS1_11comp_targetILNS1_3genE9ELNS1_11target_archE1100ELNS1_3gpuE3ELNS1_3repE0EEENS1_30default_config_static_selectorELNS0_4arch9wavefront6targetE0EEEvT1_.has_recursion, 0
	.set _ZN7rocprim17ROCPRIM_400000_NS6detail17trampoline_kernelINS0_14default_configENS1_20scan_config_selectorIN3c108BFloat16EEEZZNS1_9scan_implILNS1_25lookback_scan_determinismE0ELb0ELb0ES3_PKS6_PS6_S6_ZZZN2at6native31launch_logcumsumexp_cuda_kernelERKNSD_10TensorBaseESH_lENKUlvE_clEvENKUlvE4_clEvEUlS6_S6_E_S6_EEDaPvRmT3_T4_T5_mT6_P12ihipStream_tbENKUlT_T0_E_clISt17integral_constantIbLb1EESX_IbLb0EEEEDaST_SU_EUlST_E0_NS1_11comp_targetILNS1_3genE9ELNS1_11target_archE1100ELNS1_3gpuE3ELNS1_3repE0EEENS1_30default_config_static_selectorELNS0_4arch9wavefront6targetE0EEEvT1_.has_indirect_call, 0
	.section	.AMDGPU.csdata,"",@progbits
; Kernel info:
; codeLenInByte = 0
; TotalNumSgprs: 0
; NumVgprs: 0
; ScratchSize: 0
; MemoryBound: 0
; FloatMode: 240
; IeeeMode: 1
; LDSByteSize: 0 bytes/workgroup (compile time only)
; SGPRBlocks: 0
; VGPRBlocks: 0
; NumSGPRsForWavesPerEU: 1
; NumVGPRsForWavesPerEU: 1
; Occupancy: 16
; WaveLimiterHint : 0
; COMPUTE_PGM_RSRC2:SCRATCH_EN: 0
; COMPUTE_PGM_RSRC2:USER_SGPR: 6
; COMPUTE_PGM_RSRC2:TRAP_HANDLER: 0
; COMPUTE_PGM_RSRC2:TGID_X_EN: 1
; COMPUTE_PGM_RSRC2:TGID_Y_EN: 0
; COMPUTE_PGM_RSRC2:TGID_Z_EN: 0
; COMPUTE_PGM_RSRC2:TIDIG_COMP_CNT: 0
	.section	.text._ZN7rocprim17ROCPRIM_400000_NS6detail17trampoline_kernelINS0_14default_configENS1_20scan_config_selectorIN3c108BFloat16EEEZZNS1_9scan_implILNS1_25lookback_scan_determinismE0ELb0ELb0ES3_PKS6_PS6_S6_ZZZN2at6native31launch_logcumsumexp_cuda_kernelERKNSD_10TensorBaseESH_lENKUlvE_clEvENKUlvE4_clEvEUlS6_S6_E_S6_EEDaPvRmT3_T4_T5_mT6_P12ihipStream_tbENKUlT_T0_E_clISt17integral_constantIbLb1EESX_IbLb0EEEEDaST_SU_EUlST_E0_NS1_11comp_targetILNS1_3genE8ELNS1_11target_archE1030ELNS1_3gpuE2ELNS1_3repE0EEENS1_30default_config_static_selectorELNS0_4arch9wavefront6targetE0EEEvT1_,"axG",@progbits,_ZN7rocprim17ROCPRIM_400000_NS6detail17trampoline_kernelINS0_14default_configENS1_20scan_config_selectorIN3c108BFloat16EEEZZNS1_9scan_implILNS1_25lookback_scan_determinismE0ELb0ELb0ES3_PKS6_PS6_S6_ZZZN2at6native31launch_logcumsumexp_cuda_kernelERKNSD_10TensorBaseESH_lENKUlvE_clEvENKUlvE4_clEvEUlS6_S6_E_S6_EEDaPvRmT3_T4_T5_mT6_P12ihipStream_tbENKUlT_T0_E_clISt17integral_constantIbLb1EESX_IbLb0EEEEDaST_SU_EUlST_E0_NS1_11comp_targetILNS1_3genE8ELNS1_11target_archE1030ELNS1_3gpuE2ELNS1_3repE0EEENS1_30default_config_static_selectorELNS0_4arch9wavefront6targetE0EEEvT1_,comdat
	.globl	_ZN7rocprim17ROCPRIM_400000_NS6detail17trampoline_kernelINS0_14default_configENS1_20scan_config_selectorIN3c108BFloat16EEEZZNS1_9scan_implILNS1_25lookback_scan_determinismE0ELb0ELb0ES3_PKS6_PS6_S6_ZZZN2at6native31launch_logcumsumexp_cuda_kernelERKNSD_10TensorBaseESH_lENKUlvE_clEvENKUlvE4_clEvEUlS6_S6_E_S6_EEDaPvRmT3_T4_T5_mT6_P12ihipStream_tbENKUlT_T0_E_clISt17integral_constantIbLb1EESX_IbLb0EEEEDaST_SU_EUlST_E0_NS1_11comp_targetILNS1_3genE8ELNS1_11target_archE1030ELNS1_3gpuE2ELNS1_3repE0EEENS1_30default_config_static_selectorELNS0_4arch9wavefront6targetE0EEEvT1_ ; -- Begin function _ZN7rocprim17ROCPRIM_400000_NS6detail17trampoline_kernelINS0_14default_configENS1_20scan_config_selectorIN3c108BFloat16EEEZZNS1_9scan_implILNS1_25lookback_scan_determinismE0ELb0ELb0ES3_PKS6_PS6_S6_ZZZN2at6native31launch_logcumsumexp_cuda_kernelERKNSD_10TensorBaseESH_lENKUlvE_clEvENKUlvE4_clEvEUlS6_S6_E_S6_EEDaPvRmT3_T4_T5_mT6_P12ihipStream_tbENKUlT_T0_E_clISt17integral_constantIbLb1EESX_IbLb0EEEEDaST_SU_EUlST_E0_NS1_11comp_targetILNS1_3genE8ELNS1_11target_archE1030ELNS1_3gpuE2ELNS1_3repE0EEENS1_30default_config_static_selectorELNS0_4arch9wavefront6targetE0EEEvT1_
	.p2align	8
	.type	_ZN7rocprim17ROCPRIM_400000_NS6detail17trampoline_kernelINS0_14default_configENS1_20scan_config_selectorIN3c108BFloat16EEEZZNS1_9scan_implILNS1_25lookback_scan_determinismE0ELb0ELb0ES3_PKS6_PS6_S6_ZZZN2at6native31launch_logcumsumexp_cuda_kernelERKNSD_10TensorBaseESH_lENKUlvE_clEvENKUlvE4_clEvEUlS6_S6_E_S6_EEDaPvRmT3_T4_T5_mT6_P12ihipStream_tbENKUlT_T0_E_clISt17integral_constantIbLb1EESX_IbLb0EEEEDaST_SU_EUlST_E0_NS1_11comp_targetILNS1_3genE8ELNS1_11target_archE1030ELNS1_3gpuE2ELNS1_3repE0EEENS1_30default_config_static_selectorELNS0_4arch9wavefront6targetE0EEEvT1_,@function
_ZN7rocprim17ROCPRIM_400000_NS6detail17trampoline_kernelINS0_14default_configENS1_20scan_config_selectorIN3c108BFloat16EEEZZNS1_9scan_implILNS1_25lookback_scan_determinismE0ELb0ELb0ES3_PKS6_PS6_S6_ZZZN2at6native31launch_logcumsumexp_cuda_kernelERKNSD_10TensorBaseESH_lENKUlvE_clEvENKUlvE4_clEvEUlS6_S6_E_S6_EEDaPvRmT3_T4_T5_mT6_P12ihipStream_tbENKUlT_T0_E_clISt17integral_constantIbLb1EESX_IbLb0EEEEDaST_SU_EUlST_E0_NS1_11comp_targetILNS1_3genE8ELNS1_11target_archE1030ELNS1_3gpuE2ELNS1_3repE0EEENS1_30default_config_static_selectorELNS0_4arch9wavefront6targetE0EEEvT1_: ; @_ZN7rocprim17ROCPRIM_400000_NS6detail17trampoline_kernelINS0_14default_configENS1_20scan_config_selectorIN3c108BFloat16EEEZZNS1_9scan_implILNS1_25lookback_scan_determinismE0ELb0ELb0ES3_PKS6_PS6_S6_ZZZN2at6native31launch_logcumsumexp_cuda_kernelERKNSD_10TensorBaseESH_lENKUlvE_clEvENKUlvE4_clEvEUlS6_S6_E_S6_EEDaPvRmT3_T4_T5_mT6_P12ihipStream_tbENKUlT_T0_E_clISt17integral_constantIbLb1EESX_IbLb0EEEEDaST_SU_EUlST_E0_NS1_11comp_targetILNS1_3genE8ELNS1_11target_archE1030ELNS1_3gpuE2ELNS1_3repE0EEENS1_30default_config_static_selectorELNS0_4arch9wavefront6targetE0EEEvT1_
; %bb.0:
	s_load_dwordx4 s[16:19], s[4:5], 0x0
	v_mov_b32_e32 v1, 0
	v_lshlrev_b32_e32 v7, 1, v0
	s_waitcnt lgkmcnt(0)
	global_load_ushort v1, v1, s[16:17]
	v_cmp_gt_u32_e64 s0, s18, v0
	s_waitcnt vmcnt(0)
	v_mov_b32_e32 v2, v1
	s_and_saveexec_b32 s1, s0
	s_cbranch_execz .LBB501_2
; %bb.1:
	global_load_ushort v2, v7, s[16:17]
.LBB501_2:
	s_or_b32 exec_lo, exec_lo, s1
	v_or_b32_e32 v3, 64, v0
	v_cmp_gt_u32_e64 s1, s18, v3
	v_mov_b32_e32 v3, v1
	s_and_saveexec_b32 s2, s1
	s_cbranch_execz .LBB501_4
; %bb.3:
	global_load_ushort v3, v7, s[16:17] offset:128
.LBB501_4:
	s_or_b32 exec_lo, exec_lo, s2
	v_or_b32_e32 v4, 0x80, v0
	v_cmp_gt_u32_e64 s2, s18, v4
	v_mov_b32_e32 v4, v1
	s_and_saveexec_b32 s3, s2
	s_cbranch_execz .LBB501_6
; %bb.5:
	global_load_ushort v4, v7, s[16:17] offset:256
.LBB501_6:
	;; [unrolled: 9-line block ×10, first 2 shown]
	s_or_b32 exec_lo, exec_lo, s13
	v_or_b32_e32 v14, 0x2c0, v0
	s_mov_b32 s14, exec_lo
	v_cmp_gt_u32_e64 s13, s18, v14
	v_cmpx_le_u32_e64 s18, v14
	s_xor_b32 s14, exec_lo, s14
	s_andn2_saveexec_b32 s14, s14
	s_cbranch_execz .LBB501_24
; %bb.23:
	v_lshlrev_b32_e32 v1, 1, v0
	global_load_ushort v1, v1, s[16:17] offset:1408
.LBB501_24:
	s_or_b32 exec_lo, exec_lo, s14
	s_waitcnt vmcnt(0)
	ds_write_b16 v7, v2
	ds_write_b16 v7, v3 offset:128
	ds_write_b16 v7, v4 offset:256
	;; [unrolled: 1-line block ×10, first 2 shown]
	v_mad_u32_u24 v5, v0, 22, v7
	ds_write_b16 v7, v1 offset:1408
	s_waitcnt lgkmcnt(0)
	s_barrier
	buffer_gl0_inv
	ds_read2_b64 v[1:4], v5 offset1:1
	ds_read_b64 v[5:6], v5 offset:16
	s_waitcnt lgkmcnt(0)
	s_barrier
	buffer_gl0_inv
	v_and_b32_e32 v8, 0xffff0000, v1
	v_lshlrev_b32_e32 v25, 16, v1
	v_max_f32_e32 v14, v8, v8
	v_max_f32_e32 v28, v25, v25
	v_cmp_u_f32_e64 s25, v25, v25
	v_cmp_u_f32_e64 s14, v8, v8
	v_min_f32_e32 v26, v28, v14
	v_max_f32_e32 v27, v28, v14
	v_cndmask_b32_e64 v9, v26, v25, s25
	v_cndmask_b32_e64 v10, v27, v25, s25
	;; [unrolled: 1-line block ×4, first 2 shown]
	v_mov_b32_e32 v10, v25
	v_cmp_class_f32_e64 s15, v11, 0x1f8
	v_cmp_neq_f32_e32 vcc_lo, v11, v9
	s_or_b32 s16, vcc_lo, s15
	s_and_saveexec_b32 s15, s16
	s_cbranch_execz .LBB501_26
; %bb.25:
	v_sub_f32_e32 v10, v11, v9
	s_mov_b32 s16, 0x3e9b6dac
	v_mul_f32_e32 v11, 0x3fb8aa3b, v10
	v_cmp_ngt_f32_e32 vcc_lo, 0xc2ce8ed0, v10
	v_fma_f32 v12, 0x3fb8aa3b, v10, -v11
	v_rndne_f32_e32 v13, v11
	v_fmamk_f32 v12, v10, 0x32a5705f, v12
	v_sub_f32_e32 v11, v11, v13
	v_add_f32_e32 v11, v11, v12
	v_cvt_i32_f32_e32 v12, v13
	v_exp_f32_e32 v11, v11
	v_ldexp_f32 v11, v11, v12
	v_cndmask_b32_e32 v11, 0, v11, vcc_lo
	v_cmp_nlt_f32_e32 vcc_lo, 0x42b17218, v10
	v_cndmask_b32_e32 v12, 0x7f800000, v11, vcc_lo
	v_add_f32_e32 v13, 1.0, v12
	v_cvt_f64_f32_e32 v[10:11], v13
	v_frexp_exp_i32_f64_e32 v10, v[10:11]
	v_frexp_mant_f32_e32 v11, v13
	v_cmp_gt_f32_e32 vcc_lo, 0x3f2aaaab, v11
	v_add_f32_e32 v11, -1.0, v13
	v_sub_f32_e32 v16, v11, v13
	v_sub_f32_e32 v11, v12, v11
	v_add_f32_e32 v16, 1.0, v16
	v_add_f32_e32 v11, v11, v16
	v_subrev_co_ci_u32_e64 v10, null, 0, v10, vcc_lo
	v_cmp_neq_f32_e32 vcc_lo, 0x7f800000, v12
	v_sub_nc_u32_e32 v15, 0, v10
	v_cvt_f32_i32_e32 v10, v10
	v_ldexp_f32 v13, v13, v15
	v_ldexp_f32 v11, v11, v15
	v_add_f32_e32 v17, 1.0, v13
	v_add_f32_e32 v15, -1.0, v13
	v_add_f32_e32 v16, -1.0, v17
	v_add_f32_e32 v18, 1.0, v15
	v_sub_f32_e32 v16, v13, v16
	v_sub_f32_e32 v13, v13, v18
	v_add_f32_e32 v16, v11, v16
	v_add_f32_e32 v11, v11, v13
	;; [unrolled: 1-line block ×4, first 2 shown]
	v_rcp_f32_e32 v13, v18
	v_sub_f32_e32 v17, v17, v18
	v_sub_f32_e32 v15, v15, v19
	v_add_f32_e32 v16, v16, v17
	v_add_f32_e32 v11, v11, v15
	v_mul_f32_e32 v20, v19, v13
	v_mul_f32_e32 v21, v18, v20
	v_fma_f32 v17, v20, v18, -v21
	v_fmac_f32_e32 v17, v20, v16
	v_add_f32_e32 v22, v21, v17
	v_sub_f32_e32 v23, v19, v22
	v_sub_f32_e32 v15, v22, v21
	;; [unrolled: 1-line block ×5, first 2 shown]
	v_add_f32_e32 v11, v11, v19
	v_add_f32_e32 v11, v15, v11
	;; [unrolled: 1-line block ×3, first 2 shown]
	v_mul_f32_e32 v17, v13, v15
	v_sub_f32_e32 v22, v23, v15
	v_mul_f32_e32 v19, v18, v17
	v_add_f32_e32 v11, v11, v22
	v_fma_f32 v18, v17, v18, -v19
	v_fmac_f32_e32 v18, v17, v16
	v_add_f32_e32 v16, v19, v18
	v_sub_f32_e32 v21, v15, v16
	v_sub_f32_e32 v19, v16, v19
	;; [unrolled: 1-line block ×5, first 2 shown]
	v_add_f32_e32 v11, v11, v15
	v_add_f32_e32 v15, v20, v17
	;; [unrolled: 1-line block ×3, first 2 shown]
	v_sub_f32_e32 v16, v15, v20
	v_add_f32_e32 v11, v21, v11
	v_sub_f32_e32 v16, v17, v16
	v_mul_f32_e32 v11, v13, v11
	v_add_f32_e32 v11, v16, v11
	v_add_f32_e32 v13, v15, v11
	v_mul_f32_e32 v16, v13, v13
	v_fmaak_f32 v17, s16, v16, 0x3ecc95a3
	v_mul_f32_e32 v18, v13, v16
	v_fmaak_f32 v16, v16, v17, 0x3f2aaada
	v_ldexp_f32 v17, v13, 1
	v_sub_f32_e32 v13, v13, v15
	v_mul_f32_e32 v16, v18, v16
	v_mul_f32_e32 v18, 0x3f317218, v10
	v_sub_f32_e32 v11, v11, v13
	v_add_f32_e32 v15, v17, v16
	v_ldexp_f32 v11, v11, 1
	v_sub_f32_e32 v13, v15, v17
	v_fma_f32 v17, 0x3f317218, v10, -v18
	v_sub_f32_e32 v13, v16, v13
	v_fmamk_f32 v10, v10, 0xb102e308, v17
	v_add_f32_e32 v11, v11, v13
	v_add_f32_e32 v13, v18, v10
	;; [unrolled: 1-line block ×3, first 2 shown]
	v_sub_f32_e32 v18, v13, v18
	v_add_f32_e32 v17, v13, v16
	v_sub_f32_e32 v15, v16, v15
	v_sub_f32_e32 v10, v10, v18
	v_sub_f32_e32 v19, v17, v13
	v_sub_f32_e32 v11, v11, v15
	v_sub_f32_e32 v20, v17, v19
	v_sub_f32_e32 v15, v16, v19
	v_add_f32_e32 v16, v10, v11
	v_sub_f32_e32 v13, v13, v20
	v_add_f32_e32 v13, v15, v13
	v_sub_f32_e32 v15, v16, v10
	;; [unrolled: 2-line block ×3, first 2 shown]
	v_sub_f32_e32 v11, v11, v15
	v_add_f32_e32 v18, v17, v13
	v_sub_f32_e32 v10, v10, v16
	v_sub_f32_e32 v15, v18, v17
	v_add_f32_e32 v10, v11, v10
	v_sub_f32_e32 v11, v13, v15
	v_add_f32_e32 v10, v10, v11
	v_add_f32_e32 v10, v18, v10
	v_cndmask_b32_e32 v10, 0x7f800000, v10, vcc_lo
	v_cmp_gt_f32_e64 vcc_lo, 0x33800000, |v12|
	v_cndmask_b32_e32 v10, v10, v12, vcc_lo
	v_add_f32_e32 v10, v9, v10
.LBB501_26:
	s_or_b32 exec_lo, exec_lo, s15
	v_bfe_u32 v9, v10, 16, 1
	v_cmp_o_f32_e32 vcc_lo, v10, v10
	v_add3_u32 v9, v10, v9, 0x7fff
	v_and_b32_e32 v11, 0xffff0000, v9
	v_lshlrev_b32_e32 v9, 16, v2
	v_cndmask_b32_e32 v12, 0x7fc00000, v11, vcc_lo
	v_max_f32_e32 v11, v9, v9
	v_cmp_u_f32_e64 s15, v9, v9
	v_max_f32_e32 v10, v12, v12
	v_cmp_u_f32_e32 vcc_lo, v12, v12
	v_min_f32_e32 v13, v10, v11
	v_max_f32_e32 v10, v10, v11
	v_cndmask_b32_e32 v13, v13, v12, vcc_lo
	v_cndmask_b32_e32 v10, v10, v12, vcc_lo
	v_cndmask_b32_e64 v13, v13, v9, s15
	v_cndmask_b32_e64 v10, v10, v9, s15
	v_cmp_class_f32_e64 s16, v13, 0x1f8
	v_cmp_neq_f32_e32 vcc_lo, v13, v10
	s_or_b32 s17, vcc_lo, s16
	s_and_saveexec_b32 s16, s17
	s_cbranch_execz .LBB501_28
; %bb.27:
	v_sub_f32_e32 v12, v13, v10
	s_mov_b32 s17, 0x3e9b6dac
	v_mul_f32_e32 v13, 0x3fb8aa3b, v12
	v_cmp_ngt_f32_e32 vcc_lo, 0xc2ce8ed0, v12
	v_fma_f32 v15, 0x3fb8aa3b, v12, -v13
	v_rndne_f32_e32 v16, v13
	v_fmamk_f32 v15, v12, 0x32a5705f, v15
	v_sub_f32_e32 v13, v13, v16
	v_add_f32_e32 v13, v13, v15
	v_cvt_i32_f32_e32 v15, v16
	v_exp_f32_e32 v13, v13
	v_ldexp_f32 v13, v13, v15
	v_cndmask_b32_e32 v13, 0, v13, vcc_lo
	v_cmp_nlt_f32_e32 vcc_lo, 0x42b17218, v12
	v_cndmask_b32_e32 v15, 0x7f800000, v13, vcc_lo
	v_add_f32_e32 v16, 1.0, v15
	v_cvt_f64_f32_e32 v[12:13], v16
	v_frexp_exp_i32_f64_e32 v12, v[12:13]
	v_frexp_mant_f32_e32 v13, v16
	v_cmp_gt_f32_e32 vcc_lo, 0x3f2aaaab, v13
	v_add_f32_e32 v13, -1.0, v16
	v_sub_f32_e32 v18, v13, v16
	v_sub_f32_e32 v13, v15, v13
	v_add_f32_e32 v18, 1.0, v18
	v_add_f32_e32 v13, v13, v18
	v_subrev_co_ci_u32_e64 v12, null, 0, v12, vcc_lo
	v_cmp_neq_f32_e32 vcc_lo, 0x7f800000, v15
	v_sub_nc_u32_e32 v17, 0, v12
	v_cvt_f32_i32_e32 v12, v12
	v_ldexp_f32 v16, v16, v17
	v_ldexp_f32 v13, v13, v17
	v_add_f32_e32 v19, 1.0, v16
	v_add_f32_e32 v17, -1.0, v16
	v_add_f32_e32 v18, -1.0, v19
	v_add_f32_e32 v20, 1.0, v17
	v_sub_f32_e32 v18, v16, v18
	v_sub_f32_e32 v16, v16, v20
	v_add_f32_e32 v18, v13, v18
	v_add_f32_e32 v13, v13, v16
	;; [unrolled: 1-line block ×4, first 2 shown]
	v_rcp_f32_e32 v16, v20
	v_sub_f32_e32 v19, v19, v20
	v_sub_f32_e32 v17, v17, v21
	v_add_f32_e32 v18, v18, v19
	v_add_f32_e32 v13, v13, v17
	v_mul_f32_e32 v22, v21, v16
	v_mul_f32_e32 v23, v20, v22
	v_fma_f32 v19, v22, v20, -v23
	v_fmac_f32_e32 v19, v22, v18
	v_add_f32_e32 v24, v23, v19
	v_sub_f32_e32 v29, v21, v24
	v_sub_f32_e32 v17, v24, v23
	;; [unrolled: 1-line block ×5, first 2 shown]
	v_add_f32_e32 v13, v13, v21
	v_add_f32_e32 v13, v17, v13
	v_add_f32_e32 v17, v29, v13
	v_mul_f32_e32 v19, v16, v17
	v_sub_f32_e32 v24, v29, v17
	v_mul_f32_e32 v21, v20, v19
	v_add_f32_e32 v13, v13, v24
	v_fma_f32 v20, v19, v20, -v21
	v_fmac_f32_e32 v20, v19, v18
	v_add_f32_e32 v18, v21, v20
	v_sub_f32_e32 v23, v17, v18
	v_sub_f32_e32 v21, v18, v21
	;; [unrolled: 1-line block ×5, first 2 shown]
	v_add_f32_e32 v13, v13, v17
	v_add_f32_e32 v17, v22, v19
	;; [unrolled: 1-line block ×3, first 2 shown]
	v_sub_f32_e32 v18, v17, v22
	v_add_f32_e32 v13, v23, v13
	v_sub_f32_e32 v18, v19, v18
	v_mul_f32_e32 v13, v16, v13
	v_add_f32_e32 v13, v18, v13
	v_add_f32_e32 v16, v17, v13
	v_mul_f32_e32 v18, v16, v16
	v_fmaak_f32 v19, s17, v18, 0x3ecc95a3
	v_mul_f32_e32 v20, v16, v18
	v_fmaak_f32 v18, v18, v19, 0x3f2aaada
	v_ldexp_f32 v19, v16, 1
	v_sub_f32_e32 v16, v16, v17
	v_mul_f32_e32 v18, v20, v18
	v_mul_f32_e32 v20, 0x3f317218, v12
	v_sub_f32_e32 v13, v13, v16
	v_add_f32_e32 v17, v19, v18
	v_ldexp_f32 v13, v13, 1
	v_sub_f32_e32 v16, v17, v19
	v_fma_f32 v19, 0x3f317218, v12, -v20
	v_sub_f32_e32 v16, v18, v16
	v_fmamk_f32 v12, v12, 0xb102e308, v19
	v_add_f32_e32 v13, v13, v16
	v_add_f32_e32 v16, v20, v12
	;; [unrolled: 1-line block ×3, first 2 shown]
	v_sub_f32_e32 v20, v16, v20
	v_add_f32_e32 v19, v16, v18
	v_sub_f32_e32 v17, v18, v17
	v_sub_f32_e32 v12, v12, v20
	;; [unrolled: 1-line block ×6, first 2 shown]
	v_add_f32_e32 v18, v12, v13
	v_sub_f32_e32 v16, v16, v22
	v_add_f32_e32 v16, v17, v16
	v_sub_f32_e32 v17, v18, v12
	;; [unrolled: 2-line block ×3, first 2 shown]
	v_sub_f32_e32 v13, v13, v17
	v_add_f32_e32 v20, v19, v16
	v_sub_f32_e32 v12, v12, v18
	v_sub_f32_e32 v17, v20, v19
	v_add_f32_e32 v12, v13, v12
	v_sub_f32_e32 v13, v16, v17
	v_add_f32_e32 v12, v12, v13
	v_add_f32_e32 v12, v20, v12
	v_cndmask_b32_e32 v12, 0x7f800000, v12, vcc_lo
	v_cmp_gt_f32_e64 vcc_lo, 0x33800000, |v15|
	v_cndmask_b32_e32 v12, v12, v15, vcc_lo
	v_add_f32_e32 v12, v10, v12
.LBB501_28:
	s_or_b32 exec_lo, exec_lo, s16
	v_bfe_u32 v10, v12, 16, 1
	v_cmp_o_f32_e32 vcc_lo, v12, v12
	v_and_b32_e32 v2, 0xffff0000, v2
	v_add3_u32 v10, v12, v10, 0x7fff
	v_max_f32_e32 v13, v2, v2
	v_cmp_u_f32_e64 s16, v2, v2
	v_and_b32_e32 v10, 0xffff0000, v10
	v_cndmask_b32_e32 v12, 0x7fc00000, v10, vcc_lo
	v_max_f32_e32 v10, v12, v12
	v_cmp_u_f32_e32 vcc_lo, v12, v12
	v_min_f32_e32 v15, v10, v13
	v_max_f32_e32 v10, v10, v13
	v_cndmask_b32_e32 v15, v15, v12, vcc_lo
	v_cndmask_b32_e32 v10, v10, v12, vcc_lo
	v_cndmask_b32_e64 v15, v15, v2, s16
	v_cndmask_b32_e64 v10, v10, v2, s16
	v_cmp_class_f32_e64 s17, v15, 0x1f8
	v_cmp_neq_f32_e32 vcc_lo, v15, v10
	s_or_b32 s18, vcc_lo, s17
	s_and_saveexec_b32 s17, s18
	s_cbranch_execz .LBB501_30
; %bb.29:
	v_sub_f32_e32 v12, v15, v10
	s_mov_b32 s18, 0x3e9b6dac
	v_mul_f32_e32 v15, 0x3fb8aa3b, v12
	v_cmp_ngt_f32_e32 vcc_lo, 0xc2ce8ed0, v12
	v_fma_f32 v16, 0x3fb8aa3b, v12, -v15
	v_rndne_f32_e32 v17, v15
	v_fmamk_f32 v16, v12, 0x32a5705f, v16
	v_sub_f32_e32 v15, v15, v17
	v_add_f32_e32 v15, v15, v16
	v_cvt_i32_f32_e32 v16, v17
	v_exp_f32_e32 v15, v15
	v_ldexp_f32 v15, v15, v16
	v_cndmask_b32_e32 v15, 0, v15, vcc_lo
	v_cmp_nlt_f32_e32 vcc_lo, 0x42b17218, v12
	v_cndmask_b32_e32 v12, 0x7f800000, v15, vcc_lo
	v_add_f32_e32 v17, 1.0, v12
	v_cvt_f64_f32_e32 v[15:16], v17
	v_frexp_exp_i32_f64_e32 v15, v[15:16]
	v_frexp_mant_f32_e32 v16, v17
	v_cmp_gt_f32_e32 vcc_lo, 0x3f2aaaab, v16
	v_add_f32_e32 v16, -1.0, v17
	v_sub_f32_e32 v19, v16, v17
	v_sub_f32_e32 v16, v12, v16
	v_add_f32_e32 v19, 1.0, v19
	v_add_f32_e32 v16, v16, v19
	v_subrev_co_ci_u32_e64 v15, null, 0, v15, vcc_lo
	v_cmp_neq_f32_e32 vcc_lo, 0x7f800000, v12
	v_sub_nc_u32_e32 v18, 0, v15
	v_cvt_f32_i32_e32 v15, v15
	v_ldexp_f32 v17, v17, v18
	v_ldexp_f32 v16, v16, v18
	v_add_f32_e32 v20, 1.0, v17
	v_add_f32_e32 v18, -1.0, v17
	v_add_f32_e32 v19, -1.0, v20
	v_add_f32_e32 v21, 1.0, v18
	v_sub_f32_e32 v19, v17, v19
	v_sub_f32_e32 v17, v17, v21
	v_add_f32_e32 v19, v16, v19
	v_add_f32_e32 v16, v16, v17
	;; [unrolled: 1-line block ×4, first 2 shown]
	v_rcp_f32_e32 v17, v21
	v_sub_f32_e32 v20, v20, v21
	v_sub_f32_e32 v18, v18, v22
	v_add_f32_e32 v19, v19, v20
	v_add_f32_e32 v16, v16, v18
	v_mul_f32_e32 v23, v22, v17
	v_mul_f32_e32 v24, v21, v23
	v_fma_f32 v20, v23, v21, -v24
	v_fmac_f32_e32 v20, v23, v19
	v_add_f32_e32 v29, v24, v20
	v_sub_f32_e32 v30, v22, v29
	v_sub_f32_e32 v18, v29, v24
	;; [unrolled: 1-line block ×5, first 2 shown]
	v_add_f32_e32 v16, v16, v22
	v_add_f32_e32 v16, v18, v16
	;; [unrolled: 1-line block ×3, first 2 shown]
	v_mul_f32_e32 v20, v17, v18
	v_sub_f32_e32 v29, v30, v18
	v_mul_f32_e32 v22, v21, v20
	v_add_f32_e32 v16, v16, v29
	v_fma_f32 v21, v20, v21, -v22
	v_fmac_f32_e32 v21, v20, v19
	v_add_f32_e32 v19, v22, v21
	v_sub_f32_e32 v24, v18, v19
	v_sub_f32_e32 v22, v19, v22
	;; [unrolled: 1-line block ×5, first 2 shown]
	v_add_f32_e32 v16, v16, v18
	v_add_f32_e32 v18, v23, v20
	;; [unrolled: 1-line block ×3, first 2 shown]
	v_sub_f32_e32 v19, v18, v23
	v_add_f32_e32 v16, v24, v16
	v_sub_f32_e32 v19, v20, v19
	v_mul_f32_e32 v16, v17, v16
	v_add_f32_e32 v16, v19, v16
	v_add_f32_e32 v17, v18, v16
	v_mul_f32_e32 v19, v17, v17
	v_fmaak_f32 v20, s18, v19, 0x3ecc95a3
	v_mul_f32_e32 v21, v17, v19
	v_fmaak_f32 v19, v19, v20, 0x3f2aaada
	v_ldexp_f32 v20, v17, 1
	v_sub_f32_e32 v17, v17, v18
	v_mul_f32_e32 v19, v21, v19
	v_mul_f32_e32 v21, 0x3f317218, v15
	v_sub_f32_e32 v16, v16, v17
	v_add_f32_e32 v18, v20, v19
	v_ldexp_f32 v16, v16, 1
	v_sub_f32_e32 v17, v18, v20
	v_fma_f32 v20, 0x3f317218, v15, -v21
	v_sub_f32_e32 v17, v19, v17
	v_fmamk_f32 v15, v15, 0xb102e308, v20
	v_add_f32_e32 v16, v16, v17
	v_add_f32_e32 v17, v21, v15
	;; [unrolled: 1-line block ×3, first 2 shown]
	v_sub_f32_e32 v21, v17, v21
	v_add_f32_e32 v20, v17, v19
	v_sub_f32_e32 v18, v19, v18
	v_sub_f32_e32 v15, v15, v21
	;; [unrolled: 1-line block ×6, first 2 shown]
	v_add_f32_e32 v19, v15, v16
	v_sub_f32_e32 v17, v17, v23
	v_add_f32_e32 v17, v18, v17
	v_sub_f32_e32 v18, v19, v15
	;; [unrolled: 2-line block ×3, first 2 shown]
	v_sub_f32_e32 v16, v16, v18
	v_add_f32_e32 v21, v20, v17
	v_sub_f32_e32 v15, v15, v19
	v_sub_f32_e32 v18, v21, v20
	v_add_f32_e32 v15, v16, v15
	v_sub_f32_e32 v16, v17, v18
	v_add_f32_e32 v15, v15, v16
	v_add_f32_e32 v15, v21, v15
	v_cndmask_b32_e32 v15, 0x7f800000, v15, vcc_lo
	v_cmp_gt_f32_e64 vcc_lo, 0x33800000, |v12|
	v_cndmask_b32_e32 v12, v15, v12, vcc_lo
	v_add_f32_e32 v12, v10, v12
.LBB501_30:
	s_or_b32 exec_lo, exec_lo, s17
	v_bfe_u32 v10, v12, 16, 1
	v_cmp_o_f32_e32 vcc_lo, v12, v12
	v_add3_u32 v10, v12, v10, 0x7fff
	v_and_b32_e32 v15, 0xffff0000, v10
	v_lshlrev_b32_e32 v10, 16, v3
	v_cndmask_b32_e32 v16, 0x7fc00000, v15, vcc_lo
	v_max_f32_e32 v15, v10, v10
	v_cmp_u_f32_e64 s17, v10, v10
	v_max_f32_e32 v12, v16, v16
	v_cmp_u_f32_e32 vcc_lo, v16, v16
	v_min_f32_e32 v17, v12, v15
	v_max_f32_e32 v12, v12, v15
	v_cndmask_b32_e32 v17, v17, v16, vcc_lo
	v_cndmask_b32_e32 v12, v12, v16, vcc_lo
	v_cndmask_b32_e64 v17, v17, v10, s17
	v_cndmask_b32_e64 v12, v12, v10, s17
	v_cmp_class_f32_e64 s18, v17, 0x1f8
	v_cmp_neq_f32_e32 vcc_lo, v17, v12
	s_or_b32 s19, vcc_lo, s18
	s_and_saveexec_b32 s18, s19
	s_cbranch_execz .LBB501_32
; %bb.31:
	v_sub_f32_e32 v16, v17, v12
	s_mov_b32 s19, 0x3e9b6dac
	v_mul_f32_e32 v17, 0x3fb8aa3b, v16
	v_cmp_ngt_f32_e32 vcc_lo, 0xc2ce8ed0, v16
	v_fma_f32 v18, 0x3fb8aa3b, v16, -v17
	v_rndne_f32_e32 v19, v17
	v_fmamk_f32 v18, v16, 0x32a5705f, v18
	v_sub_f32_e32 v17, v17, v19
	v_add_f32_e32 v17, v17, v18
	v_cvt_i32_f32_e32 v18, v19
	v_exp_f32_e32 v17, v17
	v_ldexp_f32 v17, v17, v18
	v_cndmask_b32_e32 v17, 0, v17, vcc_lo
	v_cmp_nlt_f32_e32 vcc_lo, 0x42b17218, v16
	v_cndmask_b32_e32 v18, 0x7f800000, v17, vcc_lo
	v_add_f32_e32 v19, 1.0, v18
	v_cvt_f64_f32_e32 v[16:17], v19
	v_frexp_exp_i32_f64_e32 v16, v[16:17]
	v_frexp_mant_f32_e32 v17, v19
	v_cmp_gt_f32_e32 vcc_lo, 0x3f2aaaab, v17
	v_add_f32_e32 v17, -1.0, v19
	v_sub_f32_e32 v21, v17, v19
	v_sub_f32_e32 v17, v18, v17
	v_add_f32_e32 v21, 1.0, v21
	v_add_f32_e32 v17, v17, v21
	v_subrev_co_ci_u32_e64 v16, null, 0, v16, vcc_lo
	v_cmp_neq_f32_e32 vcc_lo, 0x7f800000, v18
	v_sub_nc_u32_e32 v20, 0, v16
	v_cvt_f32_i32_e32 v16, v16
	v_ldexp_f32 v19, v19, v20
	v_ldexp_f32 v17, v17, v20
	v_add_f32_e32 v22, 1.0, v19
	v_add_f32_e32 v20, -1.0, v19
	v_add_f32_e32 v21, -1.0, v22
	v_add_f32_e32 v23, 1.0, v20
	v_sub_f32_e32 v21, v19, v21
	v_sub_f32_e32 v19, v19, v23
	v_add_f32_e32 v21, v17, v21
	v_add_f32_e32 v17, v17, v19
	;; [unrolled: 1-line block ×4, first 2 shown]
	v_rcp_f32_e32 v19, v23
	v_sub_f32_e32 v22, v22, v23
	v_sub_f32_e32 v20, v20, v24
	v_add_f32_e32 v21, v21, v22
	v_add_f32_e32 v17, v17, v20
	v_mul_f32_e32 v29, v24, v19
	v_mul_f32_e32 v30, v23, v29
	v_fma_f32 v22, v29, v23, -v30
	v_fmac_f32_e32 v22, v29, v21
	v_add_f32_e32 v31, v30, v22
	v_sub_f32_e32 v32, v24, v31
	v_sub_f32_e32 v20, v31, v30
	;; [unrolled: 1-line block ×5, first 2 shown]
	v_add_f32_e32 v17, v17, v24
	v_add_f32_e32 v17, v20, v17
	;; [unrolled: 1-line block ×3, first 2 shown]
	v_mul_f32_e32 v22, v19, v20
	v_sub_f32_e32 v31, v32, v20
	v_mul_f32_e32 v24, v23, v22
	v_add_f32_e32 v17, v17, v31
	v_fma_f32 v23, v22, v23, -v24
	v_fmac_f32_e32 v23, v22, v21
	v_add_f32_e32 v21, v24, v23
	v_sub_f32_e32 v30, v20, v21
	v_sub_f32_e32 v24, v21, v24
	;; [unrolled: 1-line block ×5, first 2 shown]
	v_add_f32_e32 v17, v17, v20
	v_add_f32_e32 v20, v29, v22
	;; [unrolled: 1-line block ×3, first 2 shown]
	v_sub_f32_e32 v21, v20, v29
	v_add_f32_e32 v17, v30, v17
	v_sub_f32_e32 v21, v22, v21
	v_mul_f32_e32 v17, v19, v17
	v_add_f32_e32 v17, v21, v17
	v_add_f32_e32 v19, v20, v17
	v_mul_f32_e32 v21, v19, v19
	v_fmaak_f32 v22, s19, v21, 0x3ecc95a3
	v_mul_f32_e32 v23, v19, v21
	v_fmaak_f32 v21, v21, v22, 0x3f2aaada
	v_ldexp_f32 v22, v19, 1
	v_sub_f32_e32 v19, v19, v20
	v_mul_f32_e32 v21, v23, v21
	v_mul_f32_e32 v23, 0x3f317218, v16
	v_sub_f32_e32 v17, v17, v19
	v_add_f32_e32 v20, v22, v21
	v_ldexp_f32 v17, v17, 1
	v_sub_f32_e32 v19, v20, v22
	v_fma_f32 v22, 0x3f317218, v16, -v23
	v_sub_f32_e32 v19, v21, v19
	v_fmamk_f32 v16, v16, 0xb102e308, v22
	v_add_f32_e32 v17, v17, v19
	v_add_f32_e32 v19, v23, v16
	;; [unrolled: 1-line block ×3, first 2 shown]
	v_sub_f32_e32 v23, v19, v23
	v_add_f32_e32 v22, v19, v21
	v_sub_f32_e32 v20, v21, v20
	v_sub_f32_e32 v16, v16, v23
	;; [unrolled: 1-line block ×6, first 2 shown]
	v_add_f32_e32 v21, v16, v17
	v_sub_f32_e32 v19, v19, v29
	v_add_f32_e32 v19, v20, v19
	v_sub_f32_e32 v20, v21, v16
	;; [unrolled: 2-line block ×3, first 2 shown]
	v_sub_f32_e32 v17, v17, v20
	v_add_f32_e32 v23, v22, v19
	v_sub_f32_e32 v16, v16, v21
	v_sub_f32_e32 v20, v23, v22
	v_add_f32_e32 v16, v17, v16
	v_sub_f32_e32 v17, v19, v20
	v_add_f32_e32 v16, v16, v17
	v_add_f32_e32 v16, v23, v16
	v_cndmask_b32_e32 v16, 0x7f800000, v16, vcc_lo
	v_cmp_gt_f32_e64 vcc_lo, 0x33800000, |v18|
	v_cndmask_b32_e32 v16, v16, v18, vcc_lo
	v_add_f32_e32 v16, v12, v16
.LBB501_32:
	s_or_b32 exec_lo, exec_lo, s18
	v_bfe_u32 v12, v16, 16, 1
	v_cmp_o_f32_e32 vcc_lo, v16, v16
	v_and_b32_e32 v3, 0xffff0000, v3
	v_add3_u32 v12, v16, v12, 0x7fff
	v_max_f32_e32 v17, v3, v3
	v_cmp_u_f32_e64 s18, v3, v3
	v_and_b32_e32 v12, 0xffff0000, v12
	v_cndmask_b32_e32 v16, 0x7fc00000, v12, vcc_lo
	v_max_f32_e32 v12, v16, v16
	v_cmp_u_f32_e32 vcc_lo, v16, v16
	v_min_f32_e32 v18, v12, v17
	v_max_f32_e32 v12, v12, v17
	v_cndmask_b32_e32 v18, v18, v16, vcc_lo
	v_cndmask_b32_e32 v12, v12, v16, vcc_lo
	v_cndmask_b32_e64 v18, v18, v3, s18
	v_cndmask_b32_e64 v12, v12, v3, s18
	v_cmp_class_f32_e64 s19, v18, 0x1f8
	v_cmp_neq_f32_e32 vcc_lo, v18, v12
	s_or_b32 s20, vcc_lo, s19
	s_and_saveexec_b32 s19, s20
	s_cbranch_execz .LBB501_34
; %bb.33:
	v_sub_f32_e32 v16, v18, v12
	s_mov_b32 s20, 0x3e9b6dac
	v_mul_f32_e32 v18, 0x3fb8aa3b, v16
	v_cmp_ngt_f32_e32 vcc_lo, 0xc2ce8ed0, v16
	v_fma_f32 v19, 0x3fb8aa3b, v16, -v18
	v_rndne_f32_e32 v20, v18
	v_fmamk_f32 v19, v16, 0x32a5705f, v19
	v_sub_f32_e32 v18, v18, v20
	v_add_f32_e32 v18, v18, v19
	v_cvt_i32_f32_e32 v19, v20
	v_exp_f32_e32 v18, v18
	v_ldexp_f32 v18, v18, v19
	v_cndmask_b32_e32 v18, 0, v18, vcc_lo
	v_cmp_nlt_f32_e32 vcc_lo, 0x42b17218, v16
	v_cndmask_b32_e32 v16, 0x7f800000, v18, vcc_lo
	v_add_f32_e32 v20, 1.0, v16
	v_cvt_f64_f32_e32 v[18:19], v20
	v_frexp_exp_i32_f64_e32 v18, v[18:19]
	v_frexp_mant_f32_e32 v19, v20
	v_cmp_gt_f32_e32 vcc_lo, 0x3f2aaaab, v19
	v_add_f32_e32 v19, -1.0, v20
	v_sub_f32_e32 v22, v19, v20
	v_sub_f32_e32 v19, v16, v19
	v_add_f32_e32 v22, 1.0, v22
	v_add_f32_e32 v19, v19, v22
	v_subrev_co_ci_u32_e64 v18, null, 0, v18, vcc_lo
	v_cmp_neq_f32_e32 vcc_lo, 0x7f800000, v16
	v_sub_nc_u32_e32 v21, 0, v18
	v_cvt_f32_i32_e32 v18, v18
	v_ldexp_f32 v20, v20, v21
	v_ldexp_f32 v19, v19, v21
	v_add_f32_e32 v23, 1.0, v20
	v_add_f32_e32 v21, -1.0, v20
	v_add_f32_e32 v22, -1.0, v23
	v_add_f32_e32 v24, 1.0, v21
	v_sub_f32_e32 v22, v20, v22
	v_sub_f32_e32 v20, v20, v24
	v_add_f32_e32 v22, v19, v22
	v_add_f32_e32 v19, v19, v20
	;; [unrolled: 1-line block ×4, first 2 shown]
	v_rcp_f32_e32 v20, v24
	v_sub_f32_e32 v23, v23, v24
	v_sub_f32_e32 v21, v21, v29
	v_add_f32_e32 v22, v22, v23
	v_add_f32_e32 v19, v19, v21
	v_mul_f32_e32 v30, v29, v20
	v_mul_f32_e32 v31, v24, v30
	v_fma_f32 v23, v30, v24, -v31
	v_fmac_f32_e32 v23, v30, v22
	v_add_f32_e32 v32, v31, v23
	v_sub_f32_e32 v33, v29, v32
	v_sub_f32_e32 v21, v32, v31
	;; [unrolled: 1-line block ×5, first 2 shown]
	v_add_f32_e32 v19, v19, v29
	v_add_f32_e32 v19, v21, v19
	;; [unrolled: 1-line block ×3, first 2 shown]
	v_mul_f32_e32 v23, v20, v21
	v_sub_f32_e32 v32, v33, v21
	v_mul_f32_e32 v29, v24, v23
	v_add_f32_e32 v19, v19, v32
	v_fma_f32 v24, v23, v24, -v29
	v_fmac_f32_e32 v24, v23, v22
	v_add_f32_e32 v22, v29, v24
	v_sub_f32_e32 v31, v21, v22
	v_sub_f32_e32 v29, v22, v29
	;; [unrolled: 1-line block ×5, first 2 shown]
	v_add_f32_e32 v19, v19, v21
	v_add_f32_e32 v21, v30, v23
	;; [unrolled: 1-line block ×3, first 2 shown]
	v_sub_f32_e32 v22, v21, v30
	v_add_f32_e32 v19, v31, v19
	v_sub_f32_e32 v22, v23, v22
	v_mul_f32_e32 v19, v20, v19
	v_add_f32_e32 v19, v22, v19
	v_add_f32_e32 v20, v21, v19
	v_mul_f32_e32 v22, v20, v20
	v_fmaak_f32 v23, s20, v22, 0x3ecc95a3
	v_mul_f32_e32 v24, v20, v22
	v_fmaak_f32 v22, v22, v23, 0x3f2aaada
	v_ldexp_f32 v23, v20, 1
	v_sub_f32_e32 v20, v20, v21
	v_mul_f32_e32 v22, v24, v22
	v_mul_f32_e32 v24, 0x3f317218, v18
	v_sub_f32_e32 v19, v19, v20
	v_add_f32_e32 v21, v23, v22
	v_ldexp_f32 v19, v19, 1
	v_sub_f32_e32 v20, v21, v23
	v_fma_f32 v23, 0x3f317218, v18, -v24
	v_sub_f32_e32 v20, v22, v20
	v_fmamk_f32 v18, v18, 0xb102e308, v23
	v_add_f32_e32 v19, v19, v20
	v_add_f32_e32 v20, v24, v18
	;; [unrolled: 1-line block ×3, first 2 shown]
	v_sub_f32_e32 v24, v20, v24
	v_add_f32_e32 v23, v20, v22
	v_sub_f32_e32 v21, v22, v21
	v_sub_f32_e32 v18, v18, v24
	v_sub_f32_e32 v29, v23, v20
	v_sub_f32_e32 v19, v19, v21
	v_sub_f32_e32 v30, v23, v29
	v_sub_f32_e32 v21, v22, v29
	v_add_f32_e32 v22, v18, v19
	v_sub_f32_e32 v20, v20, v30
	v_add_f32_e32 v20, v21, v20
	v_sub_f32_e32 v21, v22, v18
	;; [unrolled: 2-line block ×3, first 2 shown]
	v_sub_f32_e32 v19, v19, v21
	v_add_f32_e32 v24, v23, v20
	v_sub_f32_e32 v18, v18, v22
	v_sub_f32_e32 v21, v24, v23
	v_add_f32_e32 v18, v19, v18
	v_sub_f32_e32 v19, v20, v21
	v_add_f32_e32 v18, v18, v19
	v_add_f32_e32 v18, v24, v18
	v_cndmask_b32_e32 v18, 0x7f800000, v18, vcc_lo
	v_cmp_gt_f32_e64 vcc_lo, 0x33800000, |v16|
	v_cndmask_b32_e32 v16, v18, v16, vcc_lo
	v_add_f32_e32 v16, v12, v16
.LBB501_34:
	s_or_b32 exec_lo, exec_lo, s19
	v_bfe_u32 v12, v16, 16, 1
	v_cmp_o_f32_e32 vcc_lo, v16, v16
	v_add3_u32 v12, v16, v12, 0x7fff
	v_and_b32_e32 v18, 0xffff0000, v12
	v_lshlrev_b32_e32 v12, 16, v4
	v_cndmask_b32_e32 v19, 0x7fc00000, v18, vcc_lo
	v_max_f32_e32 v18, v12, v12
	v_cmp_u_f32_e64 s19, v12, v12
	v_max_f32_e32 v16, v19, v19
	v_cmp_u_f32_e32 vcc_lo, v19, v19
	v_min_f32_e32 v20, v16, v18
	v_max_f32_e32 v16, v16, v18
	v_cndmask_b32_e32 v20, v20, v19, vcc_lo
	v_cndmask_b32_e32 v16, v16, v19, vcc_lo
	v_cndmask_b32_e64 v20, v20, v12, s19
	v_cndmask_b32_e64 v16, v16, v12, s19
	v_cmp_class_f32_e64 s20, v20, 0x1f8
	v_cmp_neq_f32_e32 vcc_lo, v20, v16
	s_or_b32 s21, vcc_lo, s20
	s_and_saveexec_b32 s20, s21
	s_cbranch_execz .LBB501_36
; %bb.35:
	v_sub_f32_e32 v19, v20, v16
	s_mov_b32 s21, 0x3e9b6dac
	v_mul_f32_e32 v20, 0x3fb8aa3b, v19
	v_cmp_ngt_f32_e32 vcc_lo, 0xc2ce8ed0, v19
	v_fma_f32 v21, 0x3fb8aa3b, v19, -v20
	v_rndne_f32_e32 v22, v20
	v_fmamk_f32 v21, v19, 0x32a5705f, v21
	v_sub_f32_e32 v20, v20, v22
	v_add_f32_e32 v20, v20, v21
	v_cvt_i32_f32_e32 v21, v22
	v_exp_f32_e32 v20, v20
	v_ldexp_f32 v20, v20, v21
	v_cndmask_b32_e32 v20, 0, v20, vcc_lo
	v_cmp_nlt_f32_e32 vcc_lo, 0x42b17218, v19
	v_cndmask_b32_e32 v21, 0x7f800000, v20, vcc_lo
	v_add_f32_e32 v22, 1.0, v21
	v_cvt_f64_f32_e32 v[19:20], v22
	v_frexp_exp_i32_f64_e32 v19, v[19:20]
	v_frexp_mant_f32_e32 v20, v22
	v_cmp_gt_f32_e32 vcc_lo, 0x3f2aaaab, v20
	v_add_f32_e32 v20, -1.0, v22
	v_sub_f32_e32 v24, v20, v22
	v_sub_f32_e32 v20, v21, v20
	v_add_f32_e32 v24, 1.0, v24
	v_add_f32_e32 v20, v20, v24
	v_subrev_co_ci_u32_e64 v19, null, 0, v19, vcc_lo
	v_cmp_neq_f32_e32 vcc_lo, 0x7f800000, v21
	v_sub_nc_u32_e32 v23, 0, v19
	v_cvt_f32_i32_e32 v19, v19
	v_ldexp_f32 v22, v22, v23
	v_ldexp_f32 v20, v20, v23
	v_add_f32_e32 v29, 1.0, v22
	v_add_f32_e32 v23, -1.0, v22
	v_add_f32_e32 v24, -1.0, v29
	v_add_f32_e32 v30, 1.0, v23
	v_sub_f32_e32 v24, v22, v24
	v_sub_f32_e32 v22, v22, v30
	v_add_f32_e32 v24, v20, v24
	v_add_f32_e32 v20, v20, v22
	;; [unrolled: 1-line block ×4, first 2 shown]
	v_rcp_f32_e32 v22, v30
	v_sub_f32_e32 v29, v29, v30
	v_sub_f32_e32 v23, v23, v31
	v_add_f32_e32 v24, v24, v29
	v_add_f32_e32 v20, v20, v23
	v_mul_f32_e32 v32, v31, v22
	v_mul_f32_e32 v33, v30, v32
	v_fma_f32 v29, v32, v30, -v33
	v_fmac_f32_e32 v29, v32, v24
	v_add_f32_e32 v34, v33, v29
	v_sub_f32_e32 v35, v31, v34
	v_sub_f32_e32 v23, v34, v33
	;; [unrolled: 1-line block ×5, first 2 shown]
	v_add_f32_e32 v20, v20, v31
	v_add_f32_e32 v20, v23, v20
	;; [unrolled: 1-line block ×3, first 2 shown]
	v_mul_f32_e32 v29, v22, v23
	v_sub_f32_e32 v34, v35, v23
	v_mul_f32_e32 v31, v30, v29
	v_add_f32_e32 v20, v20, v34
	v_fma_f32 v30, v29, v30, -v31
	v_fmac_f32_e32 v30, v29, v24
	v_add_f32_e32 v24, v31, v30
	v_sub_f32_e32 v33, v23, v24
	v_sub_f32_e32 v31, v24, v31
	;; [unrolled: 1-line block ×5, first 2 shown]
	v_add_f32_e32 v20, v20, v23
	v_add_f32_e32 v23, v32, v29
	;; [unrolled: 1-line block ×3, first 2 shown]
	v_sub_f32_e32 v24, v23, v32
	v_add_f32_e32 v20, v33, v20
	v_sub_f32_e32 v24, v29, v24
	v_mul_f32_e32 v20, v22, v20
	v_add_f32_e32 v20, v24, v20
	v_add_f32_e32 v22, v23, v20
	v_mul_f32_e32 v24, v22, v22
	v_fmaak_f32 v29, s21, v24, 0x3ecc95a3
	v_mul_f32_e32 v30, v22, v24
	v_fmaak_f32 v24, v24, v29, 0x3f2aaada
	v_ldexp_f32 v29, v22, 1
	v_sub_f32_e32 v22, v22, v23
	v_mul_f32_e32 v24, v30, v24
	v_mul_f32_e32 v30, 0x3f317218, v19
	v_sub_f32_e32 v20, v20, v22
	v_add_f32_e32 v23, v29, v24
	v_ldexp_f32 v20, v20, 1
	v_sub_f32_e32 v22, v23, v29
	v_fma_f32 v29, 0x3f317218, v19, -v30
	v_sub_f32_e32 v22, v24, v22
	v_fmamk_f32 v19, v19, 0xb102e308, v29
	v_add_f32_e32 v20, v20, v22
	v_add_f32_e32 v22, v30, v19
	;; [unrolled: 1-line block ×3, first 2 shown]
	v_sub_f32_e32 v30, v22, v30
	v_add_f32_e32 v29, v22, v24
	v_sub_f32_e32 v23, v24, v23
	v_sub_f32_e32 v19, v19, v30
	;; [unrolled: 1-line block ×6, first 2 shown]
	v_add_f32_e32 v24, v19, v20
	v_sub_f32_e32 v22, v22, v32
	v_add_f32_e32 v22, v23, v22
	v_sub_f32_e32 v23, v24, v19
	;; [unrolled: 2-line block ×3, first 2 shown]
	v_sub_f32_e32 v20, v20, v23
	v_add_f32_e32 v30, v29, v22
	v_sub_f32_e32 v19, v19, v24
	v_sub_f32_e32 v23, v30, v29
	v_add_f32_e32 v19, v20, v19
	v_sub_f32_e32 v20, v22, v23
	v_add_f32_e32 v19, v19, v20
	v_add_f32_e32 v19, v30, v19
	v_cndmask_b32_e32 v19, 0x7f800000, v19, vcc_lo
	v_cmp_gt_f32_e64 vcc_lo, 0x33800000, |v21|
	v_cndmask_b32_e32 v19, v19, v21, vcc_lo
	v_add_f32_e32 v19, v16, v19
.LBB501_36:
	s_or_b32 exec_lo, exec_lo, s20
	v_bfe_u32 v16, v19, 16, 1
	v_cmp_o_f32_e32 vcc_lo, v19, v19
	v_and_b32_e32 v4, 0xffff0000, v4
	v_add3_u32 v16, v19, v16, 0x7fff
	v_max_f32_e32 v20, v4, v4
	v_cmp_u_f32_e64 s20, v4, v4
	v_and_b32_e32 v16, 0xffff0000, v16
	v_cndmask_b32_e32 v19, 0x7fc00000, v16, vcc_lo
	v_max_f32_e32 v16, v19, v19
	v_cmp_u_f32_e32 vcc_lo, v19, v19
	v_min_f32_e32 v21, v16, v20
	v_max_f32_e32 v16, v16, v20
	v_cndmask_b32_e32 v21, v21, v19, vcc_lo
	v_cndmask_b32_e32 v16, v16, v19, vcc_lo
	v_cndmask_b32_e64 v21, v21, v4, s20
	v_cndmask_b32_e64 v16, v16, v4, s20
	v_cmp_class_f32_e64 s21, v21, 0x1f8
	v_cmp_neq_f32_e32 vcc_lo, v21, v16
	s_or_b32 s22, vcc_lo, s21
	s_and_saveexec_b32 s21, s22
	s_cbranch_execz .LBB501_38
; %bb.37:
	v_sub_f32_e32 v19, v21, v16
	s_mov_b32 s22, 0x3e9b6dac
	v_mul_f32_e32 v21, 0x3fb8aa3b, v19
	v_cmp_ngt_f32_e32 vcc_lo, 0xc2ce8ed0, v19
	v_fma_f32 v22, 0x3fb8aa3b, v19, -v21
	v_rndne_f32_e32 v23, v21
	v_fmamk_f32 v22, v19, 0x32a5705f, v22
	v_sub_f32_e32 v21, v21, v23
	v_add_f32_e32 v21, v21, v22
	v_cvt_i32_f32_e32 v22, v23
	v_exp_f32_e32 v21, v21
	v_ldexp_f32 v21, v21, v22
	v_cndmask_b32_e32 v21, 0, v21, vcc_lo
	v_cmp_nlt_f32_e32 vcc_lo, 0x42b17218, v19
	v_cndmask_b32_e32 v19, 0x7f800000, v21, vcc_lo
	v_add_f32_e32 v23, 1.0, v19
	v_cvt_f64_f32_e32 v[21:22], v23
	v_frexp_exp_i32_f64_e32 v21, v[21:22]
	v_frexp_mant_f32_e32 v22, v23
	v_cmp_gt_f32_e32 vcc_lo, 0x3f2aaaab, v22
	v_add_f32_e32 v22, -1.0, v23
	v_sub_f32_e32 v29, v22, v23
	v_sub_f32_e32 v22, v19, v22
	v_add_f32_e32 v29, 1.0, v29
	v_add_f32_e32 v22, v22, v29
	v_subrev_co_ci_u32_e64 v21, null, 0, v21, vcc_lo
	v_cmp_neq_f32_e32 vcc_lo, 0x7f800000, v19
	v_sub_nc_u32_e32 v24, 0, v21
	v_cvt_f32_i32_e32 v21, v21
	v_ldexp_f32 v23, v23, v24
	v_ldexp_f32 v22, v22, v24
	v_add_f32_e32 v30, 1.0, v23
	v_add_f32_e32 v24, -1.0, v23
	v_add_f32_e32 v29, -1.0, v30
	v_add_f32_e32 v31, 1.0, v24
	v_sub_f32_e32 v29, v23, v29
	v_sub_f32_e32 v23, v23, v31
	v_add_f32_e32 v29, v22, v29
	v_add_f32_e32 v22, v22, v23
	;; [unrolled: 1-line block ×4, first 2 shown]
	v_rcp_f32_e32 v23, v31
	v_sub_f32_e32 v30, v30, v31
	v_sub_f32_e32 v24, v24, v32
	v_add_f32_e32 v29, v29, v30
	v_add_f32_e32 v22, v22, v24
	v_mul_f32_e32 v33, v32, v23
	v_mul_f32_e32 v34, v31, v33
	v_fma_f32 v30, v33, v31, -v34
	v_fmac_f32_e32 v30, v33, v29
	v_add_f32_e32 v35, v34, v30
	v_sub_f32_e32 v36, v32, v35
	v_sub_f32_e32 v24, v35, v34
	;; [unrolled: 1-line block ×5, first 2 shown]
	v_add_f32_e32 v22, v22, v32
	v_add_f32_e32 v22, v24, v22
	;; [unrolled: 1-line block ×3, first 2 shown]
	v_mul_f32_e32 v30, v23, v24
	v_sub_f32_e32 v35, v36, v24
	v_mul_f32_e32 v32, v31, v30
	v_add_f32_e32 v22, v22, v35
	v_fma_f32 v31, v30, v31, -v32
	v_fmac_f32_e32 v31, v30, v29
	v_add_f32_e32 v29, v32, v31
	v_sub_f32_e32 v34, v24, v29
	v_sub_f32_e32 v32, v29, v32
	;; [unrolled: 1-line block ×5, first 2 shown]
	v_add_f32_e32 v22, v22, v24
	v_add_f32_e32 v24, v33, v30
	;; [unrolled: 1-line block ×3, first 2 shown]
	v_sub_f32_e32 v29, v24, v33
	v_add_f32_e32 v22, v34, v22
	v_sub_f32_e32 v29, v30, v29
	v_mul_f32_e32 v22, v23, v22
	v_add_f32_e32 v22, v29, v22
	v_add_f32_e32 v23, v24, v22
	v_mul_f32_e32 v29, v23, v23
	v_fmaak_f32 v30, s22, v29, 0x3ecc95a3
	v_mul_f32_e32 v31, v23, v29
	v_fmaak_f32 v29, v29, v30, 0x3f2aaada
	v_ldexp_f32 v30, v23, 1
	v_sub_f32_e32 v23, v23, v24
	v_mul_f32_e32 v29, v31, v29
	v_mul_f32_e32 v31, 0x3f317218, v21
	v_sub_f32_e32 v22, v22, v23
	v_add_f32_e32 v24, v30, v29
	v_ldexp_f32 v22, v22, 1
	v_sub_f32_e32 v23, v24, v30
	v_fma_f32 v30, 0x3f317218, v21, -v31
	v_sub_f32_e32 v23, v29, v23
	v_fmamk_f32 v21, v21, 0xb102e308, v30
	v_add_f32_e32 v22, v22, v23
	v_add_f32_e32 v23, v31, v21
	;; [unrolled: 1-line block ×3, first 2 shown]
	v_sub_f32_e32 v31, v23, v31
	v_add_f32_e32 v30, v23, v29
	v_sub_f32_e32 v24, v29, v24
	v_sub_f32_e32 v21, v21, v31
	;; [unrolled: 1-line block ×6, first 2 shown]
	v_add_f32_e32 v29, v21, v22
	v_sub_f32_e32 v23, v23, v33
	v_add_f32_e32 v23, v24, v23
	v_sub_f32_e32 v24, v29, v21
	;; [unrolled: 2-line block ×3, first 2 shown]
	v_sub_f32_e32 v22, v22, v24
	v_add_f32_e32 v31, v30, v23
	v_sub_f32_e32 v21, v21, v29
	v_sub_f32_e32 v24, v31, v30
	v_add_f32_e32 v21, v22, v21
	v_sub_f32_e32 v22, v23, v24
	v_add_f32_e32 v21, v21, v22
	v_add_f32_e32 v21, v31, v21
	v_cndmask_b32_e32 v21, 0x7f800000, v21, vcc_lo
	v_cmp_gt_f32_e64 vcc_lo, 0x33800000, |v19|
	v_cndmask_b32_e32 v19, v21, v19, vcc_lo
	v_add_f32_e32 v19, v16, v19
.LBB501_38:
	s_or_b32 exec_lo, exec_lo, s21
	v_bfe_u32 v16, v19, 16, 1
	v_cmp_o_f32_e32 vcc_lo, v19, v19
	v_add3_u32 v16, v19, v16, 0x7fff
	v_and_b32_e32 v21, 0xffff0000, v16
	v_lshlrev_b32_e32 v16, 16, v5
	v_cndmask_b32_e32 v22, 0x7fc00000, v21, vcc_lo
	v_max_f32_e32 v21, v16, v16
	v_cmp_u_f32_e64 s21, v16, v16
	v_max_f32_e32 v19, v22, v22
	v_cmp_u_f32_e32 vcc_lo, v22, v22
	v_min_f32_e32 v23, v19, v21
	v_max_f32_e32 v19, v19, v21
	v_cndmask_b32_e32 v23, v23, v22, vcc_lo
	v_cndmask_b32_e32 v19, v19, v22, vcc_lo
	v_cndmask_b32_e64 v23, v23, v16, s21
	v_cndmask_b32_e64 v19, v19, v16, s21
	v_cmp_class_f32_e64 s22, v23, 0x1f8
	v_cmp_neq_f32_e32 vcc_lo, v23, v19
	s_or_b32 s23, vcc_lo, s22
	s_and_saveexec_b32 s22, s23
	s_cbranch_execz .LBB501_40
; %bb.39:
	v_sub_f32_e32 v22, v23, v19
	s_mov_b32 s23, 0x3e9b6dac
	v_mul_f32_e32 v23, 0x3fb8aa3b, v22
	v_cmp_ngt_f32_e32 vcc_lo, 0xc2ce8ed0, v22
	v_fma_f32 v24, 0x3fb8aa3b, v22, -v23
	v_rndne_f32_e32 v29, v23
	v_fmamk_f32 v24, v22, 0x32a5705f, v24
	v_sub_f32_e32 v23, v23, v29
	v_add_f32_e32 v23, v23, v24
	v_cvt_i32_f32_e32 v24, v29
	v_exp_f32_e32 v23, v23
	v_ldexp_f32 v23, v23, v24
	v_cndmask_b32_e32 v23, 0, v23, vcc_lo
	v_cmp_nlt_f32_e32 vcc_lo, 0x42b17218, v22
	v_cndmask_b32_e32 v24, 0x7f800000, v23, vcc_lo
	v_add_f32_e32 v29, 1.0, v24
	v_cvt_f64_f32_e32 v[22:23], v29
	v_frexp_exp_i32_f64_e32 v22, v[22:23]
	v_frexp_mant_f32_e32 v23, v29
	v_cmp_gt_f32_e32 vcc_lo, 0x3f2aaaab, v23
	v_add_f32_e32 v23, -1.0, v29
	v_sub_f32_e32 v31, v23, v29
	v_sub_f32_e32 v23, v24, v23
	v_add_f32_e32 v31, 1.0, v31
	v_add_f32_e32 v23, v23, v31
	v_subrev_co_ci_u32_e64 v22, null, 0, v22, vcc_lo
	v_cmp_neq_f32_e32 vcc_lo, 0x7f800000, v24
	v_sub_nc_u32_e32 v30, 0, v22
	v_cvt_f32_i32_e32 v22, v22
	v_ldexp_f32 v29, v29, v30
	v_ldexp_f32 v23, v23, v30
	v_add_f32_e32 v32, 1.0, v29
	v_add_f32_e32 v30, -1.0, v29
	v_add_f32_e32 v31, -1.0, v32
	v_add_f32_e32 v33, 1.0, v30
	v_sub_f32_e32 v31, v29, v31
	v_sub_f32_e32 v29, v29, v33
	v_add_f32_e32 v31, v23, v31
	v_add_f32_e32 v23, v23, v29
	v_add_f32_e32 v33, v32, v31
	v_add_f32_e32 v34, v30, v23
	v_rcp_f32_e32 v29, v33
	v_sub_f32_e32 v32, v32, v33
	v_sub_f32_e32 v30, v30, v34
	v_add_f32_e32 v31, v31, v32
	v_add_f32_e32 v23, v23, v30
	v_mul_f32_e32 v35, v34, v29
	v_mul_f32_e32 v36, v33, v35
	v_fma_f32 v32, v35, v33, -v36
	v_fmac_f32_e32 v32, v35, v31
	v_add_f32_e32 v37, v36, v32
	v_sub_f32_e32 v38, v34, v37
	v_sub_f32_e32 v30, v37, v36
	;; [unrolled: 1-line block ×5, first 2 shown]
	v_add_f32_e32 v23, v23, v34
	v_add_f32_e32 v23, v30, v23
	v_add_f32_e32 v30, v38, v23
	v_mul_f32_e32 v32, v29, v30
	v_sub_f32_e32 v37, v38, v30
	v_mul_f32_e32 v34, v33, v32
	v_add_f32_e32 v23, v23, v37
	v_fma_f32 v33, v32, v33, -v34
	v_fmac_f32_e32 v33, v32, v31
	v_add_f32_e32 v31, v34, v33
	v_sub_f32_e32 v36, v30, v31
	v_sub_f32_e32 v34, v31, v34
	;; [unrolled: 1-line block ×5, first 2 shown]
	v_add_f32_e32 v23, v23, v30
	v_add_f32_e32 v30, v35, v32
	;; [unrolled: 1-line block ×3, first 2 shown]
	v_sub_f32_e32 v31, v30, v35
	v_add_f32_e32 v23, v36, v23
	v_sub_f32_e32 v31, v32, v31
	v_mul_f32_e32 v23, v29, v23
	v_add_f32_e32 v23, v31, v23
	v_add_f32_e32 v29, v30, v23
	v_mul_f32_e32 v31, v29, v29
	v_fmaak_f32 v32, s23, v31, 0x3ecc95a3
	v_mul_f32_e32 v33, v29, v31
	v_fmaak_f32 v31, v31, v32, 0x3f2aaada
	v_ldexp_f32 v32, v29, 1
	v_sub_f32_e32 v29, v29, v30
	v_mul_f32_e32 v31, v33, v31
	v_mul_f32_e32 v33, 0x3f317218, v22
	v_sub_f32_e32 v23, v23, v29
	v_add_f32_e32 v30, v32, v31
	v_ldexp_f32 v23, v23, 1
	v_sub_f32_e32 v29, v30, v32
	v_fma_f32 v32, 0x3f317218, v22, -v33
	v_sub_f32_e32 v29, v31, v29
	v_fmamk_f32 v22, v22, 0xb102e308, v32
	v_add_f32_e32 v23, v23, v29
	v_add_f32_e32 v29, v33, v22
	;; [unrolled: 1-line block ×3, first 2 shown]
	v_sub_f32_e32 v33, v29, v33
	v_add_f32_e32 v32, v29, v31
	v_sub_f32_e32 v30, v31, v30
	v_sub_f32_e32 v22, v22, v33
	;; [unrolled: 1-line block ×6, first 2 shown]
	v_add_f32_e32 v31, v22, v23
	v_sub_f32_e32 v29, v29, v35
	v_add_f32_e32 v29, v30, v29
	v_sub_f32_e32 v30, v31, v22
	;; [unrolled: 2-line block ×3, first 2 shown]
	v_sub_f32_e32 v23, v23, v30
	v_add_f32_e32 v33, v32, v29
	v_sub_f32_e32 v22, v22, v31
	v_sub_f32_e32 v30, v33, v32
	v_add_f32_e32 v22, v23, v22
	v_sub_f32_e32 v23, v29, v30
	v_add_f32_e32 v22, v22, v23
	v_add_f32_e32 v22, v33, v22
	v_cndmask_b32_e32 v22, 0x7f800000, v22, vcc_lo
	v_cmp_gt_f32_e64 vcc_lo, 0x33800000, |v24|
	v_cndmask_b32_e32 v22, v22, v24, vcc_lo
	v_add_f32_e32 v22, v19, v22
.LBB501_40:
	s_or_b32 exec_lo, exec_lo, s22
	v_bfe_u32 v19, v22, 16, 1
	v_cmp_o_f32_e32 vcc_lo, v22, v22
	v_and_b32_e32 v5, 0xffff0000, v5
	v_add3_u32 v19, v22, v19, 0x7fff
	v_max_f32_e32 v22, v5, v5
	v_cmp_u_f32_e64 s22, v5, v5
	v_and_b32_e32 v19, 0xffff0000, v19
	v_cndmask_b32_e32 v23, 0x7fc00000, v19, vcc_lo
	v_max_f32_e32 v19, v23, v23
	v_cmp_u_f32_e32 vcc_lo, v23, v23
	v_min_f32_e32 v24, v19, v22
	v_max_f32_e32 v19, v19, v22
	v_cndmask_b32_e32 v24, v24, v23, vcc_lo
	v_cndmask_b32_e32 v19, v19, v23, vcc_lo
	v_cndmask_b32_e64 v24, v24, v5, s22
	v_cndmask_b32_e64 v19, v19, v5, s22
	v_cmp_class_f32_e64 s23, v24, 0x1f8
	v_cmp_neq_f32_e32 vcc_lo, v24, v19
	s_or_b32 s24, vcc_lo, s23
	s_and_saveexec_b32 s23, s24
	s_cbranch_execz .LBB501_42
; %bb.41:
	v_sub_f32_e32 v23, v24, v19
	s_mov_b32 s24, 0x3e9b6dac
	v_mul_f32_e32 v24, 0x3fb8aa3b, v23
	v_cmp_ngt_f32_e32 vcc_lo, 0xc2ce8ed0, v23
	v_fma_f32 v29, 0x3fb8aa3b, v23, -v24
	v_rndne_f32_e32 v30, v24
	v_fmamk_f32 v29, v23, 0x32a5705f, v29
	v_sub_f32_e32 v24, v24, v30
	v_add_f32_e32 v24, v24, v29
	v_cvt_i32_f32_e32 v29, v30
	v_exp_f32_e32 v24, v24
	v_ldexp_f32 v24, v24, v29
	v_cndmask_b32_e32 v24, 0, v24, vcc_lo
	v_cmp_nlt_f32_e32 vcc_lo, 0x42b17218, v23
	v_cndmask_b32_e32 v29, 0x7f800000, v24, vcc_lo
	v_add_f32_e32 v30, 1.0, v29
	v_cvt_f64_f32_e32 v[23:24], v30
	v_frexp_exp_i32_f64_e32 v23, v[23:24]
	v_frexp_mant_f32_e32 v24, v30
	v_cmp_gt_f32_e32 vcc_lo, 0x3f2aaaab, v24
	v_add_f32_e32 v24, -1.0, v30
	v_sub_f32_e32 v32, v24, v30
	v_sub_f32_e32 v24, v29, v24
	v_add_f32_e32 v32, 1.0, v32
	v_add_f32_e32 v24, v24, v32
	v_subrev_co_ci_u32_e64 v23, null, 0, v23, vcc_lo
	v_cmp_neq_f32_e32 vcc_lo, 0x7f800000, v29
	v_sub_nc_u32_e32 v31, 0, v23
	v_cvt_f32_i32_e32 v23, v23
	v_ldexp_f32 v30, v30, v31
	v_ldexp_f32 v24, v24, v31
	v_add_f32_e32 v33, 1.0, v30
	v_add_f32_e32 v31, -1.0, v30
	v_add_f32_e32 v32, -1.0, v33
	v_add_f32_e32 v34, 1.0, v31
	v_sub_f32_e32 v32, v30, v32
	v_sub_f32_e32 v30, v30, v34
	v_add_f32_e32 v32, v24, v32
	v_add_f32_e32 v24, v24, v30
	;; [unrolled: 1-line block ×4, first 2 shown]
	v_rcp_f32_e32 v30, v34
	v_sub_f32_e32 v33, v33, v34
	v_sub_f32_e32 v31, v31, v35
	v_add_f32_e32 v32, v32, v33
	v_add_f32_e32 v24, v24, v31
	v_mul_f32_e32 v36, v35, v30
	v_mul_f32_e32 v37, v34, v36
	v_fma_f32 v33, v36, v34, -v37
	v_fmac_f32_e32 v33, v36, v32
	v_add_f32_e32 v38, v37, v33
	v_sub_f32_e32 v39, v35, v38
	v_sub_f32_e32 v31, v38, v37
	;; [unrolled: 1-line block ×5, first 2 shown]
	v_add_f32_e32 v24, v24, v35
	v_add_f32_e32 v24, v31, v24
	;; [unrolled: 1-line block ×3, first 2 shown]
	v_mul_f32_e32 v33, v30, v31
	v_sub_f32_e32 v38, v39, v31
	v_mul_f32_e32 v35, v34, v33
	v_add_f32_e32 v24, v24, v38
	v_fma_f32 v34, v33, v34, -v35
	v_fmac_f32_e32 v34, v33, v32
	v_add_f32_e32 v32, v35, v34
	v_sub_f32_e32 v37, v31, v32
	v_sub_f32_e32 v35, v32, v35
	;; [unrolled: 1-line block ×5, first 2 shown]
	v_add_f32_e32 v24, v24, v31
	v_add_f32_e32 v31, v36, v33
	;; [unrolled: 1-line block ×3, first 2 shown]
	v_sub_f32_e32 v32, v31, v36
	v_add_f32_e32 v24, v37, v24
	v_sub_f32_e32 v32, v33, v32
	v_mul_f32_e32 v24, v30, v24
	v_add_f32_e32 v24, v32, v24
	v_add_f32_e32 v30, v31, v24
	v_mul_f32_e32 v32, v30, v30
	v_fmaak_f32 v33, s24, v32, 0x3ecc95a3
	v_mul_f32_e32 v34, v30, v32
	v_fmaak_f32 v32, v32, v33, 0x3f2aaada
	v_ldexp_f32 v33, v30, 1
	v_sub_f32_e32 v30, v30, v31
	v_mul_f32_e32 v32, v34, v32
	v_mul_f32_e32 v34, 0x3f317218, v23
	v_sub_f32_e32 v24, v24, v30
	v_add_f32_e32 v31, v33, v32
	v_ldexp_f32 v24, v24, 1
	v_sub_f32_e32 v30, v31, v33
	v_fma_f32 v33, 0x3f317218, v23, -v34
	v_sub_f32_e32 v30, v32, v30
	v_fmamk_f32 v23, v23, 0xb102e308, v33
	v_add_f32_e32 v24, v24, v30
	v_add_f32_e32 v30, v34, v23
	;; [unrolled: 1-line block ×3, first 2 shown]
	v_sub_f32_e32 v34, v30, v34
	v_add_f32_e32 v33, v30, v32
	v_sub_f32_e32 v31, v32, v31
	v_sub_f32_e32 v23, v23, v34
	;; [unrolled: 1-line block ×6, first 2 shown]
	v_add_f32_e32 v32, v23, v24
	v_sub_f32_e32 v30, v30, v36
	v_add_f32_e32 v30, v31, v30
	v_sub_f32_e32 v31, v32, v23
	;; [unrolled: 2-line block ×3, first 2 shown]
	v_sub_f32_e32 v24, v24, v31
	v_add_f32_e32 v34, v33, v30
	v_sub_f32_e32 v23, v23, v32
	v_sub_f32_e32 v31, v34, v33
	v_add_f32_e32 v23, v24, v23
	v_sub_f32_e32 v24, v30, v31
	v_add_f32_e32 v23, v23, v24
	v_add_f32_e32 v23, v34, v23
	v_cndmask_b32_e32 v23, 0x7f800000, v23, vcc_lo
	v_cmp_gt_f32_e64 vcc_lo, 0x33800000, |v29|
	v_cndmask_b32_e32 v23, v23, v29, vcc_lo
	v_add_f32_e32 v23, v19, v23
.LBB501_42:
	s_or_b32 exec_lo, exec_lo, s23
	v_bfe_u32 v19, v23, 16, 1
	v_cmp_o_f32_e32 vcc_lo, v23, v23
	v_add3_u32 v19, v23, v19, 0x7fff
	v_and_b32_e32 v24, 0xffff0000, v19
	v_lshlrev_b32_e32 v19, 16, v6
	v_cndmask_b32_e32 v29, 0x7fc00000, v24, vcc_lo
	v_max_f32_e32 v23, v19, v19
	v_cmp_u_f32_e64 s23, v19, v19
	v_max_f32_e32 v24, v29, v29
	v_cmp_u_f32_e32 vcc_lo, v29, v29
	v_min_f32_e32 v30, v24, v23
	v_max_f32_e32 v24, v24, v23
	v_cndmask_b32_e32 v30, v30, v29, vcc_lo
	v_cndmask_b32_e32 v24, v24, v29, vcc_lo
	v_cndmask_b32_e64 v30, v30, v19, s23
	v_cndmask_b32_e64 v24, v24, v19, s23
	v_cmp_class_f32_e64 s24, v30, 0x1f8
	v_cmp_neq_f32_e32 vcc_lo, v30, v24
	s_or_b32 s26, vcc_lo, s24
	s_and_saveexec_b32 s24, s26
	s_cbranch_execz .LBB501_44
; %bb.43:
	v_sub_f32_e32 v29, v30, v24
	s_mov_b32 s26, 0x3e9b6dac
	v_mul_f32_e32 v30, 0x3fb8aa3b, v29
	v_cmp_ngt_f32_e32 vcc_lo, 0xc2ce8ed0, v29
	v_fma_f32 v31, 0x3fb8aa3b, v29, -v30
	v_rndne_f32_e32 v32, v30
	v_fmamk_f32 v31, v29, 0x32a5705f, v31
	v_sub_f32_e32 v30, v30, v32
	v_add_f32_e32 v30, v30, v31
	v_cvt_i32_f32_e32 v31, v32
	v_exp_f32_e32 v30, v30
	v_ldexp_f32 v30, v30, v31
	v_cndmask_b32_e32 v30, 0, v30, vcc_lo
	v_cmp_nlt_f32_e32 vcc_lo, 0x42b17218, v29
	v_cndmask_b32_e32 v31, 0x7f800000, v30, vcc_lo
	v_add_f32_e32 v32, 1.0, v31
	v_cvt_f64_f32_e32 v[29:30], v32
	v_frexp_exp_i32_f64_e32 v29, v[29:30]
	v_frexp_mant_f32_e32 v30, v32
	v_cmp_gt_f32_e32 vcc_lo, 0x3f2aaaab, v30
	v_add_f32_e32 v30, -1.0, v32
	v_sub_f32_e32 v34, v30, v32
	v_sub_f32_e32 v30, v31, v30
	v_add_f32_e32 v34, 1.0, v34
	v_add_f32_e32 v30, v30, v34
	v_subrev_co_ci_u32_e64 v29, null, 0, v29, vcc_lo
	v_cmp_neq_f32_e32 vcc_lo, 0x7f800000, v31
	v_sub_nc_u32_e32 v33, 0, v29
	v_cvt_f32_i32_e32 v29, v29
	v_ldexp_f32 v32, v32, v33
	v_ldexp_f32 v30, v30, v33
	v_add_f32_e32 v35, 1.0, v32
	v_add_f32_e32 v33, -1.0, v32
	v_add_f32_e32 v34, -1.0, v35
	v_add_f32_e32 v36, 1.0, v33
	v_sub_f32_e32 v34, v32, v34
	v_sub_f32_e32 v32, v32, v36
	v_add_f32_e32 v34, v30, v34
	v_add_f32_e32 v30, v30, v32
	;; [unrolled: 1-line block ×4, first 2 shown]
	v_rcp_f32_e32 v32, v36
	v_sub_f32_e32 v35, v35, v36
	v_sub_f32_e32 v33, v33, v37
	v_add_f32_e32 v34, v34, v35
	v_add_f32_e32 v30, v30, v33
	v_mul_f32_e32 v38, v37, v32
	v_mul_f32_e32 v39, v36, v38
	v_fma_f32 v35, v38, v36, -v39
	v_fmac_f32_e32 v35, v38, v34
	v_add_f32_e32 v40, v39, v35
	v_sub_f32_e32 v41, v37, v40
	v_sub_f32_e32 v33, v40, v39
	;; [unrolled: 1-line block ×5, first 2 shown]
	v_add_f32_e32 v30, v30, v37
	v_add_f32_e32 v30, v33, v30
	;; [unrolled: 1-line block ×3, first 2 shown]
	v_mul_f32_e32 v35, v32, v33
	v_sub_f32_e32 v40, v41, v33
	v_mul_f32_e32 v37, v36, v35
	v_add_f32_e32 v30, v30, v40
	v_fma_f32 v36, v35, v36, -v37
	v_fmac_f32_e32 v36, v35, v34
	v_add_f32_e32 v34, v37, v36
	v_sub_f32_e32 v39, v33, v34
	v_sub_f32_e32 v37, v34, v37
	;; [unrolled: 1-line block ×5, first 2 shown]
	v_add_f32_e32 v30, v30, v33
	v_add_f32_e32 v33, v38, v35
	;; [unrolled: 1-line block ×3, first 2 shown]
	v_sub_f32_e32 v34, v33, v38
	v_add_f32_e32 v30, v39, v30
	v_sub_f32_e32 v34, v35, v34
	v_mul_f32_e32 v30, v32, v30
	v_add_f32_e32 v30, v34, v30
	v_add_f32_e32 v32, v33, v30
	v_mul_f32_e32 v34, v32, v32
	v_fmaak_f32 v35, s26, v34, 0x3ecc95a3
	v_mul_f32_e32 v36, v32, v34
	v_fmaak_f32 v34, v34, v35, 0x3f2aaada
	v_ldexp_f32 v35, v32, 1
	v_sub_f32_e32 v32, v32, v33
	v_mul_f32_e32 v34, v36, v34
	v_mul_f32_e32 v36, 0x3f317218, v29
	v_sub_f32_e32 v30, v30, v32
	v_add_f32_e32 v33, v35, v34
	v_ldexp_f32 v30, v30, 1
	v_sub_f32_e32 v32, v33, v35
	v_fma_f32 v35, 0x3f317218, v29, -v36
	v_sub_f32_e32 v32, v34, v32
	v_fmamk_f32 v29, v29, 0xb102e308, v35
	v_add_f32_e32 v30, v30, v32
	v_add_f32_e32 v32, v36, v29
	;; [unrolled: 1-line block ×3, first 2 shown]
	v_sub_f32_e32 v36, v32, v36
	v_add_f32_e32 v35, v32, v34
	v_sub_f32_e32 v33, v34, v33
	v_sub_f32_e32 v29, v29, v36
	;; [unrolled: 1-line block ×6, first 2 shown]
	v_add_f32_e32 v34, v29, v30
	v_sub_f32_e32 v32, v32, v38
	v_add_f32_e32 v32, v33, v32
	v_sub_f32_e32 v33, v34, v29
	;; [unrolled: 2-line block ×3, first 2 shown]
	v_sub_f32_e32 v30, v30, v33
	v_add_f32_e32 v36, v35, v32
	v_sub_f32_e32 v29, v29, v34
	v_sub_f32_e32 v33, v36, v35
	v_add_f32_e32 v29, v30, v29
	v_sub_f32_e32 v30, v32, v33
	v_add_f32_e32 v29, v29, v30
	v_add_f32_e32 v29, v36, v29
	v_cndmask_b32_e32 v29, 0x7f800000, v29, vcc_lo
	v_cmp_gt_f32_e64 vcc_lo, 0x33800000, |v31|
	v_cndmask_b32_e32 v29, v29, v31, vcc_lo
	v_add_f32_e32 v29, v24, v29
.LBB501_44:
	s_or_b32 exec_lo, exec_lo, s24
	v_bfe_u32 v24, v29, 16, 1
	v_cmp_o_f32_e32 vcc_lo, v29, v29
	v_and_b32_e32 v6, 0xffff0000, v6
	v_add3_u32 v24, v29, v24, 0x7fff
	v_cmp_u_f32_e64 s24, v6, v6
	v_and_b32_e32 v24, 0xffff0000, v24
	v_cndmask_b32_e32 v30, 0x7fc00000, v24, vcc_lo
	v_max_f32_e32 v24, v6, v6
	v_max_f32_e32 v29, v30, v30
	v_cmp_u_f32_e32 vcc_lo, v30, v30
	v_min_f32_e32 v31, v29, v24
	v_max_f32_e32 v29, v29, v24
	v_cndmask_b32_e32 v31, v31, v30, vcc_lo
	v_cndmask_b32_e32 v29, v29, v30, vcc_lo
	v_cndmask_b32_e64 v31, v31, v6, s24
	v_cndmask_b32_e64 v29, v29, v6, s24
	v_cmp_class_f32_e64 s26, v31, 0x1f8
	v_cmp_neq_f32_e32 vcc_lo, v31, v29
	s_or_b32 s27, vcc_lo, s26
	s_and_saveexec_b32 s26, s27
	s_cbranch_execz .LBB501_46
; %bb.45:
	v_sub_f32_e32 v30, v31, v29
	s_mov_b32 s27, 0x3e9b6dac
	v_mul_f32_e32 v31, 0x3fb8aa3b, v30
	v_cmp_ngt_f32_e32 vcc_lo, 0xc2ce8ed0, v30
	v_fma_f32 v32, 0x3fb8aa3b, v30, -v31
	v_rndne_f32_e32 v33, v31
	v_fmamk_f32 v32, v30, 0x32a5705f, v32
	v_sub_f32_e32 v31, v31, v33
	v_add_f32_e32 v31, v31, v32
	v_cvt_i32_f32_e32 v32, v33
	v_exp_f32_e32 v31, v31
	v_ldexp_f32 v31, v31, v32
	v_cndmask_b32_e32 v31, 0, v31, vcc_lo
	v_cmp_nlt_f32_e32 vcc_lo, 0x42b17218, v30
	v_cndmask_b32_e32 v32, 0x7f800000, v31, vcc_lo
	v_add_f32_e32 v33, 1.0, v32
	v_cvt_f64_f32_e32 v[30:31], v33
	v_frexp_exp_i32_f64_e32 v30, v[30:31]
	v_frexp_mant_f32_e32 v31, v33
	v_cmp_gt_f32_e32 vcc_lo, 0x3f2aaaab, v31
	v_add_f32_e32 v31, -1.0, v33
	v_sub_f32_e32 v35, v31, v33
	v_sub_f32_e32 v31, v32, v31
	v_add_f32_e32 v35, 1.0, v35
	v_add_f32_e32 v31, v31, v35
	v_subrev_co_ci_u32_e64 v30, null, 0, v30, vcc_lo
	v_cmp_neq_f32_e32 vcc_lo, 0x7f800000, v32
	v_sub_nc_u32_e32 v34, 0, v30
	v_cvt_f32_i32_e32 v30, v30
	v_ldexp_f32 v33, v33, v34
	v_ldexp_f32 v31, v31, v34
	v_add_f32_e32 v36, 1.0, v33
	v_add_f32_e32 v34, -1.0, v33
	v_add_f32_e32 v35, -1.0, v36
	v_add_f32_e32 v37, 1.0, v34
	v_sub_f32_e32 v35, v33, v35
	v_sub_f32_e32 v33, v33, v37
	v_add_f32_e32 v35, v31, v35
	v_add_f32_e32 v31, v31, v33
	;; [unrolled: 1-line block ×4, first 2 shown]
	v_rcp_f32_e32 v33, v37
	v_sub_f32_e32 v36, v36, v37
	v_sub_f32_e32 v34, v34, v38
	v_add_f32_e32 v35, v35, v36
	v_add_f32_e32 v31, v31, v34
	v_mul_f32_e32 v39, v38, v33
	v_mul_f32_e32 v40, v37, v39
	v_fma_f32 v36, v39, v37, -v40
	v_fmac_f32_e32 v36, v39, v35
	v_add_f32_e32 v41, v40, v36
	v_sub_f32_e32 v42, v38, v41
	v_sub_f32_e32 v34, v41, v40
	;; [unrolled: 1-line block ×5, first 2 shown]
	v_add_f32_e32 v31, v31, v38
	v_add_f32_e32 v31, v34, v31
	;; [unrolled: 1-line block ×3, first 2 shown]
	v_mul_f32_e32 v36, v33, v34
	v_sub_f32_e32 v41, v42, v34
	v_mul_f32_e32 v38, v37, v36
	v_add_f32_e32 v31, v31, v41
	v_fma_f32 v37, v36, v37, -v38
	v_fmac_f32_e32 v37, v36, v35
	v_add_f32_e32 v35, v38, v37
	v_sub_f32_e32 v40, v34, v35
	v_sub_f32_e32 v38, v35, v38
	;; [unrolled: 1-line block ×5, first 2 shown]
	v_add_f32_e32 v31, v31, v34
	v_add_f32_e32 v34, v39, v36
	;; [unrolled: 1-line block ×3, first 2 shown]
	v_sub_f32_e32 v35, v34, v39
	v_add_f32_e32 v31, v40, v31
	v_sub_f32_e32 v35, v36, v35
	v_mul_f32_e32 v31, v33, v31
	v_add_f32_e32 v31, v35, v31
	v_add_f32_e32 v33, v34, v31
	v_mul_f32_e32 v35, v33, v33
	v_fmaak_f32 v36, s27, v35, 0x3ecc95a3
	v_mul_f32_e32 v37, v33, v35
	v_fmaak_f32 v35, v35, v36, 0x3f2aaada
	v_ldexp_f32 v36, v33, 1
	v_sub_f32_e32 v33, v33, v34
	v_mul_f32_e32 v35, v37, v35
	v_mul_f32_e32 v37, 0x3f317218, v30
	v_sub_f32_e32 v31, v31, v33
	v_add_f32_e32 v34, v36, v35
	v_ldexp_f32 v31, v31, 1
	v_sub_f32_e32 v33, v34, v36
	v_fma_f32 v36, 0x3f317218, v30, -v37
	v_sub_f32_e32 v33, v35, v33
	v_fmamk_f32 v30, v30, 0xb102e308, v36
	v_add_f32_e32 v31, v31, v33
	v_add_f32_e32 v33, v37, v30
	;; [unrolled: 1-line block ×3, first 2 shown]
	v_sub_f32_e32 v37, v33, v37
	v_add_f32_e32 v36, v33, v35
	v_sub_f32_e32 v34, v35, v34
	v_sub_f32_e32 v30, v30, v37
	;; [unrolled: 1-line block ×6, first 2 shown]
	v_add_f32_e32 v35, v30, v31
	v_sub_f32_e32 v33, v33, v39
	v_add_f32_e32 v33, v34, v33
	v_sub_f32_e32 v34, v35, v30
	;; [unrolled: 2-line block ×3, first 2 shown]
	v_sub_f32_e32 v31, v31, v34
	v_add_f32_e32 v37, v36, v33
	v_sub_f32_e32 v30, v30, v35
	v_sub_f32_e32 v34, v37, v36
	v_add_f32_e32 v30, v31, v30
	v_sub_f32_e32 v31, v33, v34
	v_add_f32_e32 v30, v30, v31
	v_add_f32_e32 v30, v37, v30
	v_cndmask_b32_e32 v30, 0x7f800000, v30, vcc_lo
	v_cmp_gt_f32_e64 vcc_lo, 0x33800000, |v32|
	v_cndmask_b32_e32 v30, v30, v32, vcc_lo
	v_add_f32_e32 v30, v29, v30
.LBB501_46:
	s_or_b32 exec_lo, exec_lo, s26
	s_load_dwordx2 s[26:27], s[4:5], 0x18
	v_bfe_u32 v29, v30, 16, 1
	v_lshrrev_b32_e32 v31, 4, v0
	v_cmp_o_f32_e32 vcc_lo, v30, v30
	s_mov_b32 s5, exec_lo
	v_add3_u32 v29, v30, v29, 0x7fff
	v_mov_b32_e32 v30, 0x7fc0
	v_and_b32_e32 v31, 2, v31
	v_cndmask_b32_sdwa v30, v30, v29, vcc_lo dst_sel:DWORD dst_unused:UNUSED_PAD src0_sel:DWORD src1_sel:WORD_1
	v_lshl_add_u32 v29, v0, 1, v31
	ds_write_b16 v29, v30
	s_waitcnt lgkmcnt(0)
	s_barrier
	buffer_gl0_inv
	v_cmpx_gt_u32_e32 32, v0
	s_cbranch_execz .LBB501_74
; %bb.47:
	v_lshrrev_b32_e32 v29, 3, v0
	v_lshlrev_b32_e32 v31, 2, v0
	v_and_b32_e32 v29, 6, v29
	v_add_nc_u32_e32 v29, v29, v31
	ds_read_u16 v31, v29 offset:2
	ds_read_u16 v32, v29
	s_waitcnt lgkmcnt(1)
	v_lshlrev_b32_e32 v33, 16, v31
	s_waitcnt lgkmcnt(0)
	v_lshlrev_b32_e32 v31, 16, v32
	v_max_f32_e32 v34, v33, v33
	v_max_f32_e32 v32, v31, v31
	v_cmp_u_f32_e64 s4, v31, v31
	v_cmp_u_f32_e32 vcc_lo, v33, v33
	v_min_f32_e32 v35, v32, v34
	v_max_f32_e32 v34, v32, v34
	v_cndmask_b32_e64 v35, v35, v31, s4
	v_cndmask_b32_e64 v34, v34, v31, s4
	v_cndmask_b32_e32 v35, v35, v33, vcc_lo
	v_cndmask_b32_e32 v33, v34, v33, vcc_lo
	v_mov_b32_e32 v34, v31
	v_cmp_class_f32_e64 s28, v35, 0x1f8
	v_cmp_neq_f32_e32 vcc_lo, v35, v33
	s_or_b32 s29, vcc_lo, s28
	s_and_saveexec_b32 s28, s29
	s_cbranch_execz .LBB501_49
; %bb.48:
	v_sub_f32_e32 v34, v35, v33
	s_mov_b32 s29, 0x3e9b6dac
	v_mul_f32_e32 v35, 0x3fb8aa3b, v34
	v_cmp_ngt_f32_e32 vcc_lo, 0xc2ce8ed0, v34
	v_fma_f32 v36, 0x3fb8aa3b, v34, -v35
	v_rndne_f32_e32 v37, v35
	v_fmamk_f32 v36, v34, 0x32a5705f, v36
	v_sub_f32_e32 v35, v35, v37
	v_add_f32_e32 v35, v35, v36
	v_cvt_i32_f32_e32 v36, v37
	v_exp_f32_e32 v35, v35
	v_ldexp_f32 v35, v35, v36
	v_cndmask_b32_e32 v35, 0, v35, vcc_lo
	v_cmp_nlt_f32_e32 vcc_lo, 0x42b17218, v34
	v_cndmask_b32_e32 v36, 0x7f800000, v35, vcc_lo
	v_add_f32_e32 v37, 1.0, v36
	v_cvt_f64_f32_e32 v[34:35], v37
	v_frexp_exp_i32_f64_e32 v34, v[34:35]
	v_frexp_mant_f32_e32 v35, v37
	v_cmp_gt_f32_e32 vcc_lo, 0x3f2aaaab, v35
	v_add_f32_e32 v35, -1.0, v37
	v_sub_f32_e32 v39, v35, v37
	v_sub_f32_e32 v35, v36, v35
	v_add_f32_e32 v39, 1.0, v39
	v_add_f32_e32 v35, v35, v39
	v_subrev_co_ci_u32_e64 v34, null, 0, v34, vcc_lo
	v_cmp_neq_f32_e32 vcc_lo, 0x7f800000, v36
	v_sub_nc_u32_e32 v38, 0, v34
	v_cvt_f32_i32_e32 v34, v34
	v_ldexp_f32 v37, v37, v38
	v_ldexp_f32 v35, v35, v38
	v_add_f32_e32 v40, 1.0, v37
	v_add_f32_e32 v38, -1.0, v37
	v_add_f32_e32 v39, -1.0, v40
	v_add_f32_e32 v41, 1.0, v38
	v_sub_f32_e32 v39, v37, v39
	v_sub_f32_e32 v37, v37, v41
	v_add_f32_e32 v39, v35, v39
	v_add_f32_e32 v35, v35, v37
	;; [unrolled: 1-line block ×4, first 2 shown]
	v_rcp_f32_e32 v37, v41
	v_sub_f32_e32 v40, v40, v41
	v_sub_f32_e32 v38, v38, v42
	v_add_f32_e32 v39, v39, v40
	v_add_f32_e32 v35, v35, v38
	v_mul_f32_e32 v43, v42, v37
	v_mul_f32_e32 v44, v41, v43
	v_fma_f32 v40, v43, v41, -v44
	v_fmac_f32_e32 v40, v43, v39
	v_add_f32_e32 v45, v44, v40
	v_sub_f32_e32 v46, v42, v45
	v_sub_f32_e32 v38, v45, v44
	v_sub_f32_e32 v42, v42, v46
	v_sub_f32_e32 v38, v38, v40
	v_sub_f32_e32 v42, v42, v45
	v_add_f32_e32 v35, v35, v42
	v_add_f32_e32 v35, v38, v35
	;; [unrolled: 1-line block ×3, first 2 shown]
	v_mul_f32_e32 v40, v37, v38
	v_sub_f32_e32 v45, v46, v38
	v_mul_f32_e32 v42, v41, v40
	v_add_f32_e32 v35, v35, v45
	v_fma_f32 v41, v40, v41, -v42
	v_fmac_f32_e32 v41, v40, v39
	v_add_f32_e32 v39, v42, v41
	v_sub_f32_e32 v44, v38, v39
	v_sub_f32_e32 v42, v39, v42
	;; [unrolled: 1-line block ×5, first 2 shown]
	v_add_f32_e32 v35, v35, v38
	v_add_f32_e32 v38, v43, v40
	;; [unrolled: 1-line block ×3, first 2 shown]
	v_sub_f32_e32 v39, v38, v43
	v_add_f32_e32 v35, v44, v35
	v_sub_f32_e32 v39, v40, v39
	v_mul_f32_e32 v35, v37, v35
	v_add_f32_e32 v35, v39, v35
	v_add_f32_e32 v37, v38, v35
	v_mul_f32_e32 v39, v37, v37
	v_fmaak_f32 v40, s29, v39, 0x3ecc95a3
	v_mul_f32_e32 v41, v37, v39
	v_fmaak_f32 v39, v39, v40, 0x3f2aaada
	v_ldexp_f32 v40, v37, 1
	v_sub_f32_e32 v37, v37, v38
	v_mul_f32_e32 v39, v41, v39
	v_mul_f32_e32 v41, 0x3f317218, v34
	v_sub_f32_e32 v35, v35, v37
	v_add_f32_e32 v38, v40, v39
	v_ldexp_f32 v35, v35, 1
	v_sub_f32_e32 v37, v38, v40
	v_fma_f32 v40, 0x3f317218, v34, -v41
	v_sub_f32_e32 v37, v39, v37
	v_fmamk_f32 v34, v34, 0xb102e308, v40
	v_add_f32_e32 v35, v35, v37
	v_add_f32_e32 v37, v41, v34
	;; [unrolled: 1-line block ×3, first 2 shown]
	v_sub_f32_e32 v41, v37, v41
	v_add_f32_e32 v40, v37, v39
	v_sub_f32_e32 v38, v39, v38
	v_sub_f32_e32 v34, v34, v41
	;; [unrolled: 1-line block ×6, first 2 shown]
	v_add_f32_e32 v39, v34, v35
	v_sub_f32_e32 v37, v37, v43
	v_add_f32_e32 v37, v38, v37
	v_sub_f32_e32 v38, v39, v34
	;; [unrolled: 2-line block ×3, first 2 shown]
	v_sub_f32_e32 v35, v35, v38
	v_add_f32_e32 v41, v40, v37
	v_sub_f32_e32 v34, v34, v39
	v_sub_f32_e32 v38, v41, v40
	v_add_f32_e32 v34, v35, v34
	v_sub_f32_e32 v35, v37, v38
	v_add_f32_e32 v34, v34, v35
	v_add_f32_e32 v34, v41, v34
	v_cndmask_b32_e32 v34, 0x7f800000, v34, vcc_lo
	v_cmp_gt_f32_e64 vcc_lo, 0x33800000, |v36|
	v_cndmask_b32_e32 v34, v34, v36, vcc_lo
	v_add_f32_e32 v34, v33, v34
.LBB501_49:
	s_or_b32 exec_lo, exec_lo, s28
	v_bfe_u32 v33, v34, 16, 1
	v_cmp_o_f32_e32 vcc_lo, v34, v34
	v_mov_b32_e32 v35, 0x7fc0
	s_mov_b32 s28, exec_lo
	v_add3_u32 v33, v34, v33, 0x7fff
	v_cndmask_b32_sdwa v35, v35, v33, vcc_lo dst_sel:DWORD dst_unused:UNUSED_PAD src0_sel:DWORD src1_sel:WORD_1
	v_mbcnt_lo_u32_b32 v33, -1, 0
	v_and_b32_e32 v36, 0xffff, v35
	v_and_b32_e32 v34, 15, v33
	v_mov_b32_dpp v37, v36 row_shr:1 row_mask:0xf bank_mask:0xf
	v_cmpx_ne_u32_e32 0, v34
	s_xor_b32 s28, exec_lo, s28
	s_cbranch_execz .LBB501_53
; %bb.50:
	v_lshlrev_b32_e32 v35, 16, v36
	v_lshlrev_b32_e32 v36, 16, v37
	v_max_f32_e32 v37, v35, v35
	v_max_f32_e32 v38, v36, v36
	v_cmp_u_f32_e32 vcc_lo, v36, v36
	v_min_f32_e32 v39, v38, v37
	v_max_f32_e32 v37, v38, v37
	v_cndmask_b32_e32 v38, v39, v36, vcc_lo
	v_cndmask_b32_e32 v39, v37, v36, vcc_lo
	v_cmp_u_f32_e32 vcc_lo, v35, v35
	v_cndmask_b32_e32 v37, v38, v35, vcc_lo
	v_cndmask_b32_e32 v35, v39, v35, vcc_lo
	v_cmp_class_f32_e64 s29, v37, 0x1f8
	v_cmp_neq_f32_e32 vcc_lo, v37, v35
	s_or_b32 s30, vcc_lo, s29
	s_and_saveexec_b32 s29, s30
	s_cbranch_execz .LBB501_52
; %bb.51:
	v_sub_f32_e32 v36, v37, v35
	s_mov_b32 s30, 0x3e9b6dac
	v_mul_f32_e32 v37, 0x3fb8aa3b, v36
	v_cmp_ngt_f32_e32 vcc_lo, 0xc2ce8ed0, v36
	v_fma_f32 v38, 0x3fb8aa3b, v36, -v37
	v_rndne_f32_e32 v39, v37
	v_fmamk_f32 v38, v36, 0x32a5705f, v38
	v_sub_f32_e32 v37, v37, v39
	v_add_f32_e32 v37, v37, v38
	v_cvt_i32_f32_e32 v38, v39
	v_exp_f32_e32 v37, v37
	v_ldexp_f32 v37, v37, v38
	v_cndmask_b32_e32 v37, 0, v37, vcc_lo
	v_cmp_nlt_f32_e32 vcc_lo, 0x42b17218, v36
	v_cndmask_b32_e32 v38, 0x7f800000, v37, vcc_lo
	v_add_f32_e32 v39, 1.0, v38
	v_cvt_f64_f32_e32 v[36:37], v39
	v_frexp_exp_i32_f64_e32 v36, v[36:37]
	v_frexp_mant_f32_e32 v37, v39
	v_cmp_gt_f32_e32 vcc_lo, 0x3f2aaaab, v37
	v_add_f32_e32 v37, -1.0, v39
	v_sub_f32_e32 v41, v37, v39
	v_sub_f32_e32 v37, v38, v37
	v_add_f32_e32 v41, 1.0, v41
	v_add_f32_e32 v37, v37, v41
	v_subrev_co_ci_u32_e64 v36, null, 0, v36, vcc_lo
	v_cmp_neq_f32_e32 vcc_lo, 0x7f800000, v38
	v_sub_nc_u32_e32 v40, 0, v36
	v_cvt_f32_i32_e32 v36, v36
	v_ldexp_f32 v39, v39, v40
	v_ldexp_f32 v37, v37, v40
	v_add_f32_e32 v42, 1.0, v39
	v_add_f32_e32 v40, -1.0, v39
	v_add_f32_e32 v41, -1.0, v42
	v_add_f32_e32 v43, 1.0, v40
	v_sub_f32_e32 v41, v39, v41
	v_sub_f32_e32 v39, v39, v43
	v_add_f32_e32 v41, v37, v41
	v_add_f32_e32 v37, v37, v39
	;; [unrolled: 1-line block ×4, first 2 shown]
	v_rcp_f32_e32 v39, v43
	v_sub_f32_e32 v42, v42, v43
	v_sub_f32_e32 v40, v40, v44
	v_add_f32_e32 v41, v41, v42
	v_add_f32_e32 v37, v37, v40
	v_mul_f32_e32 v45, v44, v39
	v_mul_f32_e32 v46, v43, v45
	v_fma_f32 v42, v45, v43, -v46
	v_fmac_f32_e32 v42, v45, v41
	v_add_f32_e32 v47, v46, v42
	v_sub_f32_e32 v48, v44, v47
	v_sub_f32_e32 v40, v47, v46
	v_sub_f32_e32 v44, v44, v48
	v_sub_f32_e32 v40, v40, v42
	v_sub_f32_e32 v44, v44, v47
	v_add_f32_e32 v37, v37, v44
	v_add_f32_e32 v37, v40, v37
	;; [unrolled: 1-line block ×3, first 2 shown]
	v_mul_f32_e32 v42, v39, v40
	v_sub_f32_e32 v47, v48, v40
	v_mul_f32_e32 v44, v43, v42
	v_add_f32_e32 v37, v37, v47
	v_fma_f32 v43, v42, v43, -v44
	v_fmac_f32_e32 v43, v42, v41
	v_add_f32_e32 v41, v44, v43
	v_sub_f32_e32 v46, v40, v41
	v_sub_f32_e32 v44, v41, v44
	;; [unrolled: 1-line block ×5, first 2 shown]
	v_add_f32_e32 v37, v37, v40
	v_add_f32_e32 v40, v45, v42
	;; [unrolled: 1-line block ×3, first 2 shown]
	v_sub_f32_e32 v41, v40, v45
	v_add_f32_e32 v37, v46, v37
	v_sub_f32_e32 v41, v42, v41
	v_mul_f32_e32 v37, v39, v37
	v_add_f32_e32 v37, v41, v37
	v_add_f32_e32 v39, v40, v37
	v_mul_f32_e32 v41, v39, v39
	v_fmaak_f32 v42, s30, v41, 0x3ecc95a3
	v_mul_f32_e32 v43, v39, v41
	v_fmaak_f32 v41, v41, v42, 0x3f2aaada
	v_ldexp_f32 v42, v39, 1
	v_sub_f32_e32 v39, v39, v40
	v_mul_f32_e32 v41, v43, v41
	v_mul_f32_e32 v43, 0x3f317218, v36
	v_sub_f32_e32 v37, v37, v39
	v_add_f32_e32 v40, v42, v41
	v_ldexp_f32 v37, v37, 1
	v_sub_f32_e32 v39, v40, v42
	v_fma_f32 v42, 0x3f317218, v36, -v43
	v_sub_f32_e32 v39, v41, v39
	v_fmamk_f32 v36, v36, 0xb102e308, v42
	v_add_f32_e32 v37, v37, v39
	v_add_f32_e32 v39, v43, v36
	;; [unrolled: 1-line block ×3, first 2 shown]
	v_sub_f32_e32 v43, v39, v43
	v_add_f32_e32 v42, v39, v41
	v_sub_f32_e32 v40, v41, v40
	v_sub_f32_e32 v36, v36, v43
	;; [unrolled: 1-line block ×6, first 2 shown]
	v_add_f32_e32 v41, v36, v37
	v_sub_f32_e32 v39, v39, v45
	v_add_f32_e32 v39, v40, v39
	v_sub_f32_e32 v40, v41, v36
	;; [unrolled: 2-line block ×3, first 2 shown]
	v_sub_f32_e32 v37, v37, v40
	v_add_f32_e32 v43, v42, v39
	v_sub_f32_e32 v36, v36, v41
	v_sub_f32_e32 v40, v43, v42
	v_add_f32_e32 v36, v37, v36
	v_sub_f32_e32 v37, v39, v40
	v_add_f32_e32 v36, v36, v37
	v_add_f32_e32 v36, v43, v36
	v_cndmask_b32_e32 v36, 0x7f800000, v36, vcc_lo
	v_cmp_gt_f32_e64 vcc_lo, 0x33800000, |v38|
	v_cndmask_b32_e32 v36, v36, v38, vcc_lo
	v_add_f32_e32 v36, v35, v36
.LBB501_52:
	s_or_b32 exec_lo, exec_lo, s29
	v_bfe_u32 v35, v36, 16, 1
	v_cmp_o_f32_e32 vcc_lo, v36, v36
	v_add3_u32 v35, v36, v35, 0x7fff
	v_mov_b32_e32 v36, 0x7fc0
	v_cndmask_b32_sdwa v35, v36, v35, vcc_lo dst_sel:DWORD dst_unused:UNUSED_PAD src0_sel:DWORD src1_sel:WORD_1
	v_and_b32_e32 v36, 0xffff, v35
.LBB501_53:
	s_or_b32 exec_lo, exec_lo, s28
	v_mov_b32_dpp v37, v36 row_shr:2 row_mask:0xf bank_mask:0xf
	s_mov_b32 s28, exec_lo
	v_cmpx_lt_u32_e32 1, v34
	s_cbranch_execz .LBB501_57
; %bb.54:
	v_lshlrev_b32_e32 v35, 16, v36
	v_lshlrev_b32_e32 v36, 16, v37
	v_max_f32_e32 v37, v35, v35
	v_max_f32_e32 v38, v36, v36
	v_cmp_u_f32_e32 vcc_lo, v36, v36
	v_min_f32_e32 v39, v38, v37
	v_max_f32_e32 v37, v38, v37
	v_cndmask_b32_e32 v38, v39, v36, vcc_lo
	v_cndmask_b32_e32 v39, v37, v36, vcc_lo
	v_cmp_u_f32_e32 vcc_lo, v35, v35
	v_cndmask_b32_e32 v37, v38, v35, vcc_lo
	v_cndmask_b32_e32 v35, v39, v35, vcc_lo
	v_cmp_class_f32_e64 s29, v37, 0x1f8
	v_cmp_neq_f32_e32 vcc_lo, v37, v35
	s_or_b32 s30, vcc_lo, s29
	s_and_saveexec_b32 s29, s30
	s_cbranch_execz .LBB501_56
; %bb.55:
	v_sub_f32_e32 v36, v37, v35
	s_mov_b32 s30, 0x3e9b6dac
	v_mul_f32_e32 v37, 0x3fb8aa3b, v36
	v_cmp_ngt_f32_e32 vcc_lo, 0xc2ce8ed0, v36
	v_fma_f32 v38, 0x3fb8aa3b, v36, -v37
	v_rndne_f32_e32 v39, v37
	v_fmamk_f32 v38, v36, 0x32a5705f, v38
	v_sub_f32_e32 v37, v37, v39
	v_add_f32_e32 v37, v37, v38
	v_cvt_i32_f32_e32 v38, v39
	v_exp_f32_e32 v37, v37
	v_ldexp_f32 v37, v37, v38
	v_cndmask_b32_e32 v37, 0, v37, vcc_lo
	v_cmp_nlt_f32_e32 vcc_lo, 0x42b17218, v36
	v_cndmask_b32_e32 v38, 0x7f800000, v37, vcc_lo
	v_add_f32_e32 v39, 1.0, v38
	v_cvt_f64_f32_e32 v[36:37], v39
	v_frexp_exp_i32_f64_e32 v36, v[36:37]
	v_frexp_mant_f32_e32 v37, v39
	v_cmp_gt_f32_e32 vcc_lo, 0x3f2aaaab, v37
	v_add_f32_e32 v37, -1.0, v39
	v_sub_f32_e32 v41, v37, v39
	v_sub_f32_e32 v37, v38, v37
	v_add_f32_e32 v41, 1.0, v41
	v_add_f32_e32 v37, v37, v41
	v_subrev_co_ci_u32_e64 v36, null, 0, v36, vcc_lo
	v_cmp_neq_f32_e32 vcc_lo, 0x7f800000, v38
	v_sub_nc_u32_e32 v40, 0, v36
	v_cvt_f32_i32_e32 v36, v36
	v_ldexp_f32 v39, v39, v40
	v_ldexp_f32 v37, v37, v40
	v_add_f32_e32 v42, 1.0, v39
	v_add_f32_e32 v40, -1.0, v39
	v_add_f32_e32 v41, -1.0, v42
	v_add_f32_e32 v43, 1.0, v40
	v_sub_f32_e32 v41, v39, v41
	v_sub_f32_e32 v39, v39, v43
	v_add_f32_e32 v41, v37, v41
	v_add_f32_e32 v37, v37, v39
	;; [unrolled: 1-line block ×4, first 2 shown]
	v_rcp_f32_e32 v39, v43
	v_sub_f32_e32 v42, v42, v43
	v_sub_f32_e32 v40, v40, v44
	v_add_f32_e32 v41, v41, v42
	v_add_f32_e32 v37, v37, v40
	v_mul_f32_e32 v45, v44, v39
	v_mul_f32_e32 v46, v43, v45
	v_fma_f32 v42, v45, v43, -v46
	v_fmac_f32_e32 v42, v45, v41
	v_add_f32_e32 v47, v46, v42
	v_sub_f32_e32 v48, v44, v47
	v_sub_f32_e32 v40, v47, v46
	;; [unrolled: 1-line block ×5, first 2 shown]
	v_add_f32_e32 v37, v37, v44
	v_add_f32_e32 v37, v40, v37
	;; [unrolled: 1-line block ×3, first 2 shown]
	v_mul_f32_e32 v42, v39, v40
	v_sub_f32_e32 v47, v48, v40
	v_mul_f32_e32 v44, v43, v42
	v_add_f32_e32 v37, v37, v47
	v_fma_f32 v43, v42, v43, -v44
	v_fmac_f32_e32 v43, v42, v41
	v_add_f32_e32 v41, v44, v43
	v_sub_f32_e32 v46, v40, v41
	v_sub_f32_e32 v44, v41, v44
	;; [unrolled: 1-line block ×5, first 2 shown]
	v_add_f32_e32 v37, v37, v40
	v_add_f32_e32 v40, v45, v42
	;; [unrolled: 1-line block ×3, first 2 shown]
	v_sub_f32_e32 v41, v40, v45
	v_add_f32_e32 v37, v46, v37
	v_sub_f32_e32 v41, v42, v41
	v_mul_f32_e32 v37, v39, v37
	v_add_f32_e32 v37, v41, v37
	v_add_f32_e32 v39, v40, v37
	v_mul_f32_e32 v41, v39, v39
	v_fmaak_f32 v42, s30, v41, 0x3ecc95a3
	v_mul_f32_e32 v43, v39, v41
	v_fmaak_f32 v41, v41, v42, 0x3f2aaada
	v_ldexp_f32 v42, v39, 1
	v_sub_f32_e32 v39, v39, v40
	v_mul_f32_e32 v41, v43, v41
	v_mul_f32_e32 v43, 0x3f317218, v36
	v_sub_f32_e32 v37, v37, v39
	v_add_f32_e32 v40, v42, v41
	v_ldexp_f32 v37, v37, 1
	v_sub_f32_e32 v39, v40, v42
	v_fma_f32 v42, 0x3f317218, v36, -v43
	v_sub_f32_e32 v39, v41, v39
	v_fmamk_f32 v36, v36, 0xb102e308, v42
	v_add_f32_e32 v37, v37, v39
	v_add_f32_e32 v39, v43, v36
	;; [unrolled: 1-line block ×3, first 2 shown]
	v_sub_f32_e32 v43, v39, v43
	v_add_f32_e32 v42, v39, v41
	v_sub_f32_e32 v40, v41, v40
	v_sub_f32_e32 v36, v36, v43
	;; [unrolled: 1-line block ×6, first 2 shown]
	v_add_f32_e32 v41, v36, v37
	v_sub_f32_e32 v39, v39, v45
	v_add_f32_e32 v39, v40, v39
	v_sub_f32_e32 v40, v41, v36
	;; [unrolled: 2-line block ×3, first 2 shown]
	v_sub_f32_e32 v37, v37, v40
	v_add_f32_e32 v43, v42, v39
	v_sub_f32_e32 v36, v36, v41
	v_sub_f32_e32 v40, v43, v42
	v_add_f32_e32 v36, v37, v36
	v_sub_f32_e32 v37, v39, v40
	v_add_f32_e32 v36, v36, v37
	v_add_f32_e32 v36, v43, v36
	v_cndmask_b32_e32 v36, 0x7f800000, v36, vcc_lo
	v_cmp_gt_f32_e64 vcc_lo, 0x33800000, |v38|
	v_cndmask_b32_e32 v36, v36, v38, vcc_lo
	v_add_f32_e32 v36, v35, v36
.LBB501_56:
	s_or_b32 exec_lo, exec_lo, s29
	v_bfe_u32 v35, v36, 16, 1
	v_cmp_o_f32_e32 vcc_lo, v36, v36
	v_add3_u32 v35, v36, v35, 0x7fff
	v_mov_b32_e32 v36, 0x7fc0
	v_cndmask_b32_sdwa v35, v36, v35, vcc_lo dst_sel:DWORD dst_unused:UNUSED_PAD src0_sel:DWORD src1_sel:WORD_1
	v_and_b32_e32 v36, 0xffff, v35
.LBB501_57:
	s_or_b32 exec_lo, exec_lo, s28
	v_mov_b32_dpp v37, v36 row_shr:4 row_mask:0xf bank_mask:0xf
	s_mov_b32 s28, exec_lo
	v_cmpx_lt_u32_e32 3, v34
	s_cbranch_execz .LBB501_61
; %bb.58:
	v_lshlrev_b32_e32 v35, 16, v36
	v_lshlrev_b32_e32 v36, 16, v37
	v_max_f32_e32 v37, v35, v35
	v_max_f32_e32 v38, v36, v36
	v_cmp_u_f32_e32 vcc_lo, v36, v36
	v_min_f32_e32 v39, v38, v37
	v_max_f32_e32 v37, v38, v37
	v_cndmask_b32_e32 v38, v39, v36, vcc_lo
	v_cndmask_b32_e32 v39, v37, v36, vcc_lo
	v_cmp_u_f32_e32 vcc_lo, v35, v35
	v_cndmask_b32_e32 v37, v38, v35, vcc_lo
	v_cndmask_b32_e32 v35, v39, v35, vcc_lo
	v_cmp_class_f32_e64 s29, v37, 0x1f8
	v_cmp_neq_f32_e32 vcc_lo, v37, v35
	s_or_b32 s30, vcc_lo, s29
	s_and_saveexec_b32 s29, s30
	s_cbranch_execz .LBB501_60
; %bb.59:
	v_sub_f32_e32 v36, v37, v35
	s_mov_b32 s30, 0x3e9b6dac
	v_mul_f32_e32 v37, 0x3fb8aa3b, v36
	v_cmp_ngt_f32_e32 vcc_lo, 0xc2ce8ed0, v36
	v_fma_f32 v38, 0x3fb8aa3b, v36, -v37
	v_rndne_f32_e32 v39, v37
	v_fmamk_f32 v38, v36, 0x32a5705f, v38
	v_sub_f32_e32 v37, v37, v39
	v_add_f32_e32 v37, v37, v38
	v_cvt_i32_f32_e32 v38, v39
	v_exp_f32_e32 v37, v37
	v_ldexp_f32 v37, v37, v38
	v_cndmask_b32_e32 v37, 0, v37, vcc_lo
	v_cmp_nlt_f32_e32 vcc_lo, 0x42b17218, v36
	v_cndmask_b32_e32 v38, 0x7f800000, v37, vcc_lo
	v_add_f32_e32 v39, 1.0, v38
	v_cvt_f64_f32_e32 v[36:37], v39
	v_frexp_exp_i32_f64_e32 v36, v[36:37]
	v_frexp_mant_f32_e32 v37, v39
	v_cmp_gt_f32_e32 vcc_lo, 0x3f2aaaab, v37
	v_add_f32_e32 v37, -1.0, v39
	v_sub_f32_e32 v41, v37, v39
	v_sub_f32_e32 v37, v38, v37
	v_add_f32_e32 v41, 1.0, v41
	v_add_f32_e32 v37, v37, v41
	v_subrev_co_ci_u32_e64 v36, null, 0, v36, vcc_lo
	v_cmp_neq_f32_e32 vcc_lo, 0x7f800000, v38
	v_sub_nc_u32_e32 v40, 0, v36
	v_cvt_f32_i32_e32 v36, v36
	v_ldexp_f32 v39, v39, v40
	v_ldexp_f32 v37, v37, v40
	v_add_f32_e32 v42, 1.0, v39
	v_add_f32_e32 v40, -1.0, v39
	v_add_f32_e32 v41, -1.0, v42
	v_add_f32_e32 v43, 1.0, v40
	v_sub_f32_e32 v41, v39, v41
	v_sub_f32_e32 v39, v39, v43
	v_add_f32_e32 v41, v37, v41
	v_add_f32_e32 v37, v37, v39
	v_add_f32_e32 v43, v42, v41
	v_add_f32_e32 v44, v40, v37
	v_rcp_f32_e32 v39, v43
	v_sub_f32_e32 v42, v42, v43
	v_sub_f32_e32 v40, v40, v44
	v_add_f32_e32 v41, v41, v42
	v_add_f32_e32 v37, v37, v40
	v_mul_f32_e32 v45, v44, v39
	v_mul_f32_e32 v46, v43, v45
	v_fma_f32 v42, v45, v43, -v46
	v_fmac_f32_e32 v42, v45, v41
	v_add_f32_e32 v47, v46, v42
	v_sub_f32_e32 v48, v44, v47
	v_sub_f32_e32 v40, v47, v46
	v_sub_f32_e32 v44, v44, v48
	v_sub_f32_e32 v40, v40, v42
	v_sub_f32_e32 v44, v44, v47
	v_add_f32_e32 v37, v37, v44
	v_add_f32_e32 v37, v40, v37
	;; [unrolled: 1-line block ×3, first 2 shown]
	v_mul_f32_e32 v42, v39, v40
	v_sub_f32_e32 v47, v48, v40
	v_mul_f32_e32 v44, v43, v42
	v_add_f32_e32 v37, v37, v47
	v_fma_f32 v43, v42, v43, -v44
	v_fmac_f32_e32 v43, v42, v41
	v_add_f32_e32 v41, v44, v43
	v_sub_f32_e32 v46, v40, v41
	v_sub_f32_e32 v44, v41, v44
	;; [unrolled: 1-line block ×5, first 2 shown]
	v_add_f32_e32 v37, v37, v40
	v_add_f32_e32 v40, v45, v42
	;; [unrolled: 1-line block ×3, first 2 shown]
	v_sub_f32_e32 v41, v40, v45
	v_add_f32_e32 v37, v46, v37
	v_sub_f32_e32 v41, v42, v41
	v_mul_f32_e32 v37, v39, v37
	v_add_f32_e32 v37, v41, v37
	v_add_f32_e32 v39, v40, v37
	v_mul_f32_e32 v41, v39, v39
	v_fmaak_f32 v42, s30, v41, 0x3ecc95a3
	v_mul_f32_e32 v43, v39, v41
	v_fmaak_f32 v41, v41, v42, 0x3f2aaada
	v_ldexp_f32 v42, v39, 1
	v_sub_f32_e32 v39, v39, v40
	v_mul_f32_e32 v41, v43, v41
	v_mul_f32_e32 v43, 0x3f317218, v36
	v_sub_f32_e32 v37, v37, v39
	v_add_f32_e32 v40, v42, v41
	v_ldexp_f32 v37, v37, 1
	v_sub_f32_e32 v39, v40, v42
	v_fma_f32 v42, 0x3f317218, v36, -v43
	v_sub_f32_e32 v39, v41, v39
	v_fmamk_f32 v36, v36, 0xb102e308, v42
	v_add_f32_e32 v37, v37, v39
	v_add_f32_e32 v39, v43, v36
	;; [unrolled: 1-line block ×3, first 2 shown]
	v_sub_f32_e32 v43, v39, v43
	v_add_f32_e32 v42, v39, v41
	v_sub_f32_e32 v40, v41, v40
	v_sub_f32_e32 v36, v36, v43
	;; [unrolled: 1-line block ×6, first 2 shown]
	v_add_f32_e32 v41, v36, v37
	v_sub_f32_e32 v39, v39, v45
	v_add_f32_e32 v39, v40, v39
	v_sub_f32_e32 v40, v41, v36
	;; [unrolled: 2-line block ×3, first 2 shown]
	v_sub_f32_e32 v37, v37, v40
	v_add_f32_e32 v43, v42, v39
	v_sub_f32_e32 v36, v36, v41
	v_sub_f32_e32 v40, v43, v42
	v_add_f32_e32 v36, v37, v36
	v_sub_f32_e32 v37, v39, v40
	v_add_f32_e32 v36, v36, v37
	v_add_f32_e32 v36, v43, v36
	v_cndmask_b32_e32 v36, 0x7f800000, v36, vcc_lo
	v_cmp_gt_f32_e64 vcc_lo, 0x33800000, |v38|
	v_cndmask_b32_e32 v36, v36, v38, vcc_lo
	v_add_f32_e32 v36, v35, v36
.LBB501_60:
	s_or_b32 exec_lo, exec_lo, s29
	v_bfe_u32 v35, v36, 16, 1
	v_cmp_o_f32_e32 vcc_lo, v36, v36
	v_add3_u32 v35, v36, v35, 0x7fff
	v_mov_b32_e32 v36, 0x7fc0
	v_cndmask_b32_sdwa v35, v36, v35, vcc_lo dst_sel:DWORD dst_unused:UNUSED_PAD src0_sel:DWORD src1_sel:WORD_1
	v_and_b32_e32 v36, 0xffff, v35
.LBB501_61:
	s_or_b32 exec_lo, exec_lo, s28
	v_mov_b32_dpp v37, v36 row_shr:8 row_mask:0xf bank_mask:0xf
	s_mov_b32 s28, exec_lo
	v_cmpx_lt_u32_e32 7, v34
	s_cbranch_execz .LBB501_65
; %bb.62:
	v_lshlrev_b32_e32 v34, 16, v36
	v_lshlrev_b32_e32 v35, 16, v37
	v_max_f32_e32 v36, v34, v34
	v_max_f32_e32 v37, v35, v35
	v_cmp_u_f32_e32 vcc_lo, v35, v35
	v_min_f32_e32 v38, v37, v36
	v_max_f32_e32 v36, v37, v36
	v_cndmask_b32_e32 v37, v38, v35, vcc_lo
	v_cndmask_b32_e32 v38, v36, v35, vcc_lo
	v_cmp_u_f32_e32 vcc_lo, v34, v34
	v_cndmask_b32_e32 v36, v37, v34, vcc_lo
	v_cndmask_b32_e32 v34, v38, v34, vcc_lo
	v_cmp_class_f32_e64 s29, v36, 0x1f8
	v_cmp_neq_f32_e32 vcc_lo, v36, v34
	s_or_b32 s30, vcc_lo, s29
	s_and_saveexec_b32 s29, s30
	s_cbranch_execz .LBB501_64
; %bb.63:
	v_sub_f32_e32 v35, v36, v34
	s_mov_b32 s30, 0x3e9b6dac
	v_mul_f32_e32 v36, 0x3fb8aa3b, v35
	v_cmp_ngt_f32_e32 vcc_lo, 0xc2ce8ed0, v35
	v_fma_f32 v37, 0x3fb8aa3b, v35, -v36
	v_rndne_f32_e32 v38, v36
	v_fmamk_f32 v37, v35, 0x32a5705f, v37
	v_sub_f32_e32 v36, v36, v38
	v_add_f32_e32 v36, v36, v37
	v_cvt_i32_f32_e32 v37, v38
	v_exp_f32_e32 v36, v36
	v_ldexp_f32 v36, v36, v37
	v_cndmask_b32_e32 v36, 0, v36, vcc_lo
	v_cmp_nlt_f32_e32 vcc_lo, 0x42b17218, v35
	v_cndmask_b32_e32 v37, 0x7f800000, v36, vcc_lo
	v_add_f32_e32 v38, 1.0, v37
	v_cvt_f64_f32_e32 v[35:36], v38
	v_frexp_exp_i32_f64_e32 v35, v[35:36]
	v_frexp_mant_f32_e32 v36, v38
	v_cmp_gt_f32_e32 vcc_lo, 0x3f2aaaab, v36
	v_add_f32_e32 v36, -1.0, v38
	v_sub_f32_e32 v40, v36, v38
	v_sub_f32_e32 v36, v37, v36
	v_add_f32_e32 v40, 1.0, v40
	v_add_f32_e32 v36, v36, v40
	v_subrev_co_ci_u32_e64 v35, null, 0, v35, vcc_lo
	v_cmp_neq_f32_e32 vcc_lo, 0x7f800000, v37
	v_sub_nc_u32_e32 v39, 0, v35
	v_cvt_f32_i32_e32 v35, v35
	v_ldexp_f32 v38, v38, v39
	v_ldexp_f32 v36, v36, v39
	v_add_f32_e32 v41, 1.0, v38
	v_add_f32_e32 v39, -1.0, v38
	v_add_f32_e32 v40, -1.0, v41
	v_add_f32_e32 v42, 1.0, v39
	v_sub_f32_e32 v40, v38, v40
	v_sub_f32_e32 v38, v38, v42
	v_add_f32_e32 v40, v36, v40
	v_add_f32_e32 v36, v36, v38
	;; [unrolled: 1-line block ×4, first 2 shown]
	v_rcp_f32_e32 v38, v42
	v_sub_f32_e32 v41, v41, v42
	v_sub_f32_e32 v39, v39, v43
	v_add_f32_e32 v40, v40, v41
	v_add_f32_e32 v36, v36, v39
	v_mul_f32_e32 v44, v43, v38
	v_mul_f32_e32 v45, v42, v44
	v_fma_f32 v41, v44, v42, -v45
	v_fmac_f32_e32 v41, v44, v40
	v_add_f32_e32 v46, v45, v41
	v_sub_f32_e32 v47, v43, v46
	v_sub_f32_e32 v39, v46, v45
	;; [unrolled: 1-line block ×5, first 2 shown]
	v_add_f32_e32 v36, v36, v43
	v_add_f32_e32 v36, v39, v36
	;; [unrolled: 1-line block ×3, first 2 shown]
	v_mul_f32_e32 v41, v38, v39
	v_sub_f32_e32 v46, v47, v39
	v_mul_f32_e32 v43, v42, v41
	v_add_f32_e32 v36, v36, v46
	v_fma_f32 v42, v41, v42, -v43
	v_fmac_f32_e32 v42, v41, v40
	v_add_f32_e32 v40, v43, v42
	v_sub_f32_e32 v45, v39, v40
	v_sub_f32_e32 v43, v40, v43
	;; [unrolled: 1-line block ×5, first 2 shown]
	v_add_f32_e32 v36, v36, v39
	v_add_f32_e32 v39, v44, v41
	v_add_f32_e32 v36, v40, v36
	v_sub_f32_e32 v40, v39, v44
	v_add_f32_e32 v36, v45, v36
	v_sub_f32_e32 v40, v41, v40
	v_mul_f32_e32 v36, v38, v36
	v_add_f32_e32 v36, v40, v36
	v_add_f32_e32 v38, v39, v36
	v_mul_f32_e32 v40, v38, v38
	v_fmaak_f32 v41, s30, v40, 0x3ecc95a3
	v_mul_f32_e32 v42, v38, v40
	v_fmaak_f32 v40, v40, v41, 0x3f2aaada
	v_ldexp_f32 v41, v38, 1
	v_sub_f32_e32 v38, v38, v39
	v_mul_f32_e32 v40, v42, v40
	v_mul_f32_e32 v42, 0x3f317218, v35
	v_sub_f32_e32 v36, v36, v38
	v_add_f32_e32 v39, v41, v40
	v_ldexp_f32 v36, v36, 1
	v_sub_f32_e32 v38, v39, v41
	v_fma_f32 v41, 0x3f317218, v35, -v42
	v_sub_f32_e32 v38, v40, v38
	v_fmamk_f32 v35, v35, 0xb102e308, v41
	v_add_f32_e32 v36, v36, v38
	v_add_f32_e32 v38, v42, v35
	;; [unrolled: 1-line block ×3, first 2 shown]
	v_sub_f32_e32 v42, v38, v42
	v_add_f32_e32 v41, v38, v40
	v_sub_f32_e32 v39, v40, v39
	v_sub_f32_e32 v35, v35, v42
	;; [unrolled: 1-line block ×6, first 2 shown]
	v_add_f32_e32 v40, v35, v36
	v_sub_f32_e32 v38, v38, v44
	v_add_f32_e32 v38, v39, v38
	v_sub_f32_e32 v39, v40, v35
	;; [unrolled: 2-line block ×3, first 2 shown]
	v_sub_f32_e32 v36, v36, v39
	v_add_f32_e32 v42, v41, v38
	v_sub_f32_e32 v35, v35, v40
	v_sub_f32_e32 v39, v42, v41
	v_add_f32_e32 v35, v36, v35
	v_sub_f32_e32 v36, v38, v39
	v_add_f32_e32 v35, v35, v36
	v_add_f32_e32 v35, v42, v35
	v_cndmask_b32_e32 v35, 0x7f800000, v35, vcc_lo
	v_cmp_gt_f32_e64 vcc_lo, 0x33800000, |v37|
	v_cndmask_b32_e32 v35, v35, v37, vcc_lo
	v_add_f32_e32 v35, v34, v35
.LBB501_64:
	s_or_b32 exec_lo, exec_lo, s29
	v_bfe_u32 v34, v35, 16, 1
	v_cmp_o_f32_e32 vcc_lo, v35, v35
	v_add3_u32 v34, v35, v34, 0x7fff
	v_mov_b32_e32 v35, 0x7fc0
	v_cndmask_b32_sdwa v35, v35, v34, vcc_lo dst_sel:DWORD dst_unused:UNUSED_PAD src0_sel:DWORD src1_sel:WORD_1
	v_and_b32_e32 v36, 0xffff, v35
.LBB501_65:
	s_or_b32 exec_lo, exec_lo, s28
	ds_swizzle_b32 v34, v36 offset:swizzle(BROADCAST,32,15)
	v_and_b32_e32 v37, 16, v33
	s_mov_b32 s28, exec_lo
	v_cmpx_ne_u32_e32 0, v37
	s_cbranch_execz .LBB501_69
; %bb.66:
	v_lshlrev_b32_e32 v37, 16, v36
	s_waitcnt lgkmcnt(0)
	v_lshlrev_b32_e32 v35, 16, v34
	v_max_f32_e32 v34, v37, v37
	v_max_f32_e32 v36, v35, v35
	v_cmp_u_f32_e32 vcc_lo, v35, v35
	v_min_f32_e32 v38, v36, v34
	v_max_f32_e32 v34, v36, v34
	v_cndmask_b32_e32 v36, v38, v35, vcc_lo
	v_cndmask_b32_e32 v34, v34, v35, vcc_lo
	v_cmp_u_f32_e32 vcc_lo, v37, v37
	v_cndmask_b32_e32 v36, v36, v37, vcc_lo
	v_cndmask_b32_e32 v34, v34, v37, vcc_lo
	v_cmp_class_f32_e64 s29, v36, 0x1f8
	v_cmp_neq_f32_e32 vcc_lo, v36, v34
	s_or_b32 s30, vcc_lo, s29
	s_and_saveexec_b32 s29, s30
	s_cbranch_execz .LBB501_68
; %bb.67:
	v_sub_f32_e32 v35, v36, v34
	s_mov_b32 s30, 0x3e9b6dac
	v_mul_f32_e32 v36, 0x3fb8aa3b, v35
	v_cmp_ngt_f32_e32 vcc_lo, 0xc2ce8ed0, v35
	v_fma_f32 v37, 0x3fb8aa3b, v35, -v36
	v_rndne_f32_e32 v38, v36
	v_fmamk_f32 v37, v35, 0x32a5705f, v37
	v_sub_f32_e32 v36, v36, v38
	v_add_f32_e32 v36, v36, v37
	v_cvt_i32_f32_e32 v37, v38
	v_exp_f32_e32 v36, v36
	v_ldexp_f32 v36, v36, v37
	v_cndmask_b32_e32 v36, 0, v36, vcc_lo
	v_cmp_nlt_f32_e32 vcc_lo, 0x42b17218, v35
	v_cndmask_b32_e32 v37, 0x7f800000, v36, vcc_lo
	v_add_f32_e32 v38, 1.0, v37
	v_cvt_f64_f32_e32 v[35:36], v38
	v_frexp_exp_i32_f64_e32 v35, v[35:36]
	v_frexp_mant_f32_e32 v36, v38
	v_cmp_gt_f32_e32 vcc_lo, 0x3f2aaaab, v36
	v_add_f32_e32 v36, -1.0, v38
	v_sub_f32_e32 v40, v36, v38
	v_sub_f32_e32 v36, v37, v36
	v_add_f32_e32 v40, 1.0, v40
	v_add_f32_e32 v36, v36, v40
	v_subrev_co_ci_u32_e64 v35, null, 0, v35, vcc_lo
	v_cmp_neq_f32_e32 vcc_lo, 0x7f800000, v37
	v_sub_nc_u32_e32 v39, 0, v35
	v_cvt_f32_i32_e32 v35, v35
	v_ldexp_f32 v38, v38, v39
	v_ldexp_f32 v36, v36, v39
	v_add_f32_e32 v41, 1.0, v38
	v_add_f32_e32 v39, -1.0, v38
	v_add_f32_e32 v40, -1.0, v41
	v_add_f32_e32 v42, 1.0, v39
	v_sub_f32_e32 v40, v38, v40
	v_sub_f32_e32 v38, v38, v42
	v_add_f32_e32 v40, v36, v40
	v_add_f32_e32 v36, v36, v38
	;; [unrolled: 1-line block ×4, first 2 shown]
	v_rcp_f32_e32 v38, v42
	v_sub_f32_e32 v41, v41, v42
	v_sub_f32_e32 v39, v39, v43
	v_add_f32_e32 v40, v40, v41
	v_add_f32_e32 v36, v36, v39
	v_mul_f32_e32 v44, v43, v38
	v_mul_f32_e32 v45, v42, v44
	v_fma_f32 v41, v44, v42, -v45
	v_fmac_f32_e32 v41, v44, v40
	v_add_f32_e32 v46, v45, v41
	v_sub_f32_e32 v47, v43, v46
	v_sub_f32_e32 v39, v46, v45
	;; [unrolled: 1-line block ×5, first 2 shown]
	v_add_f32_e32 v36, v36, v43
	v_add_f32_e32 v36, v39, v36
	;; [unrolled: 1-line block ×3, first 2 shown]
	v_mul_f32_e32 v41, v38, v39
	v_sub_f32_e32 v46, v47, v39
	v_mul_f32_e32 v43, v42, v41
	v_add_f32_e32 v36, v36, v46
	v_fma_f32 v42, v41, v42, -v43
	v_fmac_f32_e32 v42, v41, v40
	v_add_f32_e32 v40, v43, v42
	v_sub_f32_e32 v45, v39, v40
	v_sub_f32_e32 v43, v40, v43
	;; [unrolled: 1-line block ×5, first 2 shown]
	v_add_f32_e32 v36, v36, v39
	v_add_f32_e32 v39, v44, v41
	;; [unrolled: 1-line block ×3, first 2 shown]
	v_sub_f32_e32 v40, v39, v44
	v_add_f32_e32 v36, v45, v36
	v_sub_f32_e32 v40, v41, v40
	v_mul_f32_e32 v36, v38, v36
	v_add_f32_e32 v36, v40, v36
	v_add_f32_e32 v38, v39, v36
	v_mul_f32_e32 v40, v38, v38
	v_fmaak_f32 v41, s30, v40, 0x3ecc95a3
	v_mul_f32_e32 v42, v38, v40
	v_fmaak_f32 v40, v40, v41, 0x3f2aaada
	v_ldexp_f32 v41, v38, 1
	v_sub_f32_e32 v38, v38, v39
	v_mul_f32_e32 v40, v42, v40
	v_mul_f32_e32 v42, 0x3f317218, v35
	v_sub_f32_e32 v36, v36, v38
	v_add_f32_e32 v39, v41, v40
	v_ldexp_f32 v36, v36, 1
	v_sub_f32_e32 v38, v39, v41
	v_fma_f32 v41, 0x3f317218, v35, -v42
	v_sub_f32_e32 v38, v40, v38
	v_fmamk_f32 v35, v35, 0xb102e308, v41
	v_add_f32_e32 v36, v36, v38
	v_add_f32_e32 v38, v42, v35
	;; [unrolled: 1-line block ×3, first 2 shown]
	v_sub_f32_e32 v42, v38, v42
	v_add_f32_e32 v41, v38, v40
	v_sub_f32_e32 v39, v40, v39
	v_sub_f32_e32 v35, v35, v42
	;; [unrolled: 1-line block ×6, first 2 shown]
	v_add_f32_e32 v40, v35, v36
	v_sub_f32_e32 v38, v38, v44
	v_add_f32_e32 v38, v39, v38
	v_sub_f32_e32 v39, v40, v35
	;; [unrolled: 2-line block ×3, first 2 shown]
	v_sub_f32_e32 v36, v36, v39
	v_add_f32_e32 v42, v41, v38
	v_sub_f32_e32 v35, v35, v40
	v_sub_f32_e32 v39, v42, v41
	v_add_f32_e32 v35, v36, v35
	v_sub_f32_e32 v36, v38, v39
	v_add_f32_e32 v35, v35, v36
	v_add_f32_e32 v35, v42, v35
	v_cndmask_b32_e32 v35, 0x7f800000, v35, vcc_lo
	v_cmp_gt_f32_e64 vcc_lo, 0x33800000, |v37|
	v_cndmask_b32_e32 v35, v35, v37, vcc_lo
	v_add_f32_e32 v35, v34, v35
.LBB501_68:
	s_or_b32 exec_lo, exec_lo, s29
	v_bfe_u32 v34, v35, 16, 1
	v_cmp_o_f32_e32 vcc_lo, v35, v35
	v_add3_u32 v34, v35, v34, 0x7fff
	v_mov_b32_e32 v35, 0x7fc0
	v_cndmask_b32_sdwa v35, v35, v34, vcc_lo dst_sel:DWORD dst_unused:UNUSED_PAD src0_sel:DWORD src1_sel:WORD_1
.LBB501_69:
	s_or_b32 exec_lo, exec_lo, s28
	s_waitcnt lgkmcnt(0)
	v_add_nc_u32_e32 v34, -1, v33
	v_cmp_gt_i32_e32 vcc_lo, 0, v34
	v_cndmask_b32_e32 v33, v34, v33, vcc_lo
	v_and_b32_e32 v34, 0xffff, v35
	v_lshlrev_b32_e32 v33, 2, v33
	ds_bpermute_b32 v33, v33, v34
	s_waitcnt lgkmcnt(0)
	v_lshlrev_b32_e32 v33, 16, v33
	v_max_f32_e32 v34, v33, v33
	v_cmp_u_f32_e32 vcc_lo, v33, v33
	v_min_f32_e32 v35, v34, v32
	v_max_f32_e32 v32, v34, v32
	v_cndmask_b32_e32 v34, v35, v33, vcc_lo
	v_cndmask_b32_e32 v35, v32, v33, vcc_lo
	v_cndmask_b32_e64 v32, v34, v31, s4
	v_cndmask_b32_e64 v31, v35, v31, s4
	v_cmp_class_f32_e64 s4, v32, 0x1f8
	v_cmp_neq_f32_e32 vcc_lo, v32, v31
	s_or_b32 s28, vcc_lo, s4
	s_and_saveexec_b32 s4, s28
	s_cbranch_execz .LBB501_71
; %bb.70:
	v_sub_f32_e32 v32, v32, v31
	s_mov_b32 s28, 0x3e9b6dac
	v_mul_f32_e32 v33, 0x3fb8aa3b, v32
	v_cmp_ngt_f32_e32 vcc_lo, 0xc2ce8ed0, v32
	v_fma_f32 v34, 0x3fb8aa3b, v32, -v33
	v_rndne_f32_e32 v35, v33
	v_fmamk_f32 v34, v32, 0x32a5705f, v34
	v_sub_f32_e32 v33, v33, v35
	v_add_f32_e32 v33, v33, v34
	v_cvt_i32_f32_e32 v34, v35
	v_exp_f32_e32 v33, v33
	v_ldexp_f32 v33, v33, v34
	v_cndmask_b32_e32 v33, 0, v33, vcc_lo
	v_cmp_nlt_f32_e32 vcc_lo, 0x42b17218, v32
	v_cndmask_b32_e32 v34, 0x7f800000, v33, vcc_lo
	v_add_f32_e32 v35, 1.0, v34
	v_cvt_f64_f32_e32 v[32:33], v35
	v_frexp_exp_i32_f64_e32 v32, v[32:33]
	v_frexp_mant_f32_e32 v33, v35
	v_cmp_gt_f32_e32 vcc_lo, 0x3f2aaaab, v33
	v_add_f32_e32 v33, -1.0, v35
	v_sub_f32_e32 v37, v33, v35
	v_sub_f32_e32 v33, v34, v33
	v_add_f32_e32 v37, 1.0, v37
	v_add_f32_e32 v33, v33, v37
	v_subrev_co_ci_u32_e64 v32, null, 0, v32, vcc_lo
	v_cmp_neq_f32_e32 vcc_lo, 0x7f800000, v34
	v_sub_nc_u32_e32 v36, 0, v32
	v_cvt_f32_i32_e32 v32, v32
	v_ldexp_f32 v35, v35, v36
	v_ldexp_f32 v33, v33, v36
	v_add_f32_e32 v38, 1.0, v35
	v_add_f32_e32 v36, -1.0, v35
	v_add_f32_e32 v37, -1.0, v38
	v_add_f32_e32 v39, 1.0, v36
	v_sub_f32_e32 v37, v35, v37
	v_sub_f32_e32 v35, v35, v39
	v_add_f32_e32 v37, v33, v37
	v_add_f32_e32 v33, v33, v35
	;; [unrolled: 1-line block ×4, first 2 shown]
	v_rcp_f32_e32 v35, v39
	v_sub_f32_e32 v38, v38, v39
	v_sub_f32_e32 v36, v36, v40
	v_add_f32_e32 v37, v37, v38
	v_add_f32_e32 v33, v33, v36
	v_mul_f32_e32 v41, v40, v35
	v_mul_f32_e32 v42, v39, v41
	v_fma_f32 v38, v41, v39, -v42
	v_fmac_f32_e32 v38, v41, v37
	v_add_f32_e32 v43, v42, v38
	v_sub_f32_e32 v44, v40, v43
	v_sub_f32_e32 v36, v43, v42
	v_sub_f32_e32 v40, v40, v44
	v_sub_f32_e32 v36, v36, v38
	v_sub_f32_e32 v40, v40, v43
	v_add_f32_e32 v33, v33, v40
	v_add_f32_e32 v33, v36, v33
	;; [unrolled: 1-line block ×3, first 2 shown]
	v_mul_f32_e32 v38, v35, v36
	v_sub_f32_e32 v43, v44, v36
	v_mul_f32_e32 v40, v39, v38
	v_add_f32_e32 v33, v33, v43
	v_fma_f32 v39, v38, v39, -v40
	v_fmac_f32_e32 v39, v38, v37
	v_add_f32_e32 v37, v40, v39
	v_sub_f32_e32 v42, v36, v37
	v_sub_f32_e32 v40, v37, v40
	;; [unrolled: 1-line block ×5, first 2 shown]
	v_add_f32_e32 v33, v33, v36
	v_add_f32_e32 v36, v41, v38
	;; [unrolled: 1-line block ×3, first 2 shown]
	v_sub_f32_e32 v37, v36, v41
	v_add_f32_e32 v33, v42, v33
	v_sub_f32_e32 v37, v38, v37
	v_mul_f32_e32 v33, v35, v33
	v_add_f32_e32 v33, v37, v33
	v_add_f32_e32 v35, v36, v33
	v_mul_f32_e32 v37, v35, v35
	v_fmaak_f32 v38, s28, v37, 0x3ecc95a3
	v_mul_f32_e32 v39, v35, v37
	v_fmaak_f32 v37, v37, v38, 0x3f2aaada
	v_ldexp_f32 v38, v35, 1
	v_sub_f32_e32 v35, v35, v36
	v_mul_f32_e32 v37, v39, v37
	v_mul_f32_e32 v39, 0x3f317218, v32
	v_sub_f32_e32 v33, v33, v35
	v_add_f32_e32 v36, v38, v37
	v_ldexp_f32 v33, v33, 1
	v_sub_f32_e32 v35, v36, v38
	v_fma_f32 v38, 0x3f317218, v32, -v39
	v_sub_f32_e32 v35, v37, v35
	v_fmamk_f32 v32, v32, 0xb102e308, v38
	v_add_f32_e32 v33, v33, v35
	v_add_f32_e32 v35, v39, v32
	;; [unrolled: 1-line block ×3, first 2 shown]
	v_sub_f32_e32 v39, v35, v39
	v_add_f32_e32 v38, v35, v37
	v_sub_f32_e32 v36, v37, v36
	v_sub_f32_e32 v32, v32, v39
	;; [unrolled: 1-line block ×6, first 2 shown]
	v_add_f32_e32 v37, v32, v33
	v_sub_f32_e32 v35, v35, v41
	v_add_f32_e32 v35, v36, v35
	v_sub_f32_e32 v36, v37, v32
	;; [unrolled: 2-line block ×3, first 2 shown]
	v_sub_f32_e32 v33, v33, v36
	v_add_f32_e32 v39, v38, v35
	v_sub_f32_e32 v32, v32, v37
	v_sub_f32_e32 v36, v39, v38
	v_add_f32_e32 v32, v33, v32
	v_sub_f32_e32 v33, v35, v36
	v_add_f32_e32 v32, v32, v33
	v_add_f32_e32 v32, v39, v32
	v_cndmask_b32_e32 v32, 0x7f800000, v32, vcc_lo
	v_cmp_gt_f32_e64 vcc_lo, 0x33800000, |v34|
	v_cndmask_b32_e32 v32, v32, v34, vcc_lo
	v_add_f32_e32 v33, v31, v32
.LBB501_71:
	s_or_b32 exec_lo, exec_lo, s4
	v_bfe_u32 v32, v33, 16, 1
	v_cmp_o_f32_e32 vcc_lo, v33, v33
	v_mov_b32_e32 v31, 0x7fc0
	; wave barrier
	v_add3_u32 v32, v33, v32, 0x7fff
	v_cndmask_b32_sdwa v32, v31, v32, vcc_lo dst_sel:DWORD dst_unused:UNUSED_PAD src0_sel:DWORD src1_sel:WORD_1
	v_cmp_eq_u32_e32 vcc_lo, 0, v0
	v_cndmask_b32_e32 v30, v32, v30, vcc_lo
	ds_write_b16 v29, v30
	; wave barrier
	ds_read_u16 v33, v29 offset:2
	v_lshlrev_b32_e32 v32, 16, v30
	v_cmp_u_f32_e32 vcc_lo, v32, v32
	s_waitcnt lgkmcnt(0)
	v_lshlrev_b32_e32 v30, 16, v33
	v_max_f32_e32 v33, v32, v32
	v_max_f32_e32 v34, v30, v30
	v_min_f32_e32 v35, v33, v34
	v_max_f32_e32 v33, v33, v34
	v_cndmask_b32_e32 v34, v35, v32, vcc_lo
	v_cndmask_b32_e32 v35, v33, v32, vcc_lo
	v_cmp_u_f32_e32 vcc_lo, v30, v30
	v_cndmask_b32_e32 v33, v34, v30, vcc_lo
	v_cndmask_b32_e32 v30, v35, v30, vcc_lo
	v_cmp_class_f32_e64 s4, v33, 0x1f8
	v_cmp_neq_f32_e32 vcc_lo, v33, v30
	s_or_b32 s28, vcc_lo, s4
	s_and_saveexec_b32 s4, s28
	s_cbranch_execz .LBB501_73
; %bb.72:
	v_sub_f32_e32 v32, v33, v30
	s_mov_b32 s28, 0x3e9b6dac
	v_mul_f32_e32 v33, 0x3fb8aa3b, v32
	v_cmp_ngt_f32_e32 vcc_lo, 0xc2ce8ed0, v32
	v_fma_f32 v34, 0x3fb8aa3b, v32, -v33
	v_rndne_f32_e32 v35, v33
	v_fmamk_f32 v34, v32, 0x32a5705f, v34
	v_sub_f32_e32 v33, v33, v35
	v_add_f32_e32 v33, v33, v34
	v_cvt_i32_f32_e32 v34, v35
	v_exp_f32_e32 v33, v33
	v_ldexp_f32 v33, v33, v34
	v_cndmask_b32_e32 v33, 0, v33, vcc_lo
	v_cmp_nlt_f32_e32 vcc_lo, 0x42b17218, v32
	v_cndmask_b32_e32 v34, 0x7f800000, v33, vcc_lo
	v_add_f32_e32 v35, 1.0, v34
	v_cvt_f64_f32_e32 v[32:33], v35
	v_frexp_exp_i32_f64_e32 v32, v[32:33]
	v_frexp_mant_f32_e32 v33, v35
	v_cmp_gt_f32_e32 vcc_lo, 0x3f2aaaab, v33
	v_add_f32_e32 v33, -1.0, v35
	v_sub_f32_e32 v37, v33, v35
	v_sub_f32_e32 v33, v34, v33
	v_add_f32_e32 v37, 1.0, v37
	v_add_f32_e32 v33, v33, v37
	v_subrev_co_ci_u32_e64 v32, null, 0, v32, vcc_lo
	v_cmp_neq_f32_e32 vcc_lo, 0x7f800000, v34
	v_sub_nc_u32_e32 v36, 0, v32
	v_cvt_f32_i32_e32 v32, v32
	v_ldexp_f32 v35, v35, v36
	v_ldexp_f32 v33, v33, v36
	v_add_f32_e32 v38, 1.0, v35
	v_add_f32_e32 v36, -1.0, v35
	v_add_f32_e32 v37, -1.0, v38
	v_add_f32_e32 v39, 1.0, v36
	v_sub_f32_e32 v37, v35, v37
	v_sub_f32_e32 v35, v35, v39
	v_add_f32_e32 v37, v33, v37
	v_add_f32_e32 v33, v33, v35
	;; [unrolled: 1-line block ×4, first 2 shown]
	v_rcp_f32_e32 v35, v39
	v_sub_f32_e32 v38, v38, v39
	v_sub_f32_e32 v36, v36, v40
	v_add_f32_e32 v37, v37, v38
	v_add_f32_e32 v33, v33, v36
	v_mul_f32_e32 v41, v40, v35
	v_mul_f32_e32 v42, v39, v41
	v_fma_f32 v38, v41, v39, -v42
	v_fmac_f32_e32 v38, v41, v37
	v_add_f32_e32 v43, v42, v38
	v_sub_f32_e32 v44, v40, v43
	v_sub_f32_e32 v36, v43, v42
	;; [unrolled: 1-line block ×5, first 2 shown]
	v_add_f32_e32 v33, v33, v40
	v_add_f32_e32 v33, v36, v33
	;; [unrolled: 1-line block ×3, first 2 shown]
	v_mul_f32_e32 v38, v35, v36
	v_sub_f32_e32 v43, v44, v36
	v_mul_f32_e32 v40, v39, v38
	v_add_f32_e32 v33, v33, v43
	v_fma_f32 v39, v38, v39, -v40
	v_fmac_f32_e32 v39, v38, v37
	v_add_f32_e32 v37, v40, v39
	v_sub_f32_e32 v42, v36, v37
	v_sub_f32_e32 v40, v37, v40
	;; [unrolled: 1-line block ×5, first 2 shown]
	v_add_f32_e32 v33, v33, v36
	v_add_f32_e32 v36, v41, v38
	;; [unrolled: 1-line block ×3, first 2 shown]
	v_sub_f32_e32 v37, v36, v41
	v_add_f32_e32 v33, v42, v33
	v_sub_f32_e32 v37, v38, v37
	v_mul_f32_e32 v33, v35, v33
	v_add_f32_e32 v33, v37, v33
	v_add_f32_e32 v35, v36, v33
	v_mul_f32_e32 v37, v35, v35
	v_fmaak_f32 v38, s28, v37, 0x3ecc95a3
	v_mul_f32_e32 v39, v35, v37
	v_fmaak_f32 v37, v37, v38, 0x3f2aaada
	v_ldexp_f32 v38, v35, 1
	v_sub_f32_e32 v35, v35, v36
	v_mul_f32_e32 v37, v39, v37
	v_mul_f32_e32 v39, 0x3f317218, v32
	v_sub_f32_e32 v33, v33, v35
	v_add_f32_e32 v36, v38, v37
	v_ldexp_f32 v33, v33, 1
	v_sub_f32_e32 v35, v36, v38
	v_fma_f32 v38, 0x3f317218, v32, -v39
	v_sub_f32_e32 v35, v37, v35
	v_fmamk_f32 v32, v32, 0xb102e308, v38
	v_add_f32_e32 v33, v33, v35
	v_add_f32_e32 v35, v39, v32
	;; [unrolled: 1-line block ×3, first 2 shown]
	v_sub_f32_e32 v39, v35, v39
	v_add_f32_e32 v38, v35, v37
	v_sub_f32_e32 v36, v37, v36
	v_sub_f32_e32 v32, v32, v39
	;; [unrolled: 1-line block ×6, first 2 shown]
	v_add_f32_e32 v37, v32, v33
	v_sub_f32_e32 v35, v35, v41
	v_add_f32_e32 v35, v36, v35
	v_sub_f32_e32 v36, v37, v32
	;; [unrolled: 2-line block ×3, first 2 shown]
	v_sub_f32_e32 v33, v33, v36
	v_add_f32_e32 v39, v38, v35
	v_sub_f32_e32 v32, v32, v37
	v_sub_f32_e32 v36, v39, v38
	v_add_f32_e32 v32, v33, v32
	v_sub_f32_e32 v33, v35, v36
	v_add_f32_e32 v32, v32, v33
	v_add_f32_e32 v32, v39, v32
	v_cndmask_b32_e32 v32, 0x7f800000, v32, vcc_lo
	v_cmp_gt_f32_e64 vcc_lo, 0x33800000, |v34|
	v_cndmask_b32_e32 v32, v32, v34, vcc_lo
	v_add_f32_e32 v32, v30, v32
.LBB501_73:
	s_or_b32 exec_lo, exec_lo, s4
	v_bfe_u32 v30, v32, 16, 1
	v_cmp_o_f32_e32 vcc_lo, v32, v32
	v_add3_u32 v30, v32, v30, 0x7fff
	v_cndmask_b32_sdwa v30, v31, v30, vcc_lo dst_sel:DWORD dst_unused:UNUSED_PAD src0_sel:DWORD src1_sel:WORD_1
	ds_write_b16 v29, v30 offset:2
.LBB501_74:
	s_or_b32 exec_lo, exec_lo, s5
	v_mul_u32_u24_e32 v29, 22, v0
	s_mov_b32 s4, exec_lo
	s_waitcnt lgkmcnt(0)
	s_barrier
	buffer_gl0_inv
	v_cmpx_ne_u32_e32 0, v0
	s_cbranch_execz .LBB501_78
; %bb.75:
	v_add_nc_u32_e32 v1, -1, v0
	v_lshrrev_b32_e32 v26, 4, v1
	v_and_b32_e32 v26, 0xffffffe, v26
	v_lshl_add_u32 v1, v1, 1, v26
	ds_read_u16 v1, v1
	s_waitcnt lgkmcnt(0)
	v_lshlrev_b32_e32 v26, 16, v1
	v_max_f32_e32 v1, v26, v26
	v_cmp_u_f32_e32 vcc_lo, v26, v26
	v_min_f32_e32 v27, v1, v28
	v_max_f32_e32 v1, v1, v28
	v_cndmask_b32_e32 v27, v27, v26, vcc_lo
	v_cndmask_b32_e32 v1, v1, v26, vcc_lo
	v_cndmask_b32_e64 v27, v27, v25, s25
	v_cndmask_b32_e64 v1, v1, v25, s25
	v_cmp_class_f32_e64 s5, v27, 0x1f8
	v_cmp_neq_f32_e32 vcc_lo, v27, v1
	s_or_b32 s25, vcc_lo, s5
	s_and_saveexec_b32 s5, s25
	s_cbranch_execz .LBB501_77
; %bb.76:
	v_sub_f32_e32 v25, v27, v1
	s_mov_b32 s25, 0x3e9b6dac
	v_mul_f32_e32 v26, 0x3fb8aa3b, v25
	v_cmp_ngt_f32_e32 vcc_lo, 0xc2ce8ed0, v25
	v_fma_f32 v27, 0x3fb8aa3b, v25, -v26
	v_rndne_f32_e32 v28, v26
	v_fmamk_f32 v27, v25, 0x32a5705f, v27
	v_sub_f32_e32 v26, v26, v28
	v_add_f32_e32 v26, v26, v27
	v_cvt_i32_f32_e32 v27, v28
	v_exp_f32_e32 v26, v26
	v_ldexp_f32 v26, v26, v27
	v_cndmask_b32_e32 v26, 0, v26, vcc_lo
	v_cmp_nlt_f32_e32 vcc_lo, 0x42b17218, v25
	v_cndmask_b32_e32 v27, 0x7f800000, v26, vcc_lo
	v_add_f32_e32 v28, 1.0, v27
	v_cvt_f64_f32_e32 v[25:26], v28
	v_frexp_exp_i32_f64_e32 v25, v[25:26]
	v_frexp_mant_f32_e32 v26, v28
	v_cmp_gt_f32_e32 vcc_lo, 0x3f2aaaab, v26
	v_add_f32_e32 v26, -1.0, v28
	v_sub_f32_e32 v31, v26, v28
	v_sub_f32_e32 v26, v27, v26
	v_add_f32_e32 v31, 1.0, v31
	v_add_f32_e32 v26, v26, v31
	v_subrev_co_ci_u32_e64 v25, null, 0, v25, vcc_lo
	v_cmp_neq_f32_e32 vcc_lo, 0x7f800000, v27
	v_sub_nc_u32_e32 v30, 0, v25
	v_cvt_f32_i32_e32 v25, v25
	v_ldexp_f32 v28, v28, v30
	v_ldexp_f32 v26, v26, v30
	v_add_f32_e32 v32, 1.0, v28
	v_add_f32_e32 v30, -1.0, v28
	v_add_f32_e32 v31, -1.0, v32
	v_add_f32_e32 v33, 1.0, v30
	v_sub_f32_e32 v31, v28, v31
	v_sub_f32_e32 v28, v28, v33
	v_add_f32_e32 v31, v26, v31
	v_add_f32_e32 v26, v26, v28
	v_add_f32_e32 v33, v32, v31
	v_add_f32_e32 v34, v30, v26
	v_rcp_f32_e32 v28, v33
	v_sub_f32_e32 v32, v32, v33
	v_sub_f32_e32 v30, v30, v34
	v_add_f32_e32 v31, v31, v32
	v_add_f32_e32 v26, v26, v30
	v_mul_f32_e32 v35, v34, v28
	v_mul_f32_e32 v36, v33, v35
	v_fma_f32 v32, v35, v33, -v36
	v_fmac_f32_e32 v32, v35, v31
	v_add_f32_e32 v37, v36, v32
	v_sub_f32_e32 v38, v34, v37
	v_sub_f32_e32 v30, v37, v36
	;; [unrolled: 1-line block ×5, first 2 shown]
	v_add_f32_e32 v26, v26, v34
	v_add_f32_e32 v26, v30, v26
	;; [unrolled: 1-line block ×3, first 2 shown]
	v_mul_f32_e32 v32, v28, v30
	v_sub_f32_e32 v37, v38, v30
	v_mul_f32_e32 v34, v33, v32
	v_add_f32_e32 v26, v26, v37
	v_fma_f32 v33, v32, v33, -v34
	v_fmac_f32_e32 v33, v32, v31
	v_add_f32_e32 v31, v34, v33
	v_sub_f32_e32 v36, v30, v31
	v_sub_f32_e32 v34, v31, v34
	v_sub_f32_e32 v30, v30, v36
	v_sub_f32_e32 v30, v30, v31
	v_sub_f32_e32 v31, v34, v33
	v_add_f32_e32 v26, v26, v30
	v_add_f32_e32 v30, v35, v32
	;; [unrolled: 1-line block ×3, first 2 shown]
	v_sub_f32_e32 v31, v30, v35
	v_add_f32_e32 v26, v36, v26
	v_sub_f32_e32 v31, v32, v31
	v_mul_f32_e32 v26, v28, v26
	v_add_f32_e32 v26, v31, v26
	v_add_f32_e32 v28, v30, v26
	v_mul_f32_e32 v31, v28, v28
	v_fmaak_f32 v32, s25, v31, 0x3ecc95a3
	v_mul_f32_e32 v33, v28, v31
	v_fmaak_f32 v31, v31, v32, 0x3f2aaada
	v_ldexp_f32 v32, v28, 1
	v_sub_f32_e32 v28, v28, v30
	v_mul_f32_e32 v31, v33, v31
	v_mul_f32_e32 v33, 0x3f317218, v25
	v_sub_f32_e32 v26, v26, v28
	v_add_f32_e32 v30, v32, v31
	v_ldexp_f32 v26, v26, 1
	v_sub_f32_e32 v28, v30, v32
	v_fma_f32 v32, 0x3f317218, v25, -v33
	v_sub_f32_e32 v28, v31, v28
	v_fmamk_f32 v25, v25, 0xb102e308, v32
	v_add_f32_e32 v26, v26, v28
	v_add_f32_e32 v28, v33, v25
	;; [unrolled: 1-line block ×3, first 2 shown]
	v_sub_f32_e32 v33, v28, v33
	v_add_f32_e32 v32, v28, v31
	v_sub_f32_e32 v30, v31, v30
	v_sub_f32_e32 v25, v25, v33
	;; [unrolled: 1-line block ×6, first 2 shown]
	v_add_f32_e32 v31, v25, v26
	v_sub_f32_e32 v28, v28, v35
	v_add_f32_e32 v28, v30, v28
	v_sub_f32_e32 v30, v31, v25
	;; [unrolled: 2-line block ×3, first 2 shown]
	v_sub_f32_e32 v26, v26, v30
	v_add_f32_e32 v33, v32, v28
	v_sub_f32_e32 v25, v25, v31
	v_sub_f32_e32 v30, v33, v32
	v_add_f32_e32 v25, v26, v25
	v_sub_f32_e32 v26, v28, v30
	v_add_f32_e32 v25, v25, v26
	v_add_f32_e32 v25, v33, v25
	v_cndmask_b32_e32 v25, 0x7f800000, v25, vcc_lo
	v_cmp_gt_f32_e64 vcc_lo, 0x33800000, |v27|
	v_cndmask_b32_e32 v25, v25, v27, vcc_lo
	v_add_f32_e32 v26, v1, v25
.LBB501_77:
	s_or_b32 exec_lo, exec_lo, s5
	v_bfe_u32 v1, v26, 16, 1
	v_cmp_o_f32_e32 vcc_lo, v26, v26
	v_mov_b32_e32 v25, 0x7fc0
	;;#ASMSTART
	;;#ASMEND
	v_add3_u32 v1, v26, v1, 0x7fff
	v_cndmask_b32_sdwa v1, v25, v1, vcc_lo dst_sel:DWORD dst_unused:UNUSED_PAD src0_sel:DWORD src1_sel:WORD_1
	v_lshlrev_b32_e32 v25, 16, v1
	v_max_f32_e32 v27, v25, v25
	v_min_f32_e32 v26, v27, v14
	v_max_f32_e32 v27, v27, v14
.LBB501_78:
	s_or_b32 exec_lo, exec_lo, s4
	v_cmp_u_f32_e32 vcc_lo, v25, v25
	v_cndmask_b32_e32 v14, v26, v25, vcc_lo
	v_cndmask_b32_e32 v26, v27, v25, vcc_lo
	v_cndmask_b32_e64 v14, v14, v8, s14
	v_cndmask_b32_e64 v8, v26, v8, s14
	v_cmp_class_f32_e64 s4, v14, 0x1f8
	v_cmp_neq_f32_e32 vcc_lo, v14, v8
	s_or_b32 s5, vcc_lo, s4
	s_and_saveexec_b32 s4, s5
	s_cbranch_execz .LBB501_80
; %bb.79:
	v_sub_f32_e32 v14, v14, v8
	s_mov_b32 s5, 0x3e9b6dac
	v_mul_f32_e32 v25, 0x3fb8aa3b, v14
	v_cmp_ngt_f32_e32 vcc_lo, 0xc2ce8ed0, v14
	v_fma_f32 v26, 0x3fb8aa3b, v14, -v25
	v_rndne_f32_e32 v27, v25
	v_fmamk_f32 v26, v14, 0x32a5705f, v26
	v_sub_f32_e32 v25, v25, v27
	v_add_f32_e32 v25, v25, v26
	v_cvt_i32_f32_e32 v26, v27
	v_exp_f32_e32 v25, v25
	v_ldexp_f32 v25, v25, v26
	v_cndmask_b32_e32 v25, 0, v25, vcc_lo
	v_cmp_nlt_f32_e32 vcc_lo, 0x42b17218, v14
	v_cndmask_b32_e32 v14, 0x7f800000, v25, vcc_lo
	v_add_f32_e32 v27, 1.0, v14
	v_cvt_f64_f32_e32 v[25:26], v27
	v_frexp_exp_i32_f64_e32 v25, v[25:26]
	v_frexp_mant_f32_e32 v26, v27
	v_cmp_gt_f32_e32 vcc_lo, 0x3f2aaaab, v26
	v_add_f32_e32 v26, -1.0, v27
	v_sub_f32_e32 v30, v26, v27
	v_sub_f32_e32 v26, v14, v26
	v_add_f32_e32 v30, 1.0, v30
	v_add_f32_e32 v26, v26, v30
	v_subrev_co_ci_u32_e64 v25, null, 0, v25, vcc_lo
	v_cmp_neq_f32_e32 vcc_lo, 0x7f800000, v14
	v_sub_nc_u32_e32 v28, 0, v25
	v_cvt_f32_i32_e32 v25, v25
	v_ldexp_f32 v27, v27, v28
	v_ldexp_f32 v26, v26, v28
	v_add_f32_e32 v31, 1.0, v27
	v_add_f32_e32 v28, -1.0, v27
	v_add_f32_e32 v30, -1.0, v31
	v_add_f32_e32 v32, 1.0, v28
	v_sub_f32_e32 v30, v27, v30
	v_sub_f32_e32 v27, v27, v32
	v_add_f32_e32 v30, v26, v30
	v_add_f32_e32 v26, v26, v27
	;; [unrolled: 1-line block ×4, first 2 shown]
	v_rcp_f32_e32 v27, v32
	v_sub_f32_e32 v31, v31, v32
	v_sub_f32_e32 v28, v28, v33
	v_add_f32_e32 v30, v30, v31
	v_add_f32_e32 v26, v26, v28
	v_mul_f32_e32 v34, v33, v27
	v_mul_f32_e32 v35, v32, v34
	v_fma_f32 v31, v34, v32, -v35
	v_fmac_f32_e32 v31, v34, v30
	v_add_f32_e32 v36, v35, v31
	v_sub_f32_e32 v37, v33, v36
	v_sub_f32_e32 v28, v36, v35
	;; [unrolled: 1-line block ×5, first 2 shown]
	v_add_f32_e32 v26, v26, v33
	v_add_f32_e32 v26, v28, v26
	;; [unrolled: 1-line block ×3, first 2 shown]
	v_mul_f32_e32 v31, v27, v28
	v_sub_f32_e32 v36, v37, v28
	v_mul_f32_e32 v33, v32, v31
	v_add_f32_e32 v26, v26, v36
	v_fma_f32 v32, v31, v32, -v33
	v_fmac_f32_e32 v32, v31, v30
	v_add_f32_e32 v30, v33, v32
	v_sub_f32_e32 v35, v28, v30
	v_sub_f32_e32 v33, v30, v33
	;; [unrolled: 1-line block ×5, first 2 shown]
	v_add_f32_e32 v26, v26, v28
	v_add_f32_e32 v28, v34, v31
	;; [unrolled: 1-line block ×3, first 2 shown]
	v_sub_f32_e32 v30, v28, v34
	v_add_f32_e32 v26, v35, v26
	v_sub_f32_e32 v30, v31, v30
	v_mul_f32_e32 v26, v27, v26
	v_add_f32_e32 v26, v30, v26
	v_add_f32_e32 v27, v28, v26
	v_mul_f32_e32 v30, v27, v27
	v_fmaak_f32 v31, s5, v30, 0x3ecc95a3
	v_mul_f32_e32 v32, v27, v30
	v_fmaak_f32 v30, v30, v31, 0x3f2aaada
	v_ldexp_f32 v31, v27, 1
	v_sub_f32_e32 v27, v27, v28
	v_mul_f32_e32 v30, v32, v30
	v_mul_f32_e32 v32, 0x3f317218, v25
	v_sub_f32_e32 v26, v26, v27
	v_add_f32_e32 v28, v31, v30
	v_ldexp_f32 v26, v26, 1
	v_sub_f32_e32 v27, v28, v31
	v_fma_f32 v31, 0x3f317218, v25, -v32
	v_sub_f32_e32 v27, v30, v27
	v_fmamk_f32 v25, v25, 0xb102e308, v31
	v_add_f32_e32 v26, v26, v27
	v_add_f32_e32 v27, v32, v25
	;; [unrolled: 1-line block ×3, first 2 shown]
	v_sub_f32_e32 v32, v27, v32
	v_add_f32_e32 v31, v27, v30
	v_sub_f32_e32 v28, v30, v28
	v_sub_f32_e32 v25, v25, v32
	;; [unrolled: 1-line block ×6, first 2 shown]
	v_add_f32_e32 v30, v25, v26
	v_sub_f32_e32 v27, v27, v34
	v_add_f32_e32 v27, v28, v27
	v_sub_f32_e32 v28, v30, v25
	v_add_f32_e32 v27, v30, v27
	v_sub_f32_e32 v30, v30, v28
	v_sub_f32_e32 v26, v26, v28
	v_add_f32_e32 v32, v31, v27
	v_sub_f32_e32 v25, v25, v30
	v_sub_f32_e32 v28, v32, v31
	v_add_f32_e32 v25, v26, v25
	v_sub_f32_e32 v26, v27, v28
	v_add_f32_e32 v25, v25, v26
	v_add_f32_e32 v25, v32, v25
	v_cndmask_b32_e32 v25, 0x7f800000, v25, vcc_lo
	v_cmp_gt_f32_e64 vcc_lo, 0x33800000, |v14|
	v_cndmask_b32_e32 v14, v25, v14, vcc_lo
	v_add_f32_e32 v25, v8, v14
.LBB501_80:
	s_or_b32 exec_lo, exec_lo, s4
	v_bfe_u32 v8, v25, 16, 1
	v_cmp_o_f32_e32 vcc_lo, v25, v25
	v_mov_b32_e32 v14, 0x7fc0
	v_add3_u32 v8, v25, v8, 0x7fff
	v_cndmask_b32_sdwa v8, v14, v8, vcc_lo dst_sel:DWORD dst_unused:UNUSED_PAD src0_sel:DWORD src1_sel:WORD_1
	v_lshlrev_b32_e32 v25, 16, v8
	v_max_f32_e32 v26, v25, v25
	v_cmp_u_f32_e32 vcc_lo, v25, v25
	v_min_f32_e32 v27, v26, v11
	v_max_f32_e32 v11, v26, v11
	v_cndmask_b32_e32 v26, v27, v25, vcc_lo
	v_cndmask_b32_e32 v27, v11, v25, vcc_lo
	v_cndmask_b32_e64 v11, v26, v9, s15
	v_cndmask_b32_e64 v9, v27, v9, s15
	v_cmp_class_f32_e64 s4, v11, 0x1f8
	v_cmp_neq_f32_e32 vcc_lo, v11, v9
	s_or_b32 s5, vcc_lo, s4
	s_and_saveexec_b32 s4, s5
	s_cbranch_execz .LBB501_82
; %bb.81:
	v_sub_f32_e32 v11, v11, v9
	s_mov_b32 s5, 0x3e9b6dac
	v_mul_f32_e32 v25, 0x3fb8aa3b, v11
	v_cmp_ngt_f32_e32 vcc_lo, 0xc2ce8ed0, v11
	v_fma_f32 v26, 0x3fb8aa3b, v11, -v25
	v_rndne_f32_e32 v27, v25
	v_fmamk_f32 v26, v11, 0x32a5705f, v26
	v_sub_f32_e32 v25, v25, v27
	v_add_f32_e32 v25, v25, v26
	v_cvt_i32_f32_e32 v26, v27
	v_exp_f32_e32 v25, v25
	v_ldexp_f32 v25, v25, v26
	v_cndmask_b32_e32 v25, 0, v25, vcc_lo
	v_cmp_nlt_f32_e32 vcc_lo, 0x42b17218, v11
	v_cndmask_b32_e32 v11, 0x7f800000, v25, vcc_lo
	v_add_f32_e32 v27, 1.0, v11
	v_cvt_f64_f32_e32 v[25:26], v27
	v_frexp_exp_i32_f64_e32 v25, v[25:26]
	v_frexp_mant_f32_e32 v26, v27
	v_cmp_gt_f32_e32 vcc_lo, 0x3f2aaaab, v26
	v_add_f32_e32 v26, -1.0, v27
	v_sub_f32_e32 v30, v26, v27
	v_sub_f32_e32 v26, v11, v26
	v_add_f32_e32 v30, 1.0, v30
	v_add_f32_e32 v26, v26, v30
	v_subrev_co_ci_u32_e64 v25, null, 0, v25, vcc_lo
	v_cmp_neq_f32_e32 vcc_lo, 0x7f800000, v11
	v_sub_nc_u32_e32 v28, 0, v25
	v_cvt_f32_i32_e32 v25, v25
	v_ldexp_f32 v27, v27, v28
	v_ldexp_f32 v26, v26, v28
	v_add_f32_e32 v31, 1.0, v27
	v_add_f32_e32 v28, -1.0, v27
	v_add_f32_e32 v30, -1.0, v31
	v_add_f32_e32 v32, 1.0, v28
	v_sub_f32_e32 v30, v27, v30
	v_sub_f32_e32 v27, v27, v32
	v_add_f32_e32 v30, v26, v30
	v_add_f32_e32 v26, v26, v27
	;; [unrolled: 1-line block ×4, first 2 shown]
	v_rcp_f32_e32 v27, v32
	v_sub_f32_e32 v31, v31, v32
	v_sub_f32_e32 v28, v28, v33
	v_add_f32_e32 v30, v30, v31
	v_add_f32_e32 v26, v26, v28
	v_mul_f32_e32 v34, v33, v27
	v_mul_f32_e32 v35, v32, v34
	v_fma_f32 v31, v34, v32, -v35
	v_fmac_f32_e32 v31, v34, v30
	v_add_f32_e32 v36, v35, v31
	v_sub_f32_e32 v37, v33, v36
	v_sub_f32_e32 v28, v36, v35
	v_sub_f32_e32 v33, v33, v37
	v_sub_f32_e32 v28, v28, v31
	v_sub_f32_e32 v33, v33, v36
	v_add_f32_e32 v26, v26, v33
	v_add_f32_e32 v26, v28, v26
	;; [unrolled: 1-line block ×3, first 2 shown]
	v_mul_f32_e32 v31, v27, v28
	v_sub_f32_e32 v36, v37, v28
	v_mul_f32_e32 v33, v32, v31
	v_add_f32_e32 v26, v26, v36
	v_fma_f32 v32, v31, v32, -v33
	v_fmac_f32_e32 v32, v31, v30
	v_add_f32_e32 v30, v33, v32
	v_sub_f32_e32 v35, v28, v30
	v_sub_f32_e32 v33, v30, v33
	;; [unrolled: 1-line block ×5, first 2 shown]
	v_add_f32_e32 v26, v26, v28
	v_add_f32_e32 v28, v34, v31
	;; [unrolled: 1-line block ×3, first 2 shown]
	v_sub_f32_e32 v30, v28, v34
	v_add_f32_e32 v26, v35, v26
	v_sub_f32_e32 v30, v31, v30
	v_mul_f32_e32 v26, v27, v26
	v_add_f32_e32 v26, v30, v26
	v_add_f32_e32 v27, v28, v26
	v_mul_f32_e32 v30, v27, v27
	v_fmaak_f32 v31, s5, v30, 0x3ecc95a3
	v_mul_f32_e32 v32, v27, v30
	v_fmaak_f32 v30, v30, v31, 0x3f2aaada
	v_ldexp_f32 v31, v27, 1
	v_sub_f32_e32 v27, v27, v28
	v_mul_f32_e32 v30, v32, v30
	v_mul_f32_e32 v32, 0x3f317218, v25
	v_sub_f32_e32 v26, v26, v27
	v_add_f32_e32 v28, v31, v30
	v_ldexp_f32 v26, v26, 1
	v_sub_f32_e32 v27, v28, v31
	v_fma_f32 v31, 0x3f317218, v25, -v32
	v_sub_f32_e32 v27, v30, v27
	v_fmamk_f32 v25, v25, 0xb102e308, v31
	v_add_f32_e32 v26, v26, v27
	v_add_f32_e32 v27, v32, v25
	;; [unrolled: 1-line block ×3, first 2 shown]
	v_sub_f32_e32 v32, v27, v32
	v_add_f32_e32 v31, v27, v30
	v_sub_f32_e32 v28, v30, v28
	v_sub_f32_e32 v25, v25, v32
	;; [unrolled: 1-line block ×6, first 2 shown]
	v_add_f32_e32 v30, v25, v26
	v_sub_f32_e32 v27, v27, v34
	v_add_f32_e32 v27, v28, v27
	v_sub_f32_e32 v28, v30, v25
	;; [unrolled: 2-line block ×3, first 2 shown]
	v_sub_f32_e32 v26, v26, v28
	v_add_f32_e32 v32, v31, v27
	v_sub_f32_e32 v25, v25, v30
	v_sub_f32_e32 v28, v32, v31
	v_add_f32_e32 v25, v26, v25
	v_sub_f32_e32 v26, v27, v28
	v_add_f32_e32 v25, v25, v26
	v_add_f32_e32 v25, v32, v25
	v_cndmask_b32_e32 v25, 0x7f800000, v25, vcc_lo
	v_cmp_gt_f32_e64 vcc_lo, 0x33800000, |v11|
	v_cndmask_b32_e32 v11, v25, v11, vcc_lo
	v_add_f32_e32 v25, v9, v11
.LBB501_82:
	s_or_b32 exec_lo, exec_lo, s4
	v_bfe_u32 v9, v25, 16, 1
	v_cmp_o_f32_e32 vcc_lo, v25, v25
	v_add3_u32 v9, v25, v9, 0x7fff
	v_cndmask_b32_sdwa v9, v14, v9, vcc_lo dst_sel:DWORD dst_unused:UNUSED_PAD src0_sel:DWORD src1_sel:WORD_1
	v_lshlrev_b32_e32 v14, 16, v9
	v_max_f32_e32 v11, v14, v14
	v_cmp_u_f32_e32 vcc_lo, v14, v14
	v_min_f32_e32 v25, v11, v13
	v_max_f32_e32 v11, v11, v13
	v_cndmask_b32_e32 v13, v25, v14, vcc_lo
	v_cndmask_b32_e32 v25, v11, v14, vcc_lo
	v_cndmask_b32_e64 v11, v13, v2, s16
	v_cndmask_b32_e64 v2, v25, v2, s16
	v_cmp_class_f32_e64 s4, v11, 0x1f8
	v_cmp_neq_f32_e32 vcc_lo, v11, v2
	s_or_b32 s5, vcc_lo, s4
	s_and_saveexec_b32 s4, s5
	s_cbranch_execz .LBB501_84
; %bb.83:
	v_sub_f32_e32 v11, v11, v2
	s_mov_b32 s5, 0x3e9b6dac
	v_mul_f32_e32 v13, 0x3fb8aa3b, v11
	v_cmp_ngt_f32_e32 vcc_lo, 0xc2ce8ed0, v11
	v_fma_f32 v14, 0x3fb8aa3b, v11, -v13
	v_rndne_f32_e32 v25, v13
	v_fmamk_f32 v14, v11, 0x32a5705f, v14
	v_sub_f32_e32 v13, v13, v25
	v_add_f32_e32 v13, v13, v14
	v_cvt_i32_f32_e32 v14, v25
	v_exp_f32_e32 v13, v13
	v_ldexp_f32 v13, v13, v14
	v_cndmask_b32_e32 v13, 0, v13, vcc_lo
	v_cmp_nlt_f32_e32 vcc_lo, 0x42b17218, v11
	v_cndmask_b32_e32 v11, 0x7f800000, v13, vcc_lo
	v_add_f32_e32 v25, 1.0, v11
	v_cvt_f64_f32_e32 v[13:14], v25
	v_frexp_exp_i32_f64_e32 v13, v[13:14]
	v_frexp_mant_f32_e32 v14, v25
	v_cmp_gt_f32_e32 vcc_lo, 0x3f2aaaab, v14
	v_add_f32_e32 v14, -1.0, v25
	v_sub_f32_e32 v27, v14, v25
	v_sub_f32_e32 v14, v11, v14
	v_add_f32_e32 v27, 1.0, v27
	v_add_f32_e32 v14, v14, v27
	v_subrev_co_ci_u32_e64 v13, null, 0, v13, vcc_lo
	v_cmp_neq_f32_e32 vcc_lo, 0x7f800000, v11
	v_sub_nc_u32_e32 v26, 0, v13
	v_cvt_f32_i32_e32 v13, v13
	v_ldexp_f32 v25, v25, v26
	v_ldexp_f32 v14, v14, v26
	v_add_f32_e32 v28, 1.0, v25
	v_add_f32_e32 v26, -1.0, v25
	v_add_f32_e32 v27, -1.0, v28
	v_add_f32_e32 v30, 1.0, v26
	v_sub_f32_e32 v27, v25, v27
	v_sub_f32_e32 v25, v25, v30
	v_add_f32_e32 v27, v14, v27
	v_add_f32_e32 v14, v14, v25
	;; [unrolled: 1-line block ×4, first 2 shown]
	v_rcp_f32_e32 v25, v30
	v_sub_f32_e32 v28, v28, v30
	v_sub_f32_e32 v26, v26, v31
	v_add_f32_e32 v27, v27, v28
	v_add_f32_e32 v14, v14, v26
	v_mul_f32_e32 v32, v31, v25
	v_mul_f32_e32 v33, v30, v32
	v_fma_f32 v28, v32, v30, -v33
	v_fmac_f32_e32 v28, v32, v27
	v_add_f32_e32 v34, v33, v28
	v_sub_f32_e32 v35, v31, v34
	v_sub_f32_e32 v26, v34, v33
	;; [unrolled: 1-line block ×5, first 2 shown]
	v_add_f32_e32 v14, v14, v31
	v_add_f32_e32 v14, v26, v14
	;; [unrolled: 1-line block ×3, first 2 shown]
	v_mul_f32_e32 v28, v25, v26
	v_sub_f32_e32 v34, v35, v26
	v_mul_f32_e32 v31, v30, v28
	v_add_f32_e32 v14, v14, v34
	v_fma_f32 v30, v28, v30, -v31
	v_fmac_f32_e32 v30, v28, v27
	v_add_f32_e32 v27, v31, v30
	v_sub_f32_e32 v33, v26, v27
	v_sub_f32_e32 v31, v27, v31
	v_sub_f32_e32 v26, v26, v33
	v_sub_f32_e32 v26, v26, v27
	v_sub_f32_e32 v27, v31, v30
	v_add_f32_e32 v14, v14, v26
	v_add_f32_e32 v26, v32, v28
	;; [unrolled: 1-line block ×3, first 2 shown]
	v_sub_f32_e32 v27, v26, v32
	v_add_f32_e32 v14, v33, v14
	v_sub_f32_e32 v27, v28, v27
	v_mul_f32_e32 v14, v25, v14
	v_add_f32_e32 v14, v27, v14
	v_add_f32_e32 v25, v26, v14
	v_mul_f32_e32 v27, v25, v25
	v_fmaak_f32 v28, s5, v27, 0x3ecc95a3
	v_mul_f32_e32 v30, v25, v27
	v_fmaak_f32 v27, v27, v28, 0x3f2aaada
	v_ldexp_f32 v28, v25, 1
	v_sub_f32_e32 v25, v25, v26
	v_mul_f32_e32 v27, v30, v27
	v_mul_f32_e32 v30, 0x3f317218, v13
	v_sub_f32_e32 v14, v14, v25
	v_add_f32_e32 v26, v28, v27
	v_ldexp_f32 v14, v14, 1
	v_sub_f32_e32 v25, v26, v28
	v_fma_f32 v28, 0x3f317218, v13, -v30
	v_sub_f32_e32 v25, v27, v25
	v_fmamk_f32 v13, v13, 0xb102e308, v28
	v_add_f32_e32 v14, v14, v25
	v_add_f32_e32 v25, v30, v13
	;; [unrolled: 1-line block ×3, first 2 shown]
	v_sub_f32_e32 v30, v25, v30
	v_add_f32_e32 v28, v25, v27
	v_sub_f32_e32 v26, v27, v26
	v_sub_f32_e32 v13, v13, v30
	;; [unrolled: 1-line block ×6, first 2 shown]
	v_add_f32_e32 v27, v13, v14
	v_sub_f32_e32 v25, v25, v32
	v_add_f32_e32 v25, v26, v25
	v_sub_f32_e32 v26, v27, v13
	;; [unrolled: 2-line block ×3, first 2 shown]
	v_sub_f32_e32 v14, v14, v26
	v_add_f32_e32 v30, v28, v25
	v_sub_f32_e32 v13, v13, v27
	v_sub_f32_e32 v26, v30, v28
	v_add_f32_e32 v13, v14, v13
	v_sub_f32_e32 v14, v25, v26
	v_add_f32_e32 v13, v13, v14
	v_add_f32_e32 v13, v30, v13
	v_cndmask_b32_e32 v13, 0x7f800000, v13, vcc_lo
	v_cmp_gt_f32_e64 vcc_lo, 0x33800000, |v11|
	v_cndmask_b32_e32 v11, v13, v11, vcc_lo
	v_add_f32_e32 v14, v2, v11
.LBB501_84:
	s_or_b32 exec_lo, exec_lo, s4
	v_bfe_u32 v2, v14, 16, 1
	v_cmp_o_f32_e32 vcc_lo, v14, v14
	v_mov_b32_e32 v11, 0x7fc0
	v_add3_u32 v2, v14, v2, 0x7fff
	v_cndmask_b32_sdwa v2, v11, v2, vcc_lo dst_sel:DWORD dst_unused:UNUSED_PAD src0_sel:DWORD src1_sel:WORD_1
	v_lshlrev_b32_e32 v13, 16, v2
	v_max_f32_e32 v14, v13, v13
	v_cmp_u_f32_e32 vcc_lo, v13, v13
	v_min_f32_e32 v25, v14, v15
	v_max_f32_e32 v14, v14, v15
	v_cndmask_b32_e32 v15, v25, v13, vcc_lo
	v_cndmask_b32_e32 v25, v14, v13, vcc_lo
	v_cndmask_b32_e64 v14, v15, v10, s17
	v_cndmask_b32_e64 v10, v25, v10, s17
	v_cmp_class_f32_e64 s4, v14, 0x1f8
	v_cmp_neq_f32_e32 vcc_lo, v14, v10
	s_or_b32 s5, vcc_lo, s4
	s_and_saveexec_b32 s4, s5
	s_cbranch_execz .LBB501_86
; %bb.85:
	v_sub_f32_e32 v13, v14, v10
	s_mov_b32 s5, 0x3e9b6dac
	v_mul_f32_e32 v14, 0x3fb8aa3b, v13
	v_cmp_ngt_f32_e32 vcc_lo, 0xc2ce8ed0, v13
	v_fma_f32 v15, 0x3fb8aa3b, v13, -v14
	v_rndne_f32_e32 v25, v14
	v_fmamk_f32 v15, v13, 0x32a5705f, v15
	v_sub_f32_e32 v14, v14, v25
	v_add_f32_e32 v14, v14, v15
	v_cvt_i32_f32_e32 v15, v25
	v_exp_f32_e32 v14, v14
	v_ldexp_f32 v14, v14, v15
	v_cndmask_b32_e32 v14, 0, v14, vcc_lo
	v_cmp_nlt_f32_e32 vcc_lo, 0x42b17218, v13
	v_cndmask_b32_e32 v15, 0x7f800000, v14, vcc_lo
	v_add_f32_e32 v25, 1.0, v15
	v_cvt_f64_f32_e32 v[13:14], v25
	v_frexp_exp_i32_f64_e32 v13, v[13:14]
	v_frexp_mant_f32_e32 v14, v25
	v_cmp_gt_f32_e32 vcc_lo, 0x3f2aaaab, v14
	v_add_f32_e32 v14, -1.0, v25
	v_sub_f32_e32 v27, v14, v25
	v_sub_f32_e32 v14, v15, v14
	v_add_f32_e32 v27, 1.0, v27
	v_add_f32_e32 v14, v14, v27
	v_subrev_co_ci_u32_e64 v13, null, 0, v13, vcc_lo
	v_cmp_neq_f32_e32 vcc_lo, 0x7f800000, v15
	v_sub_nc_u32_e32 v26, 0, v13
	v_cvt_f32_i32_e32 v13, v13
	v_ldexp_f32 v25, v25, v26
	v_ldexp_f32 v14, v14, v26
	v_add_f32_e32 v28, 1.0, v25
	v_add_f32_e32 v26, -1.0, v25
	v_add_f32_e32 v27, -1.0, v28
	v_add_f32_e32 v30, 1.0, v26
	v_sub_f32_e32 v27, v25, v27
	v_sub_f32_e32 v25, v25, v30
	v_add_f32_e32 v27, v14, v27
	v_add_f32_e32 v14, v14, v25
	;; [unrolled: 1-line block ×4, first 2 shown]
	v_rcp_f32_e32 v25, v30
	v_sub_f32_e32 v28, v28, v30
	v_sub_f32_e32 v26, v26, v31
	v_add_f32_e32 v27, v27, v28
	v_add_f32_e32 v14, v14, v26
	v_mul_f32_e32 v32, v31, v25
	v_mul_f32_e32 v33, v30, v32
	v_fma_f32 v28, v32, v30, -v33
	v_fmac_f32_e32 v28, v32, v27
	v_add_f32_e32 v34, v33, v28
	v_sub_f32_e32 v35, v31, v34
	v_sub_f32_e32 v26, v34, v33
	;; [unrolled: 1-line block ×5, first 2 shown]
	v_add_f32_e32 v14, v14, v31
	v_add_f32_e32 v14, v26, v14
	;; [unrolled: 1-line block ×3, first 2 shown]
	v_mul_f32_e32 v28, v25, v26
	v_sub_f32_e32 v34, v35, v26
	v_mul_f32_e32 v31, v30, v28
	v_add_f32_e32 v14, v14, v34
	v_fma_f32 v30, v28, v30, -v31
	v_fmac_f32_e32 v30, v28, v27
	v_add_f32_e32 v27, v31, v30
	v_sub_f32_e32 v33, v26, v27
	v_sub_f32_e32 v31, v27, v31
	;; [unrolled: 1-line block ×5, first 2 shown]
	v_add_f32_e32 v14, v14, v26
	v_add_f32_e32 v26, v32, v28
	;; [unrolled: 1-line block ×3, first 2 shown]
	v_sub_f32_e32 v27, v26, v32
	v_add_f32_e32 v14, v33, v14
	v_sub_f32_e32 v27, v28, v27
	v_mul_f32_e32 v14, v25, v14
	v_add_f32_e32 v14, v27, v14
	v_add_f32_e32 v25, v26, v14
	v_mul_f32_e32 v27, v25, v25
	v_fmaak_f32 v28, s5, v27, 0x3ecc95a3
	v_mul_f32_e32 v30, v25, v27
	v_fmaak_f32 v27, v27, v28, 0x3f2aaada
	v_ldexp_f32 v28, v25, 1
	v_sub_f32_e32 v25, v25, v26
	v_mul_f32_e32 v27, v30, v27
	v_mul_f32_e32 v30, 0x3f317218, v13
	v_sub_f32_e32 v14, v14, v25
	v_add_f32_e32 v26, v28, v27
	v_ldexp_f32 v14, v14, 1
	v_sub_f32_e32 v25, v26, v28
	v_fma_f32 v28, 0x3f317218, v13, -v30
	v_sub_f32_e32 v25, v27, v25
	v_fmamk_f32 v13, v13, 0xb102e308, v28
	v_add_f32_e32 v14, v14, v25
	v_add_f32_e32 v25, v30, v13
	v_add_f32_e32 v27, v26, v14
	v_sub_f32_e32 v30, v25, v30
	v_add_f32_e32 v28, v25, v27
	v_sub_f32_e32 v26, v27, v26
	v_sub_f32_e32 v13, v13, v30
	;; [unrolled: 1-line block ×6, first 2 shown]
	v_add_f32_e32 v27, v13, v14
	v_sub_f32_e32 v25, v25, v32
	v_add_f32_e32 v25, v26, v25
	v_sub_f32_e32 v26, v27, v13
	v_add_f32_e32 v25, v27, v25
	v_sub_f32_e32 v27, v27, v26
	v_sub_f32_e32 v14, v14, v26
	v_add_f32_e32 v30, v28, v25
	v_sub_f32_e32 v13, v13, v27
	v_sub_f32_e32 v26, v30, v28
	v_add_f32_e32 v13, v14, v13
	v_sub_f32_e32 v14, v25, v26
	v_add_f32_e32 v13, v13, v14
	v_add_f32_e32 v13, v30, v13
	v_cndmask_b32_e32 v13, 0x7f800000, v13, vcc_lo
	v_cmp_gt_f32_e64 vcc_lo, 0x33800000, |v15|
	v_cndmask_b32_e32 v13, v13, v15, vcc_lo
	v_add_f32_e32 v13, v10, v13
.LBB501_86:
	s_or_b32 exec_lo, exec_lo, s4
	v_bfe_u32 v10, v13, 16, 1
	v_cmp_o_f32_e32 vcc_lo, v13, v13
	v_add3_u32 v10, v13, v10, 0x7fff
	v_cndmask_b32_sdwa v10, v11, v10, vcc_lo dst_sel:DWORD dst_unused:UNUSED_PAD src0_sel:DWORD src1_sel:WORD_1
	v_lshlrev_b32_e32 v13, 16, v10
	v_max_f32_e32 v11, v13, v13
	v_cmp_u_f32_e32 vcc_lo, v13, v13
	v_min_f32_e32 v14, v11, v17
	v_max_f32_e32 v11, v11, v17
	v_cndmask_b32_e32 v14, v14, v13, vcc_lo
	v_cndmask_b32_e32 v15, v11, v13, vcc_lo
	v_cndmask_b32_e64 v11, v14, v3, s18
	v_cndmask_b32_e64 v3, v15, v3, s18
	v_cmp_class_f32_e64 s4, v11, 0x1f8
	v_cmp_neq_f32_e32 vcc_lo, v11, v3
	s_or_b32 s5, vcc_lo, s4
	s_and_saveexec_b32 s4, s5
	s_cbranch_execz .LBB501_88
; %bb.87:
	v_sub_f32_e32 v11, v11, v3
	s_mov_b32 s5, 0x3e9b6dac
	v_mul_f32_e32 v13, 0x3fb8aa3b, v11
	v_cmp_ngt_f32_e32 vcc_lo, 0xc2ce8ed0, v11
	v_fma_f32 v14, 0x3fb8aa3b, v11, -v13
	v_rndne_f32_e32 v15, v13
	v_fmamk_f32 v14, v11, 0x32a5705f, v14
	v_sub_f32_e32 v13, v13, v15
	v_add_f32_e32 v13, v13, v14
	v_cvt_i32_f32_e32 v14, v15
	v_exp_f32_e32 v13, v13
	v_ldexp_f32 v13, v13, v14
	v_cndmask_b32_e32 v13, 0, v13, vcc_lo
	v_cmp_nlt_f32_e32 vcc_lo, 0x42b17218, v11
	v_cndmask_b32_e32 v11, 0x7f800000, v13, vcc_lo
	v_add_f32_e32 v15, 1.0, v11
	v_cvt_f64_f32_e32 v[13:14], v15
	v_frexp_exp_i32_f64_e32 v13, v[13:14]
	v_frexp_mant_f32_e32 v14, v15
	v_cmp_gt_f32_e32 vcc_lo, 0x3f2aaaab, v14
	v_add_f32_e32 v14, -1.0, v15
	v_sub_f32_e32 v25, v14, v15
	v_sub_f32_e32 v14, v11, v14
	v_add_f32_e32 v25, 1.0, v25
	v_add_f32_e32 v14, v14, v25
	v_subrev_co_ci_u32_e64 v13, null, 0, v13, vcc_lo
	v_cmp_neq_f32_e32 vcc_lo, 0x7f800000, v11
	v_sub_nc_u32_e32 v17, 0, v13
	v_cvt_f32_i32_e32 v13, v13
	v_ldexp_f32 v15, v15, v17
	v_ldexp_f32 v14, v14, v17
	v_add_f32_e32 v26, 1.0, v15
	v_add_f32_e32 v17, -1.0, v15
	v_add_f32_e32 v25, -1.0, v26
	v_add_f32_e32 v27, 1.0, v17
	v_sub_f32_e32 v25, v15, v25
	v_sub_f32_e32 v15, v15, v27
	v_add_f32_e32 v25, v14, v25
	v_add_f32_e32 v14, v14, v15
	;; [unrolled: 1-line block ×4, first 2 shown]
	v_rcp_f32_e32 v15, v27
	v_sub_f32_e32 v26, v26, v27
	v_sub_f32_e32 v17, v17, v28
	v_add_f32_e32 v25, v25, v26
	v_add_f32_e32 v14, v14, v17
	v_mul_f32_e32 v30, v28, v15
	v_mul_f32_e32 v31, v27, v30
	v_fma_f32 v26, v30, v27, -v31
	v_fmac_f32_e32 v26, v30, v25
	v_add_f32_e32 v32, v31, v26
	v_sub_f32_e32 v33, v28, v32
	v_sub_f32_e32 v17, v32, v31
	;; [unrolled: 1-line block ×5, first 2 shown]
	v_add_f32_e32 v14, v14, v28
	v_add_f32_e32 v14, v17, v14
	;; [unrolled: 1-line block ×3, first 2 shown]
	v_mul_f32_e32 v26, v15, v17
	v_sub_f32_e32 v32, v33, v17
	v_mul_f32_e32 v28, v27, v26
	v_add_f32_e32 v14, v14, v32
	v_fma_f32 v27, v26, v27, -v28
	v_fmac_f32_e32 v27, v26, v25
	v_add_f32_e32 v25, v28, v27
	v_sub_f32_e32 v31, v17, v25
	v_sub_f32_e32 v28, v25, v28
	;; [unrolled: 1-line block ×5, first 2 shown]
	v_add_f32_e32 v14, v14, v17
	v_add_f32_e32 v17, v30, v26
	;; [unrolled: 1-line block ×3, first 2 shown]
	v_sub_f32_e32 v25, v17, v30
	v_add_f32_e32 v14, v31, v14
	v_sub_f32_e32 v25, v26, v25
	v_mul_f32_e32 v14, v15, v14
	v_add_f32_e32 v14, v25, v14
	v_add_f32_e32 v15, v17, v14
	v_mul_f32_e32 v25, v15, v15
	v_fmaak_f32 v26, s5, v25, 0x3ecc95a3
	v_mul_f32_e32 v27, v15, v25
	v_fmaak_f32 v25, v25, v26, 0x3f2aaada
	v_ldexp_f32 v26, v15, 1
	v_sub_f32_e32 v15, v15, v17
	v_mul_f32_e32 v25, v27, v25
	v_mul_f32_e32 v27, 0x3f317218, v13
	v_sub_f32_e32 v14, v14, v15
	v_add_f32_e32 v17, v26, v25
	v_ldexp_f32 v14, v14, 1
	v_sub_f32_e32 v15, v17, v26
	v_fma_f32 v26, 0x3f317218, v13, -v27
	v_sub_f32_e32 v15, v25, v15
	v_fmamk_f32 v13, v13, 0xb102e308, v26
	v_add_f32_e32 v14, v14, v15
	v_add_f32_e32 v15, v27, v13
	;; [unrolled: 1-line block ×3, first 2 shown]
	v_sub_f32_e32 v27, v15, v27
	v_add_f32_e32 v26, v15, v25
	v_sub_f32_e32 v17, v25, v17
	v_sub_f32_e32 v13, v13, v27
	;; [unrolled: 1-line block ×6, first 2 shown]
	v_add_f32_e32 v25, v13, v14
	v_sub_f32_e32 v15, v15, v30
	v_add_f32_e32 v15, v17, v15
	v_sub_f32_e32 v17, v25, v13
	;; [unrolled: 2-line block ×3, first 2 shown]
	v_sub_f32_e32 v14, v14, v17
	v_add_f32_e32 v27, v26, v15
	v_sub_f32_e32 v13, v13, v25
	v_sub_f32_e32 v17, v27, v26
	v_add_f32_e32 v13, v14, v13
	v_sub_f32_e32 v14, v15, v17
	v_add_f32_e32 v13, v13, v14
	v_add_f32_e32 v13, v27, v13
	v_cndmask_b32_e32 v13, 0x7f800000, v13, vcc_lo
	v_cmp_gt_f32_e64 vcc_lo, 0x33800000, |v11|
	v_cndmask_b32_e32 v11, v13, v11, vcc_lo
	v_add_f32_e32 v13, v3, v11
.LBB501_88:
	s_or_b32 exec_lo, exec_lo, s4
	v_bfe_u32 v3, v13, 16, 1
	v_cmp_o_f32_e32 vcc_lo, v13, v13
	v_mov_b32_e32 v11, 0x7fc0
	v_add3_u32 v3, v13, v3, 0x7fff
	v_cndmask_b32_sdwa v3, v11, v3, vcc_lo dst_sel:DWORD dst_unused:UNUSED_PAD src0_sel:DWORD src1_sel:WORD_1
	v_lshlrev_b32_e32 v13, 16, v3
	v_max_f32_e32 v14, v13, v13
	v_cmp_u_f32_e32 vcc_lo, v13, v13
	v_min_f32_e32 v15, v14, v18
	v_max_f32_e32 v14, v14, v18
	v_cndmask_b32_e32 v15, v15, v13, vcc_lo
	v_cndmask_b32_e32 v17, v14, v13, vcc_lo
	v_cndmask_b32_e64 v14, v15, v12, s19
	v_cndmask_b32_e64 v12, v17, v12, s19
	v_cmp_class_f32_e64 s4, v14, 0x1f8
	v_cmp_neq_f32_e32 vcc_lo, v14, v12
	s_or_b32 s5, vcc_lo, s4
	s_and_saveexec_b32 s4, s5
	s_cbranch_execz .LBB501_90
; %bb.89:
	v_sub_f32_e32 v13, v14, v12
	s_mov_b32 s5, 0x3e9b6dac
	v_mul_f32_e32 v14, 0x3fb8aa3b, v13
	v_cmp_ngt_f32_e32 vcc_lo, 0xc2ce8ed0, v13
	v_fma_f32 v15, 0x3fb8aa3b, v13, -v14
	v_rndne_f32_e32 v17, v14
	v_fmamk_f32 v15, v13, 0x32a5705f, v15
	v_sub_f32_e32 v14, v14, v17
	v_add_f32_e32 v14, v14, v15
	v_cvt_i32_f32_e32 v15, v17
	v_exp_f32_e32 v14, v14
	v_ldexp_f32 v14, v14, v15
	v_cndmask_b32_e32 v14, 0, v14, vcc_lo
	v_cmp_nlt_f32_e32 vcc_lo, 0x42b17218, v13
	v_cndmask_b32_e32 v15, 0x7f800000, v14, vcc_lo
	v_add_f32_e32 v17, 1.0, v15
	v_cvt_f64_f32_e32 v[13:14], v17
	v_frexp_exp_i32_f64_e32 v13, v[13:14]
	v_frexp_mant_f32_e32 v14, v17
	v_cmp_gt_f32_e32 vcc_lo, 0x3f2aaaab, v14
	v_add_f32_e32 v14, -1.0, v17
	v_sub_f32_e32 v25, v14, v17
	v_sub_f32_e32 v14, v15, v14
	v_add_f32_e32 v25, 1.0, v25
	v_add_f32_e32 v14, v14, v25
	v_subrev_co_ci_u32_e64 v13, null, 0, v13, vcc_lo
	v_cmp_neq_f32_e32 vcc_lo, 0x7f800000, v15
	v_sub_nc_u32_e32 v18, 0, v13
	v_cvt_f32_i32_e32 v13, v13
	v_ldexp_f32 v17, v17, v18
	v_ldexp_f32 v14, v14, v18
	v_add_f32_e32 v26, 1.0, v17
	v_add_f32_e32 v18, -1.0, v17
	v_add_f32_e32 v25, -1.0, v26
	v_add_f32_e32 v27, 1.0, v18
	v_sub_f32_e32 v25, v17, v25
	v_sub_f32_e32 v17, v17, v27
	v_add_f32_e32 v25, v14, v25
	v_add_f32_e32 v14, v14, v17
	;; [unrolled: 1-line block ×4, first 2 shown]
	v_rcp_f32_e32 v17, v27
	v_sub_f32_e32 v26, v26, v27
	v_sub_f32_e32 v18, v18, v28
	v_add_f32_e32 v25, v25, v26
	v_add_f32_e32 v14, v14, v18
	v_mul_f32_e32 v30, v28, v17
	v_mul_f32_e32 v31, v27, v30
	v_fma_f32 v26, v30, v27, -v31
	v_fmac_f32_e32 v26, v30, v25
	v_add_f32_e32 v32, v31, v26
	v_sub_f32_e32 v33, v28, v32
	v_sub_f32_e32 v18, v32, v31
	;; [unrolled: 1-line block ×5, first 2 shown]
	v_add_f32_e32 v14, v14, v28
	v_add_f32_e32 v14, v18, v14
	;; [unrolled: 1-line block ×3, first 2 shown]
	v_mul_f32_e32 v26, v17, v18
	v_sub_f32_e32 v32, v33, v18
	v_mul_f32_e32 v28, v27, v26
	v_add_f32_e32 v14, v14, v32
	v_fma_f32 v27, v26, v27, -v28
	v_fmac_f32_e32 v27, v26, v25
	v_add_f32_e32 v25, v28, v27
	v_sub_f32_e32 v31, v18, v25
	v_sub_f32_e32 v28, v25, v28
	;; [unrolled: 1-line block ×5, first 2 shown]
	v_add_f32_e32 v14, v14, v18
	v_add_f32_e32 v18, v30, v26
	v_add_f32_e32 v14, v25, v14
	v_sub_f32_e32 v25, v18, v30
	v_add_f32_e32 v14, v31, v14
	v_sub_f32_e32 v25, v26, v25
	v_mul_f32_e32 v14, v17, v14
	v_add_f32_e32 v14, v25, v14
	v_add_f32_e32 v17, v18, v14
	v_mul_f32_e32 v25, v17, v17
	v_fmaak_f32 v26, s5, v25, 0x3ecc95a3
	v_mul_f32_e32 v27, v17, v25
	v_fmaak_f32 v25, v25, v26, 0x3f2aaada
	v_ldexp_f32 v26, v17, 1
	v_sub_f32_e32 v17, v17, v18
	v_mul_f32_e32 v25, v27, v25
	v_mul_f32_e32 v27, 0x3f317218, v13
	v_sub_f32_e32 v14, v14, v17
	v_add_f32_e32 v18, v26, v25
	v_ldexp_f32 v14, v14, 1
	v_sub_f32_e32 v17, v18, v26
	v_fma_f32 v26, 0x3f317218, v13, -v27
	v_sub_f32_e32 v17, v25, v17
	v_fmamk_f32 v13, v13, 0xb102e308, v26
	v_add_f32_e32 v14, v14, v17
	v_add_f32_e32 v17, v27, v13
	;; [unrolled: 1-line block ×3, first 2 shown]
	v_sub_f32_e32 v27, v17, v27
	v_add_f32_e32 v26, v17, v25
	v_sub_f32_e32 v18, v25, v18
	v_sub_f32_e32 v13, v13, v27
	;; [unrolled: 1-line block ×6, first 2 shown]
	v_add_f32_e32 v25, v13, v14
	v_sub_f32_e32 v17, v17, v30
	v_add_f32_e32 v17, v18, v17
	v_sub_f32_e32 v18, v25, v13
	;; [unrolled: 2-line block ×3, first 2 shown]
	v_sub_f32_e32 v14, v14, v18
	v_add_f32_e32 v27, v26, v17
	v_sub_f32_e32 v13, v13, v25
	v_sub_f32_e32 v18, v27, v26
	v_add_f32_e32 v13, v14, v13
	v_sub_f32_e32 v14, v17, v18
	v_add_f32_e32 v13, v13, v14
	v_add_f32_e32 v13, v27, v13
	v_cndmask_b32_e32 v13, 0x7f800000, v13, vcc_lo
	v_cmp_gt_f32_e64 vcc_lo, 0x33800000, |v15|
	v_cndmask_b32_e32 v13, v13, v15, vcc_lo
	v_add_f32_e32 v13, v12, v13
.LBB501_90:
	s_or_b32 exec_lo, exec_lo, s4
	v_bfe_u32 v12, v13, 16, 1
	v_cmp_o_f32_e32 vcc_lo, v13, v13
	v_add3_u32 v12, v13, v12, 0x7fff
	v_cndmask_b32_sdwa v11, v11, v12, vcc_lo dst_sel:DWORD dst_unused:UNUSED_PAD src0_sel:DWORD src1_sel:WORD_1
	v_lshlrev_b32_e32 v13, 16, v11
	v_max_f32_e32 v12, v13, v13
	v_cmp_u_f32_e32 vcc_lo, v13, v13
	v_min_f32_e32 v14, v12, v20
	v_max_f32_e32 v12, v12, v20
	v_cndmask_b32_e32 v14, v14, v13, vcc_lo
	v_cndmask_b32_e32 v15, v12, v13, vcc_lo
	v_cndmask_b32_e64 v12, v14, v4, s20
	v_cndmask_b32_e64 v4, v15, v4, s20
	v_cmp_class_f32_e64 s4, v12, 0x1f8
	v_cmp_neq_f32_e32 vcc_lo, v12, v4
	s_or_b32 s5, vcc_lo, s4
	s_and_saveexec_b32 s4, s5
	s_cbranch_execz .LBB501_92
; %bb.91:
	v_sub_f32_e32 v12, v12, v4
	s_mov_b32 s5, 0x3e9b6dac
	v_mul_f32_e32 v13, 0x3fb8aa3b, v12
	v_cmp_ngt_f32_e32 vcc_lo, 0xc2ce8ed0, v12
	v_fma_f32 v14, 0x3fb8aa3b, v12, -v13
	v_rndne_f32_e32 v15, v13
	v_fmamk_f32 v14, v12, 0x32a5705f, v14
	v_sub_f32_e32 v13, v13, v15
	v_add_f32_e32 v13, v13, v14
	v_cvt_i32_f32_e32 v14, v15
	v_exp_f32_e32 v13, v13
	v_ldexp_f32 v13, v13, v14
	v_cndmask_b32_e32 v13, 0, v13, vcc_lo
	v_cmp_nlt_f32_e32 vcc_lo, 0x42b17218, v12
	v_cndmask_b32_e32 v14, 0x7f800000, v13, vcc_lo
	v_add_f32_e32 v15, 1.0, v14
	v_cvt_f64_f32_e32 v[12:13], v15
	v_frexp_exp_i32_f64_e32 v12, v[12:13]
	v_frexp_mant_f32_e32 v13, v15
	v_cmp_gt_f32_e32 vcc_lo, 0x3f2aaaab, v13
	v_add_f32_e32 v13, -1.0, v15
	v_sub_f32_e32 v18, v13, v15
	v_sub_f32_e32 v13, v14, v13
	v_add_f32_e32 v18, 1.0, v18
	v_add_f32_e32 v13, v13, v18
	v_subrev_co_ci_u32_e64 v12, null, 0, v12, vcc_lo
	v_cmp_neq_f32_e32 vcc_lo, 0x7f800000, v14
	v_sub_nc_u32_e32 v17, 0, v12
	v_cvt_f32_i32_e32 v12, v12
	v_ldexp_f32 v15, v15, v17
	v_ldexp_f32 v13, v13, v17
	v_add_f32_e32 v20, 1.0, v15
	v_add_f32_e32 v17, -1.0, v15
	v_add_f32_e32 v18, -1.0, v20
	v_add_f32_e32 v25, 1.0, v17
	v_sub_f32_e32 v18, v15, v18
	v_sub_f32_e32 v15, v15, v25
	v_add_f32_e32 v18, v13, v18
	v_add_f32_e32 v13, v13, v15
	;; [unrolled: 1-line block ×4, first 2 shown]
	v_rcp_f32_e32 v15, v25
	v_sub_f32_e32 v20, v20, v25
	v_sub_f32_e32 v17, v17, v26
	v_add_f32_e32 v18, v18, v20
	v_add_f32_e32 v13, v13, v17
	v_mul_f32_e32 v27, v26, v15
	v_mul_f32_e32 v28, v25, v27
	v_fma_f32 v20, v27, v25, -v28
	v_fmac_f32_e32 v20, v27, v18
	v_add_f32_e32 v30, v28, v20
	v_sub_f32_e32 v31, v26, v30
	v_sub_f32_e32 v17, v30, v28
	;; [unrolled: 1-line block ×5, first 2 shown]
	v_add_f32_e32 v13, v13, v26
	v_add_f32_e32 v13, v17, v13
	;; [unrolled: 1-line block ×3, first 2 shown]
	v_mul_f32_e32 v20, v15, v17
	v_sub_f32_e32 v30, v31, v17
	v_mul_f32_e32 v26, v25, v20
	v_add_f32_e32 v13, v13, v30
	v_fma_f32 v25, v20, v25, -v26
	v_fmac_f32_e32 v25, v20, v18
	v_add_f32_e32 v18, v26, v25
	v_sub_f32_e32 v28, v17, v18
	v_sub_f32_e32 v26, v18, v26
	;; [unrolled: 1-line block ×5, first 2 shown]
	v_add_f32_e32 v13, v13, v17
	v_add_f32_e32 v17, v27, v20
	;; [unrolled: 1-line block ×3, first 2 shown]
	v_sub_f32_e32 v18, v17, v27
	v_add_f32_e32 v13, v28, v13
	v_sub_f32_e32 v18, v20, v18
	v_mul_f32_e32 v13, v15, v13
	v_add_f32_e32 v13, v18, v13
	v_add_f32_e32 v15, v17, v13
	v_mul_f32_e32 v18, v15, v15
	v_fmaak_f32 v20, s5, v18, 0x3ecc95a3
	v_mul_f32_e32 v25, v15, v18
	v_fmaak_f32 v18, v18, v20, 0x3f2aaada
	v_ldexp_f32 v20, v15, 1
	v_sub_f32_e32 v15, v15, v17
	v_mul_f32_e32 v18, v25, v18
	v_mul_f32_e32 v25, 0x3f317218, v12
	v_sub_f32_e32 v13, v13, v15
	v_add_f32_e32 v17, v20, v18
	v_ldexp_f32 v13, v13, 1
	v_sub_f32_e32 v15, v17, v20
	v_fma_f32 v20, 0x3f317218, v12, -v25
	v_sub_f32_e32 v15, v18, v15
	v_fmamk_f32 v12, v12, 0xb102e308, v20
	v_add_f32_e32 v13, v13, v15
	v_add_f32_e32 v15, v25, v12
	;; [unrolled: 1-line block ×3, first 2 shown]
	v_sub_f32_e32 v25, v15, v25
	v_add_f32_e32 v20, v15, v18
	v_sub_f32_e32 v17, v18, v17
	v_sub_f32_e32 v12, v12, v25
	v_sub_f32_e32 v26, v20, v15
	v_sub_f32_e32 v13, v13, v17
	v_sub_f32_e32 v27, v20, v26
	v_sub_f32_e32 v17, v18, v26
	v_add_f32_e32 v18, v12, v13
	v_sub_f32_e32 v15, v15, v27
	v_add_f32_e32 v15, v17, v15
	v_sub_f32_e32 v17, v18, v12
	;; [unrolled: 2-line block ×3, first 2 shown]
	v_sub_f32_e32 v13, v13, v17
	v_add_f32_e32 v25, v20, v15
	v_sub_f32_e32 v12, v12, v18
	v_sub_f32_e32 v17, v25, v20
	v_add_f32_e32 v12, v13, v12
	v_sub_f32_e32 v13, v15, v17
	v_add_f32_e32 v12, v12, v13
	v_add_f32_e32 v12, v25, v12
	v_cndmask_b32_e32 v12, 0x7f800000, v12, vcc_lo
	v_cmp_gt_f32_e64 vcc_lo, 0x33800000, |v14|
	v_cndmask_b32_e32 v12, v12, v14, vcc_lo
	v_add_f32_e32 v13, v4, v12
.LBB501_92:
	s_or_b32 exec_lo, exec_lo, s4
	v_bfe_u32 v4, v13, 16, 1
	v_cmp_o_f32_e32 vcc_lo, v13, v13
	v_mov_b32_e32 v12, 0x7fc0
	v_add3_u32 v4, v13, v4, 0x7fff
	v_cndmask_b32_sdwa v4, v12, v4, vcc_lo dst_sel:DWORD dst_unused:UNUSED_PAD src0_sel:DWORD src1_sel:WORD_1
	v_lshlrev_b32_e32 v14, 16, v4
	v_max_f32_e32 v13, v14, v14
	v_cmp_u_f32_e32 vcc_lo, v14, v14
	v_min_f32_e32 v15, v13, v21
	v_max_f32_e32 v13, v13, v21
	v_cndmask_b32_e32 v15, v15, v14, vcc_lo
	v_cndmask_b32_e32 v13, v13, v14, vcc_lo
	v_cndmask_b32_e64 v15, v15, v16, s21
	v_cndmask_b32_e64 v13, v13, v16, s21
	v_cmp_class_f32_e64 s4, v15, 0x1f8
	v_cmp_neq_f32_e32 vcc_lo, v15, v13
	s_or_b32 s5, vcc_lo, s4
	s_and_saveexec_b32 s4, s5
	s_cbranch_execz .LBB501_94
; %bb.93:
	v_sub_f32_e32 v14, v15, v13
	s_mov_b32 s5, 0x3e9b6dac
	v_mul_f32_e32 v15, 0x3fb8aa3b, v14
	v_cmp_ngt_f32_e32 vcc_lo, 0xc2ce8ed0, v14
	v_fma_f32 v16, 0x3fb8aa3b, v14, -v15
	v_rndne_f32_e32 v17, v15
	v_fmamk_f32 v16, v14, 0x32a5705f, v16
	v_sub_f32_e32 v15, v15, v17
	v_add_f32_e32 v15, v15, v16
	v_cvt_i32_f32_e32 v16, v17
	v_exp_f32_e32 v15, v15
	v_ldexp_f32 v15, v15, v16
	v_cndmask_b32_e32 v15, 0, v15, vcc_lo
	v_cmp_nlt_f32_e32 vcc_lo, 0x42b17218, v14
	v_cndmask_b32_e32 v16, 0x7f800000, v15, vcc_lo
	v_add_f32_e32 v17, 1.0, v16
	v_cvt_f64_f32_e32 v[14:15], v17
	v_frexp_exp_i32_f64_e32 v14, v[14:15]
	v_frexp_mant_f32_e32 v15, v17
	v_cmp_gt_f32_e32 vcc_lo, 0x3f2aaaab, v15
	v_add_f32_e32 v15, -1.0, v17
	v_sub_f32_e32 v20, v15, v17
	v_sub_f32_e32 v15, v16, v15
	v_add_f32_e32 v20, 1.0, v20
	v_add_f32_e32 v15, v15, v20
	v_subrev_co_ci_u32_e64 v14, null, 0, v14, vcc_lo
	v_cmp_neq_f32_e32 vcc_lo, 0x7f800000, v16
	v_sub_nc_u32_e32 v18, 0, v14
	v_cvt_f32_i32_e32 v14, v14
	v_ldexp_f32 v17, v17, v18
	v_ldexp_f32 v15, v15, v18
	v_add_f32_e32 v21, 1.0, v17
	v_add_f32_e32 v18, -1.0, v17
	v_add_f32_e32 v20, -1.0, v21
	v_add_f32_e32 v25, 1.0, v18
	v_sub_f32_e32 v20, v17, v20
	v_sub_f32_e32 v17, v17, v25
	v_add_f32_e32 v20, v15, v20
	v_add_f32_e32 v15, v15, v17
	v_add_f32_e32 v25, v21, v20
	v_add_f32_e32 v26, v18, v15
	v_rcp_f32_e32 v17, v25
	v_sub_f32_e32 v21, v21, v25
	v_sub_f32_e32 v18, v18, v26
	v_add_f32_e32 v20, v20, v21
	v_add_f32_e32 v15, v15, v18
	v_mul_f32_e32 v27, v26, v17
	v_mul_f32_e32 v28, v25, v27
	v_fma_f32 v21, v27, v25, -v28
	v_fmac_f32_e32 v21, v27, v20
	v_add_f32_e32 v30, v28, v21
	v_sub_f32_e32 v31, v26, v30
	v_sub_f32_e32 v18, v30, v28
	v_sub_f32_e32 v26, v26, v31
	v_sub_f32_e32 v18, v18, v21
	v_sub_f32_e32 v26, v26, v30
	v_add_f32_e32 v15, v15, v26
	v_add_f32_e32 v15, v18, v15
	;; [unrolled: 1-line block ×3, first 2 shown]
	v_mul_f32_e32 v21, v17, v18
	v_sub_f32_e32 v30, v31, v18
	v_mul_f32_e32 v26, v25, v21
	v_add_f32_e32 v15, v15, v30
	v_fma_f32 v25, v21, v25, -v26
	v_fmac_f32_e32 v25, v21, v20
	v_add_f32_e32 v20, v26, v25
	v_sub_f32_e32 v28, v18, v20
	v_sub_f32_e32 v26, v20, v26
	;; [unrolled: 1-line block ×5, first 2 shown]
	v_add_f32_e32 v15, v15, v18
	v_add_f32_e32 v18, v27, v21
	;; [unrolled: 1-line block ×3, first 2 shown]
	v_sub_f32_e32 v20, v18, v27
	v_add_f32_e32 v15, v28, v15
	v_sub_f32_e32 v20, v21, v20
	v_mul_f32_e32 v15, v17, v15
	v_add_f32_e32 v15, v20, v15
	v_add_f32_e32 v17, v18, v15
	v_mul_f32_e32 v20, v17, v17
	v_fmaak_f32 v21, s5, v20, 0x3ecc95a3
	v_mul_f32_e32 v25, v17, v20
	v_fmaak_f32 v20, v20, v21, 0x3f2aaada
	v_ldexp_f32 v21, v17, 1
	v_sub_f32_e32 v17, v17, v18
	v_mul_f32_e32 v20, v25, v20
	v_mul_f32_e32 v25, 0x3f317218, v14
	v_sub_f32_e32 v15, v15, v17
	v_add_f32_e32 v18, v21, v20
	v_ldexp_f32 v15, v15, 1
	v_sub_f32_e32 v17, v18, v21
	v_fma_f32 v21, 0x3f317218, v14, -v25
	v_sub_f32_e32 v17, v20, v17
	v_fmamk_f32 v14, v14, 0xb102e308, v21
	v_add_f32_e32 v15, v15, v17
	v_add_f32_e32 v17, v25, v14
	;; [unrolled: 1-line block ×3, first 2 shown]
	v_sub_f32_e32 v25, v17, v25
	v_add_f32_e32 v21, v17, v20
	v_sub_f32_e32 v18, v20, v18
	v_sub_f32_e32 v14, v14, v25
	;; [unrolled: 1-line block ×6, first 2 shown]
	v_add_f32_e32 v20, v14, v15
	v_sub_f32_e32 v17, v17, v27
	v_add_f32_e32 v17, v18, v17
	v_sub_f32_e32 v18, v20, v14
	;; [unrolled: 2-line block ×3, first 2 shown]
	v_sub_f32_e32 v15, v15, v18
	v_add_f32_e32 v25, v21, v17
	v_sub_f32_e32 v14, v14, v20
	v_sub_f32_e32 v18, v25, v21
	v_add_f32_e32 v14, v15, v14
	v_sub_f32_e32 v15, v17, v18
	v_add_f32_e32 v14, v14, v15
	v_add_f32_e32 v14, v25, v14
	v_cndmask_b32_e32 v14, 0x7f800000, v14, vcc_lo
	v_cmp_gt_f32_e64 vcc_lo, 0x33800000, |v16|
	v_cndmask_b32_e32 v14, v14, v16, vcc_lo
	v_add_f32_e32 v14, v13, v14
.LBB501_94:
	s_or_b32 exec_lo, exec_lo, s4
	v_bfe_u32 v13, v14, 16, 1
	v_cmp_o_f32_e32 vcc_lo, v14, v14
	v_add3_u32 v13, v14, v13, 0x7fff
	v_cndmask_b32_sdwa v12, v12, v13, vcc_lo dst_sel:DWORD dst_unused:UNUSED_PAD src0_sel:DWORD src1_sel:WORD_1
	v_lshlrev_b32_e32 v14, 16, v12
	v_max_f32_e32 v13, v14, v14
	v_cmp_u_f32_e32 vcc_lo, v14, v14
	v_min_f32_e32 v15, v13, v22
	v_max_f32_e32 v13, v13, v22
	v_cndmask_b32_e32 v15, v15, v14, vcc_lo
	v_cndmask_b32_e32 v16, v13, v14, vcc_lo
	v_cndmask_b32_e64 v13, v15, v5, s22
	v_cndmask_b32_e64 v5, v16, v5, s22
	v_cmp_class_f32_e64 s4, v13, 0x1f8
	v_cmp_neq_f32_e32 vcc_lo, v13, v5
	s_or_b32 s5, vcc_lo, s4
	s_and_saveexec_b32 s4, s5
	s_cbranch_execz .LBB501_96
; %bb.95:
	v_sub_f32_e32 v13, v13, v5
	s_mov_b32 s5, 0x3e9b6dac
	v_mul_f32_e32 v14, 0x3fb8aa3b, v13
	v_cmp_ngt_f32_e32 vcc_lo, 0xc2ce8ed0, v13
	v_fma_f32 v15, 0x3fb8aa3b, v13, -v14
	v_rndne_f32_e32 v16, v14
	v_fmamk_f32 v15, v13, 0x32a5705f, v15
	v_sub_f32_e32 v14, v14, v16
	v_add_f32_e32 v14, v14, v15
	v_cvt_i32_f32_e32 v15, v16
	v_exp_f32_e32 v14, v14
	v_ldexp_f32 v14, v14, v15
	v_cndmask_b32_e32 v14, 0, v14, vcc_lo
	v_cmp_nlt_f32_e32 vcc_lo, 0x42b17218, v13
	v_cndmask_b32_e32 v15, 0x7f800000, v14, vcc_lo
	v_add_f32_e32 v16, 1.0, v15
	v_cvt_f64_f32_e32 v[13:14], v16
	v_frexp_exp_i32_f64_e32 v13, v[13:14]
	v_frexp_mant_f32_e32 v14, v16
	v_cmp_gt_f32_e32 vcc_lo, 0x3f2aaaab, v14
	v_add_f32_e32 v14, -1.0, v16
	v_sub_f32_e32 v18, v14, v16
	v_sub_f32_e32 v14, v15, v14
	v_add_f32_e32 v18, 1.0, v18
	v_add_f32_e32 v14, v14, v18
	v_subrev_co_ci_u32_e64 v13, null, 0, v13, vcc_lo
	v_cmp_neq_f32_e32 vcc_lo, 0x7f800000, v15
	v_sub_nc_u32_e32 v17, 0, v13
	v_cvt_f32_i32_e32 v13, v13
	v_ldexp_f32 v16, v16, v17
	v_ldexp_f32 v14, v14, v17
	v_add_f32_e32 v20, 1.0, v16
	v_add_f32_e32 v17, -1.0, v16
	v_add_f32_e32 v18, -1.0, v20
	v_add_f32_e32 v21, 1.0, v17
	v_sub_f32_e32 v18, v16, v18
	v_sub_f32_e32 v16, v16, v21
	v_add_f32_e32 v18, v14, v18
	v_add_f32_e32 v14, v14, v16
	;; [unrolled: 1-line block ×4, first 2 shown]
	v_rcp_f32_e32 v16, v21
	v_sub_f32_e32 v20, v20, v21
	v_sub_f32_e32 v17, v17, v22
	v_add_f32_e32 v18, v18, v20
	v_add_f32_e32 v14, v14, v17
	v_mul_f32_e32 v25, v22, v16
	v_mul_f32_e32 v26, v21, v25
	v_fma_f32 v20, v25, v21, -v26
	v_fmac_f32_e32 v20, v25, v18
	v_add_f32_e32 v27, v26, v20
	v_sub_f32_e32 v28, v22, v27
	v_sub_f32_e32 v17, v27, v26
	;; [unrolled: 1-line block ×5, first 2 shown]
	v_add_f32_e32 v14, v14, v22
	v_add_f32_e32 v14, v17, v14
	;; [unrolled: 1-line block ×3, first 2 shown]
	v_mul_f32_e32 v20, v16, v17
	v_sub_f32_e32 v27, v28, v17
	v_mul_f32_e32 v22, v21, v20
	v_add_f32_e32 v14, v14, v27
	v_fma_f32 v21, v20, v21, -v22
	v_fmac_f32_e32 v21, v20, v18
	v_add_f32_e32 v18, v22, v21
	v_sub_f32_e32 v26, v17, v18
	v_sub_f32_e32 v22, v18, v22
	;; [unrolled: 1-line block ×5, first 2 shown]
	v_add_f32_e32 v14, v14, v17
	v_add_f32_e32 v17, v25, v20
	;; [unrolled: 1-line block ×3, first 2 shown]
	v_sub_f32_e32 v18, v17, v25
	v_add_f32_e32 v14, v26, v14
	v_sub_f32_e32 v18, v20, v18
	v_mul_f32_e32 v14, v16, v14
	v_add_f32_e32 v14, v18, v14
	v_add_f32_e32 v16, v17, v14
	v_mul_f32_e32 v18, v16, v16
	v_fmaak_f32 v20, s5, v18, 0x3ecc95a3
	v_mul_f32_e32 v21, v16, v18
	v_fmaak_f32 v18, v18, v20, 0x3f2aaada
	v_ldexp_f32 v20, v16, 1
	v_sub_f32_e32 v16, v16, v17
	v_mul_f32_e32 v18, v21, v18
	v_mul_f32_e32 v21, 0x3f317218, v13
	v_sub_f32_e32 v14, v14, v16
	v_add_f32_e32 v17, v20, v18
	v_ldexp_f32 v14, v14, 1
	v_sub_f32_e32 v16, v17, v20
	v_fma_f32 v20, 0x3f317218, v13, -v21
	v_sub_f32_e32 v16, v18, v16
	v_fmamk_f32 v13, v13, 0xb102e308, v20
	v_add_f32_e32 v14, v14, v16
	v_add_f32_e32 v16, v21, v13
	;; [unrolled: 1-line block ×3, first 2 shown]
	v_sub_f32_e32 v21, v16, v21
	v_add_f32_e32 v20, v16, v18
	v_sub_f32_e32 v17, v18, v17
	v_sub_f32_e32 v13, v13, v21
	;; [unrolled: 1-line block ×6, first 2 shown]
	v_add_f32_e32 v18, v13, v14
	v_sub_f32_e32 v16, v16, v25
	v_add_f32_e32 v16, v17, v16
	v_sub_f32_e32 v17, v18, v13
	;; [unrolled: 2-line block ×3, first 2 shown]
	v_sub_f32_e32 v14, v14, v17
	v_add_f32_e32 v21, v20, v16
	v_sub_f32_e32 v13, v13, v18
	v_sub_f32_e32 v17, v21, v20
	v_add_f32_e32 v13, v14, v13
	v_sub_f32_e32 v14, v16, v17
	v_add_f32_e32 v13, v13, v14
	v_add_f32_e32 v13, v21, v13
	v_cndmask_b32_e32 v13, 0x7f800000, v13, vcc_lo
	v_cmp_gt_f32_e64 vcc_lo, 0x33800000, |v15|
	v_cndmask_b32_e32 v13, v13, v15, vcc_lo
	v_add_f32_e32 v14, v5, v13
.LBB501_96:
	s_or_b32 exec_lo, exec_lo, s4
	v_bfe_u32 v5, v14, 16, 1
	v_cmp_o_f32_e32 vcc_lo, v14, v14
	v_mov_b32_e32 v13, 0x7fc0
	v_add3_u32 v5, v14, v5, 0x7fff
	v_cndmask_b32_sdwa v5, v13, v5, vcc_lo dst_sel:DWORD dst_unused:UNUSED_PAD src0_sel:DWORD src1_sel:WORD_1
	v_lshlrev_b32_e32 v15, 16, v5
	v_max_f32_e32 v14, v15, v15
	v_cmp_u_f32_e32 vcc_lo, v15, v15
	v_min_f32_e32 v16, v14, v23
	v_max_f32_e32 v14, v14, v23
	v_cndmask_b32_e32 v16, v16, v15, vcc_lo
	v_cndmask_b32_e32 v14, v14, v15, vcc_lo
	v_cndmask_b32_e64 v16, v16, v19, s23
	v_cndmask_b32_e64 v14, v14, v19, s23
	v_cmp_class_f32_e64 s4, v16, 0x1f8
	v_cmp_neq_f32_e32 vcc_lo, v16, v14
	s_or_b32 s5, vcc_lo, s4
	s_and_saveexec_b32 s4, s5
	s_cbranch_execz .LBB501_98
; %bb.97:
	v_sub_f32_e32 v15, v16, v14
	s_mov_b32 s5, 0x3e9b6dac
	v_mul_f32_e32 v16, 0x3fb8aa3b, v15
	v_cmp_ngt_f32_e32 vcc_lo, 0xc2ce8ed0, v15
	v_fma_f32 v17, 0x3fb8aa3b, v15, -v16
	v_rndne_f32_e32 v18, v16
	v_fmamk_f32 v17, v15, 0x32a5705f, v17
	v_sub_f32_e32 v16, v16, v18
	v_add_f32_e32 v16, v16, v17
	v_cvt_i32_f32_e32 v17, v18
	v_exp_f32_e32 v16, v16
	v_ldexp_f32 v16, v16, v17
	v_cndmask_b32_e32 v16, 0, v16, vcc_lo
	v_cmp_nlt_f32_e32 vcc_lo, 0x42b17218, v15
	v_cndmask_b32_e32 v17, 0x7f800000, v16, vcc_lo
	v_add_f32_e32 v18, 1.0, v17
	v_cvt_f64_f32_e32 v[15:16], v18
	v_frexp_exp_i32_f64_e32 v15, v[15:16]
	v_frexp_mant_f32_e32 v16, v18
	v_cmp_gt_f32_e32 vcc_lo, 0x3f2aaaab, v16
	v_add_f32_e32 v16, -1.0, v18
	v_sub_f32_e32 v20, v16, v18
	v_sub_f32_e32 v16, v17, v16
	v_add_f32_e32 v20, 1.0, v20
	v_add_f32_e32 v16, v16, v20
	v_subrev_co_ci_u32_e64 v15, null, 0, v15, vcc_lo
	v_cmp_neq_f32_e32 vcc_lo, 0x7f800000, v17
	v_sub_nc_u32_e32 v19, 0, v15
	v_cvt_f32_i32_e32 v15, v15
	v_ldexp_f32 v18, v18, v19
	v_ldexp_f32 v16, v16, v19
	v_add_f32_e32 v21, 1.0, v18
	v_add_f32_e32 v19, -1.0, v18
	v_add_f32_e32 v20, -1.0, v21
	v_add_f32_e32 v22, 1.0, v19
	v_sub_f32_e32 v20, v18, v20
	v_sub_f32_e32 v18, v18, v22
	v_add_f32_e32 v20, v16, v20
	v_add_f32_e32 v16, v16, v18
	;; [unrolled: 1-line block ×4, first 2 shown]
	v_rcp_f32_e32 v18, v22
	v_sub_f32_e32 v21, v21, v22
	v_sub_f32_e32 v19, v19, v23
	v_add_f32_e32 v20, v20, v21
	v_add_f32_e32 v16, v16, v19
	v_mul_f32_e32 v25, v23, v18
	v_mul_f32_e32 v26, v22, v25
	v_fma_f32 v21, v25, v22, -v26
	v_fmac_f32_e32 v21, v25, v20
	v_add_f32_e32 v27, v26, v21
	v_sub_f32_e32 v28, v23, v27
	v_sub_f32_e32 v19, v27, v26
	;; [unrolled: 1-line block ×5, first 2 shown]
	v_add_f32_e32 v16, v16, v23
	v_add_f32_e32 v16, v19, v16
	v_add_f32_e32 v19, v28, v16
	v_mul_f32_e32 v21, v18, v19
	v_sub_f32_e32 v27, v28, v19
	v_mul_f32_e32 v23, v22, v21
	v_add_f32_e32 v16, v16, v27
	v_fma_f32 v22, v21, v22, -v23
	v_fmac_f32_e32 v22, v21, v20
	v_add_f32_e32 v20, v23, v22
	v_sub_f32_e32 v26, v19, v20
	v_sub_f32_e32 v23, v20, v23
	;; [unrolled: 1-line block ×5, first 2 shown]
	v_add_f32_e32 v16, v16, v19
	v_add_f32_e32 v19, v25, v21
	;; [unrolled: 1-line block ×3, first 2 shown]
	v_sub_f32_e32 v20, v19, v25
	v_add_f32_e32 v16, v26, v16
	v_sub_f32_e32 v20, v21, v20
	v_mul_f32_e32 v16, v18, v16
	v_add_f32_e32 v16, v20, v16
	v_add_f32_e32 v18, v19, v16
	v_mul_f32_e32 v20, v18, v18
	v_fmaak_f32 v21, s5, v20, 0x3ecc95a3
	v_mul_f32_e32 v22, v18, v20
	v_fmaak_f32 v20, v20, v21, 0x3f2aaada
	v_ldexp_f32 v21, v18, 1
	v_sub_f32_e32 v18, v18, v19
	v_mul_f32_e32 v20, v22, v20
	v_mul_f32_e32 v22, 0x3f317218, v15
	v_sub_f32_e32 v16, v16, v18
	v_add_f32_e32 v19, v21, v20
	v_ldexp_f32 v16, v16, 1
	v_sub_f32_e32 v18, v19, v21
	v_fma_f32 v21, 0x3f317218, v15, -v22
	v_sub_f32_e32 v18, v20, v18
	v_fmamk_f32 v15, v15, 0xb102e308, v21
	v_add_f32_e32 v16, v16, v18
	v_add_f32_e32 v18, v22, v15
	;; [unrolled: 1-line block ×3, first 2 shown]
	v_sub_f32_e32 v22, v18, v22
	v_add_f32_e32 v21, v18, v20
	v_sub_f32_e32 v19, v20, v19
	v_sub_f32_e32 v15, v15, v22
	;; [unrolled: 1-line block ×6, first 2 shown]
	v_add_f32_e32 v20, v15, v16
	v_sub_f32_e32 v18, v18, v25
	v_add_f32_e32 v18, v19, v18
	v_sub_f32_e32 v19, v20, v15
	;; [unrolled: 2-line block ×3, first 2 shown]
	v_sub_f32_e32 v16, v16, v19
	v_add_f32_e32 v22, v21, v18
	v_sub_f32_e32 v15, v15, v20
	v_sub_f32_e32 v19, v22, v21
	v_add_f32_e32 v15, v16, v15
	v_sub_f32_e32 v16, v18, v19
	v_add_f32_e32 v15, v15, v16
	v_add_f32_e32 v15, v22, v15
	v_cndmask_b32_e32 v15, 0x7f800000, v15, vcc_lo
	v_cmp_gt_f32_e64 vcc_lo, 0x33800000, |v17|
	v_cndmask_b32_e32 v15, v15, v17, vcc_lo
	v_add_f32_e32 v15, v14, v15
.LBB501_98:
	s_or_b32 exec_lo, exec_lo, s4
	v_bfe_u32 v14, v15, 16, 1
	v_cmp_o_f32_e32 vcc_lo, v15, v15
	v_add3_u32 v14, v15, v14, 0x7fff
	v_cndmask_b32_sdwa v13, v13, v14, vcc_lo dst_sel:DWORD dst_unused:UNUSED_PAD src0_sel:DWORD src1_sel:WORD_1
	v_lshlrev_b32_e32 v14, 16, v13
	v_max_f32_e32 v15, v14, v14
	v_cmp_u_f32_e32 vcc_lo, v14, v14
	v_min_f32_e32 v16, v15, v24
	v_max_f32_e32 v15, v15, v24
	v_cndmask_b32_e32 v16, v16, v14, vcc_lo
	v_cndmask_b32_e32 v17, v15, v14, vcc_lo
	v_cndmask_b32_e64 v15, v16, v6, s24
	v_cndmask_b32_e64 v6, v17, v6, s24
	v_cmp_class_f32_e64 s4, v15, 0x1f8
	v_cmp_neq_f32_e32 vcc_lo, v15, v6
	s_or_b32 s5, vcc_lo, s4
	s_and_saveexec_b32 s4, s5
	s_cbranch_execz .LBB501_100
; %bb.99:
	v_sub_f32_e32 v14, v15, v6
	s_mov_b32 s5, 0x3e9b6dac
	v_mul_f32_e32 v15, 0x3fb8aa3b, v14
	v_cmp_ngt_f32_e32 vcc_lo, 0xc2ce8ed0, v14
	v_fma_f32 v16, 0x3fb8aa3b, v14, -v15
	v_rndne_f32_e32 v17, v15
	v_fmamk_f32 v16, v14, 0x32a5705f, v16
	v_sub_f32_e32 v15, v15, v17
	v_add_f32_e32 v15, v15, v16
	v_cvt_i32_f32_e32 v16, v17
	v_exp_f32_e32 v15, v15
	v_ldexp_f32 v15, v15, v16
	v_cndmask_b32_e32 v15, 0, v15, vcc_lo
	v_cmp_nlt_f32_e32 vcc_lo, 0x42b17218, v14
	v_cndmask_b32_e32 v16, 0x7f800000, v15, vcc_lo
	v_add_f32_e32 v17, 1.0, v16
	v_cvt_f64_f32_e32 v[14:15], v17
	v_frexp_exp_i32_f64_e32 v14, v[14:15]
	v_frexp_mant_f32_e32 v15, v17
	v_cmp_gt_f32_e32 vcc_lo, 0x3f2aaaab, v15
	v_add_f32_e32 v15, -1.0, v17
	v_sub_f32_e32 v19, v15, v17
	v_sub_f32_e32 v15, v16, v15
	v_add_f32_e32 v19, 1.0, v19
	v_add_f32_e32 v15, v15, v19
	v_subrev_co_ci_u32_e64 v14, null, 0, v14, vcc_lo
	v_cmp_neq_f32_e32 vcc_lo, 0x7f800000, v16
	v_sub_nc_u32_e32 v18, 0, v14
	v_cvt_f32_i32_e32 v14, v14
	v_ldexp_f32 v17, v17, v18
	v_ldexp_f32 v15, v15, v18
	v_add_f32_e32 v20, 1.0, v17
	v_add_f32_e32 v18, -1.0, v17
	v_add_f32_e32 v19, -1.0, v20
	v_add_f32_e32 v21, 1.0, v18
	v_sub_f32_e32 v19, v17, v19
	v_sub_f32_e32 v17, v17, v21
	v_add_f32_e32 v19, v15, v19
	v_add_f32_e32 v15, v15, v17
	;; [unrolled: 1-line block ×4, first 2 shown]
	v_rcp_f32_e32 v17, v21
	v_sub_f32_e32 v20, v20, v21
	v_sub_f32_e32 v18, v18, v22
	v_add_f32_e32 v19, v19, v20
	v_add_f32_e32 v15, v15, v18
	v_mul_f32_e32 v23, v22, v17
	v_mul_f32_e32 v24, v21, v23
	v_fma_f32 v20, v23, v21, -v24
	v_fmac_f32_e32 v20, v23, v19
	v_add_f32_e32 v25, v24, v20
	v_sub_f32_e32 v26, v22, v25
	v_sub_f32_e32 v18, v25, v24
	;; [unrolled: 1-line block ×5, first 2 shown]
	v_add_f32_e32 v15, v15, v22
	v_add_f32_e32 v15, v18, v15
	;; [unrolled: 1-line block ×3, first 2 shown]
	v_mul_f32_e32 v20, v17, v18
	v_sub_f32_e32 v25, v26, v18
	v_mul_f32_e32 v22, v21, v20
	v_add_f32_e32 v15, v15, v25
	v_fma_f32 v21, v20, v21, -v22
	v_fmac_f32_e32 v21, v20, v19
	v_add_f32_e32 v19, v22, v21
	v_sub_f32_e32 v24, v18, v19
	v_sub_f32_e32 v22, v19, v22
	;; [unrolled: 1-line block ×5, first 2 shown]
	v_add_f32_e32 v15, v15, v18
	v_add_f32_e32 v18, v23, v20
	;; [unrolled: 1-line block ×3, first 2 shown]
	v_sub_f32_e32 v19, v18, v23
	v_add_f32_e32 v15, v24, v15
	v_sub_f32_e32 v19, v20, v19
	v_mul_f32_e32 v15, v17, v15
	v_add_f32_e32 v15, v19, v15
	v_add_f32_e32 v17, v18, v15
	v_mul_f32_e32 v19, v17, v17
	v_fmaak_f32 v20, s5, v19, 0x3ecc95a3
	v_mul_f32_e32 v21, v17, v19
	v_fmaak_f32 v19, v19, v20, 0x3f2aaada
	v_ldexp_f32 v20, v17, 1
	v_sub_f32_e32 v17, v17, v18
	v_mul_f32_e32 v19, v21, v19
	v_mul_f32_e32 v21, 0x3f317218, v14
	v_sub_f32_e32 v15, v15, v17
	v_add_f32_e32 v18, v20, v19
	v_ldexp_f32 v15, v15, 1
	v_sub_f32_e32 v17, v18, v20
	v_fma_f32 v20, 0x3f317218, v14, -v21
	v_sub_f32_e32 v17, v19, v17
	v_fmamk_f32 v14, v14, 0xb102e308, v20
	v_add_f32_e32 v15, v15, v17
	v_add_f32_e32 v17, v21, v14
	;; [unrolled: 1-line block ×3, first 2 shown]
	v_sub_f32_e32 v21, v17, v21
	v_add_f32_e32 v20, v17, v19
	v_sub_f32_e32 v18, v19, v18
	v_sub_f32_e32 v14, v14, v21
	;; [unrolled: 1-line block ×6, first 2 shown]
	v_add_f32_e32 v19, v14, v15
	v_sub_f32_e32 v17, v17, v23
	v_add_f32_e32 v17, v18, v17
	v_sub_f32_e32 v18, v19, v14
	;; [unrolled: 2-line block ×3, first 2 shown]
	v_sub_f32_e32 v15, v15, v18
	v_add_f32_e32 v21, v20, v17
	v_sub_f32_e32 v14, v14, v19
	v_sub_f32_e32 v18, v21, v20
	v_add_f32_e32 v14, v15, v14
	v_sub_f32_e32 v15, v17, v18
	v_add_f32_e32 v14, v14, v15
	v_add_f32_e32 v14, v21, v14
	v_cndmask_b32_e32 v14, 0x7f800000, v14, vcc_lo
	v_cmp_gt_f32_e64 vcc_lo, 0x33800000, |v16|
	v_cndmask_b32_e32 v14, v14, v16, vcc_lo
	v_add_f32_e32 v14, v6, v14
.LBB501_100:
	s_or_b32 exec_lo, exec_lo, s4
	v_bfe_u32 v6, v14, 16, 1
	v_cmp_o_f32_e32 vcc_lo, v14, v14
	v_mov_b32_e32 v15, 0x7fc0
	v_perm_b32 v4, v4, v11, 0x5040100
	v_perm_b32 v3, v3, v10, 0x5040100
	v_add3_u32 v6, v14, v6, 0x7fff
	v_add_nc_u32_e32 v14, v7, v29
	v_perm_b32 v2, v2, v9, 0x5040100
	v_perm_b32 v1, v8, v1, 0x5040100
	;; [unrolled: 1-line block ×3, first 2 shown]
	v_cndmask_b32_sdwa v6, v15, v6, vcc_lo dst_sel:DWORD dst_unused:UNUSED_PAD src0_sel:DWORD src1_sel:WORD_1
	s_barrier
	buffer_gl0_inv
	v_lshlrev_b32_e32 v0, 1, v0
	v_perm_b32 v6, v6, v13, 0x5040100
	ds_write2_b64 v14, v[1:2], v[3:4] offset1:1
	ds_write_b64 v14, v[5:6] offset:16
	s_waitcnt lgkmcnt(0)
	s_barrier
	buffer_gl0_inv
	ds_read_u16 v13, v7 offset:128
	ds_read_u16 v12, v7 offset:256
	;; [unrolled: 1-line block ×11, first 2 shown]
	v_add_co_u32 v0, s4, s26, v0
	v_add_co_ci_u32_e64 v1, null, s27, 0, s4
	s_and_saveexec_b32 s4, s0
	s_cbranch_execnz .LBB501_113
; %bb.101:
	s_or_b32 exec_lo, exec_lo, s4
	s_and_saveexec_b32 s0, s1
	s_cbranch_execnz .LBB501_114
.LBB501_102:
	s_or_b32 exec_lo, exec_lo, s0
	s_and_saveexec_b32 s0, s2
	s_cbranch_execnz .LBB501_115
.LBB501_103:
	s_or_b32 exec_lo, exec_lo, s0
	s_and_saveexec_b32 s0, s3
	s_cbranch_execnz .LBB501_116
.LBB501_104:
	s_or_b32 exec_lo, exec_lo, s0
	s_and_saveexec_b32 s0, s6
	s_cbranch_execnz .LBB501_117
.LBB501_105:
	s_or_b32 exec_lo, exec_lo, s0
	s_and_saveexec_b32 s0, s7
	s_cbranch_execnz .LBB501_118
.LBB501_106:
	s_or_b32 exec_lo, exec_lo, s0
	s_and_saveexec_b32 s0, s8
	s_cbranch_execnz .LBB501_119
.LBB501_107:
	s_or_b32 exec_lo, exec_lo, s0
	s_and_saveexec_b32 s0, s9
	s_cbranch_execnz .LBB501_120
.LBB501_108:
	s_or_b32 exec_lo, exec_lo, s0
	s_and_saveexec_b32 s0, s10
	s_cbranch_execnz .LBB501_121
.LBB501_109:
	s_or_b32 exec_lo, exec_lo, s0
	s_and_saveexec_b32 s0, s11
	s_cbranch_execnz .LBB501_122
.LBB501_110:
	s_or_b32 exec_lo, exec_lo, s0
	s_and_saveexec_b32 s0, s12
	s_cbranch_execnz .LBB501_123
.LBB501_111:
	s_or_b32 exec_lo, exec_lo, s0
	s_and_saveexec_b32 s0, s13
	s_cbranch_execnz .LBB501_124
.LBB501_112:
	s_endpgm
.LBB501_113:
	ds_read_u16 v7, v7
	s_waitcnt lgkmcnt(0)
	global_store_short v[0:1], v7, off
	s_or_b32 exec_lo, exec_lo, s4
	s_and_saveexec_b32 s0, s1
	s_cbranch_execz .LBB501_102
.LBB501_114:
	s_waitcnt lgkmcnt(10)
	global_store_short v[0:1], v13, off offset:128
	s_or_b32 exec_lo, exec_lo, s0
	s_and_saveexec_b32 s0, s2
	s_cbranch_execz .LBB501_103
.LBB501_115:
	s_waitcnt lgkmcnt(9)
	global_store_short v[0:1], v12, off offset:256
	s_or_b32 exec_lo, exec_lo, s0
	s_and_saveexec_b32 s0, s3
	s_cbranch_execz .LBB501_104
.LBB501_116:
	s_waitcnt lgkmcnt(8)
	global_store_short v[0:1], v11, off offset:384
	s_or_b32 exec_lo, exec_lo, s0
	s_and_saveexec_b32 s0, s6
	s_cbranch_execz .LBB501_105
.LBB501_117:
	s_waitcnt lgkmcnt(7)
	global_store_short v[0:1], v10, off offset:512
	s_or_b32 exec_lo, exec_lo, s0
	s_and_saveexec_b32 s0, s7
	s_cbranch_execz .LBB501_106
.LBB501_118:
	s_waitcnt lgkmcnt(6)
	global_store_short v[0:1], v9, off offset:640
	s_or_b32 exec_lo, exec_lo, s0
	s_and_saveexec_b32 s0, s8
	s_cbranch_execz .LBB501_107
.LBB501_119:
	s_waitcnt lgkmcnt(5)
	global_store_short v[0:1], v8, off offset:768
	s_or_b32 exec_lo, exec_lo, s0
	s_and_saveexec_b32 s0, s9
	s_cbranch_execz .LBB501_108
.LBB501_120:
	s_waitcnt lgkmcnt(4)
	global_store_short v[0:1], v6, off offset:896
	s_or_b32 exec_lo, exec_lo, s0
	s_and_saveexec_b32 s0, s10
	s_cbranch_execz .LBB501_109
.LBB501_121:
	s_waitcnt lgkmcnt(3)
	global_store_short v[0:1], v5, off offset:1024
	s_or_b32 exec_lo, exec_lo, s0
	s_and_saveexec_b32 s0, s11
	s_cbranch_execz .LBB501_110
.LBB501_122:
	s_waitcnt lgkmcnt(2)
	global_store_short v[0:1], v4, off offset:1152
	s_or_b32 exec_lo, exec_lo, s0
	s_and_saveexec_b32 s0, s12
	s_cbranch_execz .LBB501_111
.LBB501_123:
	s_waitcnt lgkmcnt(1)
	global_store_short v[0:1], v3, off offset:1280
	s_or_b32 exec_lo, exec_lo, s0
	s_and_saveexec_b32 s0, s13
	s_cbranch_execz .LBB501_112
.LBB501_124:
	s_waitcnt lgkmcnt(0)
	global_store_short v[0:1], v2, off offset:1408
	s_endpgm
	.section	.rodata,"a",@progbits
	.p2align	6, 0x0
	.amdhsa_kernel _ZN7rocprim17ROCPRIM_400000_NS6detail17trampoline_kernelINS0_14default_configENS1_20scan_config_selectorIN3c108BFloat16EEEZZNS1_9scan_implILNS1_25lookback_scan_determinismE0ELb0ELb0ES3_PKS6_PS6_S6_ZZZN2at6native31launch_logcumsumexp_cuda_kernelERKNSD_10TensorBaseESH_lENKUlvE_clEvENKUlvE4_clEvEUlS6_S6_E_S6_EEDaPvRmT3_T4_T5_mT6_P12ihipStream_tbENKUlT_T0_E_clISt17integral_constantIbLb1EESX_IbLb0EEEEDaST_SU_EUlST_E0_NS1_11comp_targetILNS1_3genE8ELNS1_11target_archE1030ELNS1_3gpuE2ELNS1_3repE0EEENS1_30default_config_static_selectorELNS0_4arch9wavefront6targetE0EEEvT1_
		.amdhsa_group_segment_fixed_size 1536
		.amdhsa_private_segment_fixed_size 0
		.amdhsa_kernarg_size 32
		.amdhsa_user_sgpr_count 6
		.amdhsa_user_sgpr_private_segment_buffer 1
		.amdhsa_user_sgpr_dispatch_ptr 0
		.amdhsa_user_sgpr_queue_ptr 0
		.amdhsa_user_sgpr_kernarg_segment_ptr 1
		.amdhsa_user_sgpr_dispatch_id 0
		.amdhsa_user_sgpr_flat_scratch_init 0
		.amdhsa_user_sgpr_private_segment_size 0
		.amdhsa_wavefront_size32 1
		.amdhsa_uses_dynamic_stack 0
		.amdhsa_system_sgpr_private_segment_wavefront_offset 0
		.amdhsa_system_sgpr_workgroup_id_x 1
		.amdhsa_system_sgpr_workgroup_id_y 0
		.amdhsa_system_sgpr_workgroup_id_z 0
		.amdhsa_system_sgpr_workgroup_info 0
		.amdhsa_system_vgpr_workitem_id 0
		.amdhsa_next_free_vgpr 49
		.amdhsa_next_free_sgpr 31
		.amdhsa_reserve_vcc 1
		.amdhsa_reserve_flat_scratch 0
		.amdhsa_float_round_mode_32 0
		.amdhsa_float_round_mode_16_64 0
		.amdhsa_float_denorm_mode_32 3
		.amdhsa_float_denorm_mode_16_64 3
		.amdhsa_dx10_clamp 1
		.amdhsa_ieee_mode 1
		.amdhsa_fp16_overflow 0
		.amdhsa_workgroup_processor_mode 1
		.amdhsa_memory_ordered 1
		.amdhsa_forward_progress 1
		.amdhsa_shared_vgpr_count 0
		.amdhsa_exception_fp_ieee_invalid_op 0
		.amdhsa_exception_fp_denorm_src 0
		.amdhsa_exception_fp_ieee_div_zero 0
		.amdhsa_exception_fp_ieee_overflow 0
		.amdhsa_exception_fp_ieee_underflow 0
		.amdhsa_exception_fp_ieee_inexact 0
		.amdhsa_exception_int_div_zero 0
	.end_amdhsa_kernel
	.section	.text._ZN7rocprim17ROCPRIM_400000_NS6detail17trampoline_kernelINS0_14default_configENS1_20scan_config_selectorIN3c108BFloat16EEEZZNS1_9scan_implILNS1_25lookback_scan_determinismE0ELb0ELb0ES3_PKS6_PS6_S6_ZZZN2at6native31launch_logcumsumexp_cuda_kernelERKNSD_10TensorBaseESH_lENKUlvE_clEvENKUlvE4_clEvEUlS6_S6_E_S6_EEDaPvRmT3_T4_T5_mT6_P12ihipStream_tbENKUlT_T0_E_clISt17integral_constantIbLb1EESX_IbLb0EEEEDaST_SU_EUlST_E0_NS1_11comp_targetILNS1_3genE8ELNS1_11target_archE1030ELNS1_3gpuE2ELNS1_3repE0EEENS1_30default_config_static_selectorELNS0_4arch9wavefront6targetE0EEEvT1_,"axG",@progbits,_ZN7rocprim17ROCPRIM_400000_NS6detail17trampoline_kernelINS0_14default_configENS1_20scan_config_selectorIN3c108BFloat16EEEZZNS1_9scan_implILNS1_25lookback_scan_determinismE0ELb0ELb0ES3_PKS6_PS6_S6_ZZZN2at6native31launch_logcumsumexp_cuda_kernelERKNSD_10TensorBaseESH_lENKUlvE_clEvENKUlvE4_clEvEUlS6_S6_E_S6_EEDaPvRmT3_T4_T5_mT6_P12ihipStream_tbENKUlT_T0_E_clISt17integral_constantIbLb1EESX_IbLb0EEEEDaST_SU_EUlST_E0_NS1_11comp_targetILNS1_3genE8ELNS1_11target_archE1030ELNS1_3gpuE2ELNS1_3repE0EEENS1_30default_config_static_selectorELNS0_4arch9wavefront6targetE0EEEvT1_,comdat
.Lfunc_end501:
	.size	_ZN7rocprim17ROCPRIM_400000_NS6detail17trampoline_kernelINS0_14default_configENS1_20scan_config_selectorIN3c108BFloat16EEEZZNS1_9scan_implILNS1_25lookback_scan_determinismE0ELb0ELb0ES3_PKS6_PS6_S6_ZZZN2at6native31launch_logcumsumexp_cuda_kernelERKNSD_10TensorBaseESH_lENKUlvE_clEvENKUlvE4_clEvEUlS6_S6_E_S6_EEDaPvRmT3_T4_T5_mT6_P12ihipStream_tbENKUlT_T0_E_clISt17integral_constantIbLb1EESX_IbLb0EEEEDaST_SU_EUlST_E0_NS1_11comp_targetILNS1_3genE8ELNS1_11target_archE1030ELNS1_3gpuE2ELNS1_3repE0EEENS1_30default_config_static_selectorELNS0_4arch9wavefront6targetE0EEEvT1_, .Lfunc_end501-_ZN7rocprim17ROCPRIM_400000_NS6detail17trampoline_kernelINS0_14default_configENS1_20scan_config_selectorIN3c108BFloat16EEEZZNS1_9scan_implILNS1_25lookback_scan_determinismE0ELb0ELb0ES3_PKS6_PS6_S6_ZZZN2at6native31launch_logcumsumexp_cuda_kernelERKNSD_10TensorBaseESH_lENKUlvE_clEvENKUlvE4_clEvEUlS6_S6_E_S6_EEDaPvRmT3_T4_T5_mT6_P12ihipStream_tbENKUlT_T0_E_clISt17integral_constantIbLb1EESX_IbLb0EEEEDaST_SU_EUlST_E0_NS1_11comp_targetILNS1_3genE8ELNS1_11target_archE1030ELNS1_3gpuE2ELNS1_3repE0EEENS1_30default_config_static_selectorELNS0_4arch9wavefront6targetE0EEEvT1_
                                        ; -- End function
	.set _ZN7rocprim17ROCPRIM_400000_NS6detail17trampoline_kernelINS0_14default_configENS1_20scan_config_selectorIN3c108BFloat16EEEZZNS1_9scan_implILNS1_25lookback_scan_determinismE0ELb0ELb0ES3_PKS6_PS6_S6_ZZZN2at6native31launch_logcumsumexp_cuda_kernelERKNSD_10TensorBaseESH_lENKUlvE_clEvENKUlvE4_clEvEUlS6_S6_E_S6_EEDaPvRmT3_T4_T5_mT6_P12ihipStream_tbENKUlT_T0_E_clISt17integral_constantIbLb1EESX_IbLb0EEEEDaST_SU_EUlST_E0_NS1_11comp_targetILNS1_3genE8ELNS1_11target_archE1030ELNS1_3gpuE2ELNS1_3repE0EEENS1_30default_config_static_selectorELNS0_4arch9wavefront6targetE0EEEvT1_.num_vgpr, 49
	.set _ZN7rocprim17ROCPRIM_400000_NS6detail17trampoline_kernelINS0_14default_configENS1_20scan_config_selectorIN3c108BFloat16EEEZZNS1_9scan_implILNS1_25lookback_scan_determinismE0ELb0ELb0ES3_PKS6_PS6_S6_ZZZN2at6native31launch_logcumsumexp_cuda_kernelERKNSD_10TensorBaseESH_lENKUlvE_clEvENKUlvE4_clEvEUlS6_S6_E_S6_EEDaPvRmT3_T4_T5_mT6_P12ihipStream_tbENKUlT_T0_E_clISt17integral_constantIbLb1EESX_IbLb0EEEEDaST_SU_EUlST_E0_NS1_11comp_targetILNS1_3genE8ELNS1_11target_archE1030ELNS1_3gpuE2ELNS1_3repE0EEENS1_30default_config_static_selectorELNS0_4arch9wavefront6targetE0EEEvT1_.num_agpr, 0
	.set _ZN7rocprim17ROCPRIM_400000_NS6detail17trampoline_kernelINS0_14default_configENS1_20scan_config_selectorIN3c108BFloat16EEEZZNS1_9scan_implILNS1_25lookback_scan_determinismE0ELb0ELb0ES3_PKS6_PS6_S6_ZZZN2at6native31launch_logcumsumexp_cuda_kernelERKNSD_10TensorBaseESH_lENKUlvE_clEvENKUlvE4_clEvEUlS6_S6_E_S6_EEDaPvRmT3_T4_T5_mT6_P12ihipStream_tbENKUlT_T0_E_clISt17integral_constantIbLb1EESX_IbLb0EEEEDaST_SU_EUlST_E0_NS1_11comp_targetILNS1_3genE8ELNS1_11target_archE1030ELNS1_3gpuE2ELNS1_3repE0EEENS1_30default_config_static_selectorELNS0_4arch9wavefront6targetE0EEEvT1_.numbered_sgpr, 31
	.set _ZN7rocprim17ROCPRIM_400000_NS6detail17trampoline_kernelINS0_14default_configENS1_20scan_config_selectorIN3c108BFloat16EEEZZNS1_9scan_implILNS1_25lookback_scan_determinismE0ELb0ELb0ES3_PKS6_PS6_S6_ZZZN2at6native31launch_logcumsumexp_cuda_kernelERKNSD_10TensorBaseESH_lENKUlvE_clEvENKUlvE4_clEvEUlS6_S6_E_S6_EEDaPvRmT3_T4_T5_mT6_P12ihipStream_tbENKUlT_T0_E_clISt17integral_constantIbLb1EESX_IbLb0EEEEDaST_SU_EUlST_E0_NS1_11comp_targetILNS1_3genE8ELNS1_11target_archE1030ELNS1_3gpuE2ELNS1_3repE0EEENS1_30default_config_static_selectorELNS0_4arch9wavefront6targetE0EEEvT1_.num_named_barrier, 0
	.set _ZN7rocprim17ROCPRIM_400000_NS6detail17trampoline_kernelINS0_14default_configENS1_20scan_config_selectorIN3c108BFloat16EEEZZNS1_9scan_implILNS1_25lookback_scan_determinismE0ELb0ELb0ES3_PKS6_PS6_S6_ZZZN2at6native31launch_logcumsumexp_cuda_kernelERKNSD_10TensorBaseESH_lENKUlvE_clEvENKUlvE4_clEvEUlS6_S6_E_S6_EEDaPvRmT3_T4_T5_mT6_P12ihipStream_tbENKUlT_T0_E_clISt17integral_constantIbLb1EESX_IbLb0EEEEDaST_SU_EUlST_E0_NS1_11comp_targetILNS1_3genE8ELNS1_11target_archE1030ELNS1_3gpuE2ELNS1_3repE0EEENS1_30default_config_static_selectorELNS0_4arch9wavefront6targetE0EEEvT1_.private_seg_size, 0
	.set _ZN7rocprim17ROCPRIM_400000_NS6detail17trampoline_kernelINS0_14default_configENS1_20scan_config_selectorIN3c108BFloat16EEEZZNS1_9scan_implILNS1_25lookback_scan_determinismE0ELb0ELb0ES3_PKS6_PS6_S6_ZZZN2at6native31launch_logcumsumexp_cuda_kernelERKNSD_10TensorBaseESH_lENKUlvE_clEvENKUlvE4_clEvEUlS6_S6_E_S6_EEDaPvRmT3_T4_T5_mT6_P12ihipStream_tbENKUlT_T0_E_clISt17integral_constantIbLb1EESX_IbLb0EEEEDaST_SU_EUlST_E0_NS1_11comp_targetILNS1_3genE8ELNS1_11target_archE1030ELNS1_3gpuE2ELNS1_3repE0EEENS1_30default_config_static_selectorELNS0_4arch9wavefront6targetE0EEEvT1_.uses_vcc, 1
	.set _ZN7rocprim17ROCPRIM_400000_NS6detail17trampoline_kernelINS0_14default_configENS1_20scan_config_selectorIN3c108BFloat16EEEZZNS1_9scan_implILNS1_25lookback_scan_determinismE0ELb0ELb0ES3_PKS6_PS6_S6_ZZZN2at6native31launch_logcumsumexp_cuda_kernelERKNSD_10TensorBaseESH_lENKUlvE_clEvENKUlvE4_clEvEUlS6_S6_E_S6_EEDaPvRmT3_T4_T5_mT6_P12ihipStream_tbENKUlT_T0_E_clISt17integral_constantIbLb1EESX_IbLb0EEEEDaST_SU_EUlST_E0_NS1_11comp_targetILNS1_3genE8ELNS1_11target_archE1030ELNS1_3gpuE2ELNS1_3repE0EEENS1_30default_config_static_selectorELNS0_4arch9wavefront6targetE0EEEvT1_.uses_flat_scratch, 0
	.set _ZN7rocprim17ROCPRIM_400000_NS6detail17trampoline_kernelINS0_14default_configENS1_20scan_config_selectorIN3c108BFloat16EEEZZNS1_9scan_implILNS1_25lookback_scan_determinismE0ELb0ELb0ES3_PKS6_PS6_S6_ZZZN2at6native31launch_logcumsumexp_cuda_kernelERKNSD_10TensorBaseESH_lENKUlvE_clEvENKUlvE4_clEvEUlS6_S6_E_S6_EEDaPvRmT3_T4_T5_mT6_P12ihipStream_tbENKUlT_T0_E_clISt17integral_constantIbLb1EESX_IbLb0EEEEDaST_SU_EUlST_E0_NS1_11comp_targetILNS1_3genE8ELNS1_11target_archE1030ELNS1_3gpuE2ELNS1_3repE0EEENS1_30default_config_static_selectorELNS0_4arch9wavefront6targetE0EEEvT1_.has_dyn_sized_stack, 0
	.set _ZN7rocprim17ROCPRIM_400000_NS6detail17trampoline_kernelINS0_14default_configENS1_20scan_config_selectorIN3c108BFloat16EEEZZNS1_9scan_implILNS1_25lookback_scan_determinismE0ELb0ELb0ES3_PKS6_PS6_S6_ZZZN2at6native31launch_logcumsumexp_cuda_kernelERKNSD_10TensorBaseESH_lENKUlvE_clEvENKUlvE4_clEvEUlS6_S6_E_S6_EEDaPvRmT3_T4_T5_mT6_P12ihipStream_tbENKUlT_T0_E_clISt17integral_constantIbLb1EESX_IbLb0EEEEDaST_SU_EUlST_E0_NS1_11comp_targetILNS1_3genE8ELNS1_11target_archE1030ELNS1_3gpuE2ELNS1_3repE0EEENS1_30default_config_static_selectorELNS0_4arch9wavefront6targetE0EEEvT1_.has_recursion, 0
	.set _ZN7rocprim17ROCPRIM_400000_NS6detail17trampoline_kernelINS0_14default_configENS1_20scan_config_selectorIN3c108BFloat16EEEZZNS1_9scan_implILNS1_25lookback_scan_determinismE0ELb0ELb0ES3_PKS6_PS6_S6_ZZZN2at6native31launch_logcumsumexp_cuda_kernelERKNSD_10TensorBaseESH_lENKUlvE_clEvENKUlvE4_clEvEUlS6_S6_E_S6_EEDaPvRmT3_T4_T5_mT6_P12ihipStream_tbENKUlT_T0_E_clISt17integral_constantIbLb1EESX_IbLb0EEEEDaST_SU_EUlST_E0_NS1_11comp_targetILNS1_3genE8ELNS1_11target_archE1030ELNS1_3gpuE2ELNS1_3repE0EEENS1_30default_config_static_selectorELNS0_4arch9wavefront6targetE0EEEvT1_.has_indirect_call, 0
	.section	.AMDGPU.csdata,"",@progbits
; Kernel info:
; codeLenInByte = 24260
; TotalNumSgprs: 33
; NumVgprs: 49
; ScratchSize: 0
; MemoryBound: 0
; FloatMode: 240
; IeeeMode: 1
; LDSByteSize: 1536 bytes/workgroup (compile time only)
; SGPRBlocks: 0
; VGPRBlocks: 6
; NumSGPRsForWavesPerEU: 33
; NumVGPRsForWavesPerEU: 49
; Occupancy: 16
; WaveLimiterHint : 0
; COMPUTE_PGM_RSRC2:SCRATCH_EN: 0
; COMPUTE_PGM_RSRC2:USER_SGPR: 6
; COMPUTE_PGM_RSRC2:TRAP_HANDLER: 0
; COMPUTE_PGM_RSRC2:TGID_X_EN: 1
; COMPUTE_PGM_RSRC2:TGID_Y_EN: 0
; COMPUTE_PGM_RSRC2:TGID_Z_EN: 0
; COMPUTE_PGM_RSRC2:TIDIG_COMP_CNT: 0
	.section	.text._ZN7rocprim17ROCPRIM_400000_NS6detail31init_lookback_scan_state_kernelINS1_19lookback_scan_stateIN3c108BFloat16ELb0ELb1EEENS1_16block_id_wrapperIjLb1EEEEEvT_jT0_jPNS9_10value_typeE,"axG",@progbits,_ZN7rocprim17ROCPRIM_400000_NS6detail31init_lookback_scan_state_kernelINS1_19lookback_scan_stateIN3c108BFloat16ELb0ELb1EEENS1_16block_id_wrapperIjLb1EEEEEvT_jT0_jPNS9_10value_typeE,comdat
	.protected	_ZN7rocprim17ROCPRIM_400000_NS6detail31init_lookback_scan_state_kernelINS1_19lookback_scan_stateIN3c108BFloat16ELb0ELb1EEENS1_16block_id_wrapperIjLb1EEEEEvT_jT0_jPNS9_10value_typeE ; -- Begin function _ZN7rocprim17ROCPRIM_400000_NS6detail31init_lookback_scan_state_kernelINS1_19lookback_scan_stateIN3c108BFloat16ELb0ELb1EEENS1_16block_id_wrapperIjLb1EEEEEvT_jT0_jPNS9_10value_typeE
	.globl	_ZN7rocprim17ROCPRIM_400000_NS6detail31init_lookback_scan_state_kernelINS1_19lookback_scan_stateIN3c108BFloat16ELb0ELb1EEENS1_16block_id_wrapperIjLb1EEEEEvT_jT0_jPNS9_10value_typeE
	.p2align	8
	.type	_ZN7rocprim17ROCPRIM_400000_NS6detail31init_lookback_scan_state_kernelINS1_19lookback_scan_stateIN3c108BFloat16ELb0ELb1EEENS1_16block_id_wrapperIjLb1EEEEEvT_jT0_jPNS9_10value_typeE,@function
_ZN7rocprim17ROCPRIM_400000_NS6detail31init_lookback_scan_state_kernelINS1_19lookback_scan_stateIN3c108BFloat16ELb0ELb1EEENS1_16block_id_wrapperIjLb1EEEEEvT_jT0_jPNS9_10value_typeE: ; @_ZN7rocprim17ROCPRIM_400000_NS6detail31init_lookback_scan_state_kernelINS1_19lookback_scan_stateIN3c108BFloat16ELb0ELb1EEENS1_16block_id_wrapperIjLb1EEEEEvT_jT0_jPNS9_10value_typeE
; %bb.0:
	s_clause 0x3
	s_load_dword s7, s[4:5], 0x34
	s_load_dwordx2 s[2:3], s[4:5], 0x20
	s_load_dwordx2 s[0:1], s[4:5], 0x0
	s_load_dword s8, s[4:5], 0x8
	s_waitcnt lgkmcnt(0)
	s_and_b32 s7, s7, 0xffff
	s_cmp_eq_u64 s[2:3], 0
	v_mad_u64_u32 v[0:1], null, s6, s7, v[0:1]
	s_cbranch_scc1 .LBB502_6
; %bb.1:
	s_load_dword s6, s[4:5], 0x18
	s_waitcnt lgkmcnt(0)
	s_cmp_lt_u32 s6, s8
	s_cselect_b32 s7, s6, 0
	v_cmp_eq_u32_e32 vcc_lo, s7, v0
	s_mov_b32 s7, 0
	s_and_saveexec_b32 s9, vcc_lo
	s_cbranch_execz .LBB502_5
; %bb.2:
	s_add_i32 s6, s6, 32
	v_mov_b32_e32 v2, 0
	s_lshl_b64 s[6:7], s[6:7], 2
	s_add_u32 s6, s0, s6
	s_addc_u32 s7, s1, s7
	global_load_dword v1, v2, s[6:7] glc dlc
	s_waitcnt vmcnt(0)
	v_and_b32_e32 v3, 0xff0000, v1
	v_cmp_ne_u32_e32 vcc_lo, 0, v3
	s_cbranch_vccnz .LBB502_4
.LBB502_3:                              ; =>This Inner Loop Header: Depth=1
	global_load_dword v1, v2, s[6:7] glc dlc
	s_waitcnt vmcnt(0)
	v_and_b32_e32 v3, 0xff0000, v1
	v_cmp_eq_u32_e32 vcc_lo, 0, v3
	s_cbranch_vccnz .LBB502_3
.LBB502_4:
	v_mov_b32_e32 v2, 0
	global_store_short v2, v1, s[2:3]
.LBB502_5:
	s_or_b32 exec_lo, exec_lo, s9
.LBB502_6:
	s_mov_b32 s2, exec_lo
	v_cmpx_eq_u32_e32 0, v0
	s_cbranch_execz .LBB502_8
; %bb.7:
	s_load_dwordx2 s[4:5], s[4:5], 0x10
	v_mov_b32_e32 v1, 0
	s_waitcnt lgkmcnt(0)
	global_store_dword v1, v1, s[4:5]
.LBB502_8:
	s_or_b32 exec_lo, exec_lo, s2
	s_mov_b32 s2, exec_lo
	v_cmpx_gt_u32_e64 s8, v0
	s_cbranch_execz .LBB502_10
; %bb.9:
	v_add_nc_u32_e32 v1, 32, v0
	v_mov_b32_e32 v2, 0
	v_lshlrev_b64 v[3:4], 2, v[1:2]
	v_add_co_u32 v3, vcc_lo, s0, v3
	v_add_co_ci_u32_e64 v4, null, s1, v4, vcc_lo
	global_store_dword v[3:4], v2, off
.LBB502_10:
	s_or_b32 exec_lo, exec_lo, s2
	s_mov_b32 s2, exec_lo
	v_cmpx_gt_u32_e32 32, v0
	s_cbranch_execz .LBB502_12
; %bb.11:
	v_mov_b32_e32 v1, 0
	v_mov_b32_e32 v2, 0xff0000
	v_lshlrev_b64 v[0:1], 2, v[0:1]
	v_add_co_u32 v0, vcc_lo, s0, v0
	v_add_co_ci_u32_e64 v1, null, s1, v1, vcc_lo
	global_store_dword v[0:1], v2, off
.LBB502_12:
	s_endpgm
	.section	.rodata,"a",@progbits
	.p2align	6, 0x0
	.amdhsa_kernel _ZN7rocprim17ROCPRIM_400000_NS6detail31init_lookback_scan_state_kernelINS1_19lookback_scan_stateIN3c108BFloat16ELb0ELb1EEENS1_16block_id_wrapperIjLb1EEEEEvT_jT0_jPNS9_10value_typeE
		.amdhsa_group_segment_fixed_size 0
		.amdhsa_private_segment_fixed_size 0
		.amdhsa_kernarg_size 296
		.amdhsa_user_sgpr_count 6
		.amdhsa_user_sgpr_private_segment_buffer 1
		.amdhsa_user_sgpr_dispatch_ptr 0
		.amdhsa_user_sgpr_queue_ptr 0
		.amdhsa_user_sgpr_kernarg_segment_ptr 1
		.amdhsa_user_sgpr_dispatch_id 0
		.amdhsa_user_sgpr_flat_scratch_init 0
		.amdhsa_user_sgpr_private_segment_size 0
		.amdhsa_wavefront_size32 1
		.amdhsa_uses_dynamic_stack 0
		.amdhsa_system_sgpr_private_segment_wavefront_offset 0
		.amdhsa_system_sgpr_workgroup_id_x 1
		.amdhsa_system_sgpr_workgroup_id_y 0
		.amdhsa_system_sgpr_workgroup_id_z 0
		.amdhsa_system_sgpr_workgroup_info 0
		.amdhsa_system_vgpr_workitem_id 0
		.amdhsa_next_free_vgpr 5
		.amdhsa_next_free_sgpr 10
		.amdhsa_reserve_vcc 1
		.amdhsa_reserve_flat_scratch 0
		.amdhsa_float_round_mode_32 0
		.amdhsa_float_round_mode_16_64 0
		.amdhsa_float_denorm_mode_32 3
		.amdhsa_float_denorm_mode_16_64 3
		.amdhsa_dx10_clamp 1
		.amdhsa_ieee_mode 1
		.amdhsa_fp16_overflow 0
		.amdhsa_workgroup_processor_mode 1
		.amdhsa_memory_ordered 1
		.amdhsa_forward_progress 1
		.amdhsa_shared_vgpr_count 0
		.amdhsa_exception_fp_ieee_invalid_op 0
		.amdhsa_exception_fp_denorm_src 0
		.amdhsa_exception_fp_ieee_div_zero 0
		.amdhsa_exception_fp_ieee_overflow 0
		.amdhsa_exception_fp_ieee_underflow 0
		.amdhsa_exception_fp_ieee_inexact 0
		.amdhsa_exception_int_div_zero 0
	.end_amdhsa_kernel
	.section	.text._ZN7rocprim17ROCPRIM_400000_NS6detail31init_lookback_scan_state_kernelINS1_19lookback_scan_stateIN3c108BFloat16ELb0ELb1EEENS1_16block_id_wrapperIjLb1EEEEEvT_jT0_jPNS9_10value_typeE,"axG",@progbits,_ZN7rocprim17ROCPRIM_400000_NS6detail31init_lookback_scan_state_kernelINS1_19lookback_scan_stateIN3c108BFloat16ELb0ELb1EEENS1_16block_id_wrapperIjLb1EEEEEvT_jT0_jPNS9_10value_typeE,comdat
.Lfunc_end502:
	.size	_ZN7rocprim17ROCPRIM_400000_NS6detail31init_lookback_scan_state_kernelINS1_19lookback_scan_stateIN3c108BFloat16ELb0ELb1EEENS1_16block_id_wrapperIjLb1EEEEEvT_jT0_jPNS9_10value_typeE, .Lfunc_end502-_ZN7rocprim17ROCPRIM_400000_NS6detail31init_lookback_scan_state_kernelINS1_19lookback_scan_stateIN3c108BFloat16ELb0ELb1EEENS1_16block_id_wrapperIjLb1EEEEEvT_jT0_jPNS9_10value_typeE
                                        ; -- End function
	.set _ZN7rocprim17ROCPRIM_400000_NS6detail31init_lookback_scan_state_kernelINS1_19lookback_scan_stateIN3c108BFloat16ELb0ELb1EEENS1_16block_id_wrapperIjLb1EEEEEvT_jT0_jPNS9_10value_typeE.num_vgpr, 5
	.set _ZN7rocprim17ROCPRIM_400000_NS6detail31init_lookback_scan_state_kernelINS1_19lookback_scan_stateIN3c108BFloat16ELb0ELb1EEENS1_16block_id_wrapperIjLb1EEEEEvT_jT0_jPNS9_10value_typeE.num_agpr, 0
	.set _ZN7rocprim17ROCPRIM_400000_NS6detail31init_lookback_scan_state_kernelINS1_19lookback_scan_stateIN3c108BFloat16ELb0ELb1EEENS1_16block_id_wrapperIjLb1EEEEEvT_jT0_jPNS9_10value_typeE.numbered_sgpr, 10
	.set _ZN7rocprim17ROCPRIM_400000_NS6detail31init_lookback_scan_state_kernelINS1_19lookback_scan_stateIN3c108BFloat16ELb0ELb1EEENS1_16block_id_wrapperIjLb1EEEEEvT_jT0_jPNS9_10value_typeE.num_named_barrier, 0
	.set _ZN7rocprim17ROCPRIM_400000_NS6detail31init_lookback_scan_state_kernelINS1_19lookback_scan_stateIN3c108BFloat16ELb0ELb1EEENS1_16block_id_wrapperIjLb1EEEEEvT_jT0_jPNS9_10value_typeE.private_seg_size, 0
	.set _ZN7rocprim17ROCPRIM_400000_NS6detail31init_lookback_scan_state_kernelINS1_19lookback_scan_stateIN3c108BFloat16ELb0ELb1EEENS1_16block_id_wrapperIjLb1EEEEEvT_jT0_jPNS9_10value_typeE.uses_vcc, 1
	.set _ZN7rocprim17ROCPRIM_400000_NS6detail31init_lookback_scan_state_kernelINS1_19lookback_scan_stateIN3c108BFloat16ELb0ELb1EEENS1_16block_id_wrapperIjLb1EEEEEvT_jT0_jPNS9_10value_typeE.uses_flat_scratch, 0
	.set _ZN7rocprim17ROCPRIM_400000_NS6detail31init_lookback_scan_state_kernelINS1_19lookback_scan_stateIN3c108BFloat16ELb0ELb1EEENS1_16block_id_wrapperIjLb1EEEEEvT_jT0_jPNS9_10value_typeE.has_dyn_sized_stack, 0
	.set _ZN7rocprim17ROCPRIM_400000_NS6detail31init_lookback_scan_state_kernelINS1_19lookback_scan_stateIN3c108BFloat16ELb0ELb1EEENS1_16block_id_wrapperIjLb1EEEEEvT_jT0_jPNS9_10value_typeE.has_recursion, 0
	.set _ZN7rocprim17ROCPRIM_400000_NS6detail31init_lookback_scan_state_kernelINS1_19lookback_scan_stateIN3c108BFloat16ELb0ELb1EEENS1_16block_id_wrapperIjLb1EEEEEvT_jT0_jPNS9_10value_typeE.has_indirect_call, 0
	.section	.AMDGPU.csdata,"",@progbits
; Kernel info:
; codeLenInByte = 352
; TotalNumSgprs: 12
; NumVgprs: 5
; ScratchSize: 0
; MemoryBound: 0
; FloatMode: 240
; IeeeMode: 1
; LDSByteSize: 0 bytes/workgroup (compile time only)
; SGPRBlocks: 0
; VGPRBlocks: 0
; NumSGPRsForWavesPerEU: 12
; NumVGPRsForWavesPerEU: 5
; Occupancy: 16
; WaveLimiterHint : 0
; COMPUTE_PGM_RSRC2:SCRATCH_EN: 0
; COMPUTE_PGM_RSRC2:USER_SGPR: 6
; COMPUTE_PGM_RSRC2:TRAP_HANDLER: 0
; COMPUTE_PGM_RSRC2:TGID_X_EN: 1
; COMPUTE_PGM_RSRC2:TGID_Y_EN: 0
; COMPUTE_PGM_RSRC2:TGID_Z_EN: 0
; COMPUTE_PGM_RSRC2:TIDIG_COMP_CNT: 0
	.section	.text._ZN7rocprim17ROCPRIM_400000_NS6detail17trampoline_kernelINS0_14default_configENS1_20scan_config_selectorIN3c108BFloat16EEEZZNS1_9scan_implILNS1_25lookback_scan_determinismE0ELb0ELb0ES3_PKS6_PS6_S6_ZZZN2at6native31launch_logcumsumexp_cuda_kernelERKNSD_10TensorBaseESH_lENKUlvE_clEvENKUlvE4_clEvEUlS6_S6_E_S6_EEDaPvRmT3_T4_T5_mT6_P12ihipStream_tbENKUlT_T0_E_clISt17integral_constantIbLb0EESX_IbLb1EEEEDaST_SU_EUlST_E_NS1_11comp_targetILNS1_3genE0ELNS1_11target_archE4294967295ELNS1_3gpuE0ELNS1_3repE0EEENS1_30default_config_static_selectorELNS0_4arch9wavefront6targetE0EEEvT1_,"axG",@progbits,_ZN7rocprim17ROCPRIM_400000_NS6detail17trampoline_kernelINS0_14default_configENS1_20scan_config_selectorIN3c108BFloat16EEEZZNS1_9scan_implILNS1_25lookback_scan_determinismE0ELb0ELb0ES3_PKS6_PS6_S6_ZZZN2at6native31launch_logcumsumexp_cuda_kernelERKNSD_10TensorBaseESH_lENKUlvE_clEvENKUlvE4_clEvEUlS6_S6_E_S6_EEDaPvRmT3_T4_T5_mT6_P12ihipStream_tbENKUlT_T0_E_clISt17integral_constantIbLb0EESX_IbLb1EEEEDaST_SU_EUlST_E_NS1_11comp_targetILNS1_3genE0ELNS1_11target_archE4294967295ELNS1_3gpuE0ELNS1_3repE0EEENS1_30default_config_static_selectorELNS0_4arch9wavefront6targetE0EEEvT1_,comdat
	.globl	_ZN7rocprim17ROCPRIM_400000_NS6detail17trampoline_kernelINS0_14default_configENS1_20scan_config_selectorIN3c108BFloat16EEEZZNS1_9scan_implILNS1_25lookback_scan_determinismE0ELb0ELb0ES3_PKS6_PS6_S6_ZZZN2at6native31launch_logcumsumexp_cuda_kernelERKNSD_10TensorBaseESH_lENKUlvE_clEvENKUlvE4_clEvEUlS6_S6_E_S6_EEDaPvRmT3_T4_T5_mT6_P12ihipStream_tbENKUlT_T0_E_clISt17integral_constantIbLb0EESX_IbLb1EEEEDaST_SU_EUlST_E_NS1_11comp_targetILNS1_3genE0ELNS1_11target_archE4294967295ELNS1_3gpuE0ELNS1_3repE0EEENS1_30default_config_static_selectorELNS0_4arch9wavefront6targetE0EEEvT1_ ; -- Begin function _ZN7rocprim17ROCPRIM_400000_NS6detail17trampoline_kernelINS0_14default_configENS1_20scan_config_selectorIN3c108BFloat16EEEZZNS1_9scan_implILNS1_25lookback_scan_determinismE0ELb0ELb0ES3_PKS6_PS6_S6_ZZZN2at6native31launch_logcumsumexp_cuda_kernelERKNSD_10TensorBaseESH_lENKUlvE_clEvENKUlvE4_clEvEUlS6_S6_E_S6_EEDaPvRmT3_T4_T5_mT6_P12ihipStream_tbENKUlT_T0_E_clISt17integral_constantIbLb0EESX_IbLb1EEEEDaST_SU_EUlST_E_NS1_11comp_targetILNS1_3genE0ELNS1_11target_archE4294967295ELNS1_3gpuE0ELNS1_3repE0EEENS1_30default_config_static_selectorELNS0_4arch9wavefront6targetE0EEEvT1_
	.p2align	8
	.type	_ZN7rocprim17ROCPRIM_400000_NS6detail17trampoline_kernelINS0_14default_configENS1_20scan_config_selectorIN3c108BFloat16EEEZZNS1_9scan_implILNS1_25lookback_scan_determinismE0ELb0ELb0ES3_PKS6_PS6_S6_ZZZN2at6native31launch_logcumsumexp_cuda_kernelERKNSD_10TensorBaseESH_lENKUlvE_clEvENKUlvE4_clEvEUlS6_S6_E_S6_EEDaPvRmT3_T4_T5_mT6_P12ihipStream_tbENKUlT_T0_E_clISt17integral_constantIbLb0EESX_IbLb1EEEEDaST_SU_EUlST_E_NS1_11comp_targetILNS1_3genE0ELNS1_11target_archE4294967295ELNS1_3gpuE0ELNS1_3repE0EEENS1_30default_config_static_selectorELNS0_4arch9wavefront6targetE0EEEvT1_,@function
_ZN7rocprim17ROCPRIM_400000_NS6detail17trampoline_kernelINS0_14default_configENS1_20scan_config_selectorIN3c108BFloat16EEEZZNS1_9scan_implILNS1_25lookback_scan_determinismE0ELb0ELb0ES3_PKS6_PS6_S6_ZZZN2at6native31launch_logcumsumexp_cuda_kernelERKNSD_10TensorBaseESH_lENKUlvE_clEvENKUlvE4_clEvEUlS6_S6_E_S6_EEDaPvRmT3_T4_T5_mT6_P12ihipStream_tbENKUlT_T0_E_clISt17integral_constantIbLb0EESX_IbLb1EEEEDaST_SU_EUlST_E_NS1_11comp_targetILNS1_3genE0ELNS1_11target_archE4294967295ELNS1_3gpuE0ELNS1_3repE0EEENS1_30default_config_static_selectorELNS0_4arch9wavefront6targetE0EEEvT1_: ; @_ZN7rocprim17ROCPRIM_400000_NS6detail17trampoline_kernelINS0_14default_configENS1_20scan_config_selectorIN3c108BFloat16EEEZZNS1_9scan_implILNS1_25lookback_scan_determinismE0ELb0ELb0ES3_PKS6_PS6_S6_ZZZN2at6native31launch_logcumsumexp_cuda_kernelERKNSD_10TensorBaseESH_lENKUlvE_clEvENKUlvE4_clEvEUlS6_S6_E_S6_EEDaPvRmT3_T4_T5_mT6_P12ihipStream_tbENKUlT_T0_E_clISt17integral_constantIbLb0EESX_IbLb1EEEEDaST_SU_EUlST_E_NS1_11comp_targetILNS1_3genE0ELNS1_11target_archE4294967295ELNS1_3gpuE0ELNS1_3repE0EEENS1_30default_config_static_selectorELNS0_4arch9wavefront6targetE0EEEvT1_
; %bb.0:
	.section	.rodata,"a",@progbits
	.p2align	6, 0x0
	.amdhsa_kernel _ZN7rocprim17ROCPRIM_400000_NS6detail17trampoline_kernelINS0_14default_configENS1_20scan_config_selectorIN3c108BFloat16EEEZZNS1_9scan_implILNS1_25lookback_scan_determinismE0ELb0ELb0ES3_PKS6_PS6_S6_ZZZN2at6native31launch_logcumsumexp_cuda_kernelERKNSD_10TensorBaseESH_lENKUlvE_clEvENKUlvE4_clEvEUlS6_S6_E_S6_EEDaPvRmT3_T4_T5_mT6_P12ihipStream_tbENKUlT_T0_E_clISt17integral_constantIbLb0EESX_IbLb1EEEEDaST_SU_EUlST_E_NS1_11comp_targetILNS1_3genE0ELNS1_11target_archE4294967295ELNS1_3gpuE0ELNS1_3repE0EEENS1_30default_config_static_selectorELNS0_4arch9wavefront6targetE0EEEvT1_
		.amdhsa_group_segment_fixed_size 0
		.amdhsa_private_segment_fixed_size 0
		.amdhsa_kernarg_size 96
		.amdhsa_user_sgpr_count 6
		.amdhsa_user_sgpr_private_segment_buffer 1
		.amdhsa_user_sgpr_dispatch_ptr 0
		.amdhsa_user_sgpr_queue_ptr 0
		.amdhsa_user_sgpr_kernarg_segment_ptr 1
		.amdhsa_user_sgpr_dispatch_id 0
		.amdhsa_user_sgpr_flat_scratch_init 0
		.amdhsa_user_sgpr_private_segment_size 0
		.amdhsa_wavefront_size32 1
		.amdhsa_uses_dynamic_stack 0
		.amdhsa_system_sgpr_private_segment_wavefront_offset 0
		.amdhsa_system_sgpr_workgroup_id_x 1
		.amdhsa_system_sgpr_workgroup_id_y 0
		.amdhsa_system_sgpr_workgroup_id_z 0
		.amdhsa_system_sgpr_workgroup_info 0
		.amdhsa_system_vgpr_workitem_id 0
		.amdhsa_next_free_vgpr 1
		.amdhsa_next_free_sgpr 1
		.amdhsa_reserve_vcc 0
		.amdhsa_reserve_flat_scratch 0
		.amdhsa_float_round_mode_32 0
		.amdhsa_float_round_mode_16_64 0
		.amdhsa_float_denorm_mode_32 3
		.amdhsa_float_denorm_mode_16_64 3
		.amdhsa_dx10_clamp 1
		.amdhsa_ieee_mode 1
		.amdhsa_fp16_overflow 0
		.amdhsa_workgroup_processor_mode 1
		.amdhsa_memory_ordered 1
		.amdhsa_forward_progress 1
		.amdhsa_shared_vgpr_count 0
		.amdhsa_exception_fp_ieee_invalid_op 0
		.amdhsa_exception_fp_denorm_src 0
		.amdhsa_exception_fp_ieee_div_zero 0
		.amdhsa_exception_fp_ieee_overflow 0
		.amdhsa_exception_fp_ieee_underflow 0
		.amdhsa_exception_fp_ieee_inexact 0
		.amdhsa_exception_int_div_zero 0
	.end_amdhsa_kernel
	.section	.text._ZN7rocprim17ROCPRIM_400000_NS6detail17trampoline_kernelINS0_14default_configENS1_20scan_config_selectorIN3c108BFloat16EEEZZNS1_9scan_implILNS1_25lookback_scan_determinismE0ELb0ELb0ES3_PKS6_PS6_S6_ZZZN2at6native31launch_logcumsumexp_cuda_kernelERKNSD_10TensorBaseESH_lENKUlvE_clEvENKUlvE4_clEvEUlS6_S6_E_S6_EEDaPvRmT3_T4_T5_mT6_P12ihipStream_tbENKUlT_T0_E_clISt17integral_constantIbLb0EESX_IbLb1EEEEDaST_SU_EUlST_E_NS1_11comp_targetILNS1_3genE0ELNS1_11target_archE4294967295ELNS1_3gpuE0ELNS1_3repE0EEENS1_30default_config_static_selectorELNS0_4arch9wavefront6targetE0EEEvT1_,"axG",@progbits,_ZN7rocprim17ROCPRIM_400000_NS6detail17trampoline_kernelINS0_14default_configENS1_20scan_config_selectorIN3c108BFloat16EEEZZNS1_9scan_implILNS1_25lookback_scan_determinismE0ELb0ELb0ES3_PKS6_PS6_S6_ZZZN2at6native31launch_logcumsumexp_cuda_kernelERKNSD_10TensorBaseESH_lENKUlvE_clEvENKUlvE4_clEvEUlS6_S6_E_S6_EEDaPvRmT3_T4_T5_mT6_P12ihipStream_tbENKUlT_T0_E_clISt17integral_constantIbLb0EESX_IbLb1EEEEDaST_SU_EUlST_E_NS1_11comp_targetILNS1_3genE0ELNS1_11target_archE4294967295ELNS1_3gpuE0ELNS1_3repE0EEENS1_30default_config_static_selectorELNS0_4arch9wavefront6targetE0EEEvT1_,comdat
.Lfunc_end503:
	.size	_ZN7rocprim17ROCPRIM_400000_NS6detail17trampoline_kernelINS0_14default_configENS1_20scan_config_selectorIN3c108BFloat16EEEZZNS1_9scan_implILNS1_25lookback_scan_determinismE0ELb0ELb0ES3_PKS6_PS6_S6_ZZZN2at6native31launch_logcumsumexp_cuda_kernelERKNSD_10TensorBaseESH_lENKUlvE_clEvENKUlvE4_clEvEUlS6_S6_E_S6_EEDaPvRmT3_T4_T5_mT6_P12ihipStream_tbENKUlT_T0_E_clISt17integral_constantIbLb0EESX_IbLb1EEEEDaST_SU_EUlST_E_NS1_11comp_targetILNS1_3genE0ELNS1_11target_archE4294967295ELNS1_3gpuE0ELNS1_3repE0EEENS1_30default_config_static_selectorELNS0_4arch9wavefront6targetE0EEEvT1_, .Lfunc_end503-_ZN7rocprim17ROCPRIM_400000_NS6detail17trampoline_kernelINS0_14default_configENS1_20scan_config_selectorIN3c108BFloat16EEEZZNS1_9scan_implILNS1_25lookback_scan_determinismE0ELb0ELb0ES3_PKS6_PS6_S6_ZZZN2at6native31launch_logcumsumexp_cuda_kernelERKNSD_10TensorBaseESH_lENKUlvE_clEvENKUlvE4_clEvEUlS6_S6_E_S6_EEDaPvRmT3_T4_T5_mT6_P12ihipStream_tbENKUlT_T0_E_clISt17integral_constantIbLb0EESX_IbLb1EEEEDaST_SU_EUlST_E_NS1_11comp_targetILNS1_3genE0ELNS1_11target_archE4294967295ELNS1_3gpuE0ELNS1_3repE0EEENS1_30default_config_static_selectorELNS0_4arch9wavefront6targetE0EEEvT1_
                                        ; -- End function
	.set _ZN7rocprim17ROCPRIM_400000_NS6detail17trampoline_kernelINS0_14default_configENS1_20scan_config_selectorIN3c108BFloat16EEEZZNS1_9scan_implILNS1_25lookback_scan_determinismE0ELb0ELb0ES3_PKS6_PS6_S6_ZZZN2at6native31launch_logcumsumexp_cuda_kernelERKNSD_10TensorBaseESH_lENKUlvE_clEvENKUlvE4_clEvEUlS6_S6_E_S6_EEDaPvRmT3_T4_T5_mT6_P12ihipStream_tbENKUlT_T0_E_clISt17integral_constantIbLb0EESX_IbLb1EEEEDaST_SU_EUlST_E_NS1_11comp_targetILNS1_3genE0ELNS1_11target_archE4294967295ELNS1_3gpuE0ELNS1_3repE0EEENS1_30default_config_static_selectorELNS0_4arch9wavefront6targetE0EEEvT1_.num_vgpr, 0
	.set _ZN7rocprim17ROCPRIM_400000_NS6detail17trampoline_kernelINS0_14default_configENS1_20scan_config_selectorIN3c108BFloat16EEEZZNS1_9scan_implILNS1_25lookback_scan_determinismE0ELb0ELb0ES3_PKS6_PS6_S6_ZZZN2at6native31launch_logcumsumexp_cuda_kernelERKNSD_10TensorBaseESH_lENKUlvE_clEvENKUlvE4_clEvEUlS6_S6_E_S6_EEDaPvRmT3_T4_T5_mT6_P12ihipStream_tbENKUlT_T0_E_clISt17integral_constantIbLb0EESX_IbLb1EEEEDaST_SU_EUlST_E_NS1_11comp_targetILNS1_3genE0ELNS1_11target_archE4294967295ELNS1_3gpuE0ELNS1_3repE0EEENS1_30default_config_static_selectorELNS0_4arch9wavefront6targetE0EEEvT1_.num_agpr, 0
	.set _ZN7rocprim17ROCPRIM_400000_NS6detail17trampoline_kernelINS0_14default_configENS1_20scan_config_selectorIN3c108BFloat16EEEZZNS1_9scan_implILNS1_25lookback_scan_determinismE0ELb0ELb0ES3_PKS6_PS6_S6_ZZZN2at6native31launch_logcumsumexp_cuda_kernelERKNSD_10TensorBaseESH_lENKUlvE_clEvENKUlvE4_clEvEUlS6_S6_E_S6_EEDaPvRmT3_T4_T5_mT6_P12ihipStream_tbENKUlT_T0_E_clISt17integral_constantIbLb0EESX_IbLb1EEEEDaST_SU_EUlST_E_NS1_11comp_targetILNS1_3genE0ELNS1_11target_archE4294967295ELNS1_3gpuE0ELNS1_3repE0EEENS1_30default_config_static_selectorELNS0_4arch9wavefront6targetE0EEEvT1_.numbered_sgpr, 0
	.set _ZN7rocprim17ROCPRIM_400000_NS6detail17trampoline_kernelINS0_14default_configENS1_20scan_config_selectorIN3c108BFloat16EEEZZNS1_9scan_implILNS1_25lookback_scan_determinismE0ELb0ELb0ES3_PKS6_PS6_S6_ZZZN2at6native31launch_logcumsumexp_cuda_kernelERKNSD_10TensorBaseESH_lENKUlvE_clEvENKUlvE4_clEvEUlS6_S6_E_S6_EEDaPvRmT3_T4_T5_mT6_P12ihipStream_tbENKUlT_T0_E_clISt17integral_constantIbLb0EESX_IbLb1EEEEDaST_SU_EUlST_E_NS1_11comp_targetILNS1_3genE0ELNS1_11target_archE4294967295ELNS1_3gpuE0ELNS1_3repE0EEENS1_30default_config_static_selectorELNS0_4arch9wavefront6targetE0EEEvT1_.num_named_barrier, 0
	.set _ZN7rocprim17ROCPRIM_400000_NS6detail17trampoline_kernelINS0_14default_configENS1_20scan_config_selectorIN3c108BFloat16EEEZZNS1_9scan_implILNS1_25lookback_scan_determinismE0ELb0ELb0ES3_PKS6_PS6_S6_ZZZN2at6native31launch_logcumsumexp_cuda_kernelERKNSD_10TensorBaseESH_lENKUlvE_clEvENKUlvE4_clEvEUlS6_S6_E_S6_EEDaPvRmT3_T4_T5_mT6_P12ihipStream_tbENKUlT_T0_E_clISt17integral_constantIbLb0EESX_IbLb1EEEEDaST_SU_EUlST_E_NS1_11comp_targetILNS1_3genE0ELNS1_11target_archE4294967295ELNS1_3gpuE0ELNS1_3repE0EEENS1_30default_config_static_selectorELNS0_4arch9wavefront6targetE0EEEvT1_.private_seg_size, 0
	.set _ZN7rocprim17ROCPRIM_400000_NS6detail17trampoline_kernelINS0_14default_configENS1_20scan_config_selectorIN3c108BFloat16EEEZZNS1_9scan_implILNS1_25lookback_scan_determinismE0ELb0ELb0ES3_PKS6_PS6_S6_ZZZN2at6native31launch_logcumsumexp_cuda_kernelERKNSD_10TensorBaseESH_lENKUlvE_clEvENKUlvE4_clEvEUlS6_S6_E_S6_EEDaPvRmT3_T4_T5_mT6_P12ihipStream_tbENKUlT_T0_E_clISt17integral_constantIbLb0EESX_IbLb1EEEEDaST_SU_EUlST_E_NS1_11comp_targetILNS1_3genE0ELNS1_11target_archE4294967295ELNS1_3gpuE0ELNS1_3repE0EEENS1_30default_config_static_selectorELNS0_4arch9wavefront6targetE0EEEvT1_.uses_vcc, 0
	.set _ZN7rocprim17ROCPRIM_400000_NS6detail17trampoline_kernelINS0_14default_configENS1_20scan_config_selectorIN3c108BFloat16EEEZZNS1_9scan_implILNS1_25lookback_scan_determinismE0ELb0ELb0ES3_PKS6_PS6_S6_ZZZN2at6native31launch_logcumsumexp_cuda_kernelERKNSD_10TensorBaseESH_lENKUlvE_clEvENKUlvE4_clEvEUlS6_S6_E_S6_EEDaPvRmT3_T4_T5_mT6_P12ihipStream_tbENKUlT_T0_E_clISt17integral_constantIbLb0EESX_IbLb1EEEEDaST_SU_EUlST_E_NS1_11comp_targetILNS1_3genE0ELNS1_11target_archE4294967295ELNS1_3gpuE0ELNS1_3repE0EEENS1_30default_config_static_selectorELNS0_4arch9wavefront6targetE0EEEvT1_.uses_flat_scratch, 0
	.set _ZN7rocprim17ROCPRIM_400000_NS6detail17trampoline_kernelINS0_14default_configENS1_20scan_config_selectorIN3c108BFloat16EEEZZNS1_9scan_implILNS1_25lookback_scan_determinismE0ELb0ELb0ES3_PKS6_PS6_S6_ZZZN2at6native31launch_logcumsumexp_cuda_kernelERKNSD_10TensorBaseESH_lENKUlvE_clEvENKUlvE4_clEvEUlS6_S6_E_S6_EEDaPvRmT3_T4_T5_mT6_P12ihipStream_tbENKUlT_T0_E_clISt17integral_constantIbLb0EESX_IbLb1EEEEDaST_SU_EUlST_E_NS1_11comp_targetILNS1_3genE0ELNS1_11target_archE4294967295ELNS1_3gpuE0ELNS1_3repE0EEENS1_30default_config_static_selectorELNS0_4arch9wavefront6targetE0EEEvT1_.has_dyn_sized_stack, 0
	.set _ZN7rocprim17ROCPRIM_400000_NS6detail17trampoline_kernelINS0_14default_configENS1_20scan_config_selectorIN3c108BFloat16EEEZZNS1_9scan_implILNS1_25lookback_scan_determinismE0ELb0ELb0ES3_PKS6_PS6_S6_ZZZN2at6native31launch_logcumsumexp_cuda_kernelERKNSD_10TensorBaseESH_lENKUlvE_clEvENKUlvE4_clEvEUlS6_S6_E_S6_EEDaPvRmT3_T4_T5_mT6_P12ihipStream_tbENKUlT_T0_E_clISt17integral_constantIbLb0EESX_IbLb1EEEEDaST_SU_EUlST_E_NS1_11comp_targetILNS1_3genE0ELNS1_11target_archE4294967295ELNS1_3gpuE0ELNS1_3repE0EEENS1_30default_config_static_selectorELNS0_4arch9wavefront6targetE0EEEvT1_.has_recursion, 0
	.set _ZN7rocprim17ROCPRIM_400000_NS6detail17trampoline_kernelINS0_14default_configENS1_20scan_config_selectorIN3c108BFloat16EEEZZNS1_9scan_implILNS1_25lookback_scan_determinismE0ELb0ELb0ES3_PKS6_PS6_S6_ZZZN2at6native31launch_logcumsumexp_cuda_kernelERKNSD_10TensorBaseESH_lENKUlvE_clEvENKUlvE4_clEvEUlS6_S6_E_S6_EEDaPvRmT3_T4_T5_mT6_P12ihipStream_tbENKUlT_T0_E_clISt17integral_constantIbLb0EESX_IbLb1EEEEDaST_SU_EUlST_E_NS1_11comp_targetILNS1_3genE0ELNS1_11target_archE4294967295ELNS1_3gpuE0ELNS1_3repE0EEENS1_30default_config_static_selectorELNS0_4arch9wavefront6targetE0EEEvT1_.has_indirect_call, 0
	.section	.AMDGPU.csdata,"",@progbits
; Kernel info:
; codeLenInByte = 0
; TotalNumSgprs: 0
; NumVgprs: 0
; ScratchSize: 0
; MemoryBound: 0
; FloatMode: 240
; IeeeMode: 1
; LDSByteSize: 0 bytes/workgroup (compile time only)
; SGPRBlocks: 0
; VGPRBlocks: 0
; NumSGPRsForWavesPerEU: 1
; NumVGPRsForWavesPerEU: 1
; Occupancy: 16
; WaveLimiterHint : 0
; COMPUTE_PGM_RSRC2:SCRATCH_EN: 0
; COMPUTE_PGM_RSRC2:USER_SGPR: 6
; COMPUTE_PGM_RSRC2:TRAP_HANDLER: 0
; COMPUTE_PGM_RSRC2:TGID_X_EN: 1
; COMPUTE_PGM_RSRC2:TGID_Y_EN: 0
; COMPUTE_PGM_RSRC2:TGID_Z_EN: 0
; COMPUTE_PGM_RSRC2:TIDIG_COMP_CNT: 0
	.section	.text._ZN7rocprim17ROCPRIM_400000_NS6detail17trampoline_kernelINS0_14default_configENS1_20scan_config_selectorIN3c108BFloat16EEEZZNS1_9scan_implILNS1_25lookback_scan_determinismE0ELb0ELb0ES3_PKS6_PS6_S6_ZZZN2at6native31launch_logcumsumexp_cuda_kernelERKNSD_10TensorBaseESH_lENKUlvE_clEvENKUlvE4_clEvEUlS6_S6_E_S6_EEDaPvRmT3_T4_T5_mT6_P12ihipStream_tbENKUlT_T0_E_clISt17integral_constantIbLb0EESX_IbLb1EEEEDaST_SU_EUlST_E_NS1_11comp_targetILNS1_3genE5ELNS1_11target_archE942ELNS1_3gpuE9ELNS1_3repE0EEENS1_30default_config_static_selectorELNS0_4arch9wavefront6targetE0EEEvT1_,"axG",@progbits,_ZN7rocprim17ROCPRIM_400000_NS6detail17trampoline_kernelINS0_14default_configENS1_20scan_config_selectorIN3c108BFloat16EEEZZNS1_9scan_implILNS1_25lookback_scan_determinismE0ELb0ELb0ES3_PKS6_PS6_S6_ZZZN2at6native31launch_logcumsumexp_cuda_kernelERKNSD_10TensorBaseESH_lENKUlvE_clEvENKUlvE4_clEvEUlS6_S6_E_S6_EEDaPvRmT3_T4_T5_mT6_P12ihipStream_tbENKUlT_T0_E_clISt17integral_constantIbLb0EESX_IbLb1EEEEDaST_SU_EUlST_E_NS1_11comp_targetILNS1_3genE5ELNS1_11target_archE942ELNS1_3gpuE9ELNS1_3repE0EEENS1_30default_config_static_selectorELNS0_4arch9wavefront6targetE0EEEvT1_,comdat
	.globl	_ZN7rocprim17ROCPRIM_400000_NS6detail17trampoline_kernelINS0_14default_configENS1_20scan_config_selectorIN3c108BFloat16EEEZZNS1_9scan_implILNS1_25lookback_scan_determinismE0ELb0ELb0ES3_PKS6_PS6_S6_ZZZN2at6native31launch_logcumsumexp_cuda_kernelERKNSD_10TensorBaseESH_lENKUlvE_clEvENKUlvE4_clEvEUlS6_S6_E_S6_EEDaPvRmT3_T4_T5_mT6_P12ihipStream_tbENKUlT_T0_E_clISt17integral_constantIbLb0EESX_IbLb1EEEEDaST_SU_EUlST_E_NS1_11comp_targetILNS1_3genE5ELNS1_11target_archE942ELNS1_3gpuE9ELNS1_3repE0EEENS1_30default_config_static_selectorELNS0_4arch9wavefront6targetE0EEEvT1_ ; -- Begin function _ZN7rocprim17ROCPRIM_400000_NS6detail17trampoline_kernelINS0_14default_configENS1_20scan_config_selectorIN3c108BFloat16EEEZZNS1_9scan_implILNS1_25lookback_scan_determinismE0ELb0ELb0ES3_PKS6_PS6_S6_ZZZN2at6native31launch_logcumsumexp_cuda_kernelERKNSD_10TensorBaseESH_lENKUlvE_clEvENKUlvE4_clEvEUlS6_S6_E_S6_EEDaPvRmT3_T4_T5_mT6_P12ihipStream_tbENKUlT_T0_E_clISt17integral_constantIbLb0EESX_IbLb1EEEEDaST_SU_EUlST_E_NS1_11comp_targetILNS1_3genE5ELNS1_11target_archE942ELNS1_3gpuE9ELNS1_3repE0EEENS1_30default_config_static_selectorELNS0_4arch9wavefront6targetE0EEEvT1_
	.p2align	8
	.type	_ZN7rocprim17ROCPRIM_400000_NS6detail17trampoline_kernelINS0_14default_configENS1_20scan_config_selectorIN3c108BFloat16EEEZZNS1_9scan_implILNS1_25lookback_scan_determinismE0ELb0ELb0ES3_PKS6_PS6_S6_ZZZN2at6native31launch_logcumsumexp_cuda_kernelERKNSD_10TensorBaseESH_lENKUlvE_clEvENKUlvE4_clEvEUlS6_S6_E_S6_EEDaPvRmT3_T4_T5_mT6_P12ihipStream_tbENKUlT_T0_E_clISt17integral_constantIbLb0EESX_IbLb1EEEEDaST_SU_EUlST_E_NS1_11comp_targetILNS1_3genE5ELNS1_11target_archE942ELNS1_3gpuE9ELNS1_3repE0EEENS1_30default_config_static_selectorELNS0_4arch9wavefront6targetE0EEEvT1_,@function
_ZN7rocprim17ROCPRIM_400000_NS6detail17trampoline_kernelINS0_14default_configENS1_20scan_config_selectorIN3c108BFloat16EEEZZNS1_9scan_implILNS1_25lookback_scan_determinismE0ELb0ELb0ES3_PKS6_PS6_S6_ZZZN2at6native31launch_logcumsumexp_cuda_kernelERKNSD_10TensorBaseESH_lENKUlvE_clEvENKUlvE4_clEvEUlS6_S6_E_S6_EEDaPvRmT3_T4_T5_mT6_P12ihipStream_tbENKUlT_T0_E_clISt17integral_constantIbLb0EESX_IbLb1EEEEDaST_SU_EUlST_E_NS1_11comp_targetILNS1_3genE5ELNS1_11target_archE942ELNS1_3gpuE9ELNS1_3repE0EEENS1_30default_config_static_selectorELNS0_4arch9wavefront6targetE0EEEvT1_: ; @_ZN7rocprim17ROCPRIM_400000_NS6detail17trampoline_kernelINS0_14default_configENS1_20scan_config_selectorIN3c108BFloat16EEEZZNS1_9scan_implILNS1_25lookback_scan_determinismE0ELb0ELb0ES3_PKS6_PS6_S6_ZZZN2at6native31launch_logcumsumexp_cuda_kernelERKNSD_10TensorBaseESH_lENKUlvE_clEvENKUlvE4_clEvEUlS6_S6_E_S6_EEDaPvRmT3_T4_T5_mT6_P12ihipStream_tbENKUlT_T0_E_clISt17integral_constantIbLb0EESX_IbLb1EEEEDaST_SU_EUlST_E_NS1_11comp_targetILNS1_3genE5ELNS1_11target_archE942ELNS1_3gpuE9ELNS1_3repE0EEENS1_30default_config_static_selectorELNS0_4arch9wavefront6targetE0EEEvT1_
; %bb.0:
	.section	.rodata,"a",@progbits
	.p2align	6, 0x0
	.amdhsa_kernel _ZN7rocprim17ROCPRIM_400000_NS6detail17trampoline_kernelINS0_14default_configENS1_20scan_config_selectorIN3c108BFloat16EEEZZNS1_9scan_implILNS1_25lookback_scan_determinismE0ELb0ELb0ES3_PKS6_PS6_S6_ZZZN2at6native31launch_logcumsumexp_cuda_kernelERKNSD_10TensorBaseESH_lENKUlvE_clEvENKUlvE4_clEvEUlS6_S6_E_S6_EEDaPvRmT3_T4_T5_mT6_P12ihipStream_tbENKUlT_T0_E_clISt17integral_constantIbLb0EESX_IbLb1EEEEDaST_SU_EUlST_E_NS1_11comp_targetILNS1_3genE5ELNS1_11target_archE942ELNS1_3gpuE9ELNS1_3repE0EEENS1_30default_config_static_selectorELNS0_4arch9wavefront6targetE0EEEvT1_
		.amdhsa_group_segment_fixed_size 0
		.amdhsa_private_segment_fixed_size 0
		.amdhsa_kernarg_size 96
		.amdhsa_user_sgpr_count 6
		.amdhsa_user_sgpr_private_segment_buffer 1
		.amdhsa_user_sgpr_dispatch_ptr 0
		.amdhsa_user_sgpr_queue_ptr 0
		.amdhsa_user_sgpr_kernarg_segment_ptr 1
		.amdhsa_user_sgpr_dispatch_id 0
		.amdhsa_user_sgpr_flat_scratch_init 0
		.amdhsa_user_sgpr_private_segment_size 0
		.amdhsa_wavefront_size32 1
		.amdhsa_uses_dynamic_stack 0
		.amdhsa_system_sgpr_private_segment_wavefront_offset 0
		.amdhsa_system_sgpr_workgroup_id_x 1
		.amdhsa_system_sgpr_workgroup_id_y 0
		.amdhsa_system_sgpr_workgroup_id_z 0
		.amdhsa_system_sgpr_workgroup_info 0
		.amdhsa_system_vgpr_workitem_id 0
		.amdhsa_next_free_vgpr 1
		.amdhsa_next_free_sgpr 1
		.amdhsa_reserve_vcc 0
		.amdhsa_reserve_flat_scratch 0
		.amdhsa_float_round_mode_32 0
		.amdhsa_float_round_mode_16_64 0
		.amdhsa_float_denorm_mode_32 3
		.amdhsa_float_denorm_mode_16_64 3
		.amdhsa_dx10_clamp 1
		.amdhsa_ieee_mode 1
		.amdhsa_fp16_overflow 0
		.amdhsa_workgroup_processor_mode 1
		.amdhsa_memory_ordered 1
		.amdhsa_forward_progress 1
		.amdhsa_shared_vgpr_count 0
		.amdhsa_exception_fp_ieee_invalid_op 0
		.amdhsa_exception_fp_denorm_src 0
		.amdhsa_exception_fp_ieee_div_zero 0
		.amdhsa_exception_fp_ieee_overflow 0
		.amdhsa_exception_fp_ieee_underflow 0
		.amdhsa_exception_fp_ieee_inexact 0
		.amdhsa_exception_int_div_zero 0
	.end_amdhsa_kernel
	.section	.text._ZN7rocprim17ROCPRIM_400000_NS6detail17trampoline_kernelINS0_14default_configENS1_20scan_config_selectorIN3c108BFloat16EEEZZNS1_9scan_implILNS1_25lookback_scan_determinismE0ELb0ELb0ES3_PKS6_PS6_S6_ZZZN2at6native31launch_logcumsumexp_cuda_kernelERKNSD_10TensorBaseESH_lENKUlvE_clEvENKUlvE4_clEvEUlS6_S6_E_S6_EEDaPvRmT3_T4_T5_mT6_P12ihipStream_tbENKUlT_T0_E_clISt17integral_constantIbLb0EESX_IbLb1EEEEDaST_SU_EUlST_E_NS1_11comp_targetILNS1_3genE5ELNS1_11target_archE942ELNS1_3gpuE9ELNS1_3repE0EEENS1_30default_config_static_selectorELNS0_4arch9wavefront6targetE0EEEvT1_,"axG",@progbits,_ZN7rocprim17ROCPRIM_400000_NS6detail17trampoline_kernelINS0_14default_configENS1_20scan_config_selectorIN3c108BFloat16EEEZZNS1_9scan_implILNS1_25lookback_scan_determinismE0ELb0ELb0ES3_PKS6_PS6_S6_ZZZN2at6native31launch_logcumsumexp_cuda_kernelERKNSD_10TensorBaseESH_lENKUlvE_clEvENKUlvE4_clEvEUlS6_S6_E_S6_EEDaPvRmT3_T4_T5_mT6_P12ihipStream_tbENKUlT_T0_E_clISt17integral_constantIbLb0EESX_IbLb1EEEEDaST_SU_EUlST_E_NS1_11comp_targetILNS1_3genE5ELNS1_11target_archE942ELNS1_3gpuE9ELNS1_3repE0EEENS1_30default_config_static_selectorELNS0_4arch9wavefront6targetE0EEEvT1_,comdat
.Lfunc_end504:
	.size	_ZN7rocprim17ROCPRIM_400000_NS6detail17trampoline_kernelINS0_14default_configENS1_20scan_config_selectorIN3c108BFloat16EEEZZNS1_9scan_implILNS1_25lookback_scan_determinismE0ELb0ELb0ES3_PKS6_PS6_S6_ZZZN2at6native31launch_logcumsumexp_cuda_kernelERKNSD_10TensorBaseESH_lENKUlvE_clEvENKUlvE4_clEvEUlS6_S6_E_S6_EEDaPvRmT3_T4_T5_mT6_P12ihipStream_tbENKUlT_T0_E_clISt17integral_constantIbLb0EESX_IbLb1EEEEDaST_SU_EUlST_E_NS1_11comp_targetILNS1_3genE5ELNS1_11target_archE942ELNS1_3gpuE9ELNS1_3repE0EEENS1_30default_config_static_selectorELNS0_4arch9wavefront6targetE0EEEvT1_, .Lfunc_end504-_ZN7rocprim17ROCPRIM_400000_NS6detail17trampoline_kernelINS0_14default_configENS1_20scan_config_selectorIN3c108BFloat16EEEZZNS1_9scan_implILNS1_25lookback_scan_determinismE0ELb0ELb0ES3_PKS6_PS6_S6_ZZZN2at6native31launch_logcumsumexp_cuda_kernelERKNSD_10TensorBaseESH_lENKUlvE_clEvENKUlvE4_clEvEUlS6_S6_E_S6_EEDaPvRmT3_T4_T5_mT6_P12ihipStream_tbENKUlT_T0_E_clISt17integral_constantIbLb0EESX_IbLb1EEEEDaST_SU_EUlST_E_NS1_11comp_targetILNS1_3genE5ELNS1_11target_archE942ELNS1_3gpuE9ELNS1_3repE0EEENS1_30default_config_static_selectorELNS0_4arch9wavefront6targetE0EEEvT1_
                                        ; -- End function
	.set _ZN7rocprim17ROCPRIM_400000_NS6detail17trampoline_kernelINS0_14default_configENS1_20scan_config_selectorIN3c108BFloat16EEEZZNS1_9scan_implILNS1_25lookback_scan_determinismE0ELb0ELb0ES3_PKS6_PS6_S6_ZZZN2at6native31launch_logcumsumexp_cuda_kernelERKNSD_10TensorBaseESH_lENKUlvE_clEvENKUlvE4_clEvEUlS6_S6_E_S6_EEDaPvRmT3_T4_T5_mT6_P12ihipStream_tbENKUlT_T0_E_clISt17integral_constantIbLb0EESX_IbLb1EEEEDaST_SU_EUlST_E_NS1_11comp_targetILNS1_3genE5ELNS1_11target_archE942ELNS1_3gpuE9ELNS1_3repE0EEENS1_30default_config_static_selectorELNS0_4arch9wavefront6targetE0EEEvT1_.num_vgpr, 0
	.set _ZN7rocprim17ROCPRIM_400000_NS6detail17trampoline_kernelINS0_14default_configENS1_20scan_config_selectorIN3c108BFloat16EEEZZNS1_9scan_implILNS1_25lookback_scan_determinismE0ELb0ELb0ES3_PKS6_PS6_S6_ZZZN2at6native31launch_logcumsumexp_cuda_kernelERKNSD_10TensorBaseESH_lENKUlvE_clEvENKUlvE4_clEvEUlS6_S6_E_S6_EEDaPvRmT3_T4_T5_mT6_P12ihipStream_tbENKUlT_T0_E_clISt17integral_constantIbLb0EESX_IbLb1EEEEDaST_SU_EUlST_E_NS1_11comp_targetILNS1_3genE5ELNS1_11target_archE942ELNS1_3gpuE9ELNS1_3repE0EEENS1_30default_config_static_selectorELNS0_4arch9wavefront6targetE0EEEvT1_.num_agpr, 0
	.set _ZN7rocprim17ROCPRIM_400000_NS6detail17trampoline_kernelINS0_14default_configENS1_20scan_config_selectorIN3c108BFloat16EEEZZNS1_9scan_implILNS1_25lookback_scan_determinismE0ELb0ELb0ES3_PKS6_PS6_S6_ZZZN2at6native31launch_logcumsumexp_cuda_kernelERKNSD_10TensorBaseESH_lENKUlvE_clEvENKUlvE4_clEvEUlS6_S6_E_S6_EEDaPvRmT3_T4_T5_mT6_P12ihipStream_tbENKUlT_T0_E_clISt17integral_constantIbLb0EESX_IbLb1EEEEDaST_SU_EUlST_E_NS1_11comp_targetILNS1_3genE5ELNS1_11target_archE942ELNS1_3gpuE9ELNS1_3repE0EEENS1_30default_config_static_selectorELNS0_4arch9wavefront6targetE0EEEvT1_.numbered_sgpr, 0
	.set _ZN7rocprim17ROCPRIM_400000_NS6detail17trampoline_kernelINS0_14default_configENS1_20scan_config_selectorIN3c108BFloat16EEEZZNS1_9scan_implILNS1_25lookback_scan_determinismE0ELb0ELb0ES3_PKS6_PS6_S6_ZZZN2at6native31launch_logcumsumexp_cuda_kernelERKNSD_10TensorBaseESH_lENKUlvE_clEvENKUlvE4_clEvEUlS6_S6_E_S6_EEDaPvRmT3_T4_T5_mT6_P12ihipStream_tbENKUlT_T0_E_clISt17integral_constantIbLb0EESX_IbLb1EEEEDaST_SU_EUlST_E_NS1_11comp_targetILNS1_3genE5ELNS1_11target_archE942ELNS1_3gpuE9ELNS1_3repE0EEENS1_30default_config_static_selectorELNS0_4arch9wavefront6targetE0EEEvT1_.num_named_barrier, 0
	.set _ZN7rocprim17ROCPRIM_400000_NS6detail17trampoline_kernelINS0_14default_configENS1_20scan_config_selectorIN3c108BFloat16EEEZZNS1_9scan_implILNS1_25lookback_scan_determinismE0ELb0ELb0ES3_PKS6_PS6_S6_ZZZN2at6native31launch_logcumsumexp_cuda_kernelERKNSD_10TensorBaseESH_lENKUlvE_clEvENKUlvE4_clEvEUlS6_S6_E_S6_EEDaPvRmT3_T4_T5_mT6_P12ihipStream_tbENKUlT_T0_E_clISt17integral_constantIbLb0EESX_IbLb1EEEEDaST_SU_EUlST_E_NS1_11comp_targetILNS1_3genE5ELNS1_11target_archE942ELNS1_3gpuE9ELNS1_3repE0EEENS1_30default_config_static_selectorELNS0_4arch9wavefront6targetE0EEEvT1_.private_seg_size, 0
	.set _ZN7rocprim17ROCPRIM_400000_NS6detail17trampoline_kernelINS0_14default_configENS1_20scan_config_selectorIN3c108BFloat16EEEZZNS1_9scan_implILNS1_25lookback_scan_determinismE0ELb0ELb0ES3_PKS6_PS6_S6_ZZZN2at6native31launch_logcumsumexp_cuda_kernelERKNSD_10TensorBaseESH_lENKUlvE_clEvENKUlvE4_clEvEUlS6_S6_E_S6_EEDaPvRmT3_T4_T5_mT6_P12ihipStream_tbENKUlT_T0_E_clISt17integral_constantIbLb0EESX_IbLb1EEEEDaST_SU_EUlST_E_NS1_11comp_targetILNS1_3genE5ELNS1_11target_archE942ELNS1_3gpuE9ELNS1_3repE0EEENS1_30default_config_static_selectorELNS0_4arch9wavefront6targetE0EEEvT1_.uses_vcc, 0
	.set _ZN7rocprim17ROCPRIM_400000_NS6detail17trampoline_kernelINS0_14default_configENS1_20scan_config_selectorIN3c108BFloat16EEEZZNS1_9scan_implILNS1_25lookback_scan_determinismE0ELb0ELb0ES3_PKS6_PS6_S6_ZZZN2at6native31launch_logcumsumexp_cuda_kernelERKNSD_10TensorBaseESH_lENKUlvE_clEvENKUlvE4_clEvEUlS6_S6_E_S6_EEDaPvRmT3_T4_T5_mT6_P12ihipStream_tbENKUlT_T0_E_clISt17integral_constantIbLb0EESX_IbLb1EEEEDaST_SU_EUlST_E_NS1_11comp_targetILNS1_3genE5ELNS1_11target_archE942ELNS1_3gpuE9ELNS1_3repE0EEENS1_30default_config_static_selectorELNS0_4arch9wavefront6targetE0EEEvT1_.uses_flat_scratch, 0
	.set _ZN7rocprim17ROCPRIM_400000_NS6detail17trampoline_kernelINS0_14default_configENS1_20scan_config_selectorIN3c108BFloat16EEEZZNS1_9scan_implILNS1_25lookback_scan_determinismE0ELb0ELb0ES3_PKS6_PS6_S6_ZZZN2at6native31launch_logcumsumexp_cuda_kernelERKNSD_10TensorBaseESH_lENKUlvE_clEvENKUlvE4_clEvEUlS6_S6_E_S6_EEDaPvRmT3_T4_T5_mT6_P12ihipStream_tbENKUlT_T0_E_clISt17integral_constantIbLb0EESX_IbLb1EEEEDaST_SU_EUlST_E_NS1_11comp_targetILNS1_3genE5ELNS1_11target_archE942ELNS1_3gpuE9ELNS1_3repE0EEENS1_30default_config_static_selectorELNS0_4arch9wavefront6targetE0EEEvT1_.has_dyn_sized_stack, 0
	.set _ZN7rocprim17ROCPRIM_400000_NS6detail17trampoline_kernelINS0_14default_configENS1_20scan_config_selectorIN3c108BFloat16EEEZZNS1_9scan_implILNS1_25lookback_scan_determinismE0ELb0ELb0ES3_PKS6_PS6_S6_ZZZN2at6native31launch_logcumsumexp_cuda_kernelERKNSD_10TensorBaseESH_lENKUlvE_clEvENKUlvE4_clEvEUlS6_S6_E_S6_EEDaPvRmT3_T4_T5_mT6_P12ihipStream_tbENKUlT_T0_E_clISt17integral_constantIbLb0EESX_IbLb1EEEEDaST_SU_EUlST_E_NS1_11comp_targetILNS1_3genE5ELNS1_11target_archE942ELNS1_3gpuE9ELNS1_3repE0EEENS1_30default_config_static_selectorELNS0_4arch9wavefront6targetE0EEEvT1_.has_recursion, 0
	.set _ZN7rocprim17ROCPRIM_400000_NS6detail17trampoline_kernelINS0_14default_configENS1_20scan_config_selectorIN3c108BFloat16EEEZZNS1_9scan_implILNS1_25lookback_scan_determinismE0ELb0ELb0ES3_PKS6_PS6_S6_ZZZN2at6native31launch_logcumsumexp_cuda_kernelERKNSD_10TensorBaseESH_lENKUlvE_clEvENKUlvE4_clEvEUlS6_S6_E_S6_EEDaPvRmT3_T4_T5_mT6_P12ihipStream_tbENKUlT_T0_E_clISt17integral_constantIbLb0EESX_IbLb1EEEEDaST_SU_EUlST_E_NS1_11comp_targetILNS1_3genE5ELNS1_11target_archE942ELNS1_3gpuE9ELNS1_3repE0EEENS1_30default_config_static_selectorELNS0_4arch9wavefront6targetE0EEEvT1_.has_indirect_call, 0
	.section	.AMDGPU.csdata,"",@progbits
; Kernel info:
; codeLenInByte = 0
; TotalNumSgprs: 0
; NumVgprs: 0
; ScratchSize: 0
; MemoryBound: 0
; FloatMode: 240
; IeeeMode: 1
; LDSByteSize: 0 bytes/workgroup (compile time only)
; SGPRBlocks: 0
; VGPRBlocks: 0
; NumSGPRsForWavesPerEU: 1
; NumVGPRsForWavesPerEU: 1
; Occupancy: 16
; WaveLimiterHint : 0
; COMPUTE_PGM_RSRC2:SCRATCH_EN: 0
; COMPUTE_PGM_RSRC2:USER_SGPR: 6
; COMPUTE_PGM_RSRC2:TRAP_HANDLER: 0
; COMPUTE_PGM_RSRC2:TGID_X_EN: 1
; COMPUTE_PGM_RSRC2:TGID_Y_EN: 0
; COMPUTE_PGM_RSRC2:TGID_Z_EN: 0
; COMPUTE_PGM_RSRC2:TIDIG_COMP_CNT: 0
	.section	.text._ZN7rocprim17ROCPRIM_400000_NS6detail17trampoline_kernelINS0_14default_configENS1_20scan_config_selectorIN3c108BFloat16EEEZZNS1_9scan_implILNS1_25lookback_scan_determinismE0ELb0ELb0ES3_PKS6_PS6_S6_ZZZN2at6native31launch_logcumsumexp_cuda_kernelERKNSD_10TensorBaseESH_lENKUlvE_clEvENKUlvE4_clEvEUlS6_S6_E_S6_EEDaPvRmT3_T4_T5_mT6_P12ihipStream_tbENKUlT_T0_E_clISt17integral_constantIbLb0EESX_IbLb1EEEEDaST_SU_EUlST_E_NS1_11comp_targetILNS1_3genE4ELNS1_11target_archE910ELNS1_3gpuE8ELNS1_3repE0EEENS1_30default_config_static_selectorELNS0_4arch9wavefront6targetE0EEEvT1_,"axG",@progbits,_ZN7rocprim17ROCPRIM_400000_NS6detail17trampoline_kernelINS0_14default_configENS1_20scan_config_selectorIN3c108BFloat16EEEZZNS1_9scan_implILNS1_25lookback_scan_determinismE0ELb0ELb0ES3_PKS6_PS6_S6_ZZZN2at6native31launch_logcumsumexp_cuda_kernelERKNSD_10TensorBaseESH_lENKUlvE_clEvENKUlvE4_clEvEUlS6_S6_E_S6_EEDaPvRmT3_T4_T5_mT6_P12ihipStream_tbENKUlT_T0_E_clISt17integral_constantIbLb0EESX_IbLb1EEEEDaST_SU_EUlST_E_NS1_11comp_targetILNS1_3genE4ELNS1_11target_archE910ELNS1_3gpuE8ELNS1_3repE0EEENS1_30default_config_static_selectorELNS0_4arch9wavefront6targetE0EEEvT1_,comdat
	.globl	_ZN7rocprim17ROCPRIM_400000_NS6detail17trampoline_kernelINS0_14default_configENS1_20scan_config_selectorIN3c108BFloat16EEEZZNS1_9scan_implILNS1_25lookback_scan_determinismE0ELb0ELb0ES3_PKS6_PS6_S6_ZZZN2at6native31launch_logcumsumexp_cuda_kernelERKNSD_10TensorBaseESH_lENKUlvE_clEvENKUlvE4_clEvEUlS6_S6_E_S6_EEDaPvRmT3_T4_T5_mT6_P12ihipStream_tbENKUlT_T0_E_clISt17integral_constantIbLb0EESX_IbLb1EEEEDaST_SU_EUlST_E_NS1_11comp_targetILNS1_3genE4ELNS1_11target_archE910ELNS1_3gpuE8ELNS1_3repE0EEENS1_30default_config_static_selectorELNS0_4arch9wavefront6targetE0EEEvT1_ ; -- Begin function _ZN7rocprim17ROCPRIM_400000_NS6detail17trampoline_kernelINS0_14default_configENS1_20scan_config_selectorIN3c108BFloat16EEEZZNS1_9scan_implILNS1_25lookback_scan_determinismE0ELb0ELb0ES3_PKS6_PS6_S6_ZZZN2at6native31launch_logcumsumexp_cuda_kernelERKNSD_10TensorBaseESH_lENKUlvE_clEvENKUlvE4_clEvEUlS6_S6_E_S6_EEDaPvRmT3_T4_T5_mT6_P12ihipStream_tbENKUlT_T0_E_clISt17integral_constantIbLb0EESX_IbLb1EEEEDaST_SU_EUlST_E_NS1_11comp_targetILNS1_3genE4ELNS1_11target_archE910ELNS1_3gpuE8ELNS1_3repE0EEENS1_30default_config_static_selectorELNS0_4arch9wavefront6targetE0EEEvT1_
	.p2align	8
	.type	_ZN7rocprim17ROCPRIM_400000_NS6detail17trampoline_kernelINS0_14default_configENS1_20scan_config_selectorIN3c108BFloat16EEEZZNS1_9scan_implILNS1_25lookback_scan_determinismE0ELb0ELb0ES3_PKS6_PS6_S6_ZZZN2at6native31launch_logcumsumexp_cuda_kernelERKNSD_10TensorBaseESH_lENKUlvE_clEvENKUlvE4_clEvEUlS6_S6_E_S6_EEDaPvRmT3_T4_T5_mT6_P12ihipStream_tbENKUlT_T0_E_clISt17integral_constantIbLb0EESX_IbLb1EEEEDaST_SU_EUlST_E_NS1_11comp_targetILNS1_3genE4ELNS1_11target_archE910ELNS1_3gpuE8ELNS1_3repE0EEENS1_30default_config_static_selectorELNS0_4arch9wavefront6targetE0EEEvT1_,@function
_ZN7rocprim17ROCPRIM_400000_NS6detail17trampoline_kernelINS0_14default_configENS1_20scan_config_selectorIN3c108BFloat16EEEZZNS1_9scan_implILNS1_25lookback_scan_determinismE0ELb0ELb0ES3_PKS6_PS6_S6_ZZZN2at6native31launch_logcumsumexp_cuda_kernelERKNSD_10TensorBaseESH_lENKUlvE_clEvENKUlvE4_clEvEUlS6_S6_E_S6_EEDaPvRmT3_T4_T5_mT6_P12ihipStream_tbENKUlT_T0_E_clISt17integral_constantIbLb0EESX_IbLb1EEEEDaST_SU_EUlST_E_NS1_11comp_targetILNS1_3genE4ELNS1_11target_archE910ELNS1_3gpuE8ELNS1_3repE0EEENS1_30default_config_static_selectorELNS0_4arch9wavefront6targetE0EEEvT1_: ; @_ZN7rocprim17ROCPRIM_400000_NS6detail17trampoline_kernelINS0_14default_configENS1_20scan_config_selectorIN3c108BFloat16EEEZZNS1_9scan_implILNS1_25lookback_scan_determinismE0ELb0ELb0ES3_PKS6_PS6_S6_ZZZN2at6native31launch_logcumsumexp_cuda_kernelERKNSD_10TensorBaseESH_lENKUlvE_clEvENKUlvE4_clEvEUlS6_S6_E_S6_EEDaPvRmT3_T4_T5_mT6_P12ihipStream_tbENKUlT_T0_E_clISt17integral_constantIbLb0EESX_IbLb1EEEEDaST_SU_EUlST_E_NS1_11comp_targetILNS1_3genE4ELNS1_11target_archE910ELNS1_3gpuE8ELNS1_3repE0EEENS1_30default_config_static_selectorELNS0_4arch9wavefront6targetE0EEEvT1_
; %bb.0:
	.section	.rodata,"a",@progbits
	.p2align	6, 0x0
	.amdhsa_kernel _ZN7rocprim17ROCPRIM_400000_NS6detail17trampoline_kernelINS0_14default_configENS1_20scan_config_selectorIN3c108BFloat16EEEZZNS1_9scan_implILNS1_25lookback_scan_determinismE0ELb0ELb0ES3_PKS6_PS6_S6_ZZZN2at6native31launch_logcumsumexp_cuda_kernelERKNSD_10TensorBaseESH_lENKUlvE_clEvENKUlvE4_clEvEUlS6_S6_E_S6_EEDaPvRmT3_T4_T5_mT6_P12ihipStream_tbENKUlT_T0_E_clISt17integral_constantIbLb0EESX_IbLb1EEEEDaST_SU_EUlST_E_NS1_11comp_targetILNS1_3genE4ELNS1_11target_archE910ELNS1_3gpuE8ELNS1_3repE0EEENS1_30default_config_static_selectorELNS0_4arch9wavefront6targetE0EEEvT1_
		.amdhsa_group_segment_fixed_size 0
		.amdhsa_private_segment_fixed_size 0
		.amdhsa_kernarg_size 96
		.amdhsa_user_sgpr_count 6
		.amdhsa_user_sgpr_private_segment_buffer 1
		.amdhsa_user_sgpr_dispatch_ptr 0
		.amdhsa_user_sgpr_queue_ptr 0
		.amdhsa_user_sgpr_kernarg_segment_ptr 1
		.amdhsa_user_sgpr_dispatch_id 0
		.amdhsa_user_sgpr_flat_scratch_init 0
		.amdhsa_user_sgpr_private_segment_size 0
		.amdhsa_wavefront_size32 1
		.amdhsa_uses_dynamic_stack 0
		.amdhsa_system_sgpr_private_segment_wavefront_offset 0
		.amdhsa_system_sgpr_workgroup_id_x 1
		.amdhsa_system_sgpr_workgroup_id_y 0
		.amdhsa_system_sgpr_workgroup_id_z 0
		.amdhsa_system_sgpr_workgroup_info 0
		.amdhsa_system_vgpr_workitem_id 0
		.amdhsa_next_free_vgpr 1
		.amdhsa_next_free_sgpr 1
		.amdhsa_reserve_vcc 0
		.amdhsa_reserve_flat_scratch 0
		.amdhsa_float_round_mode_32 0
		.amdhsa_float_round_mode_16_64 0
		.amdhsa_float_denorm_mode_32 3
		.amdhsa_float_denorm_mode_16_64 3
		.amdhsa_dx10_clamp 1
		.amdhsa_ieee_mode 1
		.amdhsa_fp16_overflow 0
		.amdhsa_workgroup_processor_mode 1
		.amdhsa_memory_ordered 1
		.amdhsa_forward_progress 1
		.amdhsa_shared_vgpr_count 0
		.amdhsa_exception_fp_ieee_invalid_op 0
		.amdhsa_exception_fp_denorm_src 0
		.amdhsa_exception_fp_ieee_div_zero 0
		.amdhsa_exception_fp_ieee_overflow 0
		.amdhsa_exception_fp_ieee_underflow 0
		.amdhsa_exception_fp_ieee_inexact 0
		.amdhsa_exception_int_div_zero 0
	.end_amdhsa_kernel
	.section	.text._ZN7rocprim17ROCPRIM_400000_NS6detail17trampoline_kernelINS0_14default_configENS1_20scan_config_selectorIN3c108BFloat16EEEZZNS1_9scan_implILNS1_25lookback_scan_determinismE0ELb0ELb0ES3_PKS6_PS6_S6_ZZZN2at6native31launch_logcumsumexp_cuda_kernelERKNSD_10TensorBaseESH_lENKUlvE_clEvENKUlvE4_clEvEUlS6_S6_E_S6_EEDaPvRmT3_T4_T5_mT6_P12ihipStream_tbENKUlT_T0_E_clISt17integral_constantIbLb0EESX_IbLb1EEEEDaST_SU_EUlST_E_NS1_11comp_targetILNS1_3genE4ELNS1_11target_archE910ELNS1_3gpuE8ELNS1_3repE0EEENS1_30default_config_static_selectorELNS0_4arch9wavefront6targetE0EEEvT1_,"axG",@progbits,_ZN7rocprim17ROCPRIM_400000_NS6detail17trampoline_kernelINS0_14default_configENS1_20scan_config_selectorIN3c108BFloat16EEEZZNS1_9scan_implILNS1_25lookback_scan_determinismE0ELb0ELb0ES3_PKS6_PS6_S6_ZZZN2at6native31launch_logcumsumexp_cuda_kernelERKNSD_10TensorBaseESH_lENKUlvE_clEvENKUlvE4_clEvEUlS6_S6_E_S6_EEDaPvRmT3_T4_T5_mT6_P12ihipStream_tbENKUlT_T0_E_clISt17integral_constantIbLb0EESX_IbLb1EEEEDaST_SU_EUlST_E_NS1_11comp_targetILNS1_3genE4ELNS1_11target_archE910ELNS1_3gpuE8ELNS1_3repE0EEENS1_30default_config_static_selectorELNS0_4arch9wavefront6targetE0EEEvT1_,comdat
.Lfunc_end505:
	.size	_ZN7rocprim17ROCPRIM_400000_NS6detail17trampoline_kernelINS0_14default_configENS1_20scan_config_selectorIN3c108BFloat16EEEZZNS1_9scan_implILNS1_25lookback_scan_determinismE0ELb0ELb0ES3_PKS6_PS6_S6_ZZZN2at6native31launch_logcumsumexp_cuda_kernelERKNSD_10TensorBaseESH_lENKUlvE_clEvENKUlvE4_clEvEUlS6_S6_E_S6_EEDaPvRmT3_T4_T5_mT6_P12ihipStream_tbENKUlT_T0_E_clISt17integral_constantIbLb0EESX_IbLb1EEEEDaST_SU_EUlST_E_NS1_11comp_targetILNS1_3genE4ELNS1_11target_archE910ELNS1_3gpuE8ELNS1_3repE0EEENS1_30default_config_static_selectorELNS0_4arch9wavefront6targetE0EEEvT1_, .Lfunc_end505-_ZN7rocprim17ROCPRIM_400000_NS6detail17trampoline_kernelINS0_14default_configENS1_20scan_config_selectorIN3c108BFloat16EEEZZNS1_9scan_implILNS1_25lookback_scan_determinismE0ELb0ELb0ES3_PKS6_PS6_S6_ZZZN2at6native31launch_logcumsumexp_cuda_kernelERKNSD_10TensorBaseESH_lENKUlvE_clEvENKUlvE4_clEvEUlS6_S6_E_S6_EEDaPvRmT3_T4_T5_mT6_P12ihipStream_tbENKUlT_T0_E_clISt17integral_constantIbLb0EESX_IbLb1EEEEDaST_SU_EUlST_E_NS1_11comp_targetILNS1_3genE4ELNS1_11target_archE910ELNS1_3gpuE8ELNS1_3repE0EEENS1_30default_config_static_selectorELNS0_4arch9wavefront6targetE0EEEvT1_
                                        ; -- End function
	.set _ZN7rocprim17ROCPRIM_400000_NS6detail17trampoline_kernelINS0_14default_configENS1_20scan_config_selectorIN3c108BFloat16EEEZZNS1_9scan_implILNS1_25lookback_scan_determinismE0ELb0ELb0ES3_PKS6_PS6_S6_ZZZN2at6native31launch_logcumsumexp_cuda_kernelERKNSD_10TensorBaseESH_lENKUlvE_clEvENKUlvE4_clEvEUlS6_S6_E_S6_EEDaPvRmT3_T4_T5_mT6_P12ihipStream_tbENKUlT_T0_E_clISt17integral_constantIbLb0EESX_IbLb1EEEEDaST_SU_EUlST_E_NS1_11comp_targetILNS1_3genE4ELNS1_11target_archE910ELNS1_3gpuE8ELNS1_3repE0EEENS1_30default_config_static_selectorELNS0_4arch9wavefront6targetE0EEEvT1_.num_vgpr, 0
	.set _ZN7rocprim17ROCPRIM_400000_NS6detail17trampoline_kernelINS0_14default_configENS1_20scan_config_selectorIN3c108BFloat16EEEZZNS1_9scan_implILNS1_25lookback_scan_determinismE0ELb0ELb0ES3_PKS6_PS6_S6_ZZZN2at6native31launch_logcumsumexp_cuda_kernelERKNSD_10TensorBaseESH_lENKUlvE_clEvENKUlvE4_clEvEUlS6_S6_E_S6_EEDaPvRmT3_T4_T5_mT6_P12ihipStream_tbENKUlT_T0_E_clISt17integral_constantIbLb0EESX_IbLb1EEEEDaST_SU_EUlST_E_NS1_11comp_targetILNS1_3genE4ELNS1_11target_archE910ELNS1_3gpuE8ELNS1_3repE0EEENS1_30default_config_static_selectorELNS0_4arch9wavefront6targetE0EEEvT1_.num_agpr, 0
	.set _ZN7rocprim17ROCPRIM_400000_NS6detail17trampoline_kernelINS0_14default_configENS1_20scan_config_selectorIN3c108BFloat16EEEZZNS1_9scan_implILNS1_25lookback_scan_determinismE0ELb0ELb0ES3_PKS6_PS6_S6_ZZZN2at6native31launch_logcumsumexp_cuda_kernelERKNSD_10TensorBaseESH_lENKUlvE_clEvENKUlvE4_clEvEUlS6_S6_E_S6_EEDaPvRmT3_T4_T5_mT6_P12ihipStream_tbENKUlT_T0_E_clISt17integral_constantIbLb0EESX_IbLb1EEEEDaST_SU_EUlST_E_NS1_11comp_targetILNS1_3genE4ELNS1_11target_archE910ELNS1_3gpuE8ELNS1_3repE0EEENS1_30default_config_static_selectorELNS0_4arch9wavefront6targetE0EEEvT1_.numbered_sgpr, 0
	.set _ZN7rocprim17ROCPRIM_400000_NS6detail17trampoline_kernelINS0_14default_configENS1_20scan_config_selectorIN3c108BFloat16EEEZZNS1_9scan_implILNS1_25lookback_scan_determinismE0ELb0ELb0ES3_PKS6_PS6_S6_ZZZN2at6native31launch_logcumsumexp_cuda_kernelERKNSD_10TensorBaseESH_lENKUlvE_clEvENKUlvE4_clEvEUlS6_S6_E_S6_EEDaPvRmT3_T4_T5_mT6_P12ihipStream_tbENKUlT_T0_E_clISt17integral_constantIbLb0EESX_IbLb1EEEEDaST_SU_EUlST_E_NS1_11comp_targetILNS1_3genE4ELNS1_11target_archE910ELNS1_3gpuE8ELNS1_3repE0EEENS1_30default_config_static_selectorELNS0_4arch9wavefront6targetE0EEEvT1_.num_named_barrier, 0
	.set _ZN7rocprim17ROCPRIM_400000_NS6detail17trampoline_kernelINS0_14default_configENS1_20scan_config_selectorIN3c108BFloat16EEEZZNS1_9scan_implILNS1_25lookback_scan_determinismE0ELb0ELb0ES3_PKS6_PS6_S6_ZZZN2at6native31launch_logcumsumexp_cuda_kernelERKNSD_10TensorBaseESH_lENKUlvE_clEvENKUlvE4_clEvEUlS6_S6_E_S6_EEDaPvRmT3_T4_T5_mT6_P12ihipStream_tbENKUlT_T0_E_clISt17integral_constantIbLb0EESX_IbLb1EEEEDaST_SU_EUlST_E_NS1_11comp_targetILNS1_3genE4ELNS1_11target_archE910ELNS1_3gpuE8ELNS1_3repE0EEENS1_30default_config_static_selectorELNS0_4arch9wavefront6targetE0EEEvT1_.private_seg_size, 0
	.set _ZN7rocprim17ROCPRIM_400000_NS6detail17trampoline_kernelINS0_14default_configENS1_20scan_config_selectorIN3c108BFloat16EEEZZNS1_9scan_implILNS1_25lookback_scan_determinismE0ELb0ELb0ES3_PKS6_PS6_S6_ZZZN2at6native31launch_logcumsumexp_cuda_kernelERKNSD_10TensorBaseESH_lENKUlvE_clEvENKUlvE4_clEvEUlS6_S6_E_S6_EEDaPvRmT3_T4_T5_mT6_P12ihipStream_tbENKUlT_T0_E_clISt17integral_constantIbLb0EESX_IbLb1EEEEDaST_SU_EUlST_E_NS1_11comp_targetILNS1_3genE4ELNS1_11target_archE910ELNS1_3gpuE8ELNS1_3repE0EEENS1_30default_config_static_selectorELNS0_4arch9wavefront6targetE0EEEvT1_.uses_vcc, 0
	.set _ZN7rocprim17ROCPRIM_400000_NS6detail17trampoline_kernelINS0_14default_configENS1_20scan_config_selectorIN3c108BFloat16EEEZZNS1_9scan_implILNS1_25lookback_scan_determinismE0ELb0ELb0ES3_PKS6_PS6_S6_ZZZN2at6native31launch_logcumsumexp_cuda_kernelERKNSD_10TensorBaseESH_lENKUlvE_clEvENKUlvE4_clEvEUlS6_S6_E_S6_EEDaPvRmT3_T4_T5_mT6_P12ihipStream_tbENKUlT_T0_E_clISt17integral_constantIbLb0EESX_IbLb1EEEEDaST_SU_EUlST_E_NS1_11comp_targetILNS1_3genE4ELNS1_11target_archE910ELNS1_3gpuE8ELNS1_3repE0EEENS1_30default_config_static_selectorELNS0_4arch9wavefront6targetE0EEEvT1_.uses_flat_scratch, 0
	.set _ZN7rocprim17ROCPRIM_400000_NS6detail17trampoline_kernelINS0_14default_configENS1_20scan_config_selectorIN3c108BFloat16EEEZZNS1_9scan_implILNS1_25lookback_scan_determinismE0ELb0ELb0ES3_PKS6_PS6_S6_ZZZN2at6native31launch_logcumsumexp_cuda_kernelERKNSD_10TensorBaseESH_lENKUlvE_clEvENKUlvE4_clEvEUlS6_S6_E_S6_EEDaPvRmT3_T4_T5_mT6_P12ihipStream_tbENKUlT_T0_E_clISt17integral_constantIbLb0EESX_IbLb1EEEEDaST_SU_EUlST_E_NS1_11comp_targetILNS1_3genE4ELNS1_11target_archE910ELNS1_3gpuE8ELNS1_3repE0EEENS1_30default_config_static_selectorELNS0_4arch9wavefront6targetE0EEEvT1_.has_dyn_sized_stack, 0
	.set _ZN7rocprim17ROCPRIM_400000_NS6detail17trampoline_kernelINS0_14default_configENS1_20scan_config_selectorIN3c108BFloat16EEEZZNS1_9scan_implILNS1_25lookback_scan_determinismE0ELb0ELb0ES3_PKS6_PS6_S6_ZZZN2at6native31launch_logcumsumexp_cuda_kernelERKNSD_10TensorBaseESH_lENKUlvE_clEvENKUlvE4_clEvEUlS6_S6_E_S6_EEDaPvRmT3_T4_T5_mT6_P12ihipStream_tbENKUlT_T0_E_clISt17integral_constantIbLb0EESX_IbLb1EEEEDaST_SU_EUlST_E_NS1_11comp_targetILNS1_3genE4ELNS1_11target_archE910ELNS1_3gpuE8ELNS1_3repE0EEENS1_30default_config_static_selectorELNS0_4arch9wavefront6targetE0EEEvT1_.has_recursion, 0
	.set _ZN7rocprim17ROCPRIM_400000_NS6detail17trampoline_kernelINS0_14default_configENS1_20scan_config_selectorIN3c108BFloat16EEEZZNS1_9scan_implILNS1_25lookback_scan_determinismE0ELb0ELb0ES3_PKS6_PS6_S6_ZZZN2at6native31launch_logcumsumexp_cuda_kernelERKNSD_10TensorBaseESH_lENKUlvE_clEvENKUlvE4_clEvEUlS6_S6_E_S6_EEDaPvRmT3_T4_T5_mT6_P12ihipStream_tbENKUlT_T0_E_clISt17integral_constantIbLb0EESX_IbLb1EEEEDaST_SU_EUlST_E_NS1_11comp_targetILNS1_3genE4ELNS1_11target_archE910ELNS1_3gpuE8ELNS1_3repE0EEENS1_30default_config_static_selectorELNS0_4arch9wavefront6targetE0EEEvT1_.has_indirect_call, 0
	.section	.AMDGPU.csdata,"",@progbits
; Kernel info:
; codeLenInByte = 0
; TotalNumSgprs: 0
; NumVgprs: 0
; ScratchSize: 0
; MemoryBound: 0
; FloatMode: 240
; IeeeMode: 1
; LDSByteSize: 0 bytes/workgroup (compile time only)
; SGPRBlocks: 0
; VGPRBlocks: 0
; NumSGPRsForWavesPerEU: 1
; NumVGPRsForWavesPerEU: 1
; Occupancy: 16
; WaveLimiterHint : 0
; COMPUTE_PGM_RSRC2:SCRATCH_EN: 0
; COMPUTE_PGM_RSRC2:USER_SGPR: 6
; COMPUTE_PGM_RSRC2:TRAP_HANDLER: 0
; COMPUTE_PGM_RSRC2:TGID_X_EN: 1
; COMPUTE_PGM_RSRC2:TGID_Y_EN: 0
; COMPUTE_PGM_RSRC2:TGID_Z_EN: 0
; COMPUTE_PGM_RSRC2:TIDIG_COMP_CNT: 0
	.section	.text._ZN7rocprim17ROCPRIM_400000_NS6detail17trampoline_kernelINS0_14default_configENS1_20scan_config_selectorIN3c108BFloat16EEEZZNS1_9scan_implILNS1_25lookback_scan_determinismE0ELb0ELb0ES3_PKS6_PS6_S6_ZZZN2at6native31launch_logcumsumexp_cuda_kernelERKNSD_10TensorBaseESH_lENKUlvE_clEvENKUlvE4_clEvEUlS6_S6_E_S6_EEDaPvRmT3_T4_T5_mT6_P12ihipStream_tbENKUlT_T0_E_clISt17integral_constantIbLb0EESX_IbLb1EEEEDaST_SU_EUlST_E_NS1_11comp_targetILNS1_3genE3ELNS1_11target_archE908ELNS1_3gpuE7ELNS1_3repE0EEENS1_30default_config_static_selectorELNS0_4arch9wavefront6targetE0EEEvT1_,"axG",@progbits,_ZN7rocprim17ROCPRIM_400000_NS6detail17trampoline_kernelINS0_14default_configENS1_20scan_config_selectorIN3c108BFloat16EEEZZNS1_9scan_implILNS1_25lookback_scan_determinismE0ELb0ELb0ES3_PKS6_PS6_S6_ZZZN2at6native31launch_logcumsumexp_cuda_kernelERKNSD_10TensorBaseESH_lENKUlvE_clEvENKUlvE4_clEvEUlS6_S6_E_S6_EEDaPvRmT3_T4_T5_mT6_P12ihipStream_tbENKUlT_T0_E_clISt17integral_constantIbLb0EESX_IbLb1EEEEDaST_SU_EUlST_E_NS1_11comp_targetILNS1_3genE3ELNS1_11target_archE908ELNS1_3gpuE7ELNS1_3repE0EEENS1_30default_config_static_selectorELNS0_4arch9wavefront6targetE0EEEvT1_,comdat
	.globl	_ZN7rocprim17ROCPRIM_400000_NS6detail17trampoline_kernelINS0_14default_configENS1_20scan_config_selectorIN3c108BFloat16EEEZZNS1_9scan_implILNS1_25lookback_scan_determinismE0ELb0ELb0ES3_PKS6_PS6_S6_ZZZN2at6native31launch_logcumsumexp_cuda_kernelERKNSD_10TensorBaseESH_lENKUlvE_clEvENKUlvE4_clEvEUlS6_S6_E_S6_EEDaPvRmT3_T4_T5_mT6_P12ihipStream_tbENKUlT_T0_E_clISt17integral_constantIbLb0EESX_IbLb1EEEEDaST_SU_EUlST_E_NS1_11comp_targetILNS1_3genE3ELNS1_11target_archE908ELNS1_3gpuE7ELNS1_3repE0EEENS1_30default_config_static_selectorELNS0_4arch9wavefront6targetE0EEEvT1_ ; -- Begin function _ZN7rocprim17ROCPRIM_400000_NS6detail17trampoline_kernelINS0_14default_configENS1_20scan_config_selectorIN3c108BFloat16EEEZZNS1_9scan_implILNS1_25lookback_scan_determinismE0ELb0ELb0ES3_PKS6_PS6_S6_ZZZN2at6native31launch_logcumsumexp_cuda_kernelERKNSD_10TensorBaseESH_lENKUlvE_clEvENKUlvE4_clEvEUlS6_S6_E_S6_EEDaPvRmT3_T4_T5_mT6_P12ihipStream_tbENKUlT_T0_E_clISt17integral_constantIbLb0EESX_IbLb1EEEEDaST_SU_EUlST_E_NS1_11comp_targetILNS1_3genE3ELNS1_11target_archE908ELNS1_3gpuE7ELNS1_3repE0EEENS1_30default_config_static_selectorELNS0_4arch9wavefront6targetE0EEEvT1_
	.p2align	8
	.type	_ZN7rocprim17ROCPRIM_400000_NS6detail17trampoline_kernelINS0_14default_configENS1_20scan_config_selectorIN3c108BFloat16EEEZZNS1_9scan_implILNS1_25lookback_scan_determinismE0ELb0ELb0ES3_PKS6_PS6_S6_ZZZN2at6native31launch_logcumsumexp_cuda_kernelERKNSD_10TensorBaseESH_lENKUlvE_clEvENKUlvE4_clEvEUlS6_S6_E_S6_EEDaPvRmT3_T4_T5_mT6_P12ihipStream_tbENKUlT_T0_E_clISt17integral_constantIbLb0EESX_IbLb1EEEEDaST_SU_EUlST_E_NS1_11comp_targetILNS1_3genE3ELNS1_11target_archE908ELNS1_3gpuE7ELNS1_3repE0EEENS1_30default_config_static_selectorELNS0_4arch9wavefront6targetE0EEEvT1_,@function
_ZN7rocprim17ROCPRIM_400000_NS6detail17trampoline_kernelINS0_14default_configENS1_20scan_config_selectorIN3c108BFloat16EEEZZNS1_9scan_implILNS1_25lookback_scan_determinismE0ELb0ELb0ES3_PKS6_PS6_S6_ZZZN2at6native31launch_logcumsumexp_cuda_kernelERKNSD_10TensorBaseESH_lENKUlvE_clEvENKUlvE4_clEvEUlS6_S6_E_S6_EEDaPvRmT3_T4_T5_mT6_P12ihipStream_tbENKUlT_T0_E_clISt17integral_constantIbLb0EESX_IbLb1EEEEDaST_SU_EUlST_E_NS1_11comp_targetILNS1_3genE3ELNS1_11target_archE908ELNS1_3gpuE7ELNS1_3repE0EEENS1_30default_config_static_selectorELNS0_4arch9wavefront6targetE0EEEvT1_: ; @_ZN7rocprim17ROCPRIM_400000_NS6detail17trampoline_kernelINS0_14default_configENS1_20scan_config_selectorIN3c108BFloat16EEEZZNS1_9scan_implILNS1_25lookback_scan_determinismE0ELb0ELb0ES3_PKS6_PS6_S6_ZZZN2at6native31launch_logcumsumexp_cuda_kernelERKNSD_10TensorBaseESH_lENKUlvE_clEvENKUlvE4_clEvEUlS6_S6_E_S6_EEDaPvRmT3_T4_T5_mT6_P12ihipStream_tbENKUlT_T0_E_clISt17integral_constantIbLb0EESX_IbLb1EEEEDaST_SU_EUlST_E_NS1_11comp_targetILNS1_3genE3ELNS1_11target_archE908ELNS1_3gpuE7ELNS1_3repE0EEENS1_30default_config_static_selectorELNS0_4arch9wavefront6targetE0EEEvT1_
; %bb.0:
	.section	.rodata,"a",@progbits
	.p2align	6, 0x0
	.amdhsa_kernel _ZN7rocprim17ROCPRIM_400000_NS6detail17trampoline_kernelINS0_14default_configENS1_20scan_config_selectorIN3c108BFloat16EEEZZNS1_9scan_implILNS1_25lookback_scan_determinismE0ELb0ELb0ES3_PKS6_PS6_S6_ZZZN2at6native31launch_logcumsumexp_cuda_kernelERKNSD_10TensorBaseESH_lENKUlvE_clEvENKUlvE4_clEvEUlS6_S6_E_S6_EEDaPvRmT3_T4_T5_mT6_P12ihipStream_tbENKUlT_T0_E_clISt17integral_constantIbLb0EESX_IbLb1EEEEDaST_SU_EUlST_E_NS1_11comp_targetILNS1_3genE3ELNS1_11target_archE908ELNS1_3gpuE7ELNS1_3repE0EEENS1_30default_config_static_selectorELNS0_4arch9wavefront6targetE0EEEvT1_
		.amdhsa_group_segment_fixed_size 0
		.amdhsa_private_segment_fixed_size 0
		.amdhsa_kernarg_size 96
		.amdhsa_user_sgpr_count 6
		.amdhsa_user_sgpr_private_segment_buffer 1
		.amdhsa_user_sgpr_dispatch_ptr 0
		.amdhsa_user_sgpr_queue_ptr 0
		.amdhsa_user_sgpr_kernarg_segment_ptr 1
		.amdhsa_user_sgpr_dispatch_id 0
		.amdhsa_user_sgpr_flat_scratch_init 0
		.amdhsa_user_sgpr_private_segment_size 0
		.amdhsa_wavefront_size32 1
		.amdhsa_uses_dynamic_stack 0
		.amdhsa_system_sgpr_private_segment_wavefront_offset 0
		.amdhsa_system_sgpr_workgroup_id_x 1
		.amdhsa_system_sgpr_workgroup_id_y 0
		.amdhsa_system_sgpr_workgroup_id_z 0
		.amdhsa_system_sgpr_workgroup_info 0
		.amdhsa_system_vgpr_workitem_id 0
		.amdhsa_next_free_vgpr 1
		.amdhsa_next_free_sgpr 1
		.amdhsa_reserve_vcc 0
		.amdhsa_reserve_flat_scratch 0
		.amdhsa_float_round_mode_32 0
		.amdhsa_float_round_mode_16_64 0
		.amdhsa_float_denorm_mode_32 3
		.amdhsa_float_denorm_mode_16_64 3
		.amdhsa_dx10_clamp 1
		.amdhsa_ieee_mode 1
		.amdhsa_fp16_overflow 0
		.amdhsa_workgroup_processor_mode 1
		.amdhsa_memory_ordered 1
		.amdhsa_forward_progress 1
		.amdhsa_shared_vgpr_count 0
		.amdhsa_exception_fp_ieee_invalid_op 0
		.amdhsa_exception_fp_denorm_src 0
		.amdhsa_exception_fp_ieee_div_zero 0
		.amdhsa_exception_fp_ieee_overflow 0
		.amdhsa_exception_fp_ieee_underflow 0
		.amdhsa_exception_fp_ieee_inexact 0
		.amdhsa_exception_int_div_zero 0
	.end_amdhsa_kernel
	.section	.text._ZN7rocprim17ROCPRIM_400000_NS6detail17trampoline_kernelINS0_14default_configENS1_20scan_config_selectorIN3c108BFloat16EEEZZNS1_9scan_implILNS1_25lookback_scan_determinismE0ELb0ELb0ES3_PKS6_PS6_S6_ZZZN2at6native31launch_logcumsumexp_cuda_kernelERKNSD_10TensorBaseESH_lENKUlvE_clEvENKUlvE4_clEvEUlS6_S6_E_S6_EEDaPvRmT3_T4_T5_mT6_P12ihipStream_tbENKUlT_T0_E_clISt17integral_constantIbLb0EESX_IbLb1EEEEDaST_SU_EUlST_E_NS1_11comp_targetILNS1_3genE3ELNS1_11target_archE908ELNS1_3gpuE7ELNS1_3repE0EEENS1_30default_config_static_selectorELNS0_4arch9wavefront6targetE0EEEvT1_,"axG",@progbits,_ZN7rocprim17ROCPRIM_400000_NS6detail17trampoline_kernelINS0_14default_configENS1_20scan_config_selectorIN3c108BFloat16EEEZZNS1_9scan_implILNS1_25lookback_scan_determinismE0ELb0ELb0ES3_PKS6_PS6_S6_ZZZN2at6native31launch_logcumsumexp_cuda_kernelERKNSD_10TensorBaseESH_lENKUlvE_clEvENKUlvE4_clEvEUlS6_S6_E_S6_EEDaPvRmT3_T4_T5_mT6_P12ihipStream_tbENKUlT_T0_E_clISt17integral_constantIbLb0EESX_IbLb1EEEEDaST_SU_EUlST_E_NS1_11comp_targetILNS1_3genE3ELNS1_11target_archE908ELNS1_3gpuE7ELNS1_3repE0EEENS1_30default_config_static_selectorELNS0_4arch9wavefront6targetE0EEEvT1_,comdat
.Lfunc_end506:
	.size	_ZN7rocprim17ROCPRIM_400000_NS6detail17trampoline_kernelINS0_14default_configENS1_20scan_config_selectorIN3c108BFloat16EEEZZNS1_9scan_implILNS1_25lookback_scan_determinismE0ELb0ELb0ES3_PKS6_PS6_S6_ZZZN2at6native31launch_logcumsumexp_cuda_kernelERKNSD_10TensorBaseESH_lENKUlvE_clEvENKUlvE4_clEvEUlS6_S6_E_S6_EEDaPvRmT3_T4_T5_mT6_P12ihipStream_tbENKUlT_T0_E_clISt17integral_constantIbLb0EESX_IbLb1EEEEDaST_SU_EUlST_E_NS1_11comp_targetILNS1_3genE3ELNS1_11target_archE908ELNS1_3gpuE7ELNS1_3repE0EEENS1_30default_config_static_selectorELNS0_4arch9wavefront6targetE0EEEvT1_, .Lfunc_end506-_ZN7rocprim17ROCPRIM_400000_NS6detail17trampoline_kernelINS0_14default_configENS1_20scan_config_selectorIN3c108BFloat16EEEZZNS1_9scan_implILNS1_25lookback_scan_determinismE0ELb0ELb0ES3_PKS6_PS6_S6_ZZZN2at6native31launch_logcumsumexp_cuda_kernelERKNSD_10TensorBaseESH_lENKUlvE_clEvENKUlvE4_clEvEUlS6_S6_E_S6_EEDaPvRmT3_T4_T5_mT6_P12ihipStream_tbENKUlT_T0_E_clISt17integral_constantIbLb0EESX_IbLb1EEEEDaST_SU_EUlST_E_NS1_11comp_targetILNS1_3genE3ELNS1_11target_archE908ELNS1_3gpuE7ELNS1_3repE0EEENS1_30default_config_static_selectorELNS0_4arch9wavefront6targetE0EEEvT1_
                                        ; -- End function
	.set _ZN7rocprim17ROCPRIM_400000_NS6detail17trampoline_kernelINS0_14default_configENS1_20scan_config_selectorIN3c108BFloat16EEEZZNS1_9scan_implILNS1_25lookback_scan_determinismE0ELb0ELb0ES3_PKS6_PS6_S6_ZZZN2at6native31launch_logcumsumexp_cuda_kernelERKNSD_10TensorBaseESH_lENKUlvE_clEvENKUlvE4_clEvEUlS6_S6_E_S6_EEDaPvRmT3_T4_T5_mT6_P12ihipStream_tbENKUlT_T0_E_clISt17integral_constantIbLb0EESX_IbLb1EEEEDaST_SU_EUlST_E_NS1_11comp_targetILNS1_3genE3ELNS1_11target_archE908ELNS1_3gpuE7ELNS1_3repE0EEENS1_30default_config_static_selectorELNS0_4arch9wavefront6targetE0EEEvT1_.num_vgpr, 0
	.set _ZN7rocprim17ROCPRIM_400000_NS6detail17trampoline_kernelINS0_14default_configENS1_20scan_config_selectorIN3c108BFloat16EEEZZNS1_9scan_implILNS1_25lookback_scan_determinismE0ELb0ELb0ES3_PKS6_PS6_S6_ZZZN2at6native31launch_logcumsumexp_cuda_kernelERKNSD_10TensorBaseESH_lENKUlvE_clEvENKUlvE4_clEvEUlS6_S6_E_S6_EEDaPvRmT3_T4_T5_mT6_P12ihipStream_tbENKUlT_T0_E_clISt17integral_constantIbLb0EESX_IbLb1EEEEDaST_SU_EUlST_E_NS1_11comp_targetILNS1_3genE3ELNS1_11target_archE908ELNS1_3gpuE7ELNS1_3repE0EEENS1_30default_config_static_selectorELNS0_4arch9wavefront6targetE0EEEvT1_.num_agpr, 0
	.set _ZN7rocprim17ROCPRIM_400000_NS6detail17trampoline_kernelINS0_14default_configENS1_20scan_config_selectorIN3c108BFloat16EEEZZNS1_9scan_implILNS1_25lookback_scan_determinismE0ELb0ELb0ES3_PKS6_PS6_S6_ZZZN2at6native31launch_logcumsumexp_cuda_kernelERKNSD_10TensorBaseESH_lENKUlvE_clEvENKUlvE4_clEvEUlS6_S6_E_S6_EEDaPvRmT3_T4_T5_mT6_P12ihipStream_tbENKUlT_T0_E_clISt17integral_constantIbLb0EESX_IbLb1EEEEDaST_SU_EUlST_E_NS1_11comp_targetILNS1_3genE3ELNS1_11target_archE908ELNS1_3gpuE7ELNS1_3repE0EEENS1_30default_config_static_selectorELNS0_4arch9wavefront6targetE0EEEvT1_.numbered_sgpr, 0
	.set _ZN7rocprim17ROCPRIM_400000_NS6detail17trampoline_kernelINS0_14default_configENS1_20scan_config_selectorIN3c108BFloat16EEEZZNS1_9scan_implILNS1_25lookback_scan_determinismE0ELb0ELb0ES3_PKS6_PS6_S6_ZZZN2at6native31launch_logcumsumexp_cuda_kernelERKNSD_10TensorBaseESH_lENKUlvE_clEvENKUlvE4_clEvEUlS6_S6_E_S6_EEDaPvRmT3_T4_T5_mT6_P12ihipStream_tbENKUlT_T0_E_clISt17integral_constantIbLb0EESX_IbLb1EEEEDaST_SU_EUlST_E_NS1_11comp_targetILNS1_3genE3ELNS1_11target_archE908ELNS1_3gpuE7ELNS1_3repE0EEENS1_30default_config_static_selectorELNS0_4arch9wavefront6targetE0EEEvT1_.num_named_barrier, 0
	.set _ZN7rocprim17ROCPRIM_400000_NS6detail17trampoline_kernelINS0_14default_configENS1_20scan_config_selectorIN3c108BFloat16EEEZZNS1_9scan_implILNS1_25lookback_scan_determinismE0ELb0ELb0ES3_PKS6_PS6_S6_ZZZN2at6native31launch_logcumsumexp_cuda_kernelERKNSD_10TensorBaseESH_lENKUlvE_clEvENKUlvE4_clEvEUlS6_S6_E_S6_EEDaPvRmT3_T4_T5_mT6_P12ihipStream_tbENKUlT_T0_E_clISt17integral_constantIbLb0EESX_IbLb1EEEEDaST_SU_EUlST_E_NS1_11comp_targetILNS1_3genE3ELNS1_11target_archE908ELNS1_3gpuE7ELNS1_3repE0EEENS1_30default_config_static_selectorELNS0_4arch9wavefront6targetE0EEEvT1_.private_seg_size, 0
	.set _ZN7rocprim17ROCPRIM_400000_NS6detail17trampoline_kernelINS0_14default_configENS1_20scan_config_selectorIN3c108BFloat16EEEZZNS1_9scan_implILNS1_25lookback_scan_determinismE0ELb0ELb0ES3_PKS6_PS6_S6_ZZZN2at6native31launch_logcumsumexp_cuda_kernelERKNSD_10TensorBaseESH_lENKUlvE_clEvENKUlvE4_clEvEUlS6_S6_E_S6_EEDaPvRmT3_T4_T5_mT6_P12ihipStream_tbENKUlT_T0_E_clISt17integral_constantIbLb0EESX_IbLb1EEEEDaST_SU_EUlST_E_NS1_11comp_targetILNS1_3genE3ELNS1_11target_archE908ELNS1_3gpuE7ELNS1_3repE0EEENS1_30default_config_static_selectorELNS0_4arch9wavefront6targetE0EEEvT1_.uses_vcc, 0
	.set _ZN7rocprim17ROCPRIM_400000_NS6detail17trampoline_kernelINS0_14default_configENS1_20scan_config_selectorIN3c108BFloat16EEEZZNS1_9scan_implILNS1_25lookback_scan_determinismE0ELb0ELb0ES3_PKS6_PS6_S6_ZZZN2at6native31launch_logcumsumexp_cuda_kernelERKNSD_10TensorBaseESH_lENKUlvE_clEvENKUlvE4_clEvEUlS6_S6_E_S6_EEDaPvRmT3_T4_T5_mT6_P12ihipStream_tbENKUlT_T0_E_clISt17integral_constantIbLb0EESX_IbLb1EEEEDaST_SU_EUlST_E_NS1_11comp_targetILNS1_3genE3ELNS1_11target_archE908ELNS1_3gpuE7ELNS1_3repE0EEENS1_30default_config_static_selectorELNS0_4arch9wavefront6targetE0EEEvT1_.uses_flat_scratch, 0
	.set _ZN7rocprim17ROCPRIM_400000_NS6detail17trampoline_kernelINS0_14default_configENS1_20scan_config_selectorIN3c108BFloat16EEEZZNS1_9scan_implILNS1_25lookback_scan_determinismE0ELb0ELb0ES3_PKS6_PS6_S6_ZZZN2at6native31launch_logcumsumexp_cuda_kernelERKNSD_10TensorBaseESH_lENKUlvE_clEvENKUlvE4_clEvEUlS6_S6_E_S6_EEDaPvRmT3_T4_T5_mT6_P12ihipStream_tbENKUlT_T0_E_clISt17integral_constantIbLb0EESX_IbLb1EEEEDaST_SU_EUlST_E_NS1_11comp_targetILNS1_3genE3ELNS1_11target_archE908ELNS1_3gpuE7ELNS1_3repE0EEENS1_30default_config_static_selectorELNS0_4arch9wavefront6targetE0EEEvT1_.has_dyn_sized_stack, 0
	.set _ZN7rocprim17ROCPRIM_400000_NS6detail17trampoline_kernelINS0_14default_configENS1_20scan_config_selectorIN3c108BFloat16EEEZZNS1_9scan_implILNS1_25lookback_scan_determinismE0ELb0ELb0ES3_PKS6_PS6_S6_ZZZN2at6native31launch_logcumsumexp_cuda_kernelERKNSD_10TensorBaseESH_lENKUlvE_clEvENKUlvE4_clEvEUlS6_S6_E_S6_EEDaPvRmT3_T4_T5_mT6_P12ihipStream_tbENKUlT_T0_E_clISt17integral_constantIbLb0EESX_IbLb1EEEEDaST_SU_EUlST_E_NS1_11comp_targetILNS1_3genE3ELNS1_11target_archE908ELNS1_3gpuE7ELNS1_3repE0EEENS1_30default_config_static_selectorELNS0_4arch9wavefront6targetE0EEEvT1_.has_recursion, 0
	.set _ZN7rocprim17ROCPRIM_400000_NS6detail17trampoline_kernelINS0_14default_configENS1_20scan_config_selectorIN3c108BFloat16EEEZZNS1_9scan_implILNS1_25lookback_scan_determinismE0ELb0ELb0ES3_PKS6_PS6_S6_ZZZN2at6native31launch_logcumsumexp_cuda_kernelERKNSD_10TensorBaseESH_lENKUlvE_clEvENKUlvE4_clEvEUlS6_S6_E_S6_EEDaPvRmT3_T4_T5_mT6_P12ihipStream_tbENKUlT_T0_E_clISt17integral_constantIbLb0EESX_IbLb1EEEEDaST_SU_EUlST_E_NS1_11comp_targetILNS1_3genE3ELNS1_11target_archE908ELNS1_3gpuE7ELNS1_3repE0EEENS1_30default_config_static_selectorELNS0_4arch9wavefront6targetE0EEEvT1_.has_indirect_call, 0
	.section	.AMDGPU.csdata,"",@progbits
; Kernel info:
; codeLenInByte = 0
; TotalNumSgprs: 0
; NumVgprs: 0
; ScratchSize: 0
; MemoryBound: 0
; FloatMode: 240
; IeeeMode: 1
; LDSByteSize: 0 bytes/workgroup (compile time only)
; SGPRBlocks: 0
; VGPRBlocks: 0
; NumSGPRsForWavesPerEU: 1
; NumVGPRsForWavesPerEU: 1
; Occupancy: 16
; WaveLimiterHint : 0
; COMPUTE_PGM_RSRC2:SCRATCH_EN: 0
; COMPUTE_PGM_RSRC2:USER_SGPR: 6
; COMPUTE_PGM_RSRC2:TRAP_HANDLER: 0
; COMPUTE_PGM_RSRC2:TGID_X_EN: 1
; COMPUTE_PGM_RSRC2:TGID_Y_EN: 0
; COMPUTE_PGM_RSRC2:TGID_Z_EN: 0
; COMPUTE_PGM_RSRC2:TIDIG_COMP_CNT: 0
	.section	.text._ZN7rocprim17ROCPRIM_400000_NS6detail17trampoline_kernelINS0_14default_configENS1_20scan_config_selectorIN3c108BFloat16EEEZZNS1_9scan_implILNS1_25lookback_scan_determinismE0ELb0ELb0ES3_PKS6_PS6_S6_ZZZN2at6native31launch_logcumsumexp_cuda_kernelERKNSD_10TensorBaseESH_lENKUlvE_clEvENKUlvE4_clEvEUlS6_S6_E_S6_EEDaPvRmT3_T4_T5_mT6_P12ihipStream_tbENKUlT_T0_E_clISt17integral_constantIbLb0EESX_IbLb1EEEEDaST_SU_EUlST_E_NS1_11comp_targetILNS1_3genE2ELNS1_11target_archE906ELNS1_3gpuE6ELNS1_3repE0EEENS1_30default_config_static_selectorELNS0_4arch9wavefront6targetE0EEEvT1_,"axG",@progbits,_ZN7rocprim17ROCPRIM_400000_NS6detail17trampoline_kernelINS0_14default_configENS1_20scan_config_selectorIN3c108BFloat16EEEZZNS1_9scan_implILNS1_25lookback_scan_determinismE0ELb0ELb0ES3_PKS6_PS6_S6_ZZZN2at6native31launch_logcumsumexp_cuda_kernelERKNSD_10TensorBaseESH_lENKUlvE_clEvENKUlvE4_clEvEUlS6_S6_E_S6_EEDaPvRmT3_T4_T5_mT6_P12ihipStream_tbENKUlT_T0_E_clISt17integral_constantIbLb0EESX_IbLb1EEEEDaST_SU_EUlST_E_NS1_11comp_targetILNS1_3genE2ELNS1_11target_archE906ELNS1_3gpuE6ELNS1_3repE0EEENS1_30default_config_static_selectorELNS0_4arch9wavefront6targetE0EEEvT1_,comdat
	.globl	_ZN7rocprim17ROCPRIM_400000_NS6detail17trampoline_kernelINS0_14default_configENS1_20scan_config_selectorIN3c108BFloat16EEEZZNS1_9scan_implILNS1_25lookback_scan_determinismE0ELb0ELb0ES3_PKS6_PS6_S6_ZZZN2at6native31launch_logcumsumexp_cuda_kernelERKNSD_10TensorBaseESH_lENKUlvE_clEvENKUlvE4_clEvEUlS6_S6_E_S6_EEDaPvRmT3_T4_T5_mT6_P12ihipStream_tbENKUlT_T0_E_clISt17integral_constantIbLb0EESX_IbLb1EEEEDaST_SU_EUlST_E_NS1_11comp_targetILNS1_3genE2ELNS1_11target_archE906ELNS1_3gpuE6ELNS1_3repE0EEENS1_30default_config_static_selectorELNS0_4arch9wavefront6targetE0EEEvT1_ ; -- Begin function _ZN7rocprim17ROCPRIM_400000_NS6detail17trampoline_kernelINS0_14default_configENS1_20scan_config_selectorIN3c108BFloat16EEEZZNS1_9scan_implILNS1_25lookback_scan_determinismE0ELb0ELb0ES3_PKS6_PS6_S6_ZZZN2at6native31launch_logcumsumexp_cuda_kernelERKNSD_10TensorBaseESH_lENKUlvE_clEvENKUlvE4_clEvEUlS6_S6_E_S6_EEDaPvRmT3_T4_T5_mT6_P12ihipStream_tbENKUlT_T0_E_clISt17integral_constantIbLb0EESX_IbLb1EEEEDaST_SU_EUlST_E_NS1_11comp_targetILNS1_3genE2ELNS1_11target_archE906ELNS1_3gpuE6ELNS1_3repE0EEENS1_30default_config_static_selectorELNS0_4arch9wavefront6targetE0EEEvT1_
	.p2align	8
	.type	_ZN7rocprim17ROCPRIM_400000_NS6detail17trampoline_kernelINS0_14default_configENS1_20scan_config_selectorIN3c108BFloat16EEEZZNS1_9scan_implILNS1_25lookback_scan_determinismE0ELb0ELb0ES3_PKS6_PS6_S6_ZZZN2at6native31launch_logcumsumexp_cuda_kernelERKNSD_10TensorBaseESH_lENKUlvE_clEvENKUlvE4_clEvEUlS6_S6_E_S6_EEDaPvRmT3_T4_T5_mT6_P12ihipStream_tbENKUlT_T0_E_clISt17integral_constantIbLb0EESX_IbLb1EEEEDaST_SU_EUlST_E_NS1_11comp_targetILNS1_3genE2ELNS1_11target_archE906ELNS1_3gpuE6ELNS1_3repE0EEENS1_30default_config_static_selectorELNS0_4arch9wavefront6targetE0EEEvT1_,@function
_ZN7rocprim17ROCPRIM_400000_NS6detail17trampoline_kernelINS0_14default_configENS1_20scan_config_selectorIN3c108BFloat16EEEZZNS1_9scan_implILNS1_25lookback_scan_determinismE0ELb0ELb0ES3_PKS6_PS6_S6_ZZZN2at6native31launch_logcumsumexp_cuda_kernelERKNSD_10TensorBaseESH_lENKUlvE_clEvENKUlvE4_clEvEUlS6_S6_E_S6_EEDaPvRmT3_T4_T5_mT6_P12ihipStream_tbENKUlT_T0_E_clISt17integral_constantIbLb0EESX_IbLb1EEEEDaST_SU_EUlST_E_NS1_11comp_targetILNS1_3genE2ELNS1_11target_archE906ELNS1_3gpuE6ELNS1_3repE0EEENS1_30default_config_static_selectorELNS0_4arch9wavefront6targetE0EEEvT1_: ; @_ZN7rocprim17ROCPRIM_400000_NS6detail17trampoline_kernelINS0_14default_configENS1_20scan_config_selectorIN3c108BFloat16EEEZZNS1_9scan_implILNS1_25lookback_scan_determinismE0ELb0ELb0ES3_PKS6_PS6_S6_ZZZN2at6native31launch_logcumsumexp_cuda_kernelERKNSD_10TensorBaseESH_lENKUlvE_clEvENKUlvE4_clEvEUlS6_S6_E_S6_EEDaPvRmT3_T4_T5_mT6_P12ihipStream_tbENKUlT_T0_E_clISt17integral_constantIbLb0EESX_IbLb1EEEEDaST_SU_EUlST_E_NS1_11comp_targetILNS1_3genE2ELNS1_11target_archE906ELNS1_3gpuE6ELNS1_3repE0EEENS1_30default_config_static_selectorELNS0_4arch9wavefront6targetE0EEEvT1_
; %bb.0:
	.section	.rodata,"a",@progbits
	.p2align	6, 0x0
	.amdhsa_kernel _ZN7rocprim17ROCPRIM_400000_NS6detail17trampoline_kernelINS0_14default_configENS1_20scan_config_selectorIN3c108BFloat16EEEZZNS1_9scan_implILNS1_25lookback_scan_determinismE0ELb0ELb0ES3_PKS6_PS6_S6_ZZZN2at6native31launch_logcumsumexp_cuda_kernelERKNSD_10TensorBaseESH_lENKUlvE_clEvENKUlvE4_clEvEUlS6_S6_E_S6_EEDaPvRmT3_T4_T5_mT6_P12ihipStream_tbENKUlT_T0_E_clISt17integral_constantIbLb0EESX_IbLb1EEEEDaST_SU_EUlST_E_NS1_11comp_targetILNS1_3genE2ELNS1_11target_archE906ELNS1_3gpuE6ELNS1_3repE0EEENS1_30default_config_static_selectorELNS0_4arch9wavefront6targetE0EEEvT1_
		.amdhsa_group_segment_fixed_size 0
		.amdhsa_private_segment_fixed_size 0
		.amdhsa_kernarg_size 96
		.amdhsa_user_sgpr_count 6
		.amdhsa_user_sgpr_private_segment_buffer 1
		.amdhsa_user_sgpr_dispatch_ptr 0
		.amdhsa_user_sgpr_queue_ptr 0
		.amdhsa_user_sgpr_kernarg_segment_ptr 1
		.amdhsa_user_sgpr_dispatch_id 0
		.amdhsa_user_sgpr_flat_scratch_init 0
		.amdhsa_user_sgpr_private_segment_size 0
		.amdhsa_wavefront_size32 1
		.amdhsa_uses_dynamic_stack 0
		.amdhsa_system_sgpr_private_segment_wavefront_offset 0
		.amdhsa_system_sgpr_workgroup_id_x 1
		.amdhsa_system_sgpr_workgroup_id_y 0
		.amdhsa_system_sgpr_workgroup_id_z 0
		.amdhsa_system_sgpr_workgroup_info 0
		.amdhsa_system_vgpr_workitem_id 0
		.amdhsa_next_free_vgpr 1
		.amdhsa_next_free_sgpr 1
		.amdhsa_reserve_vcc 0
		.amdhsa_reserve_flat_scratch 0
		.amdhsa_float_round_mode_32 0
		.amdhsa_float_round_mode_16_64 0
		.amdhsa_float_denorm_mode_32 3
		.amdhsa_float_denorm_mode_16_64 3
		.amdhsa_dx10_clamp 1
		.amdhsa_ieee_mode 1
		.amdhsa_fp16_overflow 0
		.amdhsa_workgroup_processor_mode 1
		.amdhsa_memory_ordered 1
		.amdhsa_forward_progress 1
		.amdhsa_shared_vgpr_count 0
		.amdhsa_exception_fp_ieee_invalid_op 0
		.amdhsa_exception_fp_denorm_src 0
		.amdhsa_exception_fp_ieee_div_zero 0
		.amdhsa_exception_fp_ieee_overflow 0
		.amdhsa_exception_fp_ieee_underflow 0
		.amdhsa_exception_fp_ieee_inexact 0
		.amdhsa_exception_int_div_zero 0
	.end_amdhsa_kernel
	.section	.text._ZN7rocprim17ROCPRIM_400000_NS6detail17trampoline_kernelINS0_14default_configENS1_20scan_config_selectorIN3c108BFloat16EEEZZNS1_9scan_implILNS1_25lookback_scan_determinismE0ELb0ELb0ES3_PKS6_PS6_S6_ZZZN2at6native31launch_logcumsumexp_cuda_kernelERKNSD_10TensorBaseESH_lENKUlvE_clEvENKUlvE4_clEvEUlS6_S6_E_S6_EEDaPvRmT3_T4_T5_mT6_P12ihipStream_tbENKUlT_T0_E_clISt17integral_constantIbLb0EESX_IbLb1EEEEDaST_SU_EUlST_E_NS1_11comp_targetILNS1_3genE2ELNS1_11target_archE906ELNS1_3gpuE6ELNS1_3repE0EEENS1_30default_config_static_selectorELNS0_4arch9wavefront6targetE0EEEvT1_,"axG",@progbits,_ZN7rocprim17ROCPRIM_400000_NS6detail17trampoline_kernelINS0_14default_configENS1_20scan_config_selectorIN3c108BFloat16EEEZZNS1_9scan_implILNS1_25lookback_scan_determinismE0ELb0ELb0ES3_PKS6_PS6_S6_ZZZN2at6native31launch_logcumsumexp_cuda_kernelERKNSD_10TensorBaseESH_lENKUlvE_clEvENKUlvE4_clEvEUlS6_S6_E_S6_EEDaPvRmT3_T4_T5_mT6_P12ihipStream_tbENKUlT_T0_E_clISt17integral_constantIbLb0EESX_IbLb1EEEEDaST_SU_EUlST_E_NS1_11comp_targetILNS1_3genE2ELNS1_11target_archE906ELNS1_3gpuE6ELNS1_3repE0EEENS1_30default_config_static_selectorELNS0_4arch9wavefront6targetE0EEEvT1_,comdat
.Lfunc_end507:
	.size	_ZN7rocprim17ROCPRIM_400000_NS6detail17trampoline_kernelINS0_14default_configENS1_20scan_config_selectorIN3c108BFloat16EEEZZNS1_9scan_implILNS1_25lookback_scan_determinismE0ELb0ELb0ES3_PKS6_PS6_S6_ZZZN2at6native31launch_logcumsumexp_cuda_kernelERKNSD_10TensorBaseESH_lENKUlvE_clEvENKUlvE4_clEvEUlS6_S6_E_S6_EEDaPvRmT3_T4_T5_mT6_P12ihipStream_tbENKUlT_T0_E_clISt17integral_constantIbLb0EESX_IbLb1EEEEDaST_SU_EUlST_E_NS1_11comp_targetILNS1_3genE2ELNS1_11target_archE906ELNS1_3gpuE6ELNS1_3repE0EEENS1_30default_config_static_selectorELNS0_4arch9wavefront6targetE0EEEvT1_, .Lfunc_end507-_ZN7rocprim17ROCPRIM_400000_NS6detail17trampoline_kernelINS0_14default_configENS1_20scan_config_selectorIN3c108BFloat16EEEZZNS1_9scan_implILNS1_25lookback_scan_determinismE0ELb0ELb0ES3_PKS6_PS6_S6_ZZZN2at6native31launch_logcumsumexp_cuda_kernelERKNSD_10TensorBaseESH_lENKUlvE_clEvENKUlvE4_clEvEUlS6_S6_E_S6_EEDaPvRmT3_T4_T5_mT6_P12ihipStream_tbENKUlT_T0_E_clISt17integral_constantIbLb0EESX_IbLb1EEEEDaST_SU_EUlST_E_NS1_11comp_targetILNS1_3genE2ELNS1_11target_archE906ELNS1_3gpuE6ELNS1_3repE0EEENS1_30default_config_static_selectorELNS0_4arch9wavefront6targetE0EEEvT1_
                                        ; -- End function
	.set _ZN7rocprim17ROCPRIM_400000_NS6detail17trampoline_kernelINS0_14default_configENS1_20scan_config_selectorIN3c108BFloat16EEEZZNS1_9scan_implILNS1_25lookback_scan_determinismE0ELb0ELb0ES3_PKS6_PS6_S6_ZZZN2at6native31launch_logcumsumexp_cuda_kernelERKNSD_10TensorBaseESH_lENKUlvE_clEvENKUlvE4_clEvEUlS6_S6_E_S6_EEDaPvRmT3_T4_T5_mT6_P12ihipStream_tbENKUlT_T0_E_clISt17integral_constantIbLb0EESX_IbLb1EEEEDaST_SU_EUlST_E_NS1_11comp_targetILNS1_3genE2ELNS1_11target_archE906ELNS1_3gpuE6ELNS1_3repE0EEENS1_30default_config_static_selectorELNS0_4arch9wavefront6targetE0EEEvT1_.num_vgpr, 0
	.set _ZN7rocprim17ROCPRIM_400000_NS6detail17trampoline_kernelINS0_14default_configENS1_20scan_config_selectorIN3c108BFloat16EEEZZNS1_9scan_implILNS1_25lookback_scan_determinismE0ELb0ELb0ES3_PKS6_PS6_S6_ZZZN2at6native31launch_logcumsumexp_cuda_kernelERKNSD_10TensorBaseESH_lENKUlvE_clEvENKUlvE4_clEvEUlS6_S6_E_S6_EEDaPvRmT3_T4_T5_mT6_P12ihipStream_tbENKUlT_T0_E_clISt17integral_constantIbLb0EESX_IbLb1EEEEDaST_SU_EUlST_E_NS1_11comp_targetILNS1_3genE2ELNS1_11target_archE906ELNS1_3gpuE6ELNS1_3repE0EEENS1_30default_config_static_selectorELNS0_4arch9wavefront6targetE0EEEvT1_.num_agpr, 0
	.set _ZN7rocprim17ROCPRIM_400000_NS6detail17trampoline_kernelINS0_14default_configENS1_20scan_config_selectorIN3c108BFloat16EEEZZNS1_9scan_implILNS1_25lookback_scan_determinismE0ELb0ELb0ES3_PKS6_PS6_S6_ZZZN2at6native31launch_logcumsumexp_cuda_kernelERKNSD_10TensorBaseESH_lENKUlvE_clEvENKUlvE4_clEvEUlS6_S6_E_S6_EEDaPvRmT3_T4_T5_mT6_P12ihipStream_tbENKUlT_T0_E_clISt17integral_constantIbLb0EESX_IbLb1EEEEDaST_SU_EUlST_E_NS1_11comp_targetILNS1_3genE2ELNS1_11target_archE906ELNS1_3gpuE6ELNS1_3repE0EEENS1_30default_config_static_selectorELNS0_4arch9wavefront6targetE0EEEvT1_.numbered_sgpr, 0
	.set _ZN7rocprim17ROCPRIM_400000_NS6detail17trampoline_kernelINS0_14default_configENS1_20scan_config_selectorIN3c108BFloat16EEEZZNS1_9scan_implILNS1_25lookback_scan_determinismE0ELb0ELb0ES3_PKS6_PS6_S6_ZZZN2at6native31launch_logcumsumexp_cuda_kernelERKNSD_10TensorBaseESH_lENKUlvE_clEvENKUlvE4_clEvEUlS6_S6_E_S6_EEDaPvRmT3_T4_T5_mT6_P12ihipStream_tbENKUlT_T0_E_clISt17integral_constantIbLb0EESX_IbLb1EEEEDaST_SU_EUlST_E_NS1_11comp_targetILNS1_3genE2ELNS1_11target_archE906ELNS1_3gpuE6ELNS1_3repE0EEENS1_30default_config_static_selectorELNS0_4arch9wavefront6targetE0EEEvT1_.num_named_barrier, 0
	.set _ZN7rocprim17ROCPRIM_400000_NS6detail17trampoline_kernelINS0_14default_configENS1_20scan_config_selectorIN3c108BFloat16EEEZZNS1_9scan_implILNS1_25lookback_scan_determinismE0ELb0ELb0ES3_PKS6_PS6_S6_ZZZN2at6native31launch_logcumsumexp_cuda_kernelERKNSD_10TensorBaseESH_lENKUlvE_clEvENKUlvE4_clEvEUlS6_S6_E_S6_EEDaPvRmT3_T4_T5_mT6_P12ihipStream_tbENKUlT_T0_E_clISt17integral_constantIbLb0EESX_IbLb1EEEEDaST_SU_EUlST_E_NS1_11comp_targetILNS1_3genE2ELNS1_11target_archE906ELNS1_3gpuE6ELNS1_3repE0EEENS1_30default_config_static_selectorELNS0_4arch9wavefront6targetE0EEEvT1_.private_seg_size, 0
	.set _ZN7rocprim17ROCPRIM_400000_NS6detail17trampoline_kernelINS0_14default_configENS1_20scan_config_selectorIN3c108BFloat16EEEZZNS1_9scan_implILNS1_25lookback_scan_determinismE0ELb0ELb0ES3_PKS6_PS6_S6_ZZZN2at6native31launch_logcumsumexp_cuda_kernelERKNSD_10TensorBaseESH_lENKUlvE_clEvENKUlvE4_clEvEUlS6_S6_E_S6_EEDaPvRmT3_T4_T5_mT6_P12ihipStream_tbENKUlT_T0_E_clISt17integral_constantIbLb0EESX_IbLb1EEEEDaST_SU_EUlST_E_NS1_11comp_targetILNS1_3genE2ELNS1_11target_archE906ELNS1_3gpuE6ELNS1_3repE0EEENS1_30default_config_static_selectorELNS0_4arch9wavefront6targetE0EEEvT1_.uses_vcc, 0
	.set _ZN7rocprim17ROCPRIM_400000_NS6detail17trampoline_kernelINS0_14default_configENS1_20scan_config_selectorIN3c108BFloat16EEEZZNS1_9scan_implILNS1_25lookback_scan_determinismE0ELb0ELb0ES3_PKS6_PS6_S6_ZZZN2at6native31launch_logcumsumexp_cuda_kernelERKNSD_10TensorBaseESH_lENKUlvE_clEvENKUlvE4_clEvEUlS6_S6_E_S6_EEDaPvRmT3_T4_T5_mT6_P12ihipStream_tbENKUlT_T0_E_clISt17integral_constantIbLb0EESX_IbLb1EEEEDaST_SU_EUlST_E_NS1_11comp_targetILNS1_3genE2ELNS1_11target_archE906ELNS1_3gpuE6ELNS1_3repE0EEENS1_30default_config_static_selectorELNS0_4arch9wavefront6targetE0EEEvT1_.uses_flat_scratch, 0
	.set _ZN7rocprim17ROCPRIM_400000_NS6detail17trampoline_kernelINS0_14default_configENS1_20scan_config_selectorIN3c108BFloat16EEEZZNS1_9scan_implILNS1_25lookback_scan_determinismE0ELb0ELb0ES3_PKS6_PS6_S6_ZZZN2at6native31launch_logcumsumexp_cuda_kernelERKNSD_10TensorBaseESH_lENKUlvE_clEvENKUlvE4_clEvEUlS6_S6_E_S6_EEDaPvRmT3_T4_T5_mT6_P12ihipStream_tbENKUlT_T0_E_clISt17integral_constantIbLb0EESX_IbLb1EEEEDaST_SU_EUlST_E_NS1_11comp_targetILNS1_3genE2ELNS1_11target_archE906ELNS1_3gpuE6ELNS1_3repE0EEENS1_30default_config_static_selectorELNS0_4arch9wavefront6targetE0EEEvT1_.has_dyn_sized_stack, 0
	.set _ZN7rocprim17ROCPRIM_400000_NS6detail17trampoline_kernelINS0_14default_configENS1_20scan_config_selectorIN3c108BFloat16EEEZZNS1_9scan_implILNS1_25lookback_scan_determinismE0ELb0ELb0ES3_PKS6_PS6_S6_ZZZN2at6native31launch_logcumsumexp_cuda_kernelERKNSD_10TensorBaseESH_lENKUlvE_clEvENKUlvE4_clEvEUlS6_S6_E_S6_EEDaPvRmT3_T4_T5_mT6_P12ihipStream_tbENKUlT_T0_E_clISt17integral_constantIbLb0EESX_IbLb1EEEEDaST_SU_EUlST_E_NS1_11comp_targetILNS1_3genE2ELNS1_11target_archE906ELNS1_3gpuE6ELNS1_3repE0EEENS1_30default_config_static_selectorELNS0_4arch9wavefront6targetE0EEEvT1_.has_recursion, 0
	.set _ZN7rocprim17ROCPRIM_400000_NS6detail17trampoline_kernelINS0_14default_configENS1_20scan_config_selectorIN3c108BFloat16EEEZZNS1_9scan_implILNS1_25lookback_scan_determinismE0ELb0ELb0ES3_PKS6_PS6_S6_ZZZN2at6native31launch_logcumsumexp_cuda_kernelERKNSD_10TensorBaseESH_lENKUlvE_clEvENKUlvE4_clEvEUlS6_S6_E_S6_EEDaPvRmT3_T4_T5_mT6_P12ihipStream_tbENKUlT_T0_E_clISt17integral_constantIbLb0EESX_IbLb1EEEEDaST_SU_EUlST_E_NS1_11comp_targetILNS1_3genE2ELNS1_11target_archE906ELNS1_3gpuE6ELNS1_3repE0EEENS1_30default_config_static_selectorELNS0_4arch9wavefront6targetE0EEEvT1_.has_indirect_call, 0
	.section	.AMDGPU.csdata,"",@progbits
; Kernel info:
; codeLenInByte = 0
; TotalNumSgprs: 0
; NumVgprs: 0
; ScratchSize: 0
; MemoryBound: 0
; FloatMode: 240
; IeeeMode: 1
; LDSByteSize: 0 bytes/workgroup (compile time only)
; SGPRBlocks: 0
; VGPRBlocks: 0
; NumSGPRsForWavesPerEU: 1
; NumVGPRsForWavesPerEU: 1
; Occupancy: 16
; WaveLimiterHint : 0
; COMPUTE_PGM_RSRC2:SCRATCH_EN: 0
; COMPUTE_PGM_RSRC2:USER_SGPR: 6
; COMPUTE_PGM_RSRC2:TRAP_HANDLER: 0
; COMPUTE_PGM_RSRC2:TGID_X_EN: 1
; COMPUTE_PGM_RSRC2:TGID_Y_EN: 0
; COMPUTE_PGM_RSRC2:TGID_Z_EN: 0
; COMPUTE_PGM_RSRC2:TIDIG_COMP_CNT: 0
	.section	.text._ZN7rocprim17ROCPRIM_400000_NS6detail17trampoline_kernelINS0_14default_configENS1_20scan_config_selectorIN3c108BFloat16EEEZZNS1_9scan_implILNS1_25lookback_scan_determinismE0ELb0ELb0ES3_PKS6_PS6_S6_ZZZN2at6native31launch_logcumsumexp_cuda_kernelERKNSD_10TensorBaseESH_lENKUlvE_clEvENKUlvE4_clEvEUlS6_S6_E_S6_EEDaPvRmT3_T4_T5_mT6_P12ihipStream_tbENKUlT_T0_E_clISt17integral_constantIbLb0EESX_IbLb1EEEEDaST_SU_EUlST_E_NS1_11comp_targetILNS1_3genE10ELNS1_11target_archE1201ELNS1_3gpuE5ELNS1_3repE0EEENS1_30default_config_static_selectorELNS0_4arch9wavefront6targetE0EEEvT1_,"axG",@progbits,_ZN7rocprim17ROCPRIM_400000_NS6detail17trampoline_kernelINS0_14default_configENS1_20scan_config_selectorIN3c108BFloat16EEEZZNS1_9scan_implILNS1_25lookback_scan_determinismE0ELb0ELb0ES3_PKS6_PS6_S6_ZZZN2at6native31launch_logcumsumexp_cuda_kernelERKNSD_10TensorBaseESH_lENKUlvE_clEvENKUlvE4_clEvEUlS6_S6_E_S6_EEDaPvRmT3_T4_T5_mT6_P12ihipStream_tbENKUlT_T0_E_clISt17integral_constantIbLb0EESX_IbLb1EEEEDaST_SU_EUlST_E_NS1_11comp_targetILNS1_3genE10ELNS1_11target_archE1201ELNS1_3gpuE5ELNS1_3repE0EEENS1_30default_config_static_selectorELNS0_4arch9wavefront6targetE0EEEvT1_,comdat
	.globl	_ZN7rocprim17ROCPRIM_400000_NS6detail17trampoline_kernelINS0_14default_configENS1_20scan_config_selectorIN3c108BFloat16EEEZZNS1_9scan_implILNS1_25lookback_scan_determinismE0ELb0ELb0ES3_PKS6_PS6_S6_ZZZN2at6native31launch_logcumsumexp_cuda_kernelERKNSD_10TensorBaseESH_lENKUlvE_clEvENKUlvE4_clEvEUlS6_S6_E_S6_EEDaPvRmT3_T4_T5_mT6_P12ihipStream_tbENKUlT_T0_E_clISt17integral_constantIbLb0EESX_IbLb1EEEEDaST_SU_EUlST_E_NS1_11comp_targetILNS1_3genE10ELNS1_11target_archE1201ELNS1_3gpuE5ELNS1_3repE0EEENS1_30default_config_static_selectorELNS0_4arch9wavefront6targetE0EEEvT1_ ; -- Begin function _ZN7rocprim17ROCPRIM_400000_NS6detail17trampoline_kernelINS0_14default_configENS1_20scan_config_selectorIN3c108BFloat16EEEZZNS1_9scan_implILNS1_25lookback_scan_determinismE0ELb0ELb0ES3_PKS6_PS6_S6_ZZZN2at6native31launch_logcumsumexp_cuda_kernelERKNSD_10TensorBaseESH_lENKUlvE_clEvENKUlvE4_clEvEUlS6_S6_E_S6_EEDaPvRmT3_T4_T5_mT6_P12ihipStream_tbENKUlT_T0_E_clISt17integral_constantIbLb0EESX_IbLb1EEEEDaST_SU_EUlST_E_NS1_11comp_targetILNS1_3genE10ELNS1_11target_archE1201ELNS1_3gpuE5ELNS1_3repE0EEENS1_30default_config_static_selectorELNS0_4arch9wavefront6targetE0EEEvT1_
	.p2align	8
	.type	_ZN7rocprim17ROCPRIM_400000_NS6detail17trampoline_kernelINS0_14default_configENS1_20scan_config_selectorIN3c108BFloat16EEEZZNS1_9scan_implILNS1_25lookback_scan_determinismE0ELb0ELb0ES3_PKS6_PS6_S6_ZZZN2at6native31launch_logcumsumexp_cuda_kernelERKNSD_10TensorBaseESH_lENKUlvE_clEvENKUlvE4_clEvEUlS6_S6_E_S6_EEDaPvRmT3_T4_T5_mT6_P12ihipStream_tbENKUlT_T0_E_clISt17integral_constantIbLb0EESX_IbLb1EEEEDaST_SU_EUlST_E_NS1_11comp_targetILNS1_3genE10ELNS1_11target_archE1201ELNS1_3gpuE5ELNS1_3repE0EEENS1_30default_config_static_selectorELNS0_4arch9wavefront6targetE0EEEvT1_,@function
_ZN7rocprim17ROCPRIM_400000_NS6detail17trampoline_kernelINS0_14default_configENS1_20scan_config_selectorIN3c108BFloat16EEEZZNS1_9scan_implILNS1_25lookback_scan_determinismE0ELb0ELb0ES3_PKS6_PS6_S6_ZZZN2at6native31launch_logcumsumexp_cuda_kernelERKNSD_10TensorBaseESH_lENKUlvE_clEvENKUlvE4_clEvEUlS6_S6_E_S6_EEDaPvRmT3_T4_T5_mT6_P12ihipStream_tbENKUlT_T0_E_clISt17integral_constantIbLb0EESX_IbLb1EEEEDaST_SU_EUlST_E_NS1_11comp_targetILNS1_3genE10ELNS1_11target_archE1201ELNS1_3gpuE5ELNS1_3repE0EEENS1_30default_config_static_selectorELNS0_4arch9wavefront6targetE0EEEvT1_: ; @_ZN7rocprim17ROCPRIM_400000_NS6detail17trampoline_kernelINS0_14default_configENS1_20scan_config_selectorIN3c108BFloat16EEEZZNS1_9scan_implILNS1_25lookback_scan_determinismE0ELb0ELb0ES3_PKS6_PS6_S6_ZZZN2at6native31launch_logcumsumexp_cuda_kernelERKNSD_10TensorBaseESH_lENKUlvE_clEvENKUlvE4_clEvEUlS6_S6_E_S6_EEDaPvRmT3_T4_T5_mT6_P12ihipStream_tbENKUlT_T0_E_clISt17integral_constantIbLb0EESX_IbLb1EEEEDaST_SU_EUlST_E_NS1_11comp_targetILNS1_3genE10ELNS1_11target_archE1201ELNS1_3gpuE5ELNS1_3repE0EEENS1_30default_config_static_selectorELNS0_4arch9wavefront6targetE0EEEvT1_
; %bb.0:
	.section	.rodata,"a",@progbits
	.p2align	6, 0x0
	.amdhsa_kernel _ZN7rocprim17ROCPRIM_400000_NS6detail17trampoline_kernelINS0_14default_configENS1_20scan_config_selectorIN3c108BFloat16EEEZZNS1_9scan_implILNS1_25lookback_scan_determinismE0ELb0ELb0ES3_PKS6_PS6_S6_ZZZN2at6native31launch_logcumsumexp_cuda_kernelERKNSD_10TensorBaseESH_lENKUlvE_clEvENKUlvE4_clEvEUlS6_S6_E_S6_EEDaPvRmT3_T4_T5_mT6_P12ihipStream_tbENKUlT_T0_E_clISt17integral_constantIbLb0EESX_IbLb1EEEEDaST_SU_EUlST_E_NS1_11comp_targetILNS1_3genE10ELNS1_11target_archE1201ELNS1_3gpuE5ELNS1_3repE0EEENS1_30default_config_static_selectorELNS0_4arch9wavefront6targetE0EEEvT1_
		.amdhsa_group_segment_fixed_size 0
		.amdhsa_private_segment_fixed_size 0
		.amdhsa_kernarg_size 96
		.amdhsa_user_sgpr_count 6
		.amdhsa_user_sgpr_private_segment_buffer 1
		.amdhsa_user_sgpr_dispatch_ptr 0
		.amdhsa_user_sgpr_queue_ptr 0
		.amdhsa_user_sgpr_kernarg_segment_ptr 1
		.amdhsa_user_sgpr_dispatch_id 0
		.amdhsa_user_sgpr_flat_scratch_init 0
		.amdhsa_user_sgpr_private_segment_size 0
		.amdhsa_wavefront_size32 1
		.amdhsa_uses_dynamic_stack 0
		.amdhsa_system_sgpr_private_segment_wavefront_offset 0
		.amdhsa_system_sgpr_workgroup_id_x 1
		.amdhsa_system_sgpr_workgroup_id_y 0
		.amdhsa_system_sgpr_workgroup_id_z 0
		.amdhsa_system_sgpr_workgroup_info 0
		.amdhsa_system_vgpr_workitem_id 0
		.amdhsa_next_free_vgpr 1
		.amdhsa_next_free_sgpr 1
		.amdhsa_reserve_vcc 0
		.amdhsa_reserve_flat_scratch 0
		.amdhsa_float_round_mode_32 0
		.amdhsa_float_round_mode_16_64 0
		.amdhsa_float_denorm_mode_32 3
		.amdhsa_float_denorm_mode_16_64 3
		.amdhsa_dx10_clamp 1
		.amdhsa_ieee_mode 1
		.amdhsa_fp16_overflow 0
		.amdhsa_workgroup_processor_mode 1
		.amdhsa_memory_ordered 1
		.amdhsa_forward_progress 1
		.amdhsa_shared_vgpr_count 0
		.amdhsa_exception_fp_ieee_invalid_op 0
		.amdhsa_exception_fp_denorm_src 0
		.amdhsa_exception_fp_ieee_div_zero 0
		.amdhsa_exception_fp_ieee_overflow 0
		.amdhsa_exception_fp_ieee_underflow 0
		.amdhsa_exception_fp_ieee_inexact 0
		.amdhsa_exception_int_div_zero 0
	.end_amdhsa_kernel
	.section	.text._ZN7rocprim17ROCPRIM_400000_NS6detail17trampoline_kernelINS0_14default_configENS1_20scan_config_selectorIN3c108BFloat16EEEZZNS1_9scan_implILNS1_25lookback_scan_determinismE0ELb0ELb0ES3_PKS6_PS6_S6_ZZZN2at6native31launch_logcumsumexp_cuda_kernelERKNSD_10TensorBaseESH_lENKUlvE_clEvENKUlvE4_clEvEUlS6_S6_E_S6_EEDaPvRmT3_T4_T5_mT6_P12ihipStream_tbENKUlT_T0_E_clISt17integral_constantIbLb0EESX_IbLb1EEEEDaST_SU_EUlST_E_NS1_11comp_targetILNS1_3genE10ELNS1_11target_archE1201ELNS1_3gpuE5ELNS1_3repE0EEENS1_30default_config_static_selectorELNS0_4arch9wavefront6targetE0EEEvT1_,"axG",@progbits,_ZN7rocprim17ROCPRIM_400000_NS6detail17trampoline_kernelINS0_14default_configENS1_20scan_config_selectorIN3c108BFloat16EEEZZNS1_9scan_implILNS1_25lookback_scan_determinismE0ELb0ELb0ES3_PKS6_PS6_S6_ZZZN2at6native31launch_logcumsumexp_cuda_kernelERKNSD_10TensorBaseESH_lENKUlvE_clEvENKUlvE4_clEvEUlS6_S6_E_S6_EEDaPvRmT3_T4_T5_mT6_P12ihipStream_tbENKUlT_T0_E_clISt17integral_constantIbLb0EESX_IbLb1EEEEDaST_SU_EUlST_E_NS1_11comp_targetILNS1_3genE10ELNS1_11target_archE1201ELNS1_3gpuE5ELNS1_3repE0EEENS1_30default_config_static_selectorELNS0_4arch9wavefront6targetE0EEEvT1_,comdat
.Lfunc_end508:
	.size	_ZN7rocprim17ROCPRIM_400000_NS6detail17trampoline_kernelINS0_14default_configENS1_20scan_config_selectorIN3c108BFloat16EEEZZNS1_9scan_implILNS1_25lookback_scan_determinismE0ELb0ELb0ES3_PKS6_PS6_S6_ZZZN2at6native31launch_logcumsumexp_cuda_kernelERKNSD_10TensorBaseESH_lENKUlvE_clEvENKUlvE4_clEvEUlS6_S6_E_S6_EEDaPvRmT3_T4_T5_mT6_P12ihipStream_tbENKUlT_T0_E_clISt17integral_constantIbLb0EESX_IbLb1EEEEDaST_SU_EUlST_E_NS1_11comp_targetILNS1_3genE10ELNS1_11target_archE1201ELNS1_3gpuE5ELNS1_3repE0EEENS1_30default_config_static_selectorELNS0_4arch9wavefront6targetE0EEEvT1_, .Lfunc_end508-_ZN7rocprim17ROCPRIM_400000_NS6detail17trampoline_kernelINS0_14default_configENS1_20scan_config_selectorIN3c108BFloat16EEEZZNS1_9scan_implILNS1_25lookback_scan_determinismE0ELb0ELb0ES3_PKS6_PS6_S6_ZZZN2at6native31launch_logcumsumexp_cuda_kernelERKNSD_10TensorBaseESH_lENKUlvE_clEvENKUlvE4_clEvEUlS6_S6_E_S6_EEDaPvRmT3_T4_T5_mT6_P12ihipStream_tbENKUlT_T0_E_clISt17integral_constantIbLb0EESX_IbLb1EEEEDaST_SU_EUlST_E_NS1_11comp_targetILNS1_3genE10ELNS1_11target_archE1201ELNS1_3gpuE5ELNS1_3repE0EEENS1_30default_config_static_selectorELNS0_4arch9wavefront6targetE0EEEvT1_
                                        ; -- End function
	.set _ZN7rocprim17ROCPRIM_400000_NS6detail17trampoline_kernelINS0_14default_configENS1_20scan_config_selectorIN3c108BFloat16EEEZZNS1_9scan_implILNS1_25lookback_scan_determinismE0ELb0ELb0ES3_PKS6_PS6_S6_ZZZN2at6native31launch_logcumsumexp_cuda_kernelERKNSD_10TensorBaseESH_lENKUlvE_clEvENKUlvE4_clEvEUlS6_S6_E_S6_EEDaPvRmT3_T4_T5_mT6_P12ihipStream_tbENKUlT_T0_E_clISt17integral_constantIbLb0EESX_IbLb1EEEEDaST_SU_EUlST_E_NS1_11comp_targetILNS1_3genE10ELNS1_11target_archE1201ELNS1_3gpuE5ELNS1_3repE0EEENS1_30default_config_static_selectorELNS0_4arch9wavefront6targetE0EEEvT1_.num_vgpr, 0
	.set _ZN7rocprim17ROCPRIM_400000_NS6detail17trampoline_kernelINS0_14default_configENS1_20scan_config_selectorIN3c108BFloat16EEEZZNS1_9scan_implILNS1_25lookback_scan_determinismE0ELb0ELb0ES3_PKS6_PS6_S6_ZZZN2at6native31launch_logcumsumexp_cuda_kernelERKNSD_10TensorBaseESH_lENKUlvE_clEvENKUlvE4_clEvEUlS6_S6_E_S6_EEDaPvRmT3_T4_T5_mT6_P12ihipStream_tbENKUlT_T0_E_clISt17integral_constantIbLb0EESX_IbLb1EEEEDaST_SU_EUlST_E_NS1_11comp_targetILNS1_3genE10ELNS1_11target_archE1201ELNS1_3gpuE5ELNS1_3repE0EEENS1_30default_config_static_selectorELNS0_4arch9wavefront6targetE0EEEvT1_.num_agpr, 0
	.set _ZN7rocprim17ROCPRIM_400000_NS6detail17trampoline_kernelINS0_14default_configENS1_20scan_config_selectorIN3c108BFloat16EEEZZNS1_9scan_implILNS1_25lookback_scan_determinismE0ELb0ELb0ES3_PKS6_PS6_S6_ZZZN2at6native31launch_logcumsumexp_cuda_kernelERKNSD_10TensorBaseESH_lENKUlvE_clEvENKUlvE4_clEvEUlS6_S6_E_S6_EEDaPvRmT3_T4_T5_mT6_P12ihipStream_tbENKUlT_T0_E_clISt17integral_constantIbLb0EESX_IbLb1EEEEDaST_SU_EUlST_E_NS1_11comp_targetILNS1_3genE10ELNS1_11target_archE1201ELNS1_3gpuE5ELNS1_3repE0EEENS1_30default_config_static_selectorELNS0_4arch9wavefront6targetE0EEEvT1_.numbered_sgpr, 0
	.set _ZN7rocprim17ROCPRIM_400000_NS6detail17trampoline_kernelINS0_14default_configENS1_20scan_config_selectorIN3c108BFloat16EEEZZNS1_9scan_implILNS1_25lookback_scan_determinismE0ELb0ELb0ES3_PKS6_PS6_S6_ZZZN2at6native31launch_logcumsumexp_cuda_kernelERKNSD_10TensorBaseESH_lENKUlvE_clEvENKUlvE4_clEvEUlS6_S6_E_S6_EEDaPvRmT3_T4_T5_mT6_P12ihipStream_tbENKUlT_T0_E_clISt17integral_constantIbLb0EESX_IbLb1EEEEDaST_SU_EUlST_E_NS1_11comp_targetILNS1_3genE10ELNS1_11target_archE1201ELNS1_3gpuE5ELNS1_3repE0EEENS1_30default_config_static_selectorELNS0_4arch9wavefront6targetE0EEEvT1_.num_named_barrier, 0
	.set _ZN7rocprim17ROCPRIM_400000_NS6detail17trampoline_kernelINS0_14default_configENS1_20scan_config_selectorIN3c108BFloat16EEEZZNS1_9scan_implILNS1_25lookback_scan_determinismE0ELb0ELb0ES3_PKS6_PS6_S6_ZZZN2at6native31launch_logcumsumexp_cuda_kernelERKNSD_10TensorBaseESH_lENKUlvE_clEvENKUlvE4_clEvEUlS6_S6_E_S6_EEDaPvRmT3_T4_T5_mT6_P12ihipStream_tbENKUlT_T0_E_clISt17integral_constantIbLb0EESX_IbLb1EEEEDaST_SU_EUlST_E_NS1_11comp_targetILNS1_3genE10ELNS1_11target_archE1201ELNS1_3gpuE5ELNS1_3repE0EEENS1_30default_config_static_selectorELNS0_4arch9wavefront6targetE0EEEvT1_.private_seg_size, 0
	.set _ZN7rocprim17ROCPRIM_400000_NS6detail17trampoline_kernelINS0_14default_configENS1_20scan_config_selectorIN3c108BFloat16EEEZZNS1_9scan_implILNS1_25lookback_scan_determinismE0ELb0ELb0ES3_PKS6_PS6_S6_ZZZN2at6native31launch_logcumsumexp_cuda_kernelERKNSD_10TensorBaseESH_lENKUlvE_clEvENKUlvE4_clEvEUlS6_S6_E_S6_EEDaPvRmT3_T4_T5_mT6_P12ihipStream_tbENKUlT_T0_E_clISt17integral_constantIbLb0EESX_IbLb1EEEEDaST_SU_EUlST_E_NS1_11comp_targetILNS1_3genE10ELNS1_11target_archE1201ELNS1_3gpuE5ELNS1_3repE0EEENS1_30default_config_static_selectorELNS0_4arch9wavefront6targetE0EEEvT1_.uses_vcc, 0
	.set _ZN7rocprim17ROCPRIM_400000_NS6detail17trampoline_kernelINS0_14default_configENS1_20scan_config_selectorIN3c108BFloat16EEEZZNS1_9scan_implILNS1_25lookback_scan_determinismE0ELb0ELb0ES3_PKS6_PS6_S6_ZZZN2at6native31launch_logcumsumexp_cuda_kernelERKNSD_10TensorBaseESH_lENKUlvE_clEvENKUlvE4_clEvEUlS6_S6_E_S6_EEDaPvRmT3_T4_T5_mT6_P12ihipStream_tbENKUlT_T0_E_clISt17integral_constantIbLb0EESX_IbLb1EEEEDaST_SU_EUlST_E_NS1_11comp_targetILNS1_3genE10ELNS1_11target_archE1201ELNS1_3gpuE5ELNS1_3repE0EEENS1_30default_config_static_selectorELNS0_4arch9wavefront6targetE0EEEvT1_.uses_flat_scratch, 0
	.set _ZN7rocprim17ROCPRIM_400000_NS6detail17trampoline_kernelINS0_14default_configENS1_20scan_config_selectorIN3c108BFloat16EEEZZNS1_9scan_implILNS1_25lookback_scan_determinismE0ELb0ELb0ES3_PKS6_PS6_S6_ZZZN2at6native31launch_logcumsumexp_cuda_kernelERKNSD_10TensorBaseESH_lENKUlvE_clEvENKUlvE4_clEvEUlS6_S6_E_S6_EEDaPvRmT3_T4_T5_mT6_P12ihipStream_tbENKUlT_T0_E_clISt17integral_constantIbLb0EESX_IbLb1EEEEDaST_SU_EUlST_E_NS1_11comp_targetILNS1_3genE10ELNS1_11target_archE1201ELNS1_3gpuE5ELNS1_3repE0EEENS1_30default_config_static_selectorELNS0_4arch9wavefront6targetE0EEEvT1_.has_dyn_sized_stack, 0
	.set _ZN7rocprim17ROCPRIM_400000_NS6detail17trampoline_kernelINS0_14default_configENS1_20scan_config_selectorIN3c108BFloat16EEEZZNS1_9scan_implILNS1_25lookback_scan_determinismE0ELb0ELb0ES3_PKS6_PS6_S6_ZZZN2at6native31launch_logcumsumexp_cuda_kernelERKNSD_10TensorBaseESH_lENKUlvE_clEvENKUlvE4_clEvEUlS6_S6_E_S6_EEDaPvRmT3_T4_T5_mT6_P12ihipStream_tbENKUlT_T0_E_clISt17integral_constantIbLb0EESX_IbLb1EEEEDaST_SU_EUlST_E_NS1_11comp_targetILNS1_3genE10ELNS1_11target_archE1201ELNS1_3gpuE5ELNS1_3repE0EEENS1_30default_config_static_selectorELNS0_4arch9wavefront6targetE0EEEvT1_.has_recursion, 0
	.set _ZN7rocprim17ROCPRIM_400000_NS6detail17trampoline_kernelINS0_14default_configENS1_20scan_config_selectorIN3c108BFloat16EEEZZNS1_9scan_implILNS1_25lookback_scan_determinismE0ELb0ELb0ES3_PKS6_PS6_S6_ZZZN2at6native31launch_logcumsumexp_cuda_kernelERKNSD_10TensorBaseESH_lENKUlvE_clEvENKUlvE4_clEvEUlS6_S6_E_S6_EEDaPvRmT3_T4_T5_mT6_P12ihipStream_tbENKUlT_T0_E_clISt17integral_constantIbLb0EESX_IbLb1EEEEDaST_SU_EUlST_E_NS1_11comp_targetILNS1_3genE10ELNS1_11target_archE1201ELNS1_3gpuE5ELNS1_3repE0EEENS1_30default_config_static_selectorELNS0_4arch9wavefront6targetE0EEEvT1_.has_indirect_call, 0
	.section	.AMDGPU.csdata,"",@progbits
; Kernel info:
; codeLenInByte = 0
; TotalNumSgprs: 0
; NumVgprs: 0
; ScratchSize: 0
; MemoryBound: 0
; FloatMode: 240
; IeeeMode: 1
; LDSByteSize: 0 bytes/workgroup (compile time only)
; SGPRBlocks: 0
; VGPRBlocks: 0
; NumSGPRsForWavesPerEU: 1
; NumVGPRsForWavesPerEU: 1
; Occupancy: 16
; WaveLimiterHint : 0
; COMPUTE_PGM_RSRC2:SCRATCH_EN: 0
; COMPUTE_PGM_RSRC2:USER_SGPR: 6
; COMPUTE_PGM_RSRC2:TRAP_HANDLER: 0
; COMPUTE_PGM_RSRC2:TGID_X_EN: 1
; COMPUTE_PGM_RSRC2:TGID_Y_EN: 0
; COMPUTE_PGM_RSRC2:TGID_Z_EN: 0
; COMPUTE_PGM_RSRC2:TIDIG_COMP_CNT: 0
	.section	.text._ZN7rocprim17ROCPRIM_400000_NS6detail17trampoline_kernelINS0_14default_configENS1_20scan_config_selectorIN3c108BFloat16EEEZZNS1_9scan_implILNS1_25lookback_scan_determinismE0ELb0ELb0ES3_PKS6_PS6_S6_ZZZN2at6native31launch_logcumsumexp_cuda_kernelERKNSD_10TensorBaseESH_lENKUlvE_clEvENKUlvE4_clEvEUlS6_S6_E_S6_EEDaPvRmT3_T4_T5_mT6_P12ihipStream_tbENKUlT_T0_E_clISt17integral_constantIbLb0EESX_IbLb1EEEEDaST_SU_EUlST_E_NS1_11comp_targetILNS1_3genE10ELNS1_11target_archE1200ELNS1_3gpuE4ELNS1_3repE0EEENS1_30default_config_static_selectorELNS0_4arch9wavefront6targetE0EEEvT1_,"axG",@progbits,_ZN7rocprim17ROCPRIM_400000_NS6detail17trampoline_kernelINS0_14default_configENS1_20scan_config_selectorIN3c108BFloat16EEEZZNS1_9scan_implILNS1_25lookback_scan_determinismE0ELb0ELb0ES3_PKS6_PS6_S6_ZZZN2at6native31launch_logcumsumexp_cuda_kernelERKNSD_10TensorBaseESH_lENKUlvE_clEvENKUlvE4_clEvEUlS6_S6_E_S6_EEDaPvRmT3_T4_T5_mT6_P12ihipStream_tbENKUlT_T0_E_clISt17integral_constantIbLb0EESX_IbLb1EEEEDaST_SU_EUlST_E_NS1_11comp_targetILNS1_3genE10ELNS1_11target_archE1200ELNS1_3gpuE4ELNS1_3repE0EEENS1_30default_config_static_selectorELNS0_4arch9wavefront6targetE0EEEvT1_,comdat
	.globl	_ZN7rocprim17ROCPRIM_400000_NS6detail17trampoline_kernelINS0_14default_configENS1_20scan_config_selectorIN3c108BFloat16EEEZZNS1_9scan_implILNS1_25lookback_scan_determinismE0ELb0ELb0ES3_PKS6_PS6_S6_ZZZN2at6native31launch_logcumsumexp_cuda_kernelERKNSD_10TensorBaseESH_lENKUlvE_clEvENKUlvE4_clEvEUlS6_S6_E_S6_EEDaPvRmT3_T4_T5_mT6_P12ihipStream_tbENKUlT_T0_E_clISt17integral_constantIbLb0EESX_IbLb1EEEEDaST_SU_EUlST_E_NS1_11comp_targetILNS1_3genE10ELNS1_11target_archE1200ELNS1_3gpuE4ELNS1_3repE0EEENS1_30default_config_static_selectorELNS0_4arch9wavefront6targetE0EEEvT1_ ; -- Begin function _ZN7rocprim17ROCPRIM_400000_NS6detail17trampoline_kernelINS0_14default_configENS1_20scan_config_selectorIN3c108BFloat16EEEZZNS1_9scan_implILNS1_25lookback_scan_determinismE0ELb0ELb0ES3_PKS6_PS6_S6_ZZZN2at6native31launch_logcumsumexp_cuda_kernelERKNSD_10TensorBaseESH_lENKUlvE_clEvENKUlvE4_clEvEUlS6_S6_E_S6_EEDaPvRmT3_T4_T5_mT6_P12ihipStream_tbENKUlT_T0_E_clISt17integral_constantIbLb0EESX_IbLb1EEEEDaST_SU_EUlST_E_NS1_11comp_targetILNS1_3genE10ELNS1_11target_archE1200ELNS1_3gpuE4ELNS1_3repE0EEENS1_30default_config_static_selectorELNS0_4arch9wavefront6targetE0EEEvT1_
	.p2align	8
	.type	_ZN7rocprim17ROCPRIM_400000_NS6detail17trampoline_kernelINS0_14default_configENS1_20scan_config_selectorIN3c108BFloat16EEEZZNS1_9scan_implILNS1_25lookback_scan_determinismE0ELb0ELb0ES3_PKS6_PS6_S6_ZZZN2at6native31launch_logcumsumexp_cuda_kernelERKNSD_10TensorBaseESH_lENKUlvE_clEvENKUlvE4_clEvEUlS6_S6_E_S6_EEDaPvRmT3_T4_T5_mT6_P12ihipStream_tbENKUlT_T0_E_clISt17integral_constantIbLb0EESX_IbLb1EEEEDaST_SU_EUlST_E_NS1_11comp_targetILNS1_3genE10ELNS1_11target_archE1200ELNS1_3gpuE4ELNS1_3repE0EEENS1_30default_config_static_selectorELNS0_4arch9wavefront6targetE0EEEvT1_,@function
_ZN7rocprim17ROCPRIM_400000_NS6detail17trampoline_kernelINS0_14default_configENS1_20scan_config_selectorIN3c108BFloat16EEEZZNS1_9scan_implILNS1_25lookback_scan_determinismE0ELb0ELb0ES3_PKS6_PS6_S6_ZZZN2at6native31launch_logcumsumexp_cuda_kernelERKNSD_10TensorBaseESH_lENKUlvE_clEvENKUlvE4_clEvEUlS6_S6_E_S6_EEDaPvRmT3_T4_T5_mT6_P12ihipStream_tbENKUlT_T0_E_clISt17integral_constantIbLb0EESX_IbLb1EEEEDaST_SU_EUlST_E_NS1_11comp_targetILNS1_3genE10ELNS1_11target_archE1200ELNS1_3gpuE4ELNS1_3repE0EEENS1_30default_config_static_selectorELNS0_4arch9wavefront6targetE0EEEvT1_: ; @_ZN7rocprim17ROCPRIM_400000_NS6detail17trampoline_kernelINS0_14default_configENS1_20scan_config_selectorIN3c108BFloat16EEEZZNS1_9scan_implILNS1_25lookback_scan_determinismE0ELb0ELb0ES3_PKS6_PS6_S6_ZZZN2at6native31launch_logcumsumexp_cuda_kernelERKNSD_10TensorBaseESH_lENKUlvE_clEvENKUlvE4_clEvEUlS6_S6_E_S6_EEDaPvRmT3_T4_T5_mT6_P12ihipStream_tbENKUlT_T0_E_clISt17integral_constantIbLb0EESX_IbLb1EEEEDaST_SU_EUlST_E_NS1_11comp_targetILNS1_3genE10ELNS1_11target_archE1200ELNS1_3gpuE4ELNS1_3repE0EEENS1_30default_config_static_selectorELNS0_4arch9wavefront6targetE0EEEvT1_
; %bb.0:
	.section	.rodata,"a",@progbits
	.p2align	6, 0x0
	.amdhsa_kernel _ZN7rocprim17ROCPRIM_400000_NS6detail17trampoline_kernelINS0_14default_configENS1_20scan_config_selectorIN3c108BFloat16EEEZZNS1_9scan_implILNS1_25lookback_scan_determinismE0ELb0ELb0ES3_PKS6_PS6_S6_ZZZN2at6native31launch_logcumsumexp_cuda_kernelERKNSD_10TensorBaseESH_lENKUlvE_clEvENKUlvE4_clEvEUlS6_S6_E_S6_EEDaPvRmT3_T4_T5_mT6_P12ihipStream_tbENKUlT_T0_E_clISt17integral_constantIbLb0EESX_IbLb1EEEEDaST_SU_EUlST_E_NS1_11comp_targetILNS1_3genE10ELNS1_11target_archE1200ELNS1_3gpuE4ELNS1_3repE0EEENS1_30default_config_static_selectorELNS0_4arch9wavefront6targetE0EEEvT1_
		.amdhsa_group_segment_fixed_size 0
		.amdhsa_private_segment_fixed_size 0
		.amdhsa_kernarg_size 96
		.amdhsa_user_sgpr_count 6
		.amdhsa_user_sgpr_private_segment_buffer 1
		.amdhsa_user_sgpr_dispatch_ptr 0
		.amdhsa_user_sgpr_queue_ptr 0
		.amdhsa_user_sgpr_kernarg_segment_ptr 1
		.amdhsa_user_sgpr_dispatch_id 0
		.amdhsa_user_sgpr_flat_scratch_init 0
		.amdhsa_user_sgpr_private_segment_size 0
		.amdhsa_wavefront_size32 1
		.amdhsa_uses_dynamic_stack 0
		.amdhsa_system_sgpr_private_segment_wavefront_offset 0
		.amdhsa_system_sgpr_workgroup_id_x 1
		.amdhsa_system_sgpr_workgroup_id_y 0
		.amdhsa_system_sgpr_workgroup_id_z 0
		.amdhsa_system_sgpr_workgroup_info 0
		.amdhsa_system_vgpr_workitem_id 0
		.amdhsa_next_free_vgpr 1
		.amdhsa_next_free_sgpr 1
		.amdhsa_reserve_vcc 0
		.amdhsa_reserve_flat_scratch 0
		.amdhsa_float_round_mode_32 0
		.amdhsa_float_round_mode_16_64 0
		.amdhsa_float_denorm_mode_32 3
		.amdhsa_float_denorm_mode_16_64 3
		.amdhsa_dx10_clamp 1
		.amdhsa_ieee_mode 1
		.amdhsa_fp16_overflow 0
		.amdhsa_workgroup_processor_mode 1
		.amdhsa_memory_ordered 1
		.amdhsa_forward_progress 1
		.amdhsa_shared_vgpr_count 0
		.amdhsa_exception_fp_ieee_invalid_op 0
		.amdhsa_exception_fp_denorm_src 0
		.amdhsa_exception_fp_ieee_div_zero 0
		.amdhsa_exception_fp_ieee_overflow 0
		.amdhsa_exception_fp_ieee_underflow 0
		.amdhsa_exception_fp_ieee_inexact 0
		.amdhsa_exception_int_div_zero 0
	.end_amdhsa_kernel
	.section	.text._ZN7rocprim17ROCPRIM_400000_NS6detail17trampoline_kernelINS0_14default_configENS1_20scan_config_selectorIN3c108BFloat16EEEZZNS1_9scan_implILNS1_25lookback_scan_determinismE0ELb0ELb0ES3_PKS6_PS6_S6_ZZZN2at6native31launch_logcumsumexp_cuda_kernelERKNSD_10TensorBaseESH_lENKUlvE_clEvENKUlvE4_clEvEUlS6_S6_E_S6_EEDaPvRmT3_T4_T5_mT6_P12ihipStream_tbENKUlT_T0_E_clISt17integral_constantIbLb0EESX_IbLb1EEEEDaST_SU_EUlST_E_NS1_11comp_targetILNS1_3genE10ELNS1_11target_archE1200ELNS1_3gpuE4ELNS1_3repE0EEENS1_30default_config_static_selectorELNS0_4arch9wavefront6targetE0EEEvT1_,"axG",@progbits,_ZN7rocprim17ROCPRIM_400000_NS6detail17trampoline_kernelINS0_14default_configENS1_20scan_config_selectorIN3c108BFloat16EEEZZNS1_9scan_implILNS1_25lookback_scan_determinismE0ELb0ELb0ES3_PKS6_PS6_S6_ZZZN2at6native31launch_logcumsumexp_cuda_kernelERKNSD_10TensorBaseESH_lENKUlvE_clEvENKUlvE4_clEvEUlS6_S6_E_S6_EEDaPvRmT3_T4_T5_mT6_P12ihipStream_tbENKUlT_T0_E_clISt17integral_constantIbLb0EESX_IbLb1EEEEDaST_SU_EUlST_E_NS1_11comp_targetILNS1_3genE10ELNS1_11target_archE1200ELNS1_3gpuE4ELNS1_3repE0EEENS1_30default_config_static_selectorELNS0_4arch9wavefront6targetE0EEEvT1_,comdat
.Lfunc_end509:
	.size	_ZN7rocprim17ROCPRIM_400000_NS6detail17trampoline_kernelINS0_14default_configENS1_20scan_config_selectorIN3c108BFloat16EEEZZNS1_9scan_implILNS1_25lookback_scan_determinismE0ELb0ELb0ES3_PKS6_PS6_S6_ZZZN2at6native31launch_logcumsumexp_cuda_kernelERKNSD_10TensorBaseESH_lENKUlvE_clEvENKUlvE4_clEvEUlS6_S6_E_S6_EEDaPvRmT3_T4_T5_mT6_P12ihipStream_tbENKUlT_T0_E_clISt17integral_constantIbLb0EESX_IbLb1EEEEDaST_SU_EUlST_E_NS1_11comp_targetILNS1_3genE10ELNS1_11target_archE1200ELNS1_3gpuE4ELNS1_3repE0EEENS1_30default_config_static_selectorELNS0_4arch9wavefront6targetE0EEEvT1_, .Lfunc_end509-_ZN7rocprim17ROCPRIM_400000_NS6detail17trampoline_kernelINS0_14default_configENS1_20scan_config_selectorIN3c108BFloat16EEEZZNS1_9scan_implILNS1_25lookback_scan_determinismE0ELb0ELb0ES3_PKS6_PS6_S6_ZZZN2at6native31launch_logcumsumexp_cuda_kernelERKNSD_10TensorBaseESH_lENKUlvE_clEvENKUlvE4_clEvEUlS6_S6_E_S6_EEDaPvRmT3_T4_T5_mT6_P12ihipStream_tbENKUlT_T0_E_clISt17integral_constantIbLb0EESX_IbLb1EEEEDaST_SU_EUlST_E_NS1_11comp_targetILNS1_3genE10ELNS1_11target_archE1200ELNS1_3gpuE4ELNS1_3repE0EEENS1_30default_config_static_selectorELNS0_4arch9wavefront6targetE0EEEvT1_
                                        ; -- End function
	.set _ZN7rocprim17ROCPRIM_400000_NS6detail17trampoline_kernelINS0_14default_configENS1_20scan_config_selectorIN3c108BFloat16EEEZZNS1_9scan_implILNS1_25lookback_scan_determinismE0ELb0ELb0ES3_PKS6_PS6_S6_ZZZN2at6native31launch_logcumsumexp_cuda_kernelERKNSD_10TensorBaseESH_lENKUlvE_clEvENKUlvE4_clEvEUlS6_S6_E_S6_EEDaPvRmT3_T4_T5_mT6_P12ihipStream_tbENKUlT_T0_E_clISt17integral_constantIbLb0EESX_IbLb1EEEEDaST_SU_EUlST_E_NS1_11comp_targetILNS1_3genE10ELNS1_11target_archE1200ELNS1_3gpuE4ELNS1_3repE0EEENS1_30default_config_static_selectorELNS0_4arch9wavefront6targetE0EEEvT1_.num_vgpr, 0
	.set _ZN7rocprim17ROCPRIM_400000_NS6detail17trampoline_kernelINS0_14default_configENS1_20scan_config_selectorIN3c108BFloat16EEEZZNS1_9scan_implILNS1_25lookback_scan_determinismE0ELb0ELb0ES3_PKS6_PS6_S6_ZZZN2at6native31launch_logcumsumexp_cuda_kernelERKNSD_10TensorBaseESH_lENKUlvE_clEvENKUlvE4_clEvEUlS6_S6_E_S6_EEDaPvRmT3_T4_T5_mT6_P12ihipStream_tbENKUlT_T0_E_clISt17integral_constantIbLb0EESX_IbLb1EEEEDaST_SU_EUlST_E_NS1_11comp_targetILNS1_3genE10ELNS1_11target_archE1200ELNS1_3gpuE4ELNS1_3repE0EEENS1_30default_config_static_selectorELNS0_4arch9wavefront6targetE0EEEvT1_.num_agpr, 0
	.set _ZN7rocprim17ROCPRIM_400000_NS6detail17trampoline_kernelINS0_14default_configENS1_20scan_config_selectorIN3c108BFloat16EEEZZNS1_9scan_implILNS1_25lookback_scan_determinismE0ELb0ELb0ES3_PKS6_PS6_S6_ZZZN2at6native31launch_logcumsumexp_cuda_kernelERKNSD_10TensorBaseESH_lENKUlvE_clEvENKUlvE4_clEvEUlS6_S6_E_S6_EEDaPvRmT3_T4_T5_mT6_P12ihipStream_tbENKUlT_T0_E_clISt17integral_constantIbLb0EESX_IbLb1EEEEDaST_SU_EUlST_E_NS1_11comp_targetILNS1_3genE10ELNS1_11target_archE1200ELNS1_3gpuE4ELNS1_3repE0EEENS1_30default_config_static_selectorELNS0_4arch9wavefront6targetE0EEEvT1_.numbered_sgpr, 0
	.set _ZN7rocprim17ROCPRIM_400000_NS6detail17trampoline_kernelINS0_14default_configENS1_20scan_config_selectorIN3c108BFloat16EEEZZNS1_9scan_implILNS1_25lookback_scan_determinismE0ELb0ELb0ES3_PKS6_PS6_S6_ZZZN2at6native31launch_logcumsumexp_cuda_kernelERKNSD_10TensorBaseESH_lENKUlvE_clEvENKUlvE4_clEvEUlS6_S6_E_S6_EEDaPvRmT3_T4_T5_mT6_P12ihipStream_tbENKUlT_T0_E_clISt17integral_constantIbLb0EESX_IbLb1EEEEDaST_SU_EUlST_E_NS1_11comp_targetILNS1_3genE10ELNS1_11target_archE1200ELNS1_3gpuE4ELNS1_3repE0EEENS1_30default_config_static_selectorELNS0_4arch9wavefront6targetE0EEEvT1_.num_named_barrier, 0
	.set _ZN7rocprim17ROCPRIM_400000_NS6detail17trampoline_kernelINS0_14default_configENS1_20scan_config_selectorIN3c108BFloat16EEEZZNS1_9scan_implILNS1_25lookback_scan_determinismE0ELb0ELb0ES3_PKS6_PS6_S6_ZZZN2at6native31launch_logcumsumexp_cuda_kernelERKNSD_10TensorBaseESH_lENKUlvE_clEvENKUlvE4_clEvEUlS6_S6_E_S6_EEDaPvRmT3_T4_T5_mT6_P12ihipStream_tbENKUlT_T0_E_clISt17integral_constantIbLb0EESX_IbLb1EEEEDaST_SU_EUlST_E_NS1_11comp_targetILNS1_3genE10ELNS1_11target_archE1200ELNS1_3gpuE4ELNS1_3repE0EEENS1_30default_config_static_selectorELNS0_4arch9wavefront6targetE0EEEvT1_.private_seg_size, 0
	.set _ZN7rocprim17ROCPRIM_400000_NS6detail17trampoline_kernelINS0_14default_configENS1_20scan_config_selectorIN3c108BFloat16EEEZZNS1_9scan_implILNS1_25lookback_scan_determinismE0ELb0ELb0ES3_PKS6_PS6_S6_ZZZN2at6native31launch_logcumsumexp_cuda_kernelERKNSD_10TensorBaseESH_lENKUlvE_clEvENKUlvE4_clEvEUlS6_S6_E_S6_EEDaPvRmT3_T4_T5_mT6_P12ihipStream_tbENKUlT_T0_E_clISt17integral_constantIbLb0EESX_IbLb1EEEEDaST_SU_EUlST_E_NS1_11comp_targetILNS1_3genE10ELNS1_11target_archE1200ELNS1_3gpuE4ELNS1_3repE0EEENS1_30default_config_static_selectorELNS0_4arch9wavefront6targetE0EEEvT1_.uses_vcc, 0
	.set _ZN7rocprim17ROCPRIM_400000_NS6detail17trampoline_kernelINS0_14default_configENS1_20scan_config_selectorIN3c108BFloat16EEEZZNS1_9scan_implILNS1_25lookback_scan_determinismE0ELb0ELb0ES3_PKS6_PS6_S6_ZZZN2at6native31launch_logcumsumexp_cuda_kernelERKNSD_10TensorBaseESH_lENKUlvE_clEvENKUlvE4_clEvEUlS6_S6_E_S6_EEDaPvRmT3_T4_T5_mT6_P12ihipStream_tbENKUlT_T0_E_clISt17integral_constantIbLb0EESX_IbLb1EEEEDaST_SU_EUlST_E_NS1_11comp_targetILNS1_3genE10ELNS1_11target_archE1200ELNS1_3gpuE4ELNS1_3repE0EEENS1_30default_config_static_selectorELNS0_4arch9wavefront6targetE0EEEvT1_.uses_flat_scratch, 0
	.set _ZN7rocprim17ROCPRIM_400000_NS6detail17trampoline_kernelINS0_14default_configENS1_20scan_config_selectorIN3c108BFloat16EEEZZNS1_9scan_implILNS1_25lookback_scan_determinismE0ELb0ELb0ES3_PKS6_PS6_S6_ZZZN2at6native31launch_logcumsumexp_cuda_kernelERKNSD_10TensorBaseESH_lENKUlvE_clEvENKUlvE4_clEvEUlS6_S6_E_S6_EEDaPvRmT3_T4_T5_mT6_P12ihipStream_tbENKUlT_T0_E_clISt17integral_constantIbLb0EESX_IbLb1EEEEDaST_SU_EUlST_E_NS1_11comp_targetILNS1_3genE10ELNS1_11target_archE1200ELNS1_3gpuE4ELNS1_3repE0EEENS1_30default_config_static_selectorELNS0_4arch9wavefront6targetE0EEEvT1_.has_dyn_sized_stack, 0
	.set _ZN7rocprim17ROCPRIM_400000_NS6detail17trampoline_kernelINS0_14default_configENS1_20scan_config_selectorIN3c108BFloat16EEEZZNS1_9scan_implILNS1_25lookback_scan_determinismE0ELb0ELb0ES3_PKS6_PS6_S6_ZZZN2at6native31launch_logcumsumexp_cuda_kernelERKNSD_10TensorBaseESH_lENKUlvE_clEvENKUlvE4_clEvEUlS6_S6_E_S6_EEDaPvRmT3_T4_T5_mT6_P12ihipStream_tbENKUlT_T0_E_clISt17integral_constantIbLb0EESX_IbLb1EEEEDaST_SU_EUlST_E_NS1_11comp_targetILNS1_3genE10ELNS1_11target_archE1200ELNS1_3gpuE4ELNS1_3repE0EEENS1_30default_config_static_selectorELNS0_4arch9wavefront6targetE0EEEvT1_.has_recursion, 0
	.set _ZN7rocprim17ROCPRIM_400000_NS6detail17trampoline_kernelINS0_14default_configENS1_20scan_config_selectorIN3c108BFloat16EEEZZNS1_9scan_implILNS1_25lookback_scan_determinismE0ELb0ELb0ES3_PKS6_PS6_S6_ZZZN2at6native31launch_logcumsumexp_cuda_kernelERKNSD_10TensorBaseESH_lENKUlvE_clEvENKUlvE4_clEvEUlS6_S6_E_S6_EEDaPvRmT3_T4_T5_mT6_P12ihipStream_tbENKUlT_T0_E_clISt17integral_constantIbLb0EESX_IbLb1EEEEDaST_SU_EUlST_E_NS1_11comp_targetILNS1_3genE10ELNS1_11target_archE1200ELNS1_3gpuE4ELNS1_3repE0EEENS1_30default_config_static_selectorELNS0_4arch9wavefront6targetE0EEEvT1_.has_indirect_call, 0
	.section	.AMDGPU.csdata,"",@progbits
; Kernel info:
; codeLenInByte = 0
; TotalNumSgprs: 0
; NumVgprs: 0
; ScratchSize: 0
; MemoryBound: 0
; FloatMode: 240
; IeeeMode: 1
; LDSByteSize: 0 bytes/workgroup (compile time only)
; SGPRBlocks: 0
; VGPRBlocks: 0
; NumSGPRsForWavesPerEU: 1
; NumVGPRsForWavesPerEU: 1
; Occupancy: 16
; WaveLimiterHint : 0
; COMPUTE_PGM_RSRC2:SCRATCH_EN: 0
; COMPUTE_PGM_RSRC2:USER_SGPR: 6
; COMPUTE_PGM_RSRC2:TRAP_HANDLER: 0
; COMPUTE_PGM_RSRC2:TGID_X_EN: 1
; COMPUTE_PGM_RSRC2:TGID_Y_EN: 0
; COMPUTE_PGM_RSRC2:TGID_Z_EN: 0
; COMPUTE_PGM_RSRC2:TIDIG_COMP_CNT: 0
	.section	.text._ZN7rocprim17ROCPRIM_400000_NS6detail17trampoline_kernelINS0_14default_configENS1_20scan_config_selectorIN3c108BFloat16EEEZZNS1_9scan_implILNS1_25lookback_scan_determinismE0ELb0ELb0ES3_PKS6_PS6_S6_ZZZN2at6native31launch_logcumsumexp_cuda_kernelERKNSD_10TensorBaseESH_lENKUlvE_clEvENKUlvE4_clEvEUlS6_S6_E_S6_EEDaPvRmT3_T4_T5_mT6_P12ihipStream_tbENKUlT_T0_E_clISt17integral_constantIbLb0EESX_IbLb1EEEEDaST_SU_EUlST_E_NS1_11comp_targetILNS1_3genE9ELNS1_11target_archE1100ELNS1_3gpuE3ELNS1_3repE0EEENS1_30default_config_static_selectorELNS0_4arch9wavefront6targetE0EEEvT1_,"axG",@progbits,_ZN7rocprim17ROCPRIM_400000_NS6detail17trampoline_kernelINS0_14default_configENS1_20scan_config_selectorIN3c108BFloat16EEEZZNS1_9scan_implILNS1_25lookback_scan_determinismE0ELb0ELb0ES3_PKS6_PS6_S6_ZZZN2at6native31launch_logcumsumexp_cuda_kernelERKNSD_10TensorBaseESH_lENKUlvE_clEvENKUlvE4_clEvEUlS6_S6_E_S6_EEDaPvRmT3_T4_T5_mT6_P12ihipStream_tbENKUlT_T0_E_clISt17integral_constantIbLb0EESX_IbLb1EEEEDaST_SU_EUlST_E_NS1_11comp_targetILNS1_3genE9ELNS1_11target_archE1100ELNS1_3gpuE3ELNS1_3repE0EEENS1_30default_config_static_selectorELNS0_4arch9wavefront6targetE0EEEvT1_,comdat
	.globl	_ZN7rocprim17ROCPRIM_400000_NS6detail17trampoline_kernelINS0_14default_configENS1_20scan_config_selectorIN3c108BFloat16EEEZZNS1_9scan_implILNS1_25lookback_scan_determinismE0ELb0ELb0ES3_PKS6_PS6_S6_ZZZN2at6native31launch_logcumsumexp_cuda_kernelERKNSD_10TensorBaseESH_lENKUlvE_clEvENKUlvE4_clEvEUlS6_S6_E_S6_EEDaPvRmT3_T4_T5_mT6_P12ihipStream_tbENKUlT_T0_E_clISt17integral_constantIbLb0EESX_IbLb1EEEEDaST_SU_EUlST_E_NS1_11comp_targetILNS1_3genE9ELNS1_11target_archE1100ELNS1_3gpuE3ELNS1_3repE0EEENS1_30default_config_static_selectorELNS0_4arch9wavefront6targetE0EEEvT1_ ; -- Begin function _ZN7rocprim17ROCPRIM_400000_NS6detail17trampoline_kernelINS0_14default_configENS1_20scan_config_selectorIN3c108BFloat16EEEZZNS1_9scan_implILNS1_25lookback_scan_determinismE0ELb0ELb0ES3_PKS6_PS6_S6_ZZZN2at6native31launch_logcumsumexp_cuda_kernelERKNSD_10TensorBaseESH_lENKUlvE_clEvENKUlvE4_clEvEUlS6_S6_E_S6_EEDaPvRmT3_T4_T5_mT6_P12ihipStream_tbENKUlT_T0_E_clISt17integral_constantIbLb0EESX_IbLb1EEEEDaST_SU_EUlST_E_NS1_11comp_targetILNS1_3genE9ELNS1_11target_archE1100ELNS1_3gpuE3ELNS1_3repE0EEENS1_30default_config_static_selectorELNS0_4arch9wavefront6targetE0EEEvT1_
	.p2align	8
	.type	_ZN7rocprim17ROCPRIM_400000_NS6detail17trampoline_kernelINS0_14default_configENS1_20scan_config_selectorIN3c108BFloat16EEEZZNS1_9scan_implILNS1_25lookback_scan_determinismE0ELb0ELb0ES3_PKS6_PS6_S6_ZZZN2at6native31launch_logcumsumexp_cuda_kernelERKNSD_10TensorBaseESH_lENKUlvE_clEvENKUlvE4_clEvEUlS6_S6_E_S6_EEDaPvRmT3_T4_T5_mT6_P12ihipStream_tbENKUlT_T0_E_clISt17integral_constantIbLb0EESX_IbLb1EEEEDaST_SU_EUlST_E_NS1_11comp_targetILNS1_3genE9ELNS1_11target_archE1100ELNS1_3gpuE3ELNS1_3repE0EEENS1_30default_config_static_selectorELNS0_4arch9wavefront6targetE0EEEvT1_,@function
_ZN7rocprim17ROCPRIM_400000_NS6detail17trampoline_kernelINS0_14default_configENS1_20scan_config_selectorIN3c108BFloat16EEEZZNS1_9scan_implILNS1_25lookback_scan_determinismE0ELb0ELb0ES3_PKS6_PS6_S6_ZZZN2at6native31launch_logcumsumexp_cuda_kernelERKNSD_10TensorBaseESH_lENKUlvE_clEvENKUlvE4_clEvEUlS6_S6_E_S6_EEDaPvRmT3_T4_T5_mT6_P12ihipStream_tbENKUlT_T0_E_clISt17integral_constantIbLb0EESX_IbLb1EEEEDaST_SU_EUlST_E_NS1_11comp_targetILNS1_3genE9ELNS1_11target_archE1100ELNS1_3gpuE3ELNS1_3repE0EEENS1_30default_config_static_selectorELNS0_4arch9wavefront6targetE0EEEvT1_: ; @_ZN7rocprim17ROCPRIM_400000_NS6detail17trampoline_kernelINS0_14default_configENS1_20scan_config_selectorIN3c108BFloat16EEEZZNS1_9scan_implILNS1_25lookback_scan_determinismE0ELb0ELb0ES3_PKS6_PS6_S6_ZZZN2at6native31launch_logcumsumexp_cuda_kernelERKNSD_10TensorBaseESH_lENKUlvE_clEvENKUlvE4_clEvEUlS6_S6_E_S6_EEDaPvRmT3_T4_T5_mT6_P12ihipStream_tbENKUlT_T0_E_clISt17integral_constantIbLb0EESX_IbLb1EEEEDaST_SU_EUlST_E_NS1_11comp_targetILNS1_3genE9ELNS1_11target_archE1100ELNS1_3gpuE3ELNS1_3repE0EEENS1_30default_config_static_selectorELNS0_4arch9wavefront6targetE0EEEvT1_
; %bb.0:
	.section	.rodata,"a",@progbits
	.p2align	6, 0x0
	.amdhsa_kernel _ZN7rocprim17ROCPRIM_400000_NS6detail17trampoline_kernelINS0_14default_configENS1_20scan_config_selectorIN3c108BFloat16EEEZZNS1_9scan_implILNS1_25lookback_scan_determinismE0ELb0ELb0ES3_PKS6_PS6_S6_ZZZN2at6native31launch_logcumsumexp_cuda_kernelERKNSD_10TensorBaseESH_lENKUlvE_clEvENKUlvE4_clEvEUlS6_S6_E_S6_EEDaPvRmT3_T4_T5_mT6_P12ihipStream_tbENKUlT_T0_E_clISt17integral_constantIbLb0EESX_IbLb1EEEEDaST_SU_EUlST_E_NS1_11comp_targetILNS1_3genE9ELNS1_11target_archE1100ELNS1_3gpuE3ELNS1_3repE0EEENS1_30default_config_static_selectorELNS0_4arch9wavefront6targetE0EEEvT1_
		.amdhsa_group_segment_fixed_size 0
		.amdhsa_private_segment_fixed_size 0
		.amdhsa_kernarg_size 96
		.amdhsa_user_sgpr_count 6
		.amdhsa_user_sgpr_private_segment_buffer 1
		.amdhsa_user_sgpr_dispatch_ptr 0
		.amdhsa_user_sgpr_queue_ptr 0
		.amdhsa_user_sgpr_kernarg_segment_ptr 1
		.amdhsa_user_sgpr_dispatch_id 0
		.amdhsa_user_sgpr_flat_scratch_init 0
		.amdhsa_user_sgpr_private_segment_size 0
		.amdhsa_wavefront_size32 1
		.amdhsa_uses_dynamic_stack 0
		.amdhsa_system_sgpr_private_segment_wavefront_offset 0
		.amdhsa_system_sgpr_workgroup_id_x 1
		.amdhsa_system_sgpr_workgroup_id_y 0
		.amdhsa_system_sgpr_workgroup_id_z 0
		.amdhsa_system_sgpr_workgroup_info 0
		.amdhsa_system_vgpr_workitem_id 0
		.amdhsa_next_free_vgpr 1
		.amdhsa_next_free_sgpr 1
		.amdhsa_reserve_vcc 0
		.amdhsa_reserve_flat_scratch 0
		.amdhsa_float_round_mode_32 0
		.amdhsa_float_round_mode_16_64 0
		.amdhsa_float_denorm_mode_32 3
		.amdhsa_float_denorm_mode_16_64 3
		.amdhsa_dx10_clamp 1
		.amdhsa_ieee_mode 1
		.amdhsa_fp16_overflow 0
		.amdhsa_workgroup_processor_mode 1
		.amdhsa_memory_ordered 1
		.amdhsa_forward_progress 1
		.amdhsa_shared_vgpr_count 0
		.amdhsa_exception_fp_ieee_invalid_op 0
		.amdhsa_exception_fp_denorm_src 0
		.amdhsa_exception_fp_ieee_div_zero 0
		.amdhsa_exception_fp_ieee_overflow 0
		.amdhsa_exception_fp_ieee_underflow 0
		.amdhsa_exception_fp_ieee_inexact 0
		.amdhsa_exception_int_div_zero 0
	.end_amdhsa_kernel
	.section	.text._ZN7rocprim17ROCPRIM_400000_NS6detail17trampoline_kernelINS0_14default_configENS1_20scan_config_selectorIN3c108BFloat16EEEZZNS1_9scan_implILNS1_25lookback_scan_determinismE0ELb0ELb0ES3_PKS6_PS6_S6_ZZZN2at6native31launch_logcumsumexp_cuda_kernelERKNSD_10TensorBaseESH_lENKUlvE_clEvENKUlvE4_clEvEUlS6_S6_E_S6_EEDaPvRmT3_T4_T5_mT6_P12ihipStream_tbENKUlT_T0_E_clISt17integral_constantIbLb0EESX_IbLb1EEEEDaST_SU_EUlST_E_NS1_11comp_targetILNS1_3genE9ELNS1_11target_archE1100ELNS1_3gpuE3ELNS1_3repE0EEENS1_30default_config_static_selectorELNS0_4arch9wavefront6targetE0EEEvT1_,"axG",@progbits,_ZN7rocprim17ROCPRIM_400000_NS6detail17trampoline_kernelINS0_14default_configENS1_20scan_config_selectorIN3c108BFloat16EEEZZNS1_9scan_implILNS1_25lookback_scan_determinismE0ELb0ELb0ES3_PKS6_PS6_S6_ZZZN2at6native31launch_logcumsumexp_cuda_kernelERKNSD_10TensorBaseESH_lENKUlvE_clEvENKUlvE4_clEvEUlS6_S6_E_S6_EEDaPvRmT3_T4_T5_mT6_P12ihipStream_tbENKUlT_T0_E_clISt17integral_constantIbLb0EESX_IbLb1EEEEDaST_SU_EUlST_E_NS1_11comp_targetILNS1_3genE9ELNS1_11target_archE1100ELNS1_3gpuE3ELNS1_3repE0EEENS1_30default_config_static_selectorELNS0_4arch9wavefront6targetE0EEEvT1_,comdat
.Lfunc_end510:
	.size	_ZN7rocprim17ROCPRIM_400000_NS6detail17trampoline_kernelINS0_14default_configENS1_20scan_config_selectorIN3c108BFloat16EEEZZNS1_9scan_implILNS1_25lookback_scan_determinismE0ELb0ELb0ES3_PKS6_PS6_S6_ZZZN2at6native31launch_logcumsumexp_cuda_kernelERKNSD_10TensorBaseESH_lENKUlvE_clEvENKUlvE4_clEvEUlS6_S6_E_S6_EEDaPvRmT3_T4_T5_mT6_P12ihipStream_tbENKUlT_T0_E_clISt17integral_constantIbLb0EESX_IbLb1EEEEDaST_SU_EUlST_E_NS1_11comp_targetILNS1_3genE9ELNS1_11target_archE1100ELNS1_3gpuE3ELNS1_3repE0EEENS1_30default_config_static_selectorELNS0_4arch9wavefront6targetE0EEEvT1_, .Lfunc_end510-_ZN7rocprim17ROCPRIM_400000_NS6detail17trampoline_kernelINS0_14default_configENS1_20scan_config_selectorIN3c108BFloat16EEEZZNS1_9scan_implILNS1_25lookback_scan_determinismE0ELb0ELb0ES3_PKS6_PS6_S6_ZZZN2at6native31launch_logcumsumexp_cuda_kernelERKNSD_10TensorBaseESH_lENKUlvE_clEvENKUlvE4_clEvEUlS6_S6_E_S6_EEDaPvRmT3_T4_T5_mT6_P12ihipStream_tbENKUlT_T0_E_clISt17integral_constantIbLb0EESX_IbLb1EEEEDaST_SU_EUlST_E_NS1_11comp_targetILNS1_3genE9ELNS1_11target_archE1100ELNS1_3gpuE3ELNS1_3repE0EEENS1_30default_config_static_selectorELNS0_4arch9wavefront6targetE0EEEvT1_
                                        ; -- End function
	.set _ZN7rocprim17ROCPRIM_400000_NS6detail17trampoline_kernelINS0_14default_configENS1_20scan_config_selectorIN3c108BFloat16EEEZZNS1_9scan_implILNS1_25lookback_scan_determinismE0ELb0ELb0ES3_PKS6_PS6_S6_ZZZN2at6native31launch_logcumsumexp_cuda_kernelERKNSD_10TensorBaseESH_lENKUlvE_clEvENKUlvE4_clEvEUlS6_S6_E_S6_EEDaPvRmT3_T4_T5_mT6_P12ihipStream_tbENKUlT_T0_E_clISt17integral_constantIbLb0EESX_IbLb1EEEEDaST_SU_EUlST_E_NS1_11comp_targetILNS1_3genE9ELNS1_11target_archE1100ELNS1_3gpuE3ELNS1_3repE0EEENS1_30default_config_static_selectorELNS0_4arch9wavefront6targetE0EEEvT1_.num_vgpr, 0
	.set _ZN7rocprim17ROCPRIM_400000_NS6detail17trampoline_kernelINS0_14default_configENS1_20scan_config_selectorIN3c108BFloat16EEEZZNS1_9scan_implILNS1_25lookback_scan_determinismE0ELb0ELb0ES3_PKS6_PS6_S6_ZZZN2at6native31launch_logcumsumexp_cuda_kernelERKNSD_10TensorBaseESH_lENKUlvE_clEvENKUlvE4_clEvEUlS6_S6_E_S6_EEDaPvRmT3_T4_T5_mT6_P12ihipStream_tbENKUlT_T0_E_clISt17integral_constantIbLb0EESX_IbLb1EEEEDaST_SU_EUlST_E_NS1_11comp_targetILNS1_3genE9ELNS1_11target_archE1100ELNS1_3gpuE3ELNS1_3repE0EEENS1_30default_config_static_selectorELNS0_4arch9wavefront6targetE0EEEvT1_.num_agpr, 0
	.set _ZN7rocprim17ROCPRIM_400000_NS6detail17trampoline_kernelINS0_14default_configENS1_20scan_config_selectorIN3c108BFloat16EEEZZNS1_9scan_implILNS1_25lookback_scan_determinismE0ELb0ELb0ES3_PKS6_PS6_S6_ZZZN2at6native31launch_logcumsumexp_cuda_kernelERKNSD_10TensorBaseESH_lENKUlvE_clEvENKUlvE4_clEvEUlS6_S6_E_S6_EEDaPvRmT3_T4_T5_mT6_P12ihipStream_tbENKUlT_T0_E_clISt17integral_constantIbLb0EESX_IbLb1EEEEDaST_SU_EUlST_E_NS1_11comp_targetILNS1_3genE9ELNS1_11target_archE1100ELNS1_3gpuE3ELNS1_3repE0EEENS1_30default_config_static_selectorELNS0_4arch9wavefront6targetE0EEEvT1_.numbered_sgpr, 0
	.set _ZN7rocprim17ROCPRIM_400000_NS6detail17trampoline_kernelINS0_14default_configENS1_20scan_config_selectorIN3c108BFloat16EEEZZNS1_9scan_implILNS1_25lookback_scan_determinismE0ELb0ELb0ES3_PKS6_PS6_S6_ZZZN2at6native31launch_logcumsumexp_cuda_kernelERKNSD_10TensorBaseESH_lENKUlvE_clEvENKUlvE4_clEvEUlS6_S6_E_S6_EEDaPvRmT3_T4_T5_mT6_P12ihipStream_tbENKUlT_T0_E_clISt17integral_constantIbLb0EESX_IbLb1EEEEDaST_SU_EUlST_E_NS1_11comp_targetILNS1_3genE9ELNS1_11target_archE1100ELNS1_3gpuE3ELNS1_3repE0EEENS1_30default_config_static_selectorELNS0_4arch9wavefront6targetE0EEEvT1_.num_named_barrier, 0
	.set _ZN7rocprim17ROCPRIM_400000_NS6detail17trampoline_kernelINS0_14default_configENS1_20scan_config_selectorIN3c108BFloat16EEEZZNS1_9scan_implILNS1_25lookback_scan_determinismE0ELb0ELb0ES3_PKS6_PS6_S6_ZZZN2at6native31launch_logcumsumexp_cuda_kernelERKNSD_10TensorBaseESH_lENKUlvE_clEvENKUlvE4_clEvEUlS6_S6_E_S6_EEDaPvRmT3_T4_T5_mT6_P12ihipStream_tbENKUlT_T0_E_clISt17integral_constantIbLb0EESX_IbLb1EEEEDaST_SU_EUlST_E_NS1_11comp_targetILNS1_3genE9ELNS1_11target_archE1100ELNS1_3gpuE3ELNS1_3repE0EEENS1_30default_config_static_selectorELNS0_4arch9wavefront6targetE0EEEvT1_.private_seg_size, 0
	.set _ZN7rocprim17ROCPRIM_400000_NS6detail17trampoline_kernelINS0_14default_configENS1_20scan_config_selectorIN3c108BFloat16EEEZZNS1_9scan_implILNS1_25lookback_scan_determinismE0ELb0ELb0ES3_PKS6_PS6_S6_ZZZN2at6native31launch_logcumsumexp_cuda_kernelERKNSD_10TensorBaseESH_lENKUlvE_clEvENKUlvE4_clEvEUlS6_S6_E_S6_EEDaPvRmT3_T4_T5_mT6_P12ihipStream_tbENKUlT_T0_E_clISt17integral_constantIbLb0EESX_IbLb1EEEEDaST_SU_EUlST_E_NS1_11comp_targetILNS1_3genE9ELNS1_11target_archE1100ELNS1_3gpuE3ELNS1_3repE0EEENS1_30default_config_static_selectorELNS0_4arch9wavefront6targetE0EEEvT1_.uses_vcc, 0
	.set _ZN7rocprim17ROCPRIM_400000_NS6detail17trampoline_kernelINS0_14default_configENS1_20scan_config_selectorIN3c108BFloat16EEEZZNS1_9scan_implILNS1_25lookback_scan_determinismE0ELb0ELb0ES3_PKS6_PS6_S6_ZZZN2at6native31launch_logcumsumexp_cuda_kernelERKNSD_10TensorBaseESH_lENKUlvE_clEvENKUlvE4_clEvEUlS6_S6_E_S6_EEDaPvRmT3_T4_T5_mT6_P12ihipStream_tbENKUlT_T0_E_clISt17integral_constantIbLb0EESX_IbLb1EEEEDaST_SU_EUlST_E_NS1_11comp_targetILNS1_3genE9ELNS1_11target_archE1100ELNS1_3gpuE3ELNS1_3repE0EEENS1_30default_config_static_selectorELNS0_4arch9wavefront6targetE0EEEvT1_.uses_flat_scratch, 0
	.set _ZN7rocprim17ROCPRIM_400000_NS6detail17trampoline_kernelINS0_14default_configENS1_20scan_config_selectorIN3c108BFloat16EEEZZNS1_9scan_implILNS1_25lookback_scan_determinismE0ELb0ELb0ES3_PKS6_PS6_S6_ZZZN2at6native31launch_logcumsumexp_cuda_kernelERKNSD_10TensorBaseESH_lENKUlvE_clEvENKUlvE4_clEvEUlS6_S6_E_S6_EEDaPvRmT3_T4_T5_mT6_P12ihipStream_tbENKUlT_T0_E_clISt17integral_constantIbLb0EESX_IbLb1EEEEDaST_SU_EUlST_E_NS1_11comp_targetILNS1_3genE9ELNS1_11target_archE1100ELNS1_3gpuE3ELNS1_3repE0EEENS1_30default_config_static_selectorELNS0_4arch9wavefront6targetE0EEEvT1_.has_dyn_sized_stack, 0
	.set _ZN7rocprim17ROCPRIM_400000_NS6detail17trampoline_kernelINS0_14default_configENS1_20scan_config_selectorIN3c108BFloat16EEEZZNS1_9scan_implILNS1_25lookback_scan_determinismE0ELb0ELb0ES3_PKS6_PS6_S6_ZZZN2at6native31launch_logcumsumexp_cuda_kernelERKNSD_10TensorBaseESH_lENKUlvE_clEvENKUlvE4_clEvEUlS6_S6_E_S6_EEDaPvRmT3_T4_T5_mT6_P12ihipStream_tbENKUlT_T0_E_clISt17integral_constantIbLb0EESX_IbLb1EEEEDaST_SU_EUlST_E_NS1_11comp_targetILNS1_3genE9ELNS1_11target_archE1100ELNS1_3gpuE3ELNS1_3repE0EEENS1_30default_config_static_selectorELNS0_4arch9wavefront6targetE0EEEvT1_.has_recursion, 0
	.set _ZN7rocprim17ROCPRIM_400000_NS6detail17trampoline_kernelINS0_14default_configENS1_20scan_config_selectorIN3c108BFloat16EEEZZNS1_9scan_implILNS1_25lookback_scan_determinismE0ELb0ELb0ES3_PKS6_PS6_S6_ZZZN2at6native31launch_logcumsumexp_cuda_kernelERKNSD_10TensorBaseESH_lENKUlvE_clEvENKUlvE4_clEvEUlS6_S6_E_S6_EEDaPvRmT3_T4_T5_mT6_P12ihipStream_tbENKUlT_T0_E_clISt17integral_constantIbLb0EESX_IbLb1EEEEDaST_SU_EUlST_E_NS1_11comp_targetILNS1_3genE9ELNS1_11target_archE1100ELNS1_3gpuE3ELNS1_3repE0EEENS1_30default_config_static_selectorELNS0_4arch9wavefront6targetE0EEEvT1_.has_indirect_call, 0
	.section	.AMDGPU.csdata,"",@progbits
; Kernel info:
; codeLenInByte = 0
; TotalNumSgprs: 0
; NumVgprs: 0
; ScratchSize: 0
; MemoryBound: 0
; FloatMode: 240
; IeeeMode: 1
; LDSByteSize: 0 bytes/workgroup (compile time only)
; SGPRBlocks: 0
; VGPRBlocks: 0
; NumSGPRsForWavesPerEU: 1
; NumVGPRsForWavesPerEU: 1
; Occupancy: 16
; WaveLimiterHint : 0
; COMPUTE_PGM_RSRC2:SCRATCH_EN: 0
; COMPUTE_PGM_RSRC2:USER_SGPR: 6
; COMPUTE_PGM_RSRC2:TRAP_HANDLER: 0
; COMPUTE_PGM_RSRC2:TGID_X_EN: 1
; COMPUTE_PGM_RSRC2:TGID_Y_EN: 0
; COMPUTE_PGM_RSRC2:TGID_Z_EN: 0
; COMPUTE_PGM_RSRC2:TIDIG_COMP_CNT: 0
	.section	.text._ZN7rocprim17ROCPRIM_400000_NS6detail17trampoline_kernelINS0_14default_configENS1_20scan_config_selectorIN3c108BFloat16EEEZZNS1_9scan_implILNS1_25lookback_scan_determinismE0ELb0ELb0ES3_PKS6_PS6_S6_ZZZN2at6native31launch_logcumsumexp_cuda_kernelERKNSD_10TensorBaseESH_lENKUlvE_clEvENKUlvE4_clEvEUlS6_S6_E_S6_EEDaPvRmT3_T4_T5_mT6_P12ihipStream_tbENKUlT_T0_E_clISt17integral_constantIbLb0EESX_IbLb1EEEEDaST_SU_EUlST_E_NS1_11comp_targetILNS1_3genE8ELNS1_11target_archE1030ELNS1_3gpuE2ELNS1_3repE0EEENS1_30default_config_static_selectorELNS0_4arch9wavefront6targetE0EEEvT1_,"axG",@progbits,_ZN7rocprim17ROCPRIM_400000_NS6detail17trampoline_kernelINS0_14default_configENS1_20scan_config_selectorIN3c108BFloat16EEEZZNS1_9scan_implILNS1_25lookback_scan_determinismE0ELb0ELb0ES3_PKS6_PS6_S6_ZZZN2at6native31launch_logcumsumexp_cuda_kernelERKNSD_10TensorBaseESH_lENKUlvE_clEvENKUlvE4_clEvEUlS6_S6_E_S6_EEDaPvRmT3_T4_T5_mT6_P12ihipStream_tbENKUlT_T0_E_clISt17integral_constantIbLb0EESX_IbLb1EEEEDaST_SU_EUlST_E_NS1_11comp_targetILNS1_3genE8ELNS1_11target_archE1030ELNS1_3gpuE2ELNS1_3repE0EEENS1_30default_config_static_selectorELNS0_4arch9wavefront6targetE0EEEvT1_,comdat
	.globl	_ZN7rocprim17ROCPRIM_400000_NS6detail17trampoline_kernelINS0_14default_configENS1_20scan_config_selectorIN3c108BFloat16EEEZZNS1_9scan_implILNS1_25lookback_scan_determinismE0ELb0ELb0ES3_PKS6_PS6_S6_ZZZN2at6native31launch_logcumsumexp_cuda_kernelERKNSD_10TensorBaseESH_lENKUlvE_clEvENKUlvE4_clEvEUlS6_S6_E_S6_EEDaPvRmT3_T4_T5_mT6_P12ihipStream_tbENKUlT_T0_E_clISt17integral_constantIbLb0EESX_IbLb1EEEEDaST_SU_EUlST_E_NS1_11comp_targetILNS1_3genE8ELNS1_11target_archE1030ELNS1_3gpuE2ELNS1_3repE0EEENS1_30default_config_static_selectorELNS0_4arch9wavefront6targetE0EEEvT1_ ; -- Begin function _ZN7rocprim17ROCPRIM_400000_NS6detail17trampoline_kernelINS0_14default_configENS1_20scan_config_selectorIN3c108BFloat16EEEZZNS1_9scan_implILNS1_25lookback_scan_determinismE0ELb0ELb0ES3_PKS6_PS6_S6_ZZZN2at6native31launch_logcumsumexp_cuda_kernelERKNSD_10TensorBaseESH_lENKUlvE_clEvENKUlvE4_clEvEUlS6_S6_E_S6_EEDaPvRmT3_T4_T5_mT6_P12ihipStream_tbENKUlT_T0_E_clISt17integral_constantIbLb0EESX_IbLb1EEEEDaST_SU_EUlST_E_NS1_11comp_targetILNS1_3genE8ELNS1_11target_archE1030ELNS1_3gpuE2ELNS1_3repE0EEENS1_30default_config_static_selectorELNS0_4arch9wavefront6targetE0EEEvT1_
	.p2align	8
	.type	_ZN7rocprim17ROCPRIM_400000_NS6detail17trampoline_kernelINS0_14default_configENS1_20scan_config_selectorIN3c108BFloat16EEEZZNS1_9scan_implILNS1_25lookback_scan_determinismE0ELb0ELb0ES3_PKS6_PS6_S6_ZZZN2at6native31launch_logcumsumexp_cuda_kernelERKNSD_10TensorBaseESH_lENKUlvE_clEvENKUlvE4_clEvEUlS6_S6_E_S6_EEDaPvRmT3_T4_T5_mT6_P12ihipStream_tbENKUlT_T0_E_clISt17integral_constantIbLb0EESX_IbLb1EEEEDaST_SU_EUlST_E_NS1_11comp_targetILNS1_3genE8ELNS1_11target_archE1030ELNS1_3gpuE2ELNS1_3repE0EEENS1_30default_config_static_selectorELNS0_4arch9wavefront6targetE0EEEvT1_,@function
_ZN7rocprim17ROCPRIM_400000_NS6detail17trampoline_kernelINS0_14default_configENS1_20scan_config_selectorIN3c108BFloat16EEEZZNS1_9scan_implILNS1_25lookback_scan_determinismE0ELb0ELb0ES3_PKS6_PS6_S6_ZZZN2at6native31launch_logcumsumexp_cuda_kernelERKNSD_10TensorBaseESH_lENKUlvE_clEvENKUlvE4_clEvEUlS6_S6_E_S6_EEDaPvRmT3_T4_T5_mT6_P12ihipStream_tbENKUlT_T0_E_clISt17integral_constantIbLb0EESX_IbLb1EEEEDaST_SU_EUlST_E_NS1_11comp_targetILNS1_3genE8ELNS1_11target_archE1030ELNS1_3gpuE2ELNS1_3repE0EEENS1_30default_config_static_selectorELNS0_4arch9wavefront6targetE0EEEvT1_: ; @_ZN7rocprim17ROCPRIM_400000_NS6detail17trampoline_kernelINS0_14default_configENS1_20scan_config_selectorIN3c108BFloat16EEEZZNS1_9scan_implILNS1_25lookback_scan_determinismE0ELb0ELb0ES3_PKS6_PS6_S6_ZZZN2at6native31launch_logcumsumexp_cuda_kernelERKNSD_10TensorBaseESH_lENKUlvE_clEvENKUlvE4_clEvEUlS6_S6_E_S6_EEDaPvRmT3_T4_T5_mT6_P12ihipStream_tbENKUlT_T0_E_clISt17integral_constantIbLb0EESX_IbLb1EEEEDaST_SU_EUlST_E_NS1_11comp_targetILNS1_3genE8ELNS1_11target_archE1030ELNS1_3gpuE2ELNS1_3repE0EEENS1_30default_config_static_selectorELNS0_4arch9wavefront6targetE0EEEvT1_
; %bb.0:
	s_load_dwordx2 s[18:19], s[4:5], 0x28
	v_cmp_ne_u32_e64 s1, 0, v0
	v_cmp_eq_u32_e64 s2, 0, v0
	s_and_saveexec_b32 s0, s2
	s_cbranch_execz .LBB511_4
; %bb.1:
	s_mov_b32 s6, exec_lo
	s_mov_b32 s3, exec_lo
	v_mbcnt_lo_u32_b32 v1, s6, 0
                                        ; implicit-def: $vgpr2
	v_cmpx_eq_u32_e32 0, v1
	s_cbranch_execz .LBB511_3
; %bb.2:
	s_load_dwordx2 s[8:9], s[4:5], 0x58
	s_bcnt1_i32_b32 s6, s6
	v_mov_b32_e32 v2, 0
	v_mov_b32_e32 v3, s6
	s_waitcnt lgkmcnt(0)
	global_atomic_add v2, v2, v3, s[8:9] glc
.LBB511_3:
	s_or_b32 exec_lo, exec_lo, s3
	s_waitcnt vmcnt(0)
	v_readfirstlane_b32 s3, v2
	v_mov_b32_e32 v2, 0
	v_add_nc_u32_e32 v1, s3, v1
	ds_write_b32 v2, v1
.LBB511_4:
	s_or_b32 exec_lo, exec_lo, s0
	v_mov_b32_e32 v1, 0
	s_clause 0x2
	s_load_dwordx8 s[36:43], s[4:5], 0x0
	s_load_dword s0, s[4:5], 0x30
	s_load_dwordx8 s[20:27], s[4:5], 0x38
	s_waitcnt lgkmcnt(0)
	s_barrier
	buffer_gl0_inv
	ds_read_b32 v1, v1
	s_mov_b32 s5, 0
	v_lshlrev_b32_e32 v12, 1, v0
	s_waitcnt lgkmcnt(0)
	s_barrier
	buffer_gl0_inv
	s_lshl_b64 s[28:29], s[38:39], 1
	s_add_u32 s3, s36, s28
	s_addc_u32 s6, s37, s29
	s_add_i32 s0, s0, -1
	s_mul_i32 s4, s0, 0x300
	v_readfirstlane_b32 s35, v1
	s_sub_u32 s33, s42, s4
	v_cmp_ne_u32_e64 s0, s0, v1
	s_subb_u32 s34, s43, 0
	s_mul_i32 s4, s35, 0x300
	s_lshl_b64 s[30:31], s[4:5], 1
	s_add_u32 s4, s3, s30
	s_addc_u32 s5, s6, s31
	s_and_b32 vcc_lo, exec_lo, s0
	s_mov_b32 s6, -1
	s_cbranch_vccz .LBB511_6
; %bb.5:
	s_clause 0xb
	global_load_ushort v1, v12, s[4:5]
	global_load_ushort v2, v12, s[4:5] offset:128
	global_load_ushort v3, v12, s[4:5] offset:256
	global_load_ushort v4, v12, s[4:5] offset:384
	global_load_ushort v5, v12, s[4:5] offset:512
	global_load_ushort v6, v12, s[4:5] offset:640
	global_load_ushort v7, v12, s[4:5] offset:768
	global_load_ushort v8, v12, s[4:5] offset:896
	global_load_ushort v9, v12, s[4:5] offset:1024
	global_load_ushort v10, v12, s[4:5] offset:1152
	global_load_ushort v11, v12, s[4:5] offset:1280
	global_load_ushort v13, v12, s[4:5] offset:1408
	s_mov_b32 s6, 0
	s_waitcnt vmcnt(11)
	ds_write_b16 v12, v1
	s_waitcnt vmcnt(10)
	ds_write_b16 v12, v2 offset:128
	s_waitcnt vmcnt(9)
	ds_write_b16 v12, v3 offset:256
	;; [unrolled: 2-line block ×11, first 2 shown]
	s_waitcnt lgkmcnt(0)
	s_barrier
.LBB511_6:
	v_cmp_gt_u32_e64 s3, s33, v0
	s_andn2_b32 vcc_lo, exec_lo, s6
	s_cbranch_vccnz .LBB511_32
; %bb.7:
	v_mov_b32_e32 v1, 0
	global_load_ushort v1, v1, s[4:5]
	s_waitcnt vmcnt(0)
	v_mov_b32_e32 v2, v1
	s_and_saveexec_b32 s6, s3
	s_cbranch_execz .LBB511_9
; %bb.8:
	global_load_ushort v2, v12, s[4:5]
.LBB511_9:
	s_or_b32 exec_lo, exec_lo, s6
	v_or_b32_e32 v3, 64, v0
	v_cmp_gt_u32_e32 vcc_lo, s33, v3
	v_mov_b32_e32 v3, v1
	s_and_saveexec_b32 s3, vcc_lo
	s_cbranch_execz .LBB511_11
; %bb.10:
	global_load_ushort v3, v12, s[4:5] offset:128
.LBB511_11:
	s_or_b32 exec_lo, exec_lo, s3
	v_or_b32_e32 v4, 0x80, v0
	v_cmp_gt_u32_e32 vcc_lo, s33, v4
	v_mov_b32_e32 v4, v1
	s_and_saveexec_b32 s3, vcc_lo
	s_cbranch_execz .LBB511_13
; %bb.12:
	global_load_ushort v4, v12, s[4:5] offset:256
.LBB511_13:
	;; [unrolled: 9-line block ×10, first 2 shown]
	s_or_b32 exec_lo, exec_lo, s3
	v_or_b32_e32 v14, 0x2c0, v0
	s_mov_b32 s3, exec_lo
	v_cmpx_gt_u32_e64 s33, v14
	s_cbranch_execz .LBB511_31
; %bb.30:
	global_load_ushort v1, v12, s[4:5] offset:1408
.LBB511_31:
	s_or_b32 exec_lo, exec_lo, s3
	s_waitcnt vmcnt(0)
	ds_write_b16 v12, v2
	ds_write_b16 v12, v3 offset:128
	ds_write_b16 v12, v4 offset:256
	;; [unrolled: 1-line block ×11, first 2 shown]
	s_waitcnt lgkmcnt(0)
	s_barrier
.LBB511_32:
	v_mul_u32_u24_e32 v13, 24, v0
	buffer_gl0_inv
	s_cmp_lg_u32 s35, 0
	ds_read2_b64 v[1:4], v13 offset1:1
	ds_read_b64 v[5:6], v13 offset:16
	s_waitcnt lgkmcnt(0)
	s_barrier
	buffer_gl0_inv
	s_cbranch_scc0 .LBB511_142
; %bb.33:
	v_mov_b32_e32 v7, 16
	v_lshlrev_b32_e32 v36, 16, v1
	v_lshlrev_b32_sdwa v14, v7, v1 dst_sel:DWORD dst_unused:UNUSED_PAD src0_sel:DWORD src1_sel:WORD_1
	v_max_f32_e32 v37, v36, v36
	v_cmp_u_f32_e64 s14, v36, v36
	v_max_f32_e32 v17, v14, v14
	v_cmp_u_f32_e64 s3, v14, v14
	v_min_f32_e32 v8, v37, v17
	v_max_f32_e32 v9, v37, v17
	v_cndmask_b32_e64 v8, v8, v36, s14
	v_cndmask_b32_e64 v9, v9, v36, s14
	;; [unrolled: 1-line block ×4, first 2 shown]
	v_mov_b32_e32 v9, v36
	v_cmp_class_f32_e64 s4, v10, 0x1f8
	v_cmp_neq_f32_e32 vcc_lo, v10, v8
	s_or_b32 s5, vcc_lo, s4
	s_and_saveexec_b32 s4, s5
	s_cbranch_execz .LBB511_35
; %bb.34:
	v_sub_f32_e32 v9, v10, v8
	s_mov_b32 s5, 0x3e9b6dac
	v_mul_f32_e32 v10, 0x3fb8aa3b, v9
	v_cmp_ngt_f32_e32 vcc_lo, 0xc2ce8ed0, v9
	v_fma_f32 v11, 0x3fb8aa3b, v9, -v10
	v_rndne_f32_e32 v15, v10
	v_fmamk_f32 v11, v9, 0x32a5705f, v11
	v_sub_f32_e32 v10, v10, v15
	v_add_f32_e32 v10, v10, v11
	v_cvt_i32_f32_e32 v11, v15
	v_exp_f32_e32 v10, v10
	v_ldexp_f32 v10, v10, v11
	v_cndmask_b32_e32 v10, 0, v10, vcc_lo
	v_cmp_nlt_f32_e32 vcc_lo, 0x42b17218, v9
	v_cndmask_b32_e32 v11, 0x7f800000, v10, vcc_lo
	v_add_f32_e32 v15, 1.0, v11
	v_cvt_f64_f32_e32 v[9:10], v15
	v_frexp_exp_i32_f64_e32 v9, v[9:10]
	v_frexp_mant_f32_e32 v10, v15
	v_cmp_gt_f32_e32 vcc_lo, 0x3f2aaaab, v10
	v_add_f32_e32 v10, -1.0, v15
	v_sub_f32_e32 v18, v10, v15
	v_sub_f32_e32 v10, v11, v10
	v_add_f32_e32 v18, 1.0, v18
	v_add_f32_e32 v10, v10, v18
	v_subrev_co_ci_u32_e64 v9, null, 0, v9, vcc_lo
	v_cmp_neq_f32_e32 vcc_lo, 0x7f800000, v11
	v_sub_nc_u32_e32 v16, 0, v9
	v_cvt_f32_i32_e32 v9, v9
	v_ldexp_f32 v15, v15, v16
	v_ldexp_f32 v10, v10, v16
	v_add_f32_e32 v19, 1.0, v15
	v_add_f32_e32 v16, -1.0, v15
	v_add_f32_e32 v18, -1.0, v19
	v_add_f32_e32 v20, 1.0, v16
	v_sub_f32_e32 v18, v15, v18
	v_sub_f32_e32 v15, v15, v20
	v_add_f32_e32 v18, v10, v18
	v_add_f32_e32 v10, v10, v15
	;; [unrolled: 1-line block ×4, first 2 shown]
	v_rcp_f32_e32 v15, v20
	v_sub_f32_e32 v19, v19, v20
	v_sub_f32_e32 v16, v16, v21
	v_add_f32_e32 v18, v18, v19
	v_add_f32_e32 v10, v10, v16
	v_mul_f32_e32 v22, v21, v15
	v_mul_f32_e32 v23, v20, v22
	v_fma_f32 v19, v22, v20, -v23
	v_fmac_f32_e32 v19, v22, v18
	v_add_f32_e32 v24, v23, v19
	v_sub_f32_e32 v25, v21, v24
	v_sub_f32_e32 v16, v24, v23
	;; [unrolled: 1-line block ×5, first 2 shown]
	v_add_f32_e32 v10, v10, v21
	v_add_f32_e32 v10, v16, v10
	;; [unrolled: 1-line block ×3, first 2 shown]
	v_mul_f32_e32 v19, v15, v16
	v_sub_f32_e32 v24, v25, v16
	v_mul_f32_e32 v21, v20, v19
	v_add_f32_e32 v10, v10, v24
	v_fma_f32 v20, v19, v20, -v21
	v_fmac_f32_e32 v20, v19, v18
	v_add_f32_e32 v18, v21, v20
	v_sub_f32_e32 v23, v16, v18
	v_sub_f32_e32 v21, v18, v21
	;; [unrolled: 1-line block ×5, first 2 shown]
	v_add_f32_e32 v10, v10, v16
	v_add_f32_e32 v16, v22, v19
	;; [unrolled: 1-line block ×3, first 2 shown]
	v_sub_f32_e32 v18, v16, v22
	v_add_f32_e32 v10, v23, v10
	v_sub_f32_e32 v18, v19, v18
	v_mul_f32_e32 v10, v15, v10
	v_add_f32_e32 v10, v18, v10
	v_add_f32_e32 v15, v16, v10
	v_mul_f32_e32 v18, v15, v15
	v_fmaak_f32 v19, s5, v18, 0x3ecc95a3
	v_mul_f32_e32 v20, v15, v18
	v_fmaak_f32 v18, v18, v19, 0x3f2aaada
	v_ldexp_f32 v19, v15, 1
	v_sub_f32_e32 v15, v15, v16
	v_mul_f32_e32 v18, v20, v18
	v_mul_f32_e32 v20, 0x3f317218, v9
	v_sub_f32_e32 v10, v10, v15
	v_add_f32_e32 v16, v19, v18
	v_ldexp_f32 v10, v10, 1
	v_sub_f32_e32 v15, v16, v19
	v_fma_f32 v19, 0x3f317218, v9, -v20
	v_sub_f32_e32 v15, v18, v15
	v_fmamk_f32 v9, v9, 0xb102e308, v19
	v_add_f32_e32 v10, v10, v15
	v_add_f32_e32 v15, v20, v9
	;; [unrolled: 1-line block ×3, first 2 shown]
	v_sub_f32_e32 v20, v15, v20
	v_add_f32_e32 v19, v15, v18
	v_sub_f32_e32 v16, v18, v16
	v_sub_f32_e32 v9, v9, v20
	;; [unrolled: 1-line block ×6, first 2 shown]
	v_add_f32_e32 v18, v9, v10
	v_sub_f32_e32 v15, v15, v22
	v_add_f32_e32 v15, v16, v15
	v_sub_f32_e32 v16, v18, v9
	;; [unrolled: 2-line block ×3, first 2 shown]
	v_sub_f32_e32 v10, v10, v16
	v_add_f32_e32 v20, v19, v15
	v_sub_f32_e32 v9, v9, v18
	v_sub_f32_e32 v16, v20, v19
	v_add_f32_e32 v9, v10, v9
	v_sub_f32_e32 v10, v15, v16
	v_add_f32_e32 v9, v9, v10
	v_add_f32_e32 v9, v20, v9
	v_cndmask_b32_e32 v9, 0x7f800000, v9, vcc_lo
	v_cmp_gt_f32_e64 vcc_lo, 0x33800000, |v11|
	v_cndmask_b32_e32 v9, v9, v11, vcc_lo
	v_add_f32_e32 v9, v8, v9
.LBB511_35:
	s_or_b32 exec_lo, exec_lo, s4
	v_bfe_u32 v8, v9, 16, 1
	v_cmp_o_f32_e32 vcc_lo, v9, v9
	v_lshlrev_b32_sdwa v15, v7, v2 dst_sel:DWORD dst_unused:UNUSED_PAD src0_sel:DWORD src1_sel:WORD_0
	v_add3_u32 v8, v9, v8, 0x7fff
	v_max_f32_e32 v19, v15, v15
	v_cmp_u_f32_e64 s4, v15, v15
	v_and_b32_e32 v8, 0xffff0000, v8
	v_cndmask_b32_e32 v8, 0x7fc00000, v8, vcc_lo
	v_max_f32_e32 v7, v8, v8
	v_cmp_u_f32_e32 vcc_lo, v8, v8
	v_min_f32_e32 v9, v7, v19
	v_max_f32_e32 v7, v7, v19
	v_cndmask_b32_e32 v9, v9, v8, vcc_lo
	v_cndmask_b32_e32 v7, v7, v8, vcc_lo
	v_cndmask_b32_e64 v9, v9, v15, s4
	v_cndmask_b32_e64 v7, v7, v15, s4
	v_cmp_class_f32_e64 s5, v9, 0x1f8
	v_cmp_neq_f32_e32 vcc_lo, v9, v7
	s_or_b32 s6, vcc_lo, s5
	s_and_saveexec_b32 s5, s6
	s_cbranch_execz .LBB511_37
; %bb.36:
	v_sub_f32_e32 v8, v9, v7
	s_mov_b32 s6, 0x3e9b6dac
	v_mul_f32_e32 v9, 0x3fb8aa3b, v8
	v_cmp_ngt_f32_e32 vcc_lo, 0xc2ce8ed0, v8
	v_fma_f32 v10, 0x3fb8aa3b, v8, -v9
	v_rndne_f32_e32 v11, v9
	v_fmamk_f32 v10, v8, 0x32a5705f, v10
	v_sub_f32_e32 v9, v9, v11
	v_add_f32_e32 v9, v9, v10
	v_cvt_i32_f32_e32 v10, v11
	v_exp_f32_e32 v9, v9
	v_ldexp_f32 v9, v9, v10
	v_cndmask_b32_e32 v9, 0, v9, vcc_lo
	v_cmp_nlt_f32_e32 vcc_lo, 0x42b17218, v8
	v_cndmask_b32_e32 v10, 0x7f800000, v9, vcc_lo
	v_add_f32_e32 v11, 1.0, v10
	v_cvt_f64_f32_e32 v[8:9], v11
	v_frexp_exp_i32_f64_e32 v8, v[8:9]
	v_frexp_mant_f32_e32 v9, v11
	v_cmp_gt_f32_e32 vcc_lo, 0x3f2aaaab, v9
	v_add_f32_e32 v9, -1.0, v11
	v_sub_f32_e32 v18, v9, v11
	v_sub_f32_e32 v9, v10, v9
	v_add_f32_e32 v18, 1.0, v18
	v_add_f32_e32 v9, v9, v18
	v_subrev_co_ci_u32_e64 v8, null, 0, v8, vcc_lo
	v_cmp_neq_f32_e32 vcc_lo, 0x7f800000, v10
	v_sub_nc_u32_e32 v16, 0, v8
	v_cvt_f32_i32_e32 v8, v8
	v_ldexp_f32 v11, v11, v16
	v_ldexp_f32 v9, v9, v16
	v_add_f32_e32 v20, 1.0, v11
	v_add_f32_e32 v16, -1.0, v11
	v_add_f32_e32 v18, -1.0, v20
	v_add_f32_e32 v21, 1.0, v16
	v_sub_f32_e32 v18, v11, v18
	v_sub_f32_e32 v11, v11, v21
	v_add_f32_e32 v18, v9, v18
	v_add_f32_e32 v9, v9, v11
	;; [unrolled: 1-line block ×4, first 2 shown]
	v_rcp_f32_e32 v11, v21
	v_sub_f32_e32 v20, v20, v21
	v_sub_f32_e32 v16, v16, v22
	v_add_f32_e32 v18, v18, v20
	v_add_f32_e32 v9, v9, v16
	v_mul_f32_e32 v23, v22, v11
	v_mul_f32_e32 v24, v21, v23
	v_fma_f32 v20, v23, v21, -v24
	v_fmac_f32_e32 v20, v23, v18
	v_add_f32_e32 v25, v24, v20
	v_sub_f32_e32 v26, v22, v25
	v_sub_f32_e32 v16, v25, v24
	;; [unrolled: 1-line block ×5, first 2 shown]
	v_add_f32_e32 v9, v9, v22
	v_add_f32_e32 v9, v16, v9
	;; [unrolled: 1-line block ×3, first 2 shown]
	v_mul_f32_e32 v20, v11, v16
	v_sub_f32_e32 v25, v26, v16
	v_mul_f32_e32 v22, v21, v20
	v_add_f32_e32 v9, v9, v25
	v_fma_f32 v21, v20, v21, -v22
	v_fmac_f32_e32 v21, v20, v18
	v_add_f32_e32 v18, v22, v21
	v_sub_f32_e32 v24, v16, v18
	v_sub_f32_e32 v22, v18, v22
	v_sub_f32_e32 v16, v16, v24
	v_sub_f32_e32 v16, v16, v18
	v_sub_f32_e32 v18, v22, v21
	v_add_f32_e32 v9, v9, v16
	v_add_f32_e32 v16, v23, v20
	;; [unrolled: 1-line block ×3, first 2 shown]
	v_sub_f32_e32 v18, v16, v23
	v_add_f32_e32 v9, v24, v9
	v_sub_f32_e32 v18, v20, v18
	v_mul_f32_e32 v9, v11, v9
	v_add_f32_e32 v9, v18, v9
	v_add_f32_e32 v11, v16, v9
	v_mul_f32_e32 v18, v11, v11
	v_fmaak_f32 v20, s6, v18, 0x3ecc95a3
	v_mul_f32_e32 v21, v11, v18
	v_fmaak_f32 v18, v18, v20, 0x3f2aaada
	v_ldexp_f32 v20, v11, 1
	v_sub_f32_e32 v11, v11, v16
	v_mul_f32_e32 v18, v21, v18
	v_mul_f32_e32 v21, 0x3f317218, v8
	v_sub_f32_e32 v9, v9, v11
	v_add_f32_e32 v16, v20, v18
	v_ldexp_f32 v9, v9, 1
	v_sub_f32_e32 v11, v16, v20
	v_fma_f32 v20, 0x3f317218, v8, -v21
	v_sub_f32_e32 v11, v18, v11
	v_fmamk_f32 v8, v8, 0xb102e308, v20
	v_add_f32_e32 v9, v9, v11
	v_add_f32_e32 v11, v21, v8
	;; [unrolled: 1-line block ×3, first 2 shown]
	v_sub_f32_e32 v21, v11, v21
	v_add_f32_e32 v20, v11, v18
	v_sub_f32_e32 v16, v18, v16
	v_sub_f32_e32 v8, v8, v21
	;; [unrolled: 1-line block ×6, first 2 shown]
	v_add_f32_e32 v18, v8, v9
	v_sub_f32_e32 v11, v11, v23
	v_add_f32_e32 v11, v16, v11
	v_sub_f32_e32 v16, v18, v8
	;; [unrolled: 2-line block ×3, first 2 shown]
	v_sub_f32_e32 v9, v9, v16
	v_add_f32_e32 v21, v20, v11
	v_sub_f32_e32 v8, v8, v18
	v_sub_f32_e32 v16, v21, v20
	v_add_f32_e32 v8, v9, v8
	v_sub_f32_e32 v9, v11, v16
	v_add_f32_e32 v8, v8, v9
	v_add_f32_e32 v8, v21, v8
	v_cndmask_b32_e32 v8, 0x7f800000, v8, vcc_lo
	v_cmp_gt_f32_e64 vcc_lo, 0x33800000, |v10|
	v_cndmask_b32_e32 v8, v8, v10, vcc_lo
	v_add_f32_e32 v8, v7, v8
.LBB511_37:
	s_or_b32 exec_lo, exec_lo, s5
	v_bfe_u32 v7, v8, 16, 1
	v_cmp_o_f32_e32 vcc_lo, v8, v8
	v_add3_u32 v9, v8, v7, 0x7fff
	v_mov_b32_e32 v7, 16
	v_and_b32_e32 v9, 0xffff0000, v9
	v_lshlrev_b32_sdwa v16, v7, v2 dst_sel:DWORD dst_unused:UNUSED_PAD src0_sel:DWORD src1_sel:WORD_1
	v_cndmask_b32_e32 v9, 0x7fc00000, v9, vcc_lo
	v_max_f32_e32 v21, v16, v16
	v_cmp_u_f32_e64 s5, v16, v16
	v_max_f32_e32 v8, v9, v9
	v_cmp_u_f32_e32 vcc_lo, v9, v9
	v_min_f32_e32 v10, v8, v21
	v_max_f32_e32 v8, v8, v21
	v_cndmask_b32_e32 v10, v10, v9, vcc_lo
	v_cndmask_b32_e32 v8, v8, v9, vcc_lo
	v_cndmask_b32_e64 v10, v10, v16, s5
	v_cndmask_b32_e64 v8, v8, v16, s5
	v_cmp_class_f32_e64 s6, v10, 0x1f8
	v_cmp_neq_f32_e32 vcc_lo, v10, v8
	s_or_b32 s7, vcc_lo, s6
	s_and_saveexec_b32 s6, s7
	s_cbranch_execz .LBB511_39
; %bb.38:
	v_sub_f32_e32 v9, v10, v8
	s_mov_b32 s7, 0x3e9b6dac
	v_mul_f32_e32 v10, 0x3fb8aa3b, v9
	v_cmp_ngt_f32_e32 vcc_lo, 0xc2ce8ed0, v9
	v_fma_f32 v11, 0x3fb8aa3b, v9, -v10
	v_rndne_f32_e32 v18, v10
	v_fmamk_f32 v11, v9, 0x32a5705f, v11
	v_sub_f32_e32 v10, v10, v18
	v_add_f32_e32 v10, v10, v11
	v_cvt_i32_f32_e32 v11, v18
	v_exp_f32_e32 v10, v10
	v_ldexp_f32 v10, v10, v11
	v_cndmask_b32_e32 v10, 0, v10, vcc_lo
	v_cmp_nlt_f32_e32 vcc_lo, 0x42b17218, v9
	v_cndmask_b32_e32 v11, 0x7f800000, v10, vcc_lo
	v_add_f32_e32 v18, 1.0, v11
	v_cvt_f64_f32_e32 v[9:10], v18
	v_frexp_exp_i32_f64_e32 v9, v[9:10]
	v_frexp_mant_f32_e32 v10, v18
	v_cmp_gt_f32_e32 vcc_lo, 0x3f2aaaab, v10
	v_add_f32_e32 v10, -1.0, v18
	v_sub_f32_e32 v22, v10, v18
	v_sub_f32_e32 v10, v11, v10
	v_add_f32_e32 v22, 1.0, v22
	v_add_f32_e32 v10, v10, v22
	v_subrev_co_ci_u32_e64 v9, null, 0, v9, vcc_lo
	v_cmp_neq_f32_e32 vcc_lo, 0x7f800000, v11
	v_sub_nc_u32_e32 v20, 0, v9
	v_cvt_f32_i32_e32 v9, v9
	v_ldexp_f32 v18, v18, v20
	v_ldexp_f32 v10, v10, v20
	v_add_f32_e32 v23, 1.0, v18
	v_add_f32_e32 v20, -1.0, v18
	v_add_f32_e32 v22, -1.0, v23
	v_add_f32_e32 v24, 1.0, v20
	v_sub_f32_e32 v22, v18, v22
	v_sub_f32_e32 v18, v18, v24
	v_add_f32_e32 v22, v10, v22
	v_add_f32_e32 v10, v10, v18
	;; [unrolled: 1-line block ×4, first 2 shown]
	v_rcp_f32_e32 v18, v24
	v_sub_f32_e32 v23, v23, v24
	v_sub_f32_e32 v20, v20, v25
	v_add_f32_e32 v22, v22, v23
	v_add_f32_e32 v10, v10, v20
	v_mul_f32_e32 v26, v25, v18
	v_mul_f32_e32 v27, v24, v26
	v_fma_f32 v23, v26, v24, -v27
	v_fmac_f32_e32 v23, v26, v22
	v_add_f32_e32 v28, v27, v23
	v_sub_f32_e32 v29, v25, v28
	v_sub_f32_e32 v20, v28, v27
	v_sub_f32_e32 v25, v25, v29
	v_sub_f32_e32 v20, v20, v23
	v_sub_f32_e32 v25, v25, v28
	v_add_f32_e32 v10, v10, v25
	v_add_f32_e32 v10, v20, v10
	;; [unrolled: 1-line block ×3, first 2 shown]
	v_mul_f32_e32 v23, v18, v20
	v_sub_f32_e32 v28, v29, v20
	v_mul_f32_e32 v25, v24, v23
	v_add_f32_e32 v10, v10, v28
	v_fma_f32 v24, v23, v24, -v25
	v_fmac_f32_e32 v24, v23, v22
	v_add_f32_e32 v22, v25, v24
	v_sub_f32_e32 v27, v20, v22
	v_sub_f32_e32 v25, v22, v25
	;; [unrolled: 1-line block ×5, first 2 shown]
	v_add_f32_e32 v10, v10, v20
	v_add_f32_e32 v20, v26, v23
	;; [unrolled: 1-line block ×3, first 2 shown]
	v_sub_f32_e32 v22, v20, v26
	v_add_f32_e32 v10, v27, v10
	v_sub_f32_e32 v22, v23, v22
	v_mul_f32_e32 v10, v18, v10
	v_add_f32_e32 v10, v22, v10
	v_add_f32_e32 v18, v20, v10
	v_mul_f32_e32 v22, v18, v18
	v_fmaak_f32 v23, s7, v22, 0x3ecc95a3
	v_mul_f32_e32 v24, v18, v22
	v_fmaak_f32 v22, v22, v23, 0x3f2aaada
	v_ldexp_f32 v23, v18, 1
	v_sub_f32_e32 v18, v18, v20
	v_mul_f32_e32 v22, v24, v22
	v_mul_f32_e32 v24, 0x3f317218, v9
	v_sub_f32_e32 v10, v10, v18
	v_add_f32_e32 v20, v23, v22
	v_ldexp_f32 v10, v10, 1
	v_sub_f32_e32 v18, v20, v23
	v_fma_f32 v23, 0x3f317218, v9, -v24
	v_sub_f32_e32 v18, v22, v18
	v_fmamk_f32 v9, v9, 0xb102e308, v23
	v_add_f32_e32 v10, v10, v18
	v_add_f32_e32 v18, v24, v9
	;; [unrolled: 1-line block ×3, first 2 shown]
	v_sub_f32_e32 v24, v18, v24
	v_add_f32_e32 v23, v18, v22
	v_sub_f32_e32 v20, v22, v20
	v_sub_f32_e32 v9, v9, v24
	;; [unrolled: 1-line block ×6, first 2 shown]
	v_add_f32_e32 v22, v9, v10
	v_sub_f32_e32 v18, v18, v26
	v_add_f32_e32 v18, v20, v18
	v_sub_f32_e32 v20, v22, v9
	;; [unrolled: 2-line block ×3, first 2 shown]
	v_sub_f32_e32 v10, v10, v20
	v_add_f32_e32 v24, v23, v18
	v_sub_f32_e32 v9, v9, v22
	v_sub_f32_e32 v20, v24, v23
	v_add_f32_e32 v9, v10, v9
	v_sub_f32_e32 v10, v18, v20
	v_add_f32_e32 v9, v9, v10
	v_add_f32_e32 v9, v24, v9
	v_cndmask_b32_e32 v9, 0x7f800000, v9, vcc_lo
	v_cmp_gt_f32_e64 vcc_lo, 0x33800000, |v11|
	v_cndmask_b32_e32 v9, v9, v11, vcc_lo
	v_add_f32_e32 v9, v8, v9
.LBB511_39:
	s_or_b32 exec_lo, exec_lo, s6
	v_bfe_u32 v8, v9, 16, 1
	v_cmp_o_f32_e32 vcc_lo, v9, v9
	v_lshlrev_b32_sdwa v18, v7, v3 dst_sel:DWORD dst_unused:UNUSED_PAD src0_sel:DWORD src1_sel:WORD_0
	v_add3_u32 v8, v9, v8, 0x7fff
	v_max_f32_e32 v23, v18, v18
	v_cmp_u_f32_e64 s6, v18, v18
	v_and_b32_e32 v8, 0xffff0000, v8
	v_cndmask_b32_e32 v8, 0x7fc00000, v8, vcc_lo
	v_max_f32_e32 v7, v8, v8
	v_cmp_u_f32_e32 vcc_lo, v8, v8
	v_min_f32_e32 v9, v7, v23
	v_max_f32_e32 v7, v7, v23
	v_cndmask_b32_e32 v9, v9, v8, vcc_lo
	v_cndmask_b32_e32 v7, v7, v8, vcc_lo
	v_cndmask_b32_e64 v9, v9, v18, s6
	v_cndmask_b32_e64 v7, v7, v18, s6
	v_cmp_class_f32_e64 s7, v9, 0x1f8
	v_cmp_neq_f32_e32 vcc_lo, v9, v7
	s_or_b32 s8, vcc_lo, s7
	s_and_saveexec_b32 s7, s8
	s_cbranch_execz .LBB511_41
; %bb.40:
	v_sub_f32_e32 v8, v9, v7
	s_mov_b32 s8, 0x3e9b6dac
	v_mul_f32_e32 v9, 0x3fb8aa3b, v8
	v_cmp_ngt_f32_e32 vcc_lo, 0xc2ce8ed0, v8
	v_fma_f32 v10, 0x3fb8aa3b, v8, -v9
	v_rndne_f32_e32 v11, v9
	v_fmamk_f32 v10, v8, 0x32a5705f, v10
	v_sub_f32_e32 v9, v9, v11
	v_add_f32_e32 v9, v9, v10
	v_cvt_i32_f32_e32 v10, v11
	v_exp_f32_e32 v9, v9
	v_ldexp_f32 v9, v9, v10
	v_cndmask_b32_e32 v9, 0, v9, vcc_lo
	v_cmp_nlt_f32_e32 vcc_lo, 0x42b17218, v8
	v_cndmask_b32_e32 v10, 0x7f800000, v9, vcc_lo
	v_add_f32_e32 v11, 1.0, v10
	v_cvt_f64_f32_e32 v[8:9], v11
	v_frexp_exp_i32_f64_e32 v8, v[8:9]
	v_frexp_mant_f32_e32 v9, v11
	v_cmp_gt_f32_e32 vcc_lo, 0x3f2aaaab, v9
	v_add_f32_e32 v9, -1.0, v11
	v_sub_f32_e32 v22, v9, v11
	v_sub_f32_e32 v9, v10, v9
	v_add_f32_e32 v22, 1.0, v22
	v_add_f32_e32 v9, v9, v22
	v_subrev_co_ci_u32_e64 v8, null, 0, v8, vcc_lo
	v_cmp_neq_f32_e32 vcc_lo, 0x7f800000, v10
	v_sub_nc_u32_e32 v20, 0, v8
	v_cvt_f32_i32_e32 v8, v8
	v_ldexp_f32 v11, v11, v20
	v_ldexp_f32 v9, v9, v20
	v_add_f32_e32 v24, 1.0, v11
	v_add_f32_e32 v20, -1.0, v11
	v_add_f32_e32 v22, -1.0, v24
	v_add_f32_e32 v25, 1.0, v20
	v_sub_f32_e32 v22, v11, v22
	v_sub_f32_e32 v11, v11, v25
	v_add_f32_e32 v22, v9, v22
	v_add_f32_e32 v9, v9, v11
	;; [unrolled: 1-line block ×4, first 2 shown]
	v_rcp_f32_e32 v11, v25
	v_sub_f32_e32 v24, v24, v25
	v_sub_f32_e32 v20, v20, v26
	v_add_f32_e32 v22, v22, v24
	v_add_f32_e32 v9, v9, v20
	v_mul_f32_e32 v27, v26, v11
	v_mul_f32_e32 v28, v25, v27
	v_fma_f32 v24, v27, v25, -v28
	v_fmac_f32_e32 v24, v27, v22
	v_add_f32_e32 v29, v28, v24
	v_sub_f32_e32 v30, v26, v29
	v_sub_f32_e32 v20, v29, v28
	v_sub_f32_e32 v26, v26, v30
	v_sub_f32_e32 v20, v20, v24
	v_sub_f32_e32 v26, v26, v29
	v_add_f32_e32 v9, v9, v26
	v_add_f32_e32 v9, v20, v9
	;; [unrolled: 1-line block ×3, first 2 shown]
	v_mul_f32_e32 v24, v11, v20
	v_sub_f32_e32 v29, v30, v20
	v_mul_f32_e32 v26, v25, v24
	v_add_f32_e32 v9, v9, v29
	v_fma_f32 v25, v24, v25, -v26
	v_fmac_f32_e32 v25, v24, v22
	v_add_f32_e32 v22, v26, v25
	v_sub_f32_e32 v28, v20, v22
	v_sub_f32_e32 v26, v22, v26
	;; [unrolled: 1-line block ×5, first 2 shown]
	v_add_f32_e32 v9, v9, v20
	v_add_f32_e32 v20, v27, v24
	;; [unrolled: 1-line block ×3, first 2 shown]
	v_sub_f32_e32 v22, v20, v27
	v_add_f32_e32 v9, v28, v9
	v_sub_f32_e32 v22, v24, v22
	v_mul_f32_e32 v9, v11, v9
	v_add_f32_e32 v9, v22, v9
	v_add_f32_e32 v11, v20, v9
	v_mul_f32_e32 v22, v11, v11
	v_fmaak_f32 v24, s8, v22, 0x3ecc95a3
	v_mul_f32_e32 v25, v11, v22
	v_fmaak_f32 v22, v22, v24, 0x3f2aaada
	v_ldexp_f32 v24, v11, 1
	v_sub_f32_e32 v11, v11, v20
	v_mul_f32_e32 v22, v25, v22
	v_mul_f32_e32 v25, 0x3f317218, v8
	v_sub_f32_e32 v9, v9, v11
	v_add_f32_e32 v20, v24, v22
	v_ldexp_f32 v9, v9, 1
	v_sub_f32_e32 v11, v20, v24
	v_fma_f32 v24, 0x3f317218, v8, -v25
	v_sub_f32_e32 v11, v22, v11
	v_fmamk_f32 v8, v8, 0xb102e308, v24
	v_add_f32_e32 v9, v9, v11
	v_add_f32_e32 v11, v25, v8
	v_add_f32_e32 v22, v20, v9
	v_sub_f32_e32 v25, v11, v25
	v_add_f32_e32 v24, v11, v22
	v_sub_f32_e32 v20, v22, v20
	v_sub_f32_e32 v8, v8, v25
	;; [unrolled: 1-line block ×6, first 2 shown]
	v_add_f32_e32 v22, v8, v9
	v_sub_f32_e32 v11, v11, v27
	v_add_f32_e32 v11, v20, v11
	v_sub_f32_e32 v20, v22, v8
	;; [unrolled: 2-line block ×3, first 2 shown]
	v_sub_f32_e32 v9, v9, v20
	v_add_f32_e32 v25, v24, v11
	v_sub_f32_e32 v8, v8, v22
	v_sub_f32_e32 v20, v25, v24
	v_add_f32_e32 v8, v9, v8
	v_sub_f32_e32 v9, v11, v20
	v_add_f32_e32 v8, v8, v9
	v_add_f32_e32 v8, v25, v8
	v_cndmask_b32_e32 v8, 0x7f800000, v8, vcc_lo
	v_cmp_gt_f32_e64 vcc_lo, 0x33800000, |v10|
	v_cndmask_b32_e32 v8, v8, v10, vcc_lo
	v_add_f32_e32 v8, v7, v8
.LBB511_41:
	s_or_b32 exec_lo, exec_lo, s7
	v_bfe_u32 v7, v8, 16, 1
	v_cmp_o_f32_e32 vcc_lo, v8, v8
	v_add3_u32 v9, v8, v7, 0x7fff
	v_mov_b32_e32 v7, 16
	v_and_b32_e32 v9, 0xffff0000, v9
	v_lshlrev_b32_sdwa v20, v7, v3 dst_sel:DWORD dst_unused:UNUSED_PAD src0_sel:DWORD src1_sel:WORD_1
	v_cndmask_b32_e32 v9, 0x7fc00000, v9, vcc_lo
	v_max_f32_e32 v25, v20, v20
	v_cmp_u_f32_e64 s7, v20, v20
	v_max_f32_e32 v8, v9, v9
	v_cmp_u_f32_e32 vcc_lo, v9, v9
	v_min_f32_e32 v10, v8, v25
	v_max_f32_e32 v8, v8, v25
	v_cndmask_b32_e32 v10, v10, v9, vcc_lo
	v_cndmask_b32_e32 v8, v8, v9, vcc_lo
	v_cndmask_b32_e64 v10, v10, v20, s7
	v_cndmask_b32_e64 v8, v8, v20, s7
	v_cmp_class_f32_e64 s8, v10, 0x1f8
	v_cmp_neq_f32_e32 vcc_lo, v10, v8
	s_or_b32 s9, vcc_lo, s8
	s_and_saveexec_b32 s8, s9
	s_cbranch_execz .LBB511_43
; %bb.42:
	v_sub_f32_e32 v9, v10, v8
	s_mov_b32 s9, 0x3e9b6dac
	v_mul_f32_e32 v10, 0x3fb8aa3b, v9
	v_cmp_ngt_f32_e32 vcc_lo, 0xc2ce8ed0, v9
	v_fma_f32 v11, 0x3fb8aa3b, v9, -v10
	v_rndne_f32_e32 v22, v10
	v_fmamk_f32 v11, v9, 0x32a5705f, v11
	v_sub_f32_e32 v10, v10, v22
	v_add_f32_e32 v10, v10, v11
	v_cvt_i32_f32_e32 v11, v22
	v_exp_f32_e32 v10, v10
	v_ldexp_f32 v10, v10, v11
	v_cndmask_b32_e32 v10, 0, v10, vcc_lo
	v_cmp_nlt_f32_e32 vcc_lo, 0x42b17218, v9
	v_cndmask_b32_e32 v11, 0x7f800000, v10, vcc_lo
	v_add_f32_e32 v22, 1.0, v11
	v_cvt_f64_f32_e32 v[9:10], v22
	v_frexp_exp_i32_f64_e32 v9, v[9:10]
	v_frexp_mant_f32_e32 v10, v22
	v_cmp_gt_f32_e32 vcc_lo, 0x3f2aaaab, v10
	v_add_f32_e32 v10, -1.0, v22
	v_sub_f32_e32 v26, v10, v22
	v_sub_f32_e32 v10, v11, v10
	v_add_f32_e32 v26, 1.0, v26
	v_add_f32_e32 v10, v10, v26
	v_subrev_co_ci_u32_e64 v9, null, 0, v9, vcc_lo
	v_cmp_neq_f32_e32 vcc_lo, 0x7f800000, v11
	v_sub_nc_u32_e32 v24, 0, v9
	v_cvt_f32_i32_e32 v9, v9
	v_ldexp_f32 v22, v22, v24
	v_ldexp_f32 v10, v10, v24
	v_add_f32_e32 v27, 1.0, v22
	v_add_f32_e32 v24, -1.0, v22
	v_add_f32_e32 v26, -1.0, v27
	v_add_f32_e32 v28, 1.0, v24
	v_sub_f32_e32 v26, v22, v26
	v_sub_f32_e32 v22, v22, v28
	v_add_f32_e32 v26, v10, v26
	v_add_f32_e32 v10, v10, v22
	;; [unrolled: 1-line block ×4, first 2 shown]
	v_rcp_f32_e32 v22, v28
	v_sub_f32_e32 v27, v27, v28
	v_sub_f32_e32 v24, v24, v29
	v_add_f32_e32 v26, v26, v27
	v_add_f32_e32 v10, v10, v24
	v_mul_f32_e32 v30, v29, v22
	v_mul_f32_e32 v31, v28, v30
	v_fma_f32 v27, v30, v28, -v31
	v_fmac_f32_e32 v27, v30, v26
	v_add_f32_e32 v32, v31, v27
	v_sub_f32_e32 v33, v29, v32
	v_sub_f32_e32 v24, v32, v31
	;; [unrolled: 1-line block ×5, first 2 shown]
	v_add_f32_e32 v10, v10, v29
	v_add_f32_e32 v10, v24, v10
	;; [unrolled: 1-line block ×3, first 2 shown]
	v_mul_f32_e32 v27, v22, v24
	v_sub_f32_e32 v32, v33, v24
	v_mul_f32_e32 v29, v28, v27
	v_add_f32_e32 v10, v10, v32
	v_fma_f32 v28, v27, v28, -v29
	v_fmac_f32_e32 v28, v27, v26
	v_add_f32_e32 v26, v29, v28
	v_sub_f32_e32 v31, v24, v26
	v_sub_f32_e32 v29, v26, v29
	;; [unrolled: 1-line block ×5, first 2 shown]
	v_add_f32_e32 v10, v10, v24
	v_add_f32_e32 v24, v30, v27
	v_add_f32_e32 v10, v26, v10
	v_sub_f32_e32 v26, v24, v30
	v_add_f32_e32 v10, v31, v10
	v_sub_f32_e32 v26, v27, v26
	v_mul_f32_e32 v10, v22, v10
	v_add_f32_e32 v10, v26, v10
	v_add_f32_e32 v22, v24, v10
	v_mul_f32_e32 v26, v22, v22
	v_fmaak_f32 v27, s9, v26, 0x3ecc95a3
	v_mul_f32_e32 v28, v22, v26
	v_fmaak_f32 v26, v26, v27, 0x3f2aaada
	v_ldexp_f32 v27, v22, 1
	v_sub_f32_e32 v22, v22, v24
	v_mul_f32_e32 v26, v28, v26
	v_mul_f32_e32 v28, 0x3f317218, v9
	v_sub_f32_e32 v10, v10, v22
	v_add_f32_e32 v24, v27, v26
	v_ldexp_f32 v10, v10, 1
	v_sub_f32_e32 v22, v24, v27
	v_fma_f32 v27, 0x3f317218, v9, -v28
	v_sub_f32_e32 v22, v26, v22
	v_fmamk_f32 v9, v9, 0xb102e308, v27
	v_add_f32_e32 v10, v10, v22
	v_add_f32_e32 v22, v28, v9
	;; [unrolled: 1-line block ×3, first 2 shown]
	v_sub_f32_e32 v28, v22, v28
	v_add_f32_e32 v27, v22, v26
	v_sub_f32_e32 v24, v26, v24
	v_sub_f32_e32 v9, v9, v28
	;; [unrolled: 1-line block ×6, first 2 shown]
	v_add_f32_e32 v26, v9, v10
	v_sub_f32_e32 v22, v22, v30
	v_add_f32_e32 v22, v24, v22
	v_sub_f32_e32 v24, v26, v9
	;; [unrolled: 2-line block ×3, first 2 shown]
	v_sub_f32_e32 v10, v10, v24
	v_add_f32_e32 v28, v27, v22
	v_sub_f32_e32 v9, v9, v26
	v_sub_f32_e32 v24, v28, v27
	v_add_f32_e32 v9, v10, v9
	v_sub_f32_e32 v10, v22, v24
	v_add_f32_e32 v9, v9, v10
	v_add_f32_e32 v9, v28, v9
	v_cndmask_b32_e32 v9, 0x7f800000, v9, vcc_lo
	v_cmp_gt_f32_e64 vcc_lo, 0x33800000, |v11|
	v_cndmask_b32_e32 v9, v9, v11, vcc_lo
	v_add_f32_e32 v9, v8, v9
.LBB511_43:
	s_or_b32 exec_lo, exec_lo, s8
	v_bfe_u32 v8, v9, 16, 1
	v_cmp_o_f32_e32 vcc_lo, v9, v9
	v_lshlrev_b32_sdwa v22, v7, v4 dst_sel:DWORD dst_unused:UNUSED_PAD src0_sel:DWORD src1_sel:WORD_0
	v_add3_u32 v8, v9, v8, 0x7fff
	v_max_f32_e32 v27, v22, v22
	v_cmp_u_f32_e64 s8, v22, v22
	v_and_b32_e32 v8, 0xffff0000, v8
	v_cndmask_b32_e32 v8, 0x7fc00000, v8, vcc_lo
	v_max_f32_e32 v7, v8, v8
	v_cmp_u_f32_e32 vcc_lo, v8, v8
	v_min_f32_e32 v9, v7, v27
	v_max_f32_e32 v7, v7, v27
	v_cndmask_b32_e32 v9, v9, v8, vcc_lo
	v_cndmask_b32_e32 v7, v7, v8, vcc_lo
	v_cndmask_b32_e64 v9, v9, v22, s8
	v_cndmask_b32_e64 v7, v7, v22, s8
	v_cmp_class_f32_e64 s9, v9, 0x1f8
	v_cmp_neq_f32_e32 vcc_lo, v9, v7
	s_or_b32 s10, vcc_lo, s9
	s_and_saveexec_b32 s9, s10
	s_cbranch_execz .LBB511_45
; %bb.44:
	v_sub_f32_e32 v8, v9, v7
	s_mov_b32 s10, 0x3e9b6dac
	v_mul_f32_e32 v9, 0x3fb8aa3b, v8
	v_cmp_ngt_f32_e32 vcc_lo, 0xc2ce8ed0, v8
	v_fma_f32 v10, 0x3fb8aa3b, v8, -v9
	v_rndne_f32_e32 v11, v9
	v_fmamk_f32 v10, v8, 0x32a5705f, v10
	v_sub_f32_e32 v9, v9, v11
	v_add_f32_e32 v9, v9, v10
	v_cvt_i32_f32_e32 v10, v11
	v_exp_f32_e32 v9, v9
	v_ldexp_f32 v9, v9, v10
	v_cndmask_b32_e32 v9, 0, v9, vcc_lo
	v_cmp_nlt_f32_e32 vcc_lo, 0x42b17218, v8
	v_cndmask_b32_e32 v10, 0x7f800000, v9, vcc_lo
	v_add_f32_e32 v11, 1.0, v10
	v_cvt_f64_f32_e32 v[8:9], v11
	v_frexp_exp_i32_f64_e32 v8, v[8:9]
	v_frexp_mant_f32_e32 v9, v11
	v_cmp_gt_f32_e32 vcc_lo, 0x3f2aaaab, v9
	v_add_f32_e32 v9, -1.0, v11
	v_sub_f32_e32 v26, v9, v11
	v_sub_f32_e32 v9, v10, v9
	v_add_f32_e32 v26, 1.0, v26
	v_add_f32_e32 v9, v9, v26
	v_subrev_co_ci_u32_e64 v8, null, 0, v8, vcc_lo
	v_cmp_neq_f32_e32 vcc_lo, 0x7f800000, v10
	v_sub_nc_u32_e32 v24, 0, v8
	v_cvt_f32_i32_e32 v8, v8
	v_ldexp_f32 v11, v11, v24
	v_ldexp_f32 v9, v9, v24
	v_add_f32_e32 v28, 1.0, v11
	v_add_f32_e32 v24, -1.0, v11
	v_add_f32_e32 v26, -1.0, v28
	v_add_f32_e32 v29, 1.0, v24
	v_sub_f32_e32 v26, v11, v26
	v_sub_f32_e32 v11, v11, v29
	v_add_f32_e32 v26, v9, v26
	v_add_f32_e32 v9, v9, v11
	;; [unrolled: 1-line block ×4, first 2 shown]
	v_rcp_f32_e32 v11, v29
	v_sub_f32_e32 v28, v28, v29
	v_sub_f32_e32 v24, v24, v30
	v_add_f32_e32 v26, v26, v28
	v_add_f32_e32 v9, v9, v24
	v_mul_f32_e32 v31, v30, v11
	v_mul_f32_e32 v32, v29, v31
	v_fma_f32 v28, v31, v29, -v32
	v_fmac_f32_e32 v28, v31, v26
	v_add_f32_e32 v33, v32, v28
	v_sub_f32_e32 v34, v30, v33
	v_sub_f32_e32 v24, v33, v32
	;; [unrolled: 1-line block ×5, first 2 shown]
	v_add_f32_e32 v9, v9, v30
	v_add_f32_e32 v9, v24, v9
	;; [unrolled: 1-line block ×3, first 2 shown]
	v_mul_f32_e32 v28, v11, v24
	v_sub_f32_e32 v33, v34, v24
	v_mul_f32_e32 v30, v29, v28
	v_add_f32_e32 v9, v9, v33
	v_fma_f32 v29, v28, v29, -v30
	v_fmac_f32_e32 v29, v28, v26
	v_add_f32_e32 v26, v30, v29
	v_sub_f32_e32 v32, v24, v26
	v_sub_f32_e32 v30, v26, v30
	v_sub_f32_e32 v24, v24, v32
	v_sub_f32_e32 v24, v24, v26
	v_sub_f32_e32 v26, v30, v29
	v_add_f32_e32 v9, v9, v24
	v_add_f32_e32 v24, v31, v28
	;; [unrolled: 1-line block ×3, first 2 shown]
	v_sub_f32_e32 v26, v24, v31
	v_add_f32_e32 v9, v32, v9
	v_sub_f32_e32 v26, v28, v26
	v_mul_f32_e32 v9, v11, v9
	v_add_f32_e32 v9, v26, v9
	v_add_f32_e32 v11, v24, v9
	v_mul_f32_e32 v26, v11, v11
	v_fmaak_f32 v28, s10, v26, 0x3ecc95a3
	v_mul_f32_e32 v29, v11, v26
	v_fmaak_f32 v26, v26, v28, 0x3f2aaada
	v_ldexp_f32 v28, v11, 1
	v_sub_f32_e32 v11, v11, v24
	v_mul_f32_e32 v26, v29, v26
	v_mul_f32_e32 v29, 0x3f317218, v8
	v_sub_f32_e32 v9, v9, v11
	v_add_f32_e32 v24, v28, v26
	v_ldexp_f32 v9, v9, 1
	v_sub_f32_e32 v11, v24, v28
	v_fma_f32 v28, 0x3f317218, v8, -v29
	v_sub_f32_e32 v11, v26, v11
	v_fmamk_f32 v8, v8, 0xb102e308, v28
	v_add_f32_e32 v9, v9, v11
	v_add_f32_e32 v11, v29, v8
	;; [unrolled: 1-line block ×3, first 2 shown]
	v_sub_f32_e32 v29, v11, v29
	v_add_f32_e32 v28, v11, v26
	v_sub_f32_e32 v24, v26, v24
	v_sub_f32_e32 v8, v8, v29
	;; [unrolled: 1-line block ×6, first 2 shown]
	v_add_f32_e32 v26, v8, v9
	v_sub_f32_e32 v11, v11, v31
	v_add_f32_e32 v11, v24, v11
	v_sub_f32_e32 v24, v26, v8
	v_add_f32_e32 v11, v26, v11
	v_sub_f32_e32 v26, v26, v24
	v_sub_f32_e32 v9, v9, v24
	v_add_f32_e32 v29, v28, v11
	v_sub_f32_e32 v8, v8, v26
	v_sub_f32_e32 v24, v29, v28
	v_add_f32_e32 v8, v9, v8
	v_sub_f32_e32 v9, v11, v24
	v_add_f32_e32 v8, v8, v9
	v_add_f32_e32 v8, v29, v8
	v_cndmask_b32_e32 v8, 0x7f800000, v8, vcc_lo
	v_cmp_gt_f32_e64 vcc_lo, 0x33800000, |v10|
	v_cndmask_b32_e32 v8, v8, v10, vcc_lo
	v_add_f32_e32 v8, v7, v8
.LBB511_45:
	s_or_b32 exec_lo, exec_lo, s9
	v_bfe_u32 v7, v8, 16, 1
	v_cmp_o_f32_e32 vcc_lo, v8, v8
	v_add3_u32 v9, v8, v7, 0x7fff
	v_mov_b32_e32 v7, 16
	v_and_b32_e32 v9, 0xffff0000, v9
	v_lshlrev_b32_sdwa v24, v7, v4 dst_sel:DWORD dst_unused:UNUSED_PAD src0_sel:DWORD src1_sel:WORD_1
	v_cndmask_b32_e32 v9, 0x7fc00000, v9, vcc_lo
	v_max_f32_e32 v29, v24, v24
	v_cmp_u_f32_e64 s9, v24, v24
	v_max_f32_e32 v8, v9, v9
	v_cmp_u_f32_e32 vcc_lo, v9, v9
	v_min_f32_e32 v10, v8, v29
	v_max_f32_e32 v8, v8, v29
	v_cndmask_b32_e32 v10, v10, v9, vcc_lo
	v_cndmask_b32_e32 v8, v8, v9, vcc_lo
	v_cndmask_b32_e64 v10, v10, v24, s9
	v_cndmask_b32_e64 v8, v8, v24, s9
	v_cmp_class_f32_e64 s10, v10, 0x1f8
	v_cmp_neq_f32_e32 vcc_lo, v10, v8
	s_or_b32 s11, vcc_lo, s10
	s_and_saveexec_b32 s10, s11
	s_cbranch_execz .LBB511_47
; %bb.46:
	v_sub_f32_e32 v9, v10, v8
	s_mov_b32 s11, 0x3e9b6dac
	v_mul_f32_e32 v10, 0x3fb8aa3b, v9
	v_cmp_ngt_f32_e32 vcc_lo, 0xc2ce8ed0, v9
	v_fma_f32 v11, 0x3fb8aa3b, v9, -v10
	v_rndne_f32_e32 v26, v10
	v_fmamk_f32 v11, v9, 0x32a5705f, v11
	v_sub_f32_e32 v10, v10, v26
	v_add_f32_e32 v10, v10, v11
	v_cvt_i32_f32_e32 v11, v26
	v_exp_f32_e32 v10, v10
	v_ldexp_f32 v10, v10, v11
	v_cndmask_b32_e32 v10, 0, v10, vcc_lo
	v_cmp_nlt_f32_e32 vcc_lo, 0x42b17218, v9
	v_cndmask_b32_e32 v11, 0x7f800000, v10, vcc_lo
	v_add_f32_e32 v26, 1.0, v11
	v_cvt_f64_f32_e32 v[9:10], v26
	v_frexp_exp_i32_f64_e32 v9, v[9:10]
	v_frexp_mant_f32_e32 v10, v26
	v_cmp_gt_f32_e32 vcc_lo, 0x3f2aaaab, v10
	v_add_f32_e32 v10, -1.0, v26
	v_sub_f32_e32 v30, v10, v26
	v_sub_f32_e32 v10, v11, v10
	v_add_f32_e32 v30, 1.0, v30
	v_add_f32_e32 v10, v10, v30
	v_subrev_co_ci_u32_e64 v9, null, 0, v9, vcc_lo
	v_cmp_neq_f32_e32 vcc_lo, 0x7f800000, v11
	v_sub_nc_u32_e32 v28, 0, v9
	v_cvt_f32_i32_e32 v9, v9
	v_ldexp_f32 v26, v26, v28
	v_ldexp_f32 v10, v10, v28
	v_add_f32_e32 v31, 1.0, v26
	v_add_f32_e32 v28, -1.0, v26
	v_add_f32_e32 v30, -1.0, v31
	v_add_f32_e32 v32, 1.0, v28
	v_sub_f32_e32 v30, v26, v30
	v_sub_f32_e32 v26, v26, v32
	v_add_f32_e32 v30, v10, v30
	v_add_f32_e32 v10, v10, v26
	;; [unrolled: 1-line block ×4, first 2 shown]
	v_rcp_f32_e32 v26, v32
	v_sub_f32_e32 v31, v31, v32
	v_sub_f32_e32 v28, v28, v33
	v_add_f32_e32 v30, v30, v31
	v_add_f32_e32 v10, v10, v28
	v_mul_f32_e32 v34, v33, v26
	v_mul_f32_e32 v35, v32, v34
	v_fma_f32 v31, v34, v32, -v35
	v_fmac_f32_e32 v31, v34, v30
	v_add_f32_e32 v38, v35, v31
	v_sub_f32_e32 v39, v33, v38
	v_sub_f32_e32 v28, v38, v35
	;; [unrolled: 1-line block ×5, first 2 shown]
	v_add_f32_e32 v10, v10, v33
	v_add_f32_e32 v10, v28, v10
	;; [unrolled: 1-line block ×3, first 2 shown]
	v_mul_f32_e32 v31, v26, v28
	v_sub_f32_e32 v38, v39, v28
	v_mul_f32_e32 v33, v32, v31
	v_add_f32_e32 v10, v10, v38
	v_fma_f32 v32, v31, v32, -v33
	v_fmac_f32_e32 v32, v31, v30
	v_add_f32_e32 v30, v33, v32
	v_sub_f32_e32 v35, v28, v30
	v_sub_f32_e32 v33, v30, v33
	;; [unrolled: 1-line block ×5, first 2 shown]
	v_add_f32_e32 v10, v10, v28
	v_add_f32_e32 v28, v34, v31
	v_add_f32_e32 v10, v30, v10
	v_sub_f32_e32 v30, v28, v34
	v_add_f32_e32 v10, v35, v10
	v_sub_f32_e32 v30, v31, v30
	v_mul_f32_e32 v10, v26, v10
	v_add_f32_e32 v10, v30, v10
	v_add_f32_e32 v26, v28, v10
	v_mul_f32_e32 v30, v26, v26
	v_fmaak_f32 v31, s11, v30, 0x3ecc95a3
	v_mul_f32_e32 v32, v26, v30
	v_fmaak_f32 v30, v30, v31, 0x3f2aaada
	v_ldexp_f32 v31, v26, 1
	v_sub_f32_e32 v26, v26, v28
	v_mul_f32_e32 v30, v32, v30
	v_mul_f32_e32 v32, 0x3f317218, v9
	v_sub_f32_e32 v10, v10, v26
	v_add_f32_e32 v28, v31, v30
	v_ldexp_f32 v10, v10, 1
	v_sub_f32_e32 v26, v28, v31
	v_fma_f32 v31, 0x3f317218, v9, -v32
	v_sub_f32_e32 v26, v30, v26
	v_fmamk_f32 v9, v9, 0xb102e308, v31
	v_add_f32_e32 v10, v10, v26
	v_add_f32_e32 v26, v32, v9
	;; [unrolled: 1-line block ×3, first 2 shown]
	v_sub_f32_e32 v32, v26, v32
	v_add_f32_e32 v31, v26, v30
	v_sub_f32_e32 v28, v30, v28
	v_sub_f32_e32 v9, v9, v32
	v_sub_f32_e32 v33, v31, v26
	v_sub_f32_e32 v10, v10, v28
	v_sub_f32_e32 v34, v31, v33
	v_sub_f32_e32 v28, v30, v33
	v_add_f32_e32 v30, v9, v10
	v_sub_f32_e32 v26, v26, v34
	v_add_f32_e32 v26, v28, v26
	v_sub_f32_e32 v28, v30, v9
	;; [unrolled: 2-line block ×3, first 2 shown]
	v_sub_f32_e32 v10, v10, v28
	v_add_f32_e32 v32, v31, v26
	v_sub_f32_e32 v9, v9, v30
	v_sub_f32_e32 v28, v32, v31
	v_add_f32_e32 v9, v10, v9
	v_sub_f32_e32 v10, v26, v28
	v_add_f32_e32 v9, v9, v10
	v_add_f32_e32 v9, v32, v9
	v_cndmask_b32_e32 v9, 0x7f800000, v9, vcc_lo
	v_cmp_gt_f32_e64 vcc_lo, 0x33800000, |v11|
	v_cndmask_b32_e32 v9, v9, v11, vcc_lo
	v_add_f32_e32 v9, v8, v9
.LBB511_47:
	s_or_b32 exec_lo, exec_lo, s10
	v_bfe_u32 v8, v9, 16, 1
	v_cmp_o_f32_e32 vcc_lo, v9, v9
	v_lshlrev_b32_sdwa v26, v7, v5 dst_sel:DWORD dst_unused:UNUSED_PAD src0_sel:DWORD src1_sel:WORD_0
	v_add3_u32 v8, v9, v8, 0x7fff
	v_max_f32_e32 v31, v26, v26
	v_cmp_u_f32_e64 s10, v26, v26
	v_and_b32_e32 v8, 0xffff0000, v8
	v_cndmask_b32_e32 v8, 0x7fc00000, v8, vcc_lo
	v_max_f32_e32 v7, v8, v8
	v_cmp_u_f32_e32 vcc_lo, v8, v8
	v_min_f32_e32 v9, v7, v31
	v_max_f32_e32 v7, v7, v31
	v_cndmask_b32_e32 v9, v9, v8, vcc_lo
	v_cndmask_b32_e32 v7, v7, v8, vcc_lo
	v_cndmask_b32_e64 v9, v9, v26, s10
	v_cndmask_b32_e64 v7, v7, v26, s10
	v_cmp_class_f32_e64 s11, v9, 0x1f8
	v_cmp_neq_f32_e32 vcc_lo, v9, v7
	s_or_b32 s12, vcc_lo, s11
	s_and_saveexec_b32 s11, s12
	s_cbranch_execz .LBB511_49
; %bb.48:
	v_sub_f32_e32 v8, v9, v7
	s_mov_b32 s12, 0x3e9b6dac
	v_mul_f32_e32 v9, 0x3fb8aa3b, v8
	v_cmp_ngt_f32_e32 vcc_lo, 0xc2ce8ed0, v8
	v_fma_f32 v10, 0x3fb8aa3b, v8, -v9
	v_rndne_f32_e32 v11, v9
	v_fmamk_f32 v10, v8, 0x32a5705f, v10
	v_sub_f32_e32 v9, v9, v11
	v_add_f32_e32 v9, v9, v10
	v_cvt_i32_f32_e32 v10, v11
	v_exp_f32_e32 v9, v9
	v_ldexp_f32 v9, v9, v10
	v_cndmask_b32_e32 v9, 0, v9, vcc_lo
	v_cmp_nlt_f32_e32 vcc_lo, 0x42b17218, v8
	v_cndmask_b32_e32 v10, 0x7f800000, v9, vcc_lo
	v_add_f32_e32 v11, 1.0, v10
	v_cvt_f64_f32_e32 v[8:9], v11
	v_frexp_exp_i32_f64_e32 v8, v[8:9]
	v_frexp_mant_f32_e32 v9, v11
	v_cmp_gt_f32_e32 vcc_lo, 0x3f2aaaab, v9
	v_add_f32_e32 v9, -1.0, v11
	v_sub_f32_e32 v30, v9, v11
	v_sub_f32_e32 v9, v10, v9
	v_add_f32_e32 v30, 1.0, v30
	v_add_f32_e32 v9, v9, v30
	v_subrev_co_ci_u32_e64 v8, null, 0, v8, vcc_lo
	v_cmp_neq_f32_e32 vcc_lo, 0x7f800000, v10
	v_sub_nc_u32_e32 v28, 0, v8
	v_cvt_f32_i32_e32 v8, v8
	v_ldexp_f32 v11, v11, v28
	v_ldexp_f32 v9, v9, v28
	v_add_f32_e32 v32, 1.0, v11
	v_add_f32_e32 v28, -1.0, v11
	v_add_f32_e32 v30, -1.0, v32
	v_add_f32_e32 v33, 1.0, v28
	v_sub_f32_e32 v30, v11, v30
	v_sub_f32_e32 v11, v11, v33
	v_add_f32_e32 v30, v9, v30
	v_add_f32_e32 v9, v9, v11
	;; [unrolled: 1-line block ×4, first 2 shown]
	v_rcp_f32_e32 v11, v33
	v_sub_f32_e32 v32, v32, v33
	v_sub_f32_e32 v28, v28, v34
	v_add_f32_e32 v30, v30, v32
	v_add_f32_e32 v9, v9, v28
	v_mul_f32_e32 v35, v34, v11
	v_mul_f32_e32 v38, v33, v35
	v_fma_f32 v32, v35, v33, -v38
	v_fmac_f32_e32 v32, v35, v30
	v_add_f32_e32 v39, v38, v32
	v_sub_f32_e32 v40, v34, v39
	v_sub_f32_e32 v28, v39, v38
	;; [unrolled: 1-line block ×5, first 2 shown]
	v_add_f32_e32 v9, v9, v34
	v_add_f32_e32 v9, v28, v9
	;; [unrolled: 1-line block ×3, first 2 shown]
	v_mul_f32_e32 v32, v11, v28
	v_sub_f32_e32 v39, v40, v28
	v_mul_f32_e32 v34, v33, v32
	v_add_f32_e32 v9, v9, v39
	v_fma_f32 v33, v32, v33, -v34
	v_fmac_f32_e32 v33, v32, v30
	v_add_f32_e32 v30, v34, v33
	v_sub_f32_e32 v38, v28, v30
	v_sub_f32_e32 v34, v30, v34
	;; [unrolled: 1-line block ×5, first 2 shown]
	v_add_f32_e32 v9, v9, v28
	v_add_f32_e32 v28, v35, v32
	;; [unrolled: 1-line block ×3, first 2 shown]
	v_sub_f32_e32 v30, v28, v35
	v_add_f32_e32 v9, v38, v9
	v_sub_f32_e32 v30, v32, v30
	v_mul_f32_e32 v9, v11, v9
	v_add_f32_e32 v9, v30, v9
	v_add_f32_e32 v11, v28, v9
	v_mul_f32_e32 v30, v11, v11
	v_fmaak_f32 v32, s12, v30, 0x3ecc95a3
	v_mul_f32_e32 v33, v11, v30
	v_fmaak_f32 v30, v30, v32, 0x3f2aaada
	v_ldexp_f32 v32, v11, 1
	v_sub_f32_e32 v11, v11, v28
	v_mul_f32_e32 v30, v33, v30
	v_mul_f32_e32 v33, 0x3f317218, v8
	v_sub_f32_e32 v9, v9, v11
	v_add_f32_e32 v28, v32, v30
	v_ldexp_f32 v9, v9, 1
	v_sub_f32_e32 v11, v28, v32
	v_fma_f32 v32, 0x3f317218, v8, -v33
	v_sub_f32_e32 v11, v30, v11
	v_fmamk_f32 v8, v8, 0xb102e308, v32
	v_add_f32_e32 v9, v9, v11
	v_add_f32_e32 v11, v33, v8
	;; [unrolled: 1-line block ×3, first 2 shown]
	v_sub_f32_e32 v33, v11, v33
	v_add_f32_e32 v32, v11, v30
	v_sub_f32_e32 v28, v30, v28
	v_sub_f32_e32 v8, v8, v33
	;; [unrolled: 1-line block ×6, first 2 shown]
	v_add_f32_e32 v30, v8, v9
	v_sub_f32_e32 v11, v11, v35
	v_add_f32_e32 v11, v28, v11
	v_sub_f32_e32 v28, v30, v8
	;; [unrolled: 2-line block ×3, first 2 shown]
	v_sub_f32_e32 v9, v9, v28
	v_add_f32_e32 v33, v32, v11
	v_sub_f32_e32 v8, v8, v30
	v_sub_f32_e32 v28, v33, v32
	v_add_f32_e32 v8, v9, v8
	v_sub_f32_e32 v9, v11, v28
	v_add_f32_e32 v8, v8, v9
	v_add_f32_e32 v8, v33, v8
	v_cndmask_b32_e32 v8, 0x7f800000, v8, vcc_lo
	v_cmp_gt_f32_e64 vcc_lo, 0x33800000, |v10|
	v_cndmask_b32_e32 v8, v8, v10, vcc_lo
	v_add_f32_e32 v8, v7, v8
.LBB511_49:
	s_or_b32 exec_lo, exec_lo, s11
	v_bfe_u32 v7, v8, 16, 1
	v_cmp_o_f32_e32 vcc_lo, v8, v8
	v_add3_u32 v9, v8, v7, 0x7fff
	v_mov_b32_e32 v7, 16
	v_and_b32_e32 v9, 0xffff0000, v9
	v_lshlrev_b32_sdwa v28, v7, v5 dst_sel:DWORD dst_unused:UNUSED_PAD src0_sel:DWORD src1_sel:WORD_1
	v_cndmask_b32_e32 v9, 0x7fc00000, v9, vcc_lo
	v_max_f32_e32 v33, v28, v28
	v_cmp_u_f32_e64 s11, v28, v28
	v_max_f32_e32 v8, v9, v9
	v_cmp_u_f32_e32 vcc_lo, v9, v9
	v_min_f32_e32 v10, v8, v33
	v_max_f32_e32 v8, v8, v33
	v_cndmask_b32_e32 v10, v10, v9, vcc_lo
	v_cndmask_b32_e32 v8, v8, v9, vcc_lo
	v_cndmask_b32_e64 v10, v10, v28, s11
	v_cndmask_b32_e64 v8, v8, v28, s11
	v_cmp_class_f32_e64 s12, v10, 0x1f8
	v_cmp_neq_f32_e32 vcc_lo, v10, v8
	s_or_b32 s13, vcc_lo, s12
	s_and_saveexec_b32 s12, s13
	s_cbranch_execz .LBB511_51
; %bb.50:
	v_sub_f32_e32 v9, v10, v8
	s_mov_b32 s13, 0x3e9b6dac
	v_mul_f32_e32 v10, 0x3fb8aa3b, v9
	v_cmp_ngt_f32_e32 vcc_lo, 0xc2ce8ed0, v9
	v_fma_f32 v11, 0x3fb8aa3b, v9, -v10
	v_rndne_f32_e32 v30, v10
	v_fmamk_f32 v11, v9, 0x32a5705f, v11
	v_sub_f32_e32 v10, v10, v30
	v_add_f32_e32 v10, v10, v11
	v_cvt_i32_f32_e32 v11, v30
	v_exp_f32_e32 v10, v10
	v_ldexp_f32 v10, v10, v11
	v_cndmask_b32_e32 v10, 0, v10, vcc_lo
	v_cmp_nlt_f32_e32 vcc_lo, 0x42b17218, v9
	v_cndmask_b32_e32 v11, 0x7f800000, v10, vcc_lo
	v_add_f32_e32 v30, 1.0, v11
	v_cvt_f64_f32_e32 v[9:10], v30
	v_frexp_exp_i32_f64_e32 v9, v[9:10]
	v_frexp_mant_f32_e32 v10, v30
	v_cmp_gt_f32_e32 vcc_lo, 0x3f2aaaab, v10
	v_add_f32_e32 v10, -1.0, v30
	v_sub_f32_e32 v34, v10, v30
	v_sub_f32_e32 v10, v11, v10
	v_add_f32_e32 v34, 1.0, v34
	v_add_f32_e32 v10, v10, v34
	v_subrev_co_ci_u32_e64 v9, null, 0, v9, vcc_lo
	v_cmp_neq_f32_e32 vcc_lo, 0x7f800000, v11
	v_sub_nc_u32_e32 v32, 0, v9
	v_cvt_f32_i32_e32 v9, v9
	v_ldexp_f32 v30, v30, v32
	v_ldexp_f32 v10, v10, v32
	v_add_f32_e32 v35, 1.0, v30
	v_add_f32_e32 v32, -1.0, v30
	v_add_f32_e32 v34, -1.0, v35
	v_add_f32_e32 v38, 1.0, v32
	v_sub_f32_e32 v34, v30, v34
	v_sub_f32_e32 v30, v30, v38
	v_add_f32_e32 v34, v10, v34
	v_add_f32_e32 v10, v10, v30
	v_add_f32_e32 v38, v35, v34
	v_add_f32_e32 v39, v32, v10
	v_rcp_f32_e32 v30, v38
	v_sub_f32_e32 v35, v35, v38
	v_sub_f32_e32 v32, v32, v39
	v_add_f32_e32 v34, v34, v35
	v_add_f32_e32 v10, v10, v32
	v_mul_f32_e32 v40, v39, v30
	v_mul_f32_e32 v41, v38, v40
	v_fma_f32 v35, v40, v38, -v41
	v_fmac_f32_e32 v35, v40, v34
	v_add_f32_e32 v42, v41, v35
	v_sub_f32_e32 v43, v39, v42
	v_sub_f32_e32 v32, v42, v41
	;; [unrolled: 1-line block ×5, first 2 shown]
	v_add_f32_e32 v10, v10, v39
	v_add_f32_e32 v10, v32, v10
	;; [unrolled: 1-line block ×3, first 2 shown]
	v_mul_f32_e32 v35, v30, v32
	v_sub_f32_e32 v42, v43, v32
	v_mul_f32_e32 v39, v38, v35
	v_add_f32_e32 v10, v10, v42
	v_fma_f32 v38, v35, v38, -v39
	v_fmac_f32_e32 v38, v35, v34
	v_add_f32_e32 v34, v39, v38
	v_sub_f32_e32 v41, v32, v34
	v_sub_f32_e32 v39, v34, v39
	;; [unrolled: 1-line block ×5, first 2 shown]
	v_add_f32_e32 v10, v10, v32
	v_add_f32_e32 v32, v40, v35
	v_add_f32_e32 v10, v34, v10
	v_sub_f32_e32 v34, v32, v40
	v_add_f32_e32 v10, v41, v10
	v_sub_f32_e32 v34, v35, v34
	v_mul_f32_e32 v10, v30, v10
	v_add_f32_e32 v10, v34, v10
	v_add_f32_e32 v30, v32, v10
	v_mul_f32_e32 v34, v30, v30
	v_fmaak_f32 v35, s13, v34, 0x3ecc95a3
	v_mul_f32_e32 v38, v30, v34
	v_fmaak_f32 v34, v34, v35, 0x3f2aaada
	v_ldexp_f32 v35, v30, 1
	v_sub_f32_e32 v30, v30, v32
	v_mul_f32_e32 v34, v38, v34
	v_mul_f32_e32 v38, 0x3f317218, v9
	v_sub_f32_e32 v10, v10, v30
	v_add_f32_e32 v32, v35, v34
	v_ldexp_f32 v10, v10, 1
	v_sub_f32_e32 v30, v32, v35
	v_fma_f32 v35, 0x3f317218, v9, -v38
	v_sub_f32_e32 v30, v34, v30
	v_fmamk_f32 v9, v9, 0xb102e308, v35
	v_add_f32_e32 v10, v10, v30
	v_add_f32_e32 v30, v38, v9
	;; [unrolled: 1-line block ×3, first 2 shown]
	v_sub_f32_e32 v38, v30, v38
	v_add_f32_e32 v35, v30, v34
	v_sub_f32_e32 v32, v34, v32
	v_sub_f32_e32 v9, v9, v38
	v_sub_f32_e32 v39, v35, v30
	v_sub_f32_e32 v10, v10, v32
	v_sub_f32_e32 v40, v35, v39
	v_sub_f32_e32 v32, v34, v39
	v_add_f32_e32 v34, v9, v10
	v_sub_f32_e32 v30, v30, v40
	v_add_f32_e32 v30, v32, v30
	v_sub_f32_e32 v32, v34, v9
	;; [unrolled: 2-line block ×3, first 2 shown]
	v_sub_f32_e32 v10, v10, v32
	v_add_f32_e32 v38, v35, v30
	v_sub_f32_e32 v9, v9, v34
	v_sub_f32_e32 v32, v38, v35
	v_add_f32_e32 v9, v10, v9
	v_sub_f32_e32 v10, v30, v32
	v_add_f32_e32 v9, v9, v10
	v_add_f32_e32 v9, v38, v9
	v_cndmask_b32_e32 v9, 0x7f800000, v9, vcc_lo
	v_cmp_gt_f32_e64 vcc_lo, 0x33800000, |v11|
	v_cndmask_b32_e32 v9, v9, v11, vcc_lo
	v_add_f32_e32 v9, v8, v9
.LBB511_51:
	s_or_b32 exec_lo, exec_lo, s12
	v_bfe_u32 v8, v9, 16, 1
	v_cmp_o_f32_e32 vcc_lo, v9, v9
	v_lshlrev_b32_sdwa v30, v7, v6 dst_sel:DWORD dst_unused:UNUSED_PAD src0_sel:DWORD src1_sel:WORD_0
	v_add3_u32 v8, v9, v8, 0x7fff
	v_max_f32_e32 v34, v30, v30
	v_cmp_u_f32_e64 s12, v30, v30
	v_and_b32_e32 v8, 0xffff0000, v8
	v_cndmask_b32_e32 v8, 0x7fc00000, v8, vcc_lo
	v_max_f32_e32 v7, v8, v8
	v_cmp_u_f32_e32 vcc_lo, v8, v8
	v_min_f32_e32 v9, v7, v34
	v_max_f32_e32 v7, v7, v34
	v_cndmask_b32_e32 v9, v9, v8, vcc_lo
	v_cndmask_b32_e32 v7, v7, v8, vcc_lo
	v_cndmask_b32_e64 v9, v9, v30, s12
	v_cndmask_b32_e64 v7, v7, v30, s12
	v_cmp_class_f32_e64 s13, v9, 0x1f8
	v_cmp_neq_f32_e32 vcc_lo, v9, v7
	s_or_b32 s15, vcc_lo, s13
	s_and_saveexec_b32 s13, s15
	s_cbranch_execz .LBB511_53
; %bb.52:
	v_sub_f32_e32 v8, v9, v7
	s_mov_b32 s15, 0x3e9b6dac
	v_mul_f32_e32 v9, 0x3fb8aa3b, v8
	v_cmp_ngt_f32_e32 vcc_lo, 0xc2ce8ed0, v8
	v_fma_f32 v10, 0x3fb8aa3b, v8, -v9
	v_rndne_f32_e32 v11, v9
	v_fmamk_f32 v10, v8, 0x32a5705f, v10
	v_sub_f32_e32 v9, v9, v11
	v_add_f32_e32 v9, v9, v10
	v_cvt_i32_f32_e32 v10, v11
	v_exp_f32_e32 v9, v9
	v_ldexp_f32 v9, v9, v10
	v_cndmask_b32_e32 v9, 0, v9, vcc_lo
	v_cmp_nlt_f32_e32 vcc_lo, 0x42b17218, v8
	v_cndmask_b32_e32 v10, 0x7f800000, v9, vcc_lo
	v_add_f32_e32 v11, 1.0, v10
	v_cvt_f64_f32_e32 v[8:9], v11
	v_frexp_exp_i32_f64_e32 v8, v[8:9]
	v_frexp_mant_f32_e32 v9, v11
	v_cmp_gt_f32_e32 vcc_lo, 0x3f2aaaab, v9
	v_add_f32_e32 v9, -1.0, v11
	v_sub_f32_e32 v35, v9, v11
	v_sub_f32_e32 v9, v10, v9
	v_add_f32_e32 v35, 1.0, v35
	v_add_f32_e32 v9, v9, v35
	v_subrev_co_ci_u32_e64 v8, null, 0, v8, vcc_lo
	v_cmp_neq_f32_e32 vcc_lo, 0x7f800000, v10
	v_sub_nc_u32_e32 v32, 0, v8
	v_cvt_f32_i32_e32 v8, v8
	v_ldexp_f32 v11, v11, v32
	v_ldexp_f32 v9, v9, v32
	v_add_f32_e32 v38, 1.0, v11
	v_add_f32_e32 v32, -1.0, v11
	v_add_f32_e32 v35, -1.0, v38
	v_add_f32_e32 v39, 1.0, v32
	v_sub_f32_e32 v35, v11, v35
	v_sub_f32_e32 v11, v11, v39
	v_add_f32_e32 v35, v9, v35
	v_add_f32_e32 v9, v9, v11
	;; [unrolled: 1-line block ×4, first 2 shown]
	v_rcp_f32_e32 v11, v39
	v_sub_f32_e32 v38, v38, v39
	v_sub_f32_e32 v32, v32, v40
	v_add_f32_e32 v35, v35, v38
	v_add_f32_e32 v9, v9, v32
	v_mul_f32_e32 v41, v40, v11
	v_mul_f32_e32 v42, v39, v41
	v_fma_f32 v38, v41, v39, -v42
	v_fmac_f32_e32 v38, v41, v35
	v_add_f32_e32 v43, v42, v38
	v_sub_f32_e32 v44, v40, v43
	v_sub_f32_e32 v32, v43, v42
	;; [unrolled: 1-line block ×5, first 2 shown]
	v_add_f32_e32 v9, v9, v40
	v_add_f32_e32 v9, v32, v9
	;; [unrolled: 1-line block ×3, first 2 shown]
	v_mul_f32_e32 v38, v11, v32
	v_sub_f32_e32 v43, v44, v32
	v_mul_f32_e32 v40, v39, v38
	v_add_f32_e32 v9, v9, v43
	v_fma_f32 v39, v38, v39, -v40
	v_fmac_f32_e32 v39, v38, v35
	v_add_f32_e32 v35, v40, v39
	v_sub_f32_e32 v42, v32, v35
	v_sub_f32_e32 v40, v35, v40
	;; [unrolled: 1-line block ×5, first 2 shown]
	v_add_f32_e32 v9, v9, v32
	v_add_f32_e32 v32, v41, v38
	;; [unrolled: 1-line block ×3, first 2 shown]
	v_sub_f32_e32 v35, v32, v41
	v_add_f32_e32 v9, v42, v9
	v_sub_f32_e32 v35, v38, v35
	v_mul_f32_e32 v9, v11, v9
	v_add_f32_e32 v9, v35, v9
	v_add_f32_e32 v11, v32, v9
	v_mul_f32_e32 v35, v11, v11
	v_fmaak_f32 v38, s15, v35, 0x3ecc95a3
	v_mul_f32_e32 v39, v11, v35
	v_fmaak_f32 v35, v35, v38, 0x3f2aaada
	v_ldexp_f32 v38, v11, 1
	v_sub_f32_e32 v11, v11, v32
	v_mul_f32_e32 v35, v39, v35
	v_mul_f32_e32 v39, 0x3f317218, v8
	v_sub_f32_e32 v9, v9, v11
	v_add_f32_e32 v32, v38, v35
	v_ldexp_f32 v9, v9, 1
	v_sub_f32_e32 v11, v32, v38
	v_fma_f32 v38, 0x3f317218, v8, -v39
	v_sub_f32_e32 v11, v35, v11
	v_fmamk_f32 v8, v8, 0xb102e308, v38
	v_add_f32_e32 v9, v9, v11
	v_add_f32_e32 v11, v39, v8
	;; [unrolled: 1-line block ×3, first 2 shown]
	v_sub_f32_e32 v39, v11, v39
	v_add_f32_e32 v38, v11, v35
	v_sub_f32_e32 v32, v35, v32
	v_sub_f32_e32 v8, v8, v39
	;; [unrolled: 1-line block ×6, first 2 shown]
	v_add_f32_e32 v35, v8, v9
	v_sub_f32_e32 v11, v11, v41
	v_add_f32_e32 v11, v32, v11
	v_sub_f32_e32 v32, v35, v8
	;; [unrolled: 2-line block ×3, first 2 shown]
	v_sub_f32_e32 v9, v9, v32
	v_add_f32_e32 v39, v38, v11
	v_sub_f32_e32 v8, v8, v35
	v_sub_f32_e32 v32, v39, v38
	v_add_f32_e32 v8, v9, v8
	v_sub_f32_e32 v9, v11, v32
	v_add_f32_e32 v8, v8, v9
	v_add_f32_e32 v8, v39, v8
	v_cndmask_b32_e32 v8, 0x7f800000, v8, vcc_lo
	v_cmp_gt_f32_e64 vcc_lo, 0x33800000, |v10|
	v_cndmask_b32_e32 v8, v8, v10, vcc_lo
	v_add_f32_e32 v8, v7, v8
.LBB511_53:
	s_or_b32 exec_lo, exec_lo, s13
	v_bfe_u32 v7, v8, 16, 1
	v_mov_b32_e32 v9, 16
	v_cmp_o_f32_e32 vcc_lo, v8, v8
	v_add3_u32 v7, v8, v7, 0x7fff
	v_lshlrev_b32_sdwa v32, v9, v6 dst_sel:DWORD dst_unused:UNUSED_PAD src0_sel:DWORD src1_sel:WORD_1
	v_and_b32_e32 v7, 0xffff0000, v7
	v_max_f32_e32 v35, v32, v32
	v_cmp_u_f32_e64 s13, v32, v32
	v_cndmask_b32_e32 v8, 0x7fc00000, v7, vcc_lo
	v_max_f32_e32 v7, v8, v8
	v_cmp_u_f32_e32 vcc_lo, v8, v8
	v_min_f32_e32 v9, v7, v35
	v_max_f32_e32 v7, v7, v35
	v_cndmask_b32_e32 v9, v9, v8, vcc_lo
	v_cndmask_b32_e32 v7, v7, v8, vcc_lo
	v_cndmask_b32_e64 v9, v9, v32, s13
	v_cndmask_b32_e64 v7, v7, v32, s13
	v_cmp_class_f32_e64 s15, v9, 0x1f8
	v_cmp_neq_f32_e32 vcc_lo, v9, v7
	s_or_b32 s16, vcc_lo, s15
	s_and_saveexec_b32 s15, s16
	s_cbranch_execz .LBB511_55
; %bb.54:
	v_sub_f32_e32 v8, v9, v7
	s_mov_b32 s16, 0x3e9b6dac
	v_mul_f32_e32 v9, 0x3fb8aa3b, v8
	v_cmp_ngt_f32_e32 vcc_lo, 0xc2ce8ed0, v8
	v_fma_f32 v10, 0x3fb8aa3b, v8, -v9
	v_rndne_f32_e32 v11, v9
	v_fmamk_f32 v10, v8, 0x32a5705f, v10
	v_sub_f32_e32 v9, v9, v11
	v_add_f32_e32 v9, v9, v10
	v_cvt_i32_f32_e32 v10, v11
	v_exp_f32_e32 v9, v9
	v_ldexp_f32 v9, v9, v10
	v_cndmask_b32_e32 v9, 0, v9, vcc_lo
	v_cmp_nlt_f32_e32 vcc_lo, 0x42b17218, v8
	v_cndmask_b32_e32 v10, 0x7f800000, v9, vcc_lo
	v_add_f32_e32 v11, 1.0, v10
	v_cvt_f64_f32_e32 v[8:9], v11
	v_frexp_exp_i32_f64_e32 v8, v[8:9]
	v_frexp_mant_f32_e32 v9, v11
	v_cmp_gt_f32_e32 vcc_lo, 0x3f2aaaab, v9
	v_add_f32_e32 v9, -1.0, v11
	v_sub_f32_e32 v39, v9, v11
	v_sub_f32_e32 v9, v10, v9
	v_add_f32_e32 v39, 1.0, v39
	v_add_f32_e32 v9, v9, v39
	v_subrev_co_ci_u32_e64 v8, null, 0, v8, vcc_lo
	v_cmp_neq_f32_e32 vcc_lo, 0x7f800000, v10
	v_sub_nc_u32_e32 v38, 0, v8
	v_cvt_f32_i32_e32 v8, v8
	v_ldexp_f32 v11, v11, v38
	v_ldexp_f32 v9, v9, v38
	v_add_f32_e32 v40, 1.0, v11
	v_add_f32_e32 v38, -1.0, v11
	v_add_f32_e32 v39, -1.0, v40
	v_add_f32_e32 v41, 1.0, v38
	v_sub_f32_e32 v39, v11, v39
	v_sub_f32_e32 v11, v11, v41
	v_add_f32_e32 v39, v9, v39
	v_add_f32_e32 v9, v9, v11
	;; [unrolled: 1-line block ×4, first 2 shown]
	v_rcp_f32_e32 v11, v41
	v_sub_f32_e32 v40, v40, v41
	v_sub_f32_e32 v38, v38, v42
	v_add_f32_e32 v39, v39, v40
	v_add_f32_e32 v9, v9, v38
	v_mul_f32_e32 v43, v42, v11
	v_mul_f32_e32 v44, v41, v43
	v_fma_f32 v40, v43, v41, -v44
	v_fmac_f32_e32 v40, v43, v39
	v_add_f32_e32 v45, v44, v40
	v_sub_f32_e32 v46, v42, v45
	v_sub_f32_e32 v38, v45, v44
	v_sub_f32_e32 v42, v42, v46
	v_sub_f32_e32 v38, v38, v40
	v_sub_f32_e32 v42, v42, v45
	v_add_f32_e32 v9, v9, v42
	v_add_f32_e32 v9, v38, v9
	;; [unrolled: 1-line block ×3, first 2 shown]
	v_mul_f32_e32 v40, v11, v38
	v_sub_f32_e32 v45, v46, v38
	v_mul_f32_e32 v42, v41, v40
	v_add_f32_e32 v9, v9, v45
	v_fma_f32 v41, v40, v41, -v42
	v_fmac_f32_e32 v41, v40, v39
	v_add_f32_e32 v39, v42, v41
	v_sub_f32_e32 v44, v38, v39
	v_sub_f32_e32 v42, v39, v42
	;; [unrolled: 1-line block ×5, first 2 shown]
	v_add_f32_e32 v9, v9, v38
	v_add_f32_e32 v38, v43, v40
	;; [unrolled: 1-line block ×3, first 2 shown]
	v_sub_f32_e32 v39, v38, v43
	v_add_f32_e32 v9, v44, v9
	v_sub_f32_e32 v39, v40, v39
	v_mul_f32_e32 v9, v11, v9
	v_add_f32_e32 v9, v39, v9
	v_add_f32_e32 v11, v38, v9
	v_mul_f32_e32 v39, v11, v11
	v_fmaak_f32 v40, s16, v39, 0x3ecc95a3
	v_mul_f32_e32 v41, v11, v39
	v_fmaak_f32 v39, v39, v40, 0x3f2aaada
	v_ldexp_f32 v40, v11, 1
	v_sub_f32_e32 v11, v11, v38
	v_mul_f32_e32 v39, v41, v39
	v_mul_f32_e32 v41, 0x3f317218, v8
	v_sub_f32_e32 v9, v9, v11
	v_add_f32_e32 v38, v40, v39
	v_ldexp_f32 v9, v9, 1
	v_sub_f32_e32 v11, v38, v40
	v_fma_f32 v40, 0x3f317218, v8, -v41
	v_sub_f32_e32 v11, v39, v11
	v_fmamk_f32 v8, v8, 0xb102e308, v40
	v_add_f32_e32 v9, v9, v11
	v_add_f32_e32 v11, v41, v8
	;; [unrolled: 1-line block ×3, first 2 shown]
	v_sub_f32_e32 v41, v11, v41
	v_add_f32_e32 v40, v11, v39
	v_sub_f32_e32 v38, v39, v38
	v_sub_f32_e32 v8, v8, v41
	;; [unrolled: 1-line block ×6, first 2 shown]
	v_add_f32_e32 v39, v8, v9
	v_sub_f32_e32 v11, v11, v43
	v_add_f32_e32 v11, v38, v11
	v_sub_f32_e32 v38, v39, v8
	;; [unrolled: 2-line block ×3, first 2 shown]
	v_sub_f32_e32 v9, v9, v38
	v_add_f32_e32 v41, v40, v11
	v_sub_f32_e32 v8, v8, v39
	v_sub_f32_e32 v38, v41, v40
	v_add_f32_e32 v8, v9, v8
	v_sub_f32_e32 v9, v11, v38
	v_add_f32_e32 v8, v8, v9
	v_add_f32_e32 v8, v41, v8
	v_cndmask_b32_e32 v8, 0x7f800000, v8, vcc_lo
	v_cmp_gt_f32_e64 vcc_lo, 0x33800000, |v10|
	v_cndmask_b32_e32 v8, v8, v10, vcc_lo
	v_add_f32_e32 v8, v7, v8
.LBB511_55:
	s_or_b32 exec_lo, exec_lo, s15
	v_bfe_u32 v7, v8, 16, 1
	v_lshrrev_b32_e32 v9, 4, v0
	v_cmp_o_f32_e32 vcc_lo, v8, v8
	v_mov_b32_e32 v10, 0x7fc0
	v_cmp_gt_u32_e64 s15, 32, v0
	v_add3_u32 v7, v8, v7, 0x7fff
	v_and_b32_e32 v8, 2, v9
	v_cndmask_b32_sdwa v38, v10, v7, vcc_lo dst_sel:DWORD dst_unused:UNUSED_PAD src0_sel:DWORD src1_sel:WORD_1
	v_lshl_add_u32 v7, v0, 1, v8
	ds_write_b16 v7, v38
	s_waitcnt lgkmcnt(0)
	s_barrier
	buffer_gl0_inv
	s_and_saveexec_b32 s17, s15
	s_cbranch_execz .LBB511_83
; %bb.56:
	v_lshrrev_b32_e32 v7, 3, v0
	v_lshlrev_b32_e32 v8, 2, v0
	v_and_b32_e32 v7, 6, v7
	v_add_nc_u32_e32 v7, v7, v8
	ds_read_u16 v8, v7 offset:2
	ds_read_u16 v9, v7
	s_waitcnt lgkmcnt(1)
	v_lshlrev_b32_e32 v10, 16, v8
	s_waitcnt lgkmcnt(0)
	v_lshlrev_b32_e32 v8, 16, v9
	v_max_f32_e32 v11, v10, v10
	v_max_f32_e32 v9, v8, v8
	v_cmp_u_f32_e64 s16, v8, v8
	v_cmp_u_f32_e32 vcc_lo, v10, v10
	v_min_f32_e32 v39, v9, v11
	v_max_f32_e32 v11, v9, v11
	v_cndmask_b32_e64 v39, v39, v8, s16
	v_cndmask_b32_e64 v11, v11, v8, s16
	v_cndmask_b32_e32 v39, v39, v10, vcc_lo
	v_cndmask_b32_e32 v10, v11, v10, vcc_lo
	v_mov_b32_e32 v11, v8
	v_cmp_class_f32_e64 s36, v39, 0x1f8
	v_cmp_neq_f32_e32 vcc_lo, v39, v10
	s_or_b32 s37, vcc_lo, s36
	s_and_saveexec_b32 s36, s37
	s_cbranch_execz .LBB511_58
; %bb.57:
	v_sub_f32_e32 v11, v39, v10
	s_mov_b32 s37, 0x3e9b6dac
	v_mul_f32_e32 v39, 0x3fb8aa3b, v11
	v_cmp_ngt_f32_e32 vcc_lo, 0xc2ce8ed0, v11
	v_fma_f32 v40, 0x3fb8aa3b, v11, -v39
	v_rndne_f32_e32 v41, v39
	v_fmamk_f32 v40, v11, 0x32a5705f, v40
	v_sub_f32_e32 v39, v39, v41
	v_add_f32_e32 v39, v39, v40
	v_cvt_i32_f32_e32 v40, v41
	v_exp_f32_e32 v39, v39
	v_ldexp_f32 v39, v39, v40
	v_cndmask_b32_e32 v39, 0, v39, vcc_lo
	v_cmp_nlt_f32_e32 vcc_lo, 0x42b17218, v11
	v_cndmask_b32_e32 v11, 0x7f800000, v39, vcc_lo
	v_add_f32_e32 v41, 1.0, v11
	v_cvt_f64_f32_e32 v[39:40], v41
	v_frexp_exp_i32_f64_e32 v39, v[39:40]
	v_frexp_mant_f32_e32 v40, v41
	v_cmp_gt_f32_e32 vcc_lo, 0x3f2aaaab, v40
	v_add_f32_e32 v40, -1.0, v41
	v_sub_f32_e32 v43, v40, v41
	v_sub_f32_e32 v40, v11, v40
	v_add_f32_e32 v43, 1.0, v43
	v_add_f32_e32 v40, v40, v43
	v_subrev_co_ci_u32_e64 v39, null, 0, v39, vcc_lo
	v_cmp_neq_f32_e32 vcc_lo, 0x7f800000, v11
	v_sub_nc_u32_e32 v42, 0, v39
	v_cvt_f32_i32_e32 v39, v39
	v_ldexp_f32 v41, v41, v42
	v_ldexp_f32 v40, v40, v42
	v_add_f32_e32 v44, 1.0, v41
	v_add_f32_e32 v42, -1.0, v41
	v_add_f32_e32 v43, -1.0, v44
	v_add_f32_e32 v45, 1.0, v42
	v_sub_f32_e32 v43, v41, v43
	v_sub_f32_e32 v41, v41, v45
	v_add_f32_e32 v43, v40, v43
	v_add_f32_e32 v40, v40, v41
	;; [unrolled: 1-line block ×4, first 2 shown]
	v_rcp_f32_e32 v41, v45
	v_sub_f32_e32 v44, v44, v45
	v_sub_f32_e32 v42, v42, v46
	v_add_f32_e32 v43, v43, v44
	v_add_f32_e32 v40, v40, v42
	v_mul_f32_e32 v47, v46, v41
	v_mul_f32_e32 v48, v45, v47
	v_fma_f32 v44, v47, v45, -v48
	v_fmac_f32_e32 v44, v47, v43
	v_add_f32_e32 v49, v48, v44
	v_sub_f32_e32 v50, v46, v49
	v_sub_f32_e32 v42, v49, v48
	;; [unrolled: 1-line block ×5, first 2 shown]
	v_add_f32_e32 v40, v40, v46
	v_add_f32_e32 v40, v42, v40
	v_add_f32_e32 v42, v50, v40
	v_mul_f32_e32 v44, v41, v42
	v_sub_f32_e32 v49, v50, v42
	v_mul_f32_e32 v46, v45, v44
	v_add_f32_e32 v40, v40, v49
	v_fma_f32 v45, v44, v45, -v46
	v_fmac_f32_e32 v45, v44, v43
	v_add_f32_e32 v43, v46, v45
	v_sub_f32_e32 v48, v42, v43
	v_sub_f32_e32 v46, v43, v46
	;; [unrolled: 1-line block ×5, first 2 shown]
	v_add_f32_e32 v40, v40, v42
	v_add_f32_e32 v42, v47, v44
	;; [unrolled: 1-line block ×3, first 2 shown]
	v_sub_f32_e32 v43, v42, v47
	v_add_f32_e32 v40, v48, v40
	v_sub_f32_e32 v43, v44, v43
	v_mul_f32_e32 v40, v41, v40
	v_add_f32_e32 v40, v43, v40
	v_add_f32_e32 v41, v42, v40
	v_mul_f32_e32 v43, v41, v41
	v_fmaak_f32 v44, s37, v43, 0x3ecc95a3
	v_mul_f32_e32 v45, v41, v43
	v_fmaak_f32 v43, v43, v44, 0x3f2aaada
	v_ldexp_f32 v44, v41, 1
	v_sub_f32_e32 v41, v41, v42
	v_mul_f32_e32 v43, v45, v43
	v_mul_f32_e32 v45, 0x3f317218, v39
	v_sub_f32_e32 v40, v40, v41
	v_add_f32_e32 v42, v44, v43
	v_ldexp_f32 v40, v40, 1
	v_sub_f32_e32 v41, v42, v44
	v_fma_f32 v44, 0x3f317218, v39, -v45
	v_sub_f32_e32 v41, v43, v41
	v_fmamk_f32 v39, v39, 0xb102e308, v44
	v_add_f32_e32 v40, v40, v41
	v_add_f32_e32 v41, v45, v39
	;; [unrolled: 1-line block ×3, first 2 shown]
	v_sub_f32_e32 v45, v41, v45
	v_add_f32_e32 v44, v41, v43
	v_sub_f32_e32 v42, v43, v42
	v_sub_f32_e32 v39, v39, v45
	;; [unrolled: 1-line block ×6, first 2 shown]
	v_add_f32_e32 v43, v39, v40
	v_sub_f32_e32 v41, v41, v47
	v_add_f32_e32 v41, v42, v41
	v_sub_f32_e32 v42, v43, v39
	;; [unrolled: 2-line block ×3, first 2 shown]
	v_sub_f32_e32 v40, v40, v42
	v_add_f32_e32 v45, v44, v41
	v_sub_f32_e32 v39, v39, v43
	v_sub_f32_e32 v42, v45, v44
	v_add_f32_e32 v39, v40, v39
	v_sub_f32_e32 v40, v41, v42
	v_add_f32_e32 v39, v39, v40
	v_add_f32_e32 v39, v45, v39
	v_cndmask_b32_e32 v39, 0x7f800000, v39, vcc_lo
	v_cmp_gt_f32_e64 vcc_lo, 0x33800000, |v11|
	v_cndmask_b32_e32 v11, v39, v11, vcc_lo
	v_add_f32_e32 v11, v10, v11
.LBB511_58:
	s_or_b32 exec_lo, exec_lo, s36
	v_bfe_u32 v10, v11, 16, 1
	v_cmp_o_f32_e32 vcc_lo, v11, v11
	v_mov_b32_e32 v39, 0x7fc0
	s_mov_b32 s36, exec_lo
	v_add3_u32 v10, v11, v10, 0x7fff
	v_cndmask_b32_sdwa v39, v39, v10, vcc_lo dst_sel:DWORD dst_unused:UNUSED_PAD src0_sel:DWORD src1_sel:WORD_1
	v_mbcnt_lo_u32_b32 v10, -1, 0
	v_and_b32_e32 v40, 0xffff, v39
	v_and_b32_e32 v11, 15, v10
	v_mov_b32_dpp v41, v40 row_shr:1 row_mask:0xf bank_mask:0xf
	v_cmpx_ne_u32_e32 0, v11
	s_xor_b32 s36, exec_lo, s36
	s_cbranch_execz .LBB511_62
; %bb.59:
	v_lshlrev_b32_e32 v39, 16, v40
	v_lshlrev_b32_e32 v40, 16, v41
	v_max_f32_e32 v41, v39, v39
	v_max_f32_e32 v42, v40, v40
	v_cmp_u_f32_e32 vcc_lo, v40, v40
	v_min_f32_e32 v43, v42, v41
	v_max_f32_e32 v41, v42, v41
	v_cndmask_b32_e32 v42, v43, v40, vcc_lo
	v_cndmask_b32_e32 v43, v41, v40, vcc_lo
	v_cmp_u_f32_e32 vcc_lo, v39, v39
	v_cndmask_b32_e32 v41, v42, v39, vcc_lo
	v_cndmask_b32_e32 v39, v43, v39, vcc_lo
	v_cmp_class_f32_e64 s37, v41, 0x1f8
	v_cmp_neq_f32_e32 vcc_lo, v41, v39
	s_or_b32 s38, vcc_lo, s37
	s_and_saveexec_b32 s37, s38
	s_cbranch_execz .LBB511_61
; %bb.60:
	v_sub_f32_e32 v40, v41, v39
	s_mov_b32 s38, 0x3e9b6dac
	v_mul_f32_e32 v41, 0x3fb8aa3b, v40
	v_cmp_ngt_f32_e32 vcc_lo, 0xc2ce8ed0, v40
	v_fma_f32 v42, 0x3fb8aa3b, v40, -v41
	v_rndne_f32_e32 v43, v41
	v_fmamk_f32 v42, v40, 0x32a5705f, v42
	v_sub_f32_e32 v41, v41, v43
	v_add_f32_e32 v41, v41, v42
	v_cvt_i32_f32_e32 v42, v43
	v_exp_f32_e32 v41, v41
	v_ldexp_f32 v41, v41, v42
	v_cndmask_b32_e32 v41, 0, v41, vcc_lo
	v_cmp_nlt_f32_e32 vcc_lo, 0x42b17218, v40
	v_cndmask_b32_e32 v42, 0x7f800000, v41, vcc_lo
	v_add_f32_e32 v43, 1.0, v42
	v_cvt_f64_f32_e32 v[40:41], v43
	v_frexp_exp_i32_f64_e32 v40, v[40:41]
	v_frexp_mant_f32_e32 v41, v43
	v_cmp_gt_f32_e32 vcc_lo, 0x3f2aaaab, v41
	v_add_f32_e32 v41, -1.0, v43
	v_sub_f32_e32 v45, v41, v43
	v_sub_f32_e32 v41, v42, v41
	v_add_f32_e32 v45, 1.0, v45
	v_add_f32_e32 v41, v41, v45
	v_subrev_co_ci_u32_e64 v40, null, 0, v40, vcc_lo
	v_cmp_neq_f32_e32 vcc_lo, 0x7f800000, v42
	v_sub_nc_u32_e32 v44, 0, v40
	v_cvt_f32_i32_e32 v40, v40
	v_ldexp_f32 v43, v43, v44
	v_ldexp_f32 v41, v41, v44
	v_add_f32_e32 v46, 1.0, v43
	v_add_f32_e32 v44, -1.0, v43
	v_add_f32_e32 v45, -1.0, v46
	v_add_f32_e32 v47, 1.0, v44
	v_sub_f32_e32 v45, v43, v45
	v_sub_f32_e32 v43, v43, v47
	v_add_f32_e32 v45, v41, v45
	v_add_f32_e32 v41, v41, v43
	;; [unrolled: 1-line block ×4, first 2 shown]
	v_rcp_f32_e32 v43, v47
	v_sub_f32_e32 v46, v46, v47
	v_sub_f32_e32 v44, v44, v48
	v_add_f32_e32 v45, v45, v46
	v_add_f32_e32 v41, v41, v44
	v_mul_f32_e32 v49, v48, v43
	v_mul_f32_e32 v50, v47, v49
	v_fma_f32 v46, v49, v47, -v50
	v_fmac_f32_e32 v46, v49, v45
	v_add_f32_e32 v51, v50, v46
	v_sub_f32_e32 v52, v48, v51
	v_sub_f32_e32 v44, v51, v50
	;; [unrolled: 1-line block ×5, first 2 shown]
	v_add_f32_e32 v41, v41, v48
	v_add_f32_e32 v41, v44, v41
	;; [unrolled: 1-line block ×3, first 2 shown]
	v_mul_f32_e32 v46, v43, v44
	v_sub_f32_e32 v51, v52, v44
	v_mul_f32_e32 v48, v47, v46
	v_add_f32_e32 v41, v41, v51
	v_fma_f32 v47, v46, v47, -v48
	v_fmac_f32_e32 v47, v46, v45
	v_add_f32_e32 v45, v48, v47
	v_sub_f32_e32 v50, v44, v45
	v_sub_f32_e32 v48, v45, v48
	;; [unrolled: 1-line block ×5, first 2 shown]
	v_add_f32_e32 v41, v41, v44
	v_add_f32_e32 v44, v49, v46
	;; [unrolled: 1-line block ×3, first 2 shown]
	v_sub_f32_e32 v45, v44, v49
	v_add_f32_e32 v41, v50, v41
	v_sub_f32_e32 v45, v46, v45
	v_mul_f32_e32 v41, v43, v41
	v_add_f32_e32 v41, v45, v41
	v_add_f32_e32 v43, v44, v41
	v_mul_f32_e32 v45, v43, v43
	v_fmaak_f32 v46, s38, v45, 0x3ecc95a3
	v_mul_f32_e32 v47, v43, v45
	v_fmaak_f32 v45, v45, v46, 0x3f2aaada
	v_ldexp_f32 v46, v43, 1
	v_sub_f32_e32 v43, v43, v44
	v_mul_f32_e32 v45, v47, v45
	v_mul_f32_e32 v47, 0x3f317218, v40
	v_sub_f32_e32 v41, v41, v43
	v_add_f32_e32 v44, v46, v45
	v_ldexp_f32 v41, v41, 1
	v_sub_f32_e32 v43, v44, v46
	v_fma_f32 v46, 0x3f317218, v40, -v47
	v_sub_f32_e32 v43, v45, v43
	v_fmamk_f32 v40, v40, 0xb102e308, v46
	v_add_f32_e32 v41, v41, v43
	v_add_f32_e32 v43, v47, v40
	;; [unrolled: 1-line block ×3, first 2 shown]
	v_sub_f32_e32 v47, v43, v47
	v_add_f32_e32 v46, v43, v45
	v_sub_f32_e32 v44, v45, v44
	v_sub_f32_e32 v40, v40, v47
	;; [unrolled: 1-line block ×6, first 2 shown]
	v_add_f32_e32 v45, v40, v41
	v_sub_f32_e32 v43, v43, v49
	v_add_f32_e32 v43, v44, v43
	v_sub_f32_e32 v44, v45, v40
	;; [unrolled: 2-line block ×3, first 2 shown]
	v_sub_f32_e32 v41, v41, v44
	v_add_f32_e32 v47, v46, v43
	v_sub_f32_e32 v40, v40, v45
	v_sub_f32_e32 v44, v47, v46
	v_add_f32_e32 v40, v41, v40
	v_sub_f32_e32 v41, v43, v44
	v_add_f32_e32 v40, v40, v41
	v_add_f32_e32 v40, v47, v40
	v_cndmask_b32_e32 v40, 0x7f800000, v40, vcc_lo
	v_cmp_gt_f32_e64 vcc_lo, 0x33800000, |v42|
	v_cndmask_b32_e32 v40, v40, v42, vcc_lo
	v_add_f32_e32 v40, v39, v40
.LBB511_61:
	s_or_b32 exec_lo, exec_lo, s37
	v_bfe_u32 v39, v40, 16, 1
	v_cmp_o_f32_e32 vcc_lo, v40, v40
	v_add3_u32 v39, v40, v39, 0x7fff
	v_mov_b32_e32 v40, 0x7fc0
	v_cndmask_b32_sdwa v39, v40, v39, vcc_lo dst_sel:DWORD dst_unused:UNUSED_PAD src0_sel:DWORD src1_sel:WORD_1
	v_and_b32_e32 v40, 0xffff, v39
.LBB511_62:
	s_or_b32 exec_lo, exec_lo, s36
	v_mov_b32_dpp v41, v40 row_shr:2 row_mask:0xf bank_mask:0xf
	s_mov_b32 s36, exec_lo
	v_cmpx_lt_u32_e32 1, v11
	s_cbranch_execz .LBB511_66
; %bb.63:
	v_lshlrev_b32_e32 v39, 16, v40
	v_lshlrev_b32_e32 v40, 16, v41
	v_max_f32_e32 v41, v39, v39
	v_max_f32_e32 v42, v40, v40
	v_cmp_u_f32_e32 vcc_lo, v40, v40
	v_min_f32_e32 v43, v42, v41
	v_max_f32_e32 v41, v42, v41
	v_cndmask_b32_e32 v42, v43, v40, vcc_lo
	v_cndmask_b32_e32 v43, v41, v40, vcc_lo
	v_cmp_u_f32_e32 vcc_lo, v39, v39
	v_cndmask_b32_e32 v41, v42, v39, vcc_lo
	v_cndmask_b32_e32 v39, v43, v39, vcc_lo
	v_cmp_class_f32_e64 s37, v41, 0x1f8
	v_cmp_neq_f32_e32 vcc_lo, v41, v39
	s_or_b32 s38, vcc_lo, s37
	s_and_saveexec_b32 s37, s38
	s_cbranch_execz .LBB511_65
; %bb.64:
	v_sub_f32_e32 v40, v41, v39
	s_mov_b32 s38, 0x3e9b6dac
	v_mul_f32_e32 v41, 0x3fb8aa3b, v40
	v_cmp_ngt_f32_e32 vcc_lo, 0xc2ce8ed0, v40
	v_fma_f32 v42, 0x3fb8aa3b, v40, -v41
	v_rndne_f32_e32 v43, v41
	v_fmamk_f32 v42, v40, 0x32a5705f, v42
	v_sub_f32_e32 v41, v41, v43
	v_add_f32_e32 v41, v41, v42
	v_cvt_i32_f32_e32 v42, v43
	v_exp_f32_e32 v41, v41
	v_ldexp_f32 v41, v41, v42
	v_cndmask_b32_e32 v41, 0, v41, vcc_lo
	v_cmp_nlt_f32_e32 vcc_lo, 0x42b17218, v40
	v_cndmask_b32_e32 v42, 0x7f800000, v41, vcc_lo
	v_add_f32_e32 v43, 1.0, v42
	v_cvt_f64_f32_e32 v[40:41], v43
	v_frexp_exp_i32_f64_e32 v40, v[40:41]
	v_frexp_mant_f32_e32 v41, v43
	v_cmp_gt_f32_e32 vcc_lo, 0x3f2aaaab, v41
	v_add_f32_e32 v41, -1.0, v43
	v_sub_f32_e32 v45, v41, v43
	v_sub_f32_e32 v41, v42, v41
	v_add_f32_e32 v45, 1.0, v45
	v_add_f32_e32 v41, v41, v45
	v_subrev_co_ci_u32_e64 v40, null, 0, v40, vcc_lo
	v_cmp_neq_f32_e32 vcc_lo, 0x7f800000, v42
	v_sub_nc_u32_e32 v44, 0, v40
	v_cvt_f32_i32_e32 v40, v40
	v_ldexp_f32 v43, v43, v44
	v_ldexp_f32 v41, v41, v44
	v_add_f32_e32 v46, 1.0, v43
	v_add_f32_e32 v44, -1.0, v43
	v_add_f32_e32 v45, -1.0, v46
	v_add_f32_e32 v47, 1.0, v44
	v_sub_f32_e32 v45, v43, v45
	v_sub_f32_e32 v43, v43, v47
	v_add_f32_e32 v45, v41, v45
	v_add_f32_e32 v41, v41, v43
	;; [unrolled: 1-line block ×4, first 2 shown]
	v_rcp_f32_e32 v43, v47
	v_sub_f32_e32 v46, v46, v47
	v_sub_f32_e32 v44, v44, v48
	v_add_f32_e32 v45, v45, v46
	v_add_f32_e32 v41, v41, v44
	v_mul_f32_e32 v49, v48, v43
	v_mul_f32_e32 v50, v47, v49
	v_fma_f32 v46, v49, v47, -v50
	v_fmac_f32_e32 v46, v49, v45
	v_add_f32_e32 v51, v50, v46
	v_sub_f32_e32 v52, v48, v51
	v_sub_f32_e32 v44, v51, v50
	;; [unrolled: 1-line block ×5, first 2 shown]
	v_add_f32_e32 v41, v41, v48
	v_add_f32_e32 v41, v44, v41
	v_add_f32_e32 v44, v52, v41
	v_mul_f32_e32 v46, v43, v44
	v_sub_f32_e32 v51, v52, v44
	v_mul_f32_e32 v48, v47, v46
	v_add_f32_e32 v41, v41, v51
	v_fma_f32 v47, v46, v47, -v48
	v_fmac_f32_e32 v47, v46, v45
	v_add_f32_e32 v45, v48, v47
	v_sub_f32_e32 v50, v44, v45
	v_sub_f32_e32 v48, v45, v48
	;; [unrolled: 1-line block ×5, first 2 shown]
	v_add_f32_e32 v41, v41, v44
	v_add_f32_e32 v44, v49, v46
	;; [unrolled: 1-line block ×3, first 2 shown]
	v_sub_f32_e32 v45, v44, v49
	v_add_f32_e32 v41, v50, v41
	v_sub_f32_e32 v45, v46, v45
	v_mul_f32_e32 v41, v43, v41
	v_add_f32_e32 v41, v45, v41
	v_add_f32_e32 v43, v44, v41
	v_mul_f32_e32 v45, v43, v43
	v_fmaak_f32 v46, s38, v45, 0x3ecc95a3
	v_mul_f32_e32 v47, v43, v45
	v_fmaak_f32 v45, v45, v46, 0x3f2aaada
	v_ldexp_f32 v46, v43, 1
	v_sub_f32_e32 v43, v43, v44
	v_mul_f32_e32 v45, v47, v45
	v_mul_f32_e32 v47, 0x3f317218, v40
	v_sub_f32_e32 v41, v41, v43
	v_add_f32_e32 v44, v46, v45
	v_ldexp_f32 v41, v41, 1
	v_sub_f32_e32 v43, v44, v46
	v_fma_f32 v46, 0x3f317218, v40, -v47
	v_sub_f32_e32 v43, v45, v43
	v_fmamk_f32 v40, v40, 0xb102e308, v46
	v_add_f32_e32 v41, v41, v43
	v_add_f32_e32 v43, v47, v40
	;; [unrolled: 1-line block ×3, first 2 shown]
	v_sub_f32_e32 v47, v43, v47
	v_add_f32_e32 v46, v43, v45
	v_sub_f32_e32 v44, v45, v44
	v_sub_f32_e32 v40, v40, v47
	;; [unrolled: 1-line block ×6, first 2 shown]
	v_add_f32_e32 v45, v40, v41
	v_sub_f32_e32 v43, v43, v49
	v_add_f32_e32 v43, v44, v43
	v_sub_f32_e32 v44, v45, v40
	;; [unrolled: 2-line block ×3, first 2 shown]
	v_sub_f32_e32 v41, v41, v44
	v_add_f32_e32 v47, v46, v43
	v_sub_f32_e32 v40, v40, v45
	v_sub_f32_e32 v44, v47, v46
	v_add_f32_e32 v40, v41, v40
	v_sub_f32_e32 v41, v43, v44
	v_add_f32_e32 v40, v40, v41
	v_add_f32_e32 v40, v47, v40
	v_cndmask_b32_e32 v40, 0x7f800000, v40, vcc_lo
	v_cmp_gt_f32_e64 vcc_lo, 0x33800000, |v42|
	v_cndmask_b32_e32 v40, v40, v42, vcc_lo
	v_add_f32_e32 v40, v39, v40
.LBB511_65:
	s_or_b32 exec_lo, exec_lo, s37
	v_bfe_u32 v39, v40, 16, 1
	v_cmp_o_f32_e32 vcc_lo, v40, v40
	v_add3_u32 v39, v40, v39, 0x7fff
	v_mov_b32_e32 v40, 0x7fc0
	v_cndmask_b32_sdwa v39, v40, v39, vcc_lo dst_sel:DWORD dst_unused:UNUSED_PAD src0_sel:DWORD src1_sel:WORD_1
	v_and_b32_e32 v40, 0xffff, v39
.LBB511_66:
	s_or_b32 exec_lo, exec_lo, s36
	v_mov_b32_dpp v41, v40 row_shr:4 row_mask:0xf bank_mask:0xf
	s_mov_b32 s36, exec_lo
	v_cmpx_lt_u32_e32 3, v11
	s_cbranch_execz .LBB511_70
; %bb.67:
	v_lshlrev_b32_e32 v39, 16, v40
	v_lshlrev_b32_e32 v40, 16, v41
	v_max_f32_e32 v41, v39, v39
	v_max_f32_e32 v42, v40, v40
	v_cmp_u_f32_e32 vcc_lo, v40, v40
	v_min_f32_e32 v43, v42, v41
	v_max_f32_e32 v41, v42, v41
	v_cndmask_b32_e32 v42, v43, v40, vcc_lo
	v_cndmask_b32_e32 v43, v41, v40, vcc_lo
	v_cmp_u_f32_e32 vcc_lo, v39, v39
	v_cndmask_b32_e32 v41, v42, v39, vcc_lo
	v_cndmask_b32_e32 v39, v43, v39, vcc_lo
	v_cmp_class_f32_e64 s37, v41, 0x1f8
	v_cmp_neq_f32_e32 vcc_lo, v41, v39
	s_or_b32 s38, vcc_lo, s37
	s_and_saveexec_b32 s37, s38
	s_cbranch_execz .LBB511_69
; %bb.68:
	v_sub_f32_e32 v40, v41, v39
	s_mov_b32 s38, 0x3e9b6dac
	v_mul_f32_e32 v41, 0x3fb8aa3b, v40
	v_cmp_ngt_f32_e32 vcc_lo, 0xc2ce8ed0, v40
	v_fma_f32 v42, 0x3fb8aa3b, v40, -v41
	v_rndne_f32_e32 v43, v41
	v_fmamk_f32 v42, v40, 0x32a5705f, v42
	v_sub_f32_e32 v41, v41, v43
	v_add_f32_e32 v41, v41, v42
	v_cvt_i32_f32_e32 v42, v43
	v_exp_f32_e32 v41, v41
	v_ldexp_f32 v41, v41, v42
	v_cndmask_b32_e32 v41, 0, v41, vcc_lo
	v_cmp_nlt_f32_e32 vcc_lo, 0x42b17218, v40
	v_cndmask_b32_e32 v42, 0x7f800000, v41, vcc_lo
	v_add_f32_e32 v43, 1.0, v42
	v_cvt_f64_f32_e32 v[40:41], v43
	v_frexp_exp_i32_f64_e32 v40, v[40:41]
	v_frexp_mant_f32_e32 v41, v43
	v_cmp_gt_f32_e32 vcc_lo, 0x3f2aaaab, v41
	v_add_f32_e32 v41, -1.0, v43
	v_sub_f32_e32 v45, v41, v43
	v_sub_f32_e32 v41, v42, v41
	v_add_f32_e32 v45, 1.0, v45
	v_add_f32_e32 v41, v41, v45
	v_subrev_co_ci_u32_e64 v40, null, 0, v40, vcc_lo
	v_cmp_neq_f32_e32 vcc_lo, 0x7f800000, v42
	v_sub_nc_u32_e32 v44, 0, v40
	v_cvt_f32_i32_e32 v40, v40
	v_ldexp_f32 v43, v43, v44
	v_ldexp_f32 v41, v41, v44
	v_add_f32_e32 v46, 1.0, v43
	v_add_f32_e32 v44, -1.0, v43
	v_add_f32_e32 v45, -1.0, v46
	v_add_f32_e32 v47, 1.0, v44
	v_sub_f32_e32 v45, v43, v45
	v_sub_f32_e32 v43, v43, v47
	v_add_f32_e32 v45, v41, v45
	v_add_f32_e32 v41, v41, v43
	;; [unrolled: 1-line block ×4, first 2 shown]
	v_rcp_f32_e32 v43, v47
	v_sub_f32_e32 v46, v46, v47
	v_sub_f32_e32 v44, v44, v48
	v_add_f32_e32 v45, v45, v46
	v_add_f32_e32 v41, v41, v44
	v_mul_f32_e32 v49, v48, v43
	v_mul_f32_e32 v50, v47, v49
	v_fma_f32 v46, v49, v47, -v50
	v_fmac_f32_e32 v46, v49, v45
	v_add_f32_e32 v51, v50, v46
	v_sub_f32_e32 v52, v48, v51
	v_sub_f32_e32 v44, v51, v50
	;; [unrolled: 1-line block ×5, first 2 shown]
	v_add_f32_e32 v41, v41, v48
	v_add_f32_e32 v41, v44, v41
	;; [unrolled: 1-line block ×3, first 2 shown]
	v_mul_f32_e32 v46, v43, v44
	v_sub_f32_e32 v51, v52, v44
	v_mul_f32_e32 v48, v47, v46
	v_add_f32_e32 v41, v41, v51
	v_fma_f32 v47, v46, v47, -v48
	v_fmac_f32_e32 v47, v46, v45
	v_add_f32_e32 v45, v48, v47
	v_sub_f32_e32 v50, v44, v45
	v_sub_f32_e32 v48, v45, v48
	v_sub_f32_e32 v44, v44, v50
	v_sub_f32_e32 v44, v44, v45
	v_sub_f32_e32 v45, v48, v47
	v_add_f32_e32 v41, v41, v44
	v_add_f32_e32 v44, v49, v46
	;; [unrolled: 1-line block ×3, first 2 shown]
	v_sub_f32_e32 v45, v44, v49
	v_add_f32_e32 v41, v50, v41
	v_sub_f32_e32 v45, v46, v45
	v_mul_f32_e32 v41, v43, v41
	v_add_f32_e32 v41, v45, v41
	v_add_f32_e32 v43, v44, v41
	v_mul_f32_e32 v45, v43, v43
	v_fmaak_f32 v46, s38, v45, 0x3ecc95a3
	v_mul_f32_e32 v47, v43, v45
	v_fmaak_f32 v45, v45, v46, 0x3f2aaada
	v_ldexp_f32 v46, v43, 1
	v_sub_f32_e32 v43, v43, v44
	v_mul_f32_e32 v45, v47, v45
	v_mul_f32_e32 v47, 0x3f317218, v40
	v_sub_f32_e32 v41, v41, v43
	v_add_f32_e32 v44, v46, v45
	v_ldexp_f32 v41, v41, 1
	v_sub_f32_e32 v43, v44, v46
	v_fma_f32 v46, 0x3f317218, v40, -v47
	v_sub_f32_e32 v43, v45, v43
	v_fmamk_f32 v40, v40, 0xb102e308, v46
	v_add_f32_e32 v41, v41, v43
	v_add_f32_e32 v43, v47, v40
	;; [unrolled: 1-line block ×3, first 2 shown]
	v_sub_f32_e32 v47, v43, v47
	v_add_f32_e32 v46, v43, v45
	v_sub_f32_e32 v44, v45, v44
	v_sub_f32_e32 v40, v40, v47
	;; [unrolled: 1-line block ×6, first 2 shown]
	v_add_f32_e32 v45, v40, v41
	v_sub_f32_e32 v43, v43, v49
	v_add_f32_e32 v43, v44, v43
	v_sub_f32_e32 v44, v45, v40
	;; [unrolled: 2-line block ×3, first 2 shown]
	v_sub_f32_e32 v41, v41, v44
	v_add_f32_e32 v47, v46, v43
	v_sub_f32_e32 v40, v40, v45
	v_sub_f32_e32 v44, v47, v46
	v_add_f32_e32 v40, v41, v40
	v_sub_f32_e32 v41, v43, v44
	v_add_f32_e32 v40, v40, v41
	v_add_f32_e32 v40, v47, v40
	v_cndmask_b32_e32 v40, 0x7f800000, v40, vcc_lo
	v_cmp_gt_f32_e64 vcc_lo, 0x33800000, |v42|
	v_cndmask_b32_e32 v40, v40, v42, vcc_lo
	v_add_f32_e32 v40, v39, v40
.LBB511_69:
	s_or_b32 exec_lo, exec_lo, s37
	v_bfe_u32 v39, v40, 16, 1
	v_cmp_o_f32_e32 vcc_lo, v40, v40
	v_add3_u32 v39, v40, v39, 0x7fff
	v_mov_b32_e32 v40, 0x7fc0
	v_cndmask_b32_sdwa v39, v40, v39, vcc_lo dst_sel:DWORD dst_unused:UNUSED_PAD src0_sel:DWORD src1_sel:WORD_1
	v_and_b32_e32 v40, 0xffff, v39
.LBB511_70:
	s_or_b32 exec_lo, exec_lo, s36
	v_mov_b32_dpp v41, v40 row_shr:8 row_mask:0xf bank_mask:0xf
	s_mov_b32 s36, exec_lo
	v_cmpx_lt_u32_e32 7, v11
	s_cbranch_execz .LBB511_74
; %bb.71:
	v_lshlrev_b32_e32 v11, 16, v40
	v_lshlrev_b32_e32 v39, 16, v41
	v_max_f32_e32 v40, v11, v11
	v_max_f32_e32 v41, v39, v39
	v_cmp_u_f32_e32 vcc_lo, v39, v39
	v_min_f32_e32 v42, v41, v40
	v_max_f32_e32 v40, v41, v40
	v_cndmask_b32_e32 v41, v42, v39, vcc_lo
	v_cndmask_b32_e32 v42, v40, v39, vcc_lo
	v_cmp_u_f32_e32 vcc_lo, v11, v11
	v_cndmask_b32_e32 v40, v41, v11, vcc_lo
	v_cndmask_b32_e32 v11, v42, v11, vcc_lo
	v_cmp_class_f32_e64 s37, v40, 0x1f8
	v_cmp_neq_f32_e32 vcc_lo, v40, v11
	s_or_b32 s38, vcc_lo, s37
	s_and_saveexec_b32 s37, s38
	s_cbranch_execz .LBB511_73
; %bb.72:
	v_sub_f32_e32 v39, v40, v11
	s_mov_b32 s38, 0x3e9b6dac
	v_mul_f32_e32 v40, 0x3fb8aa3b, v39
	v_cmp_ngt_f32_e32 vcc_lo, 0xc2ce8ed0, v39
	v_fma_f32 v41, 0x3fb8aa3b, v39, -v40
	v_rndne_f32_e32 v42, v40
	v_fmamk_f32 v41, v39, 0x32a5705f, v41
	v_sub_f32_e32 v40, v40, v42
	v_add_f32_e32 v40, v40, v41
	v_cvt_i32_f32_e32 v41, v42
	v_exp_f32_e32 v40, v40
	v_ldexp_f32 v40, v40, v41
	v_cndmask_b32_e32 v40, 0, v40, vcc_lo
	v_cmp_nlt_f32_e32 vcc_lo, 0x42b17218, v39
	v_cndmask_b32_e32 v41, 0x7f800000, v40, vcc_lo
	v_add_f32_e32 v42, 1.0, v41
	v_cvt_f64_f32_e32 v[39:40], v42
	v_frexp_exp_i32_f64_e32 v39, v[39:40]
	v_frexp_mant_f32_e32 v40, v42
	v_cmp_gt_f32_e32 vcc_lo, 0x3f2aaaab, v40
	v_add_f32_e32 v40, -1.0, v42
	v_sub_f32_e32 v44, v40, v42
	v_sub_f32_e32 v40, v41, v40
	v_add_f32_e32 v44, 1.0, v44
	v_add_f32_e32 v40, v40, v44
	v_subrev_co_ci_u32_e64 v39, null, 0, v39, vcc_lo
	v_cmp_neq_f32_e32 vcc_lo, 0x7f800000, v41
	v_sub_nc_u32_e32 v43, 0, v39
	v_cvt_f32_i32_e32 v39, v39
	v_ldexp_f32 v42, v42, v43
	v_ldexp_f32 v40, v40, v43
	v_add_f32_e32 v45, 1.0, v42
	v_add_f32_e32 v43, -1.0, v42
	v_add_f32_e32 v44, -1.0, v45
	v_add_f32_e32 v46, 1.0, v43
	v_sub_f32_e32 v44, v42, v44
	v_sub_f32_e32 v42, v42, v46
	v_add_f32_e32 v44, v40, v44
	v_add_f32_e32 v40, v40, v42
	;; [unrolled: 1-line block ×4, first 2 shown]
	v_rcp_f32_e32 v42, v46
	v_sub_f32_e32 v45, v45, v46
	v_sub_f32_e32 v43, v43, v47
	v_add_f32_e32 v44, v44, v45
	v_add_f32_e32 v40, v40, v43
	v_mul_f32_e32 v48, v47, v42
	v_mul_f32_e32 v49, v46, v48
	v_fma_f32 v45, v48, v46, -v49
	v_fmac_f32_e32 v45, v48, v44
	v_add_f32_e32 v50, v49, v45
	v_sub_f32_e32 v51, v47, v50
	v_sub_f32_e32 v43, v50, v49
	;; [unrolled: 1-line block ×5, first 2 shown]
	v_add_f32_e32 v40, v40, v47
	v_add_f32_e32 v40, v43, v40
	;; [unrolled: 1-line block ×3, first 2 shown]
	v_mul_f32_e32 v45, v42, v43
	v_sub_f32_e32 v50, v51, v43
	v_mul_f32_e32 v47, v46, v45
	v_add_f32_e32 v40, v40, v50
	v_fma_f32 v46, v45, v46, -v47
	v_fmac_f32_e32 v46, v45, v44
	v_add_f32_e32 v44, v47, v46
	v_sub_f32_e32 v49, v43, v44
	v_sub_f32_e32 v47, v44, v47
	;; [unrolled: 1-line block ×5, first 2 shown]
	v_add_f32_e32 v40, v40, v43
	v_add_f32_e32 v43, v48, v45
	;; [unrolled: 1-line block ×3, first 2 shown]
	v_sub_f32_e32 v44, v43, v48
	v_add_f32_e32 v40, v49, v40
	v_sub_f32_e32 v44, v45, v44
	v_mul_f32_e32 v40, v42, v40
	v_add_f32_e32 v40, v44, v40
	v_add_f32_e32 v42, v43, v40
	v_mul_f32_e32 v44, v42, v42
	v_fmaak_f32 v45, s38, v44, 0x3ecc95a3
	v_mul_f32_e32 v46, v42, v44
	v_fmaak_f32 v44, v44, v45, 0x3f2aaada
	v_ldexp_f32 v45, v42, 1
	v_sub_f32_e32 v42, v42, v43
	v_mul_f32_e32 v44, v46, v44
	v_mul_f32_e32 v46, 0x3f317218, v39
	v_sub_f32_e32 v40, v40, v42
	v_add_f32_e32 v43, v45, v44
	v_ldexp_f32 v40, v40, 1
	v_sub_f32_e32 v42, v43, v45
	v_fma_f32 v45, 0x3f317218, v39, -v46
	v_sub_f32_e32 v42, v44, v42
	v_fmamk_f32 v39, v39, 0xb102e308, v45
	v_add_f32_e32 v40, v40, v42
	v_add_f32_e32 v42, v46, v39
	;; [unrolled: 1-line block ×3, first 2 shown]
	v_sub_f32_e32 v46, v42, v46
	v_add_f32_e32 v45, v42, v44
	v_sub_f32_e32 v43, v44, v43
	v_sub_f32_e32 v39, v39, v46
	;; [unrolled: 1-line block ×6, first 2 shown]
	v_add_f32_e32 v44, v39, v40
	v_sub_f32_e32 v42, v42, v48
	v_add_f32_e32 v42, v43, v42
	v_sub_f32_e32 v43, v44, v39
	;; [unrolled: 2-line block ×3, first 2 shown]
	v_sub_f32_e32 v40, v40, v43
	v_add_f32_e32 v46, v45, v42
	v_sub_f32_e32 v39, v39, v44
	v_sub_f32_e32 v43, v46, v45
	v_add_f32_e32 v39, v40, v39
	v_sub_f32_e32 v40, v42, v43
	v_add_f32_e32 v39, v39, v40
	v_add_f32_e32 v39, v46, v39
	v_cndmask_b32_e32 v39, 0x7f800000, v39, vcc_lo
	v_cmp_gt_f32_e64 vcc_lo, 0x33800000, |v41|
	v_cndmask_b32_e32 v39, v39, v41, vcc_lo
	v_add_f32_e32 v39, v11, v39
.LBB511_73:
	s_or_b32 exec_lo, exec_lo, s37
	v_bfe_u32 v11, v39, 16, 1
	v_cmp_o_f32_e32 vcc_lo, v39, v39
	v_add3_u32 v11, v39, v11, 0x7fff
	v_mov_b32_e32 v39, 0x7fc0
	v_cndmask_b32_sdwa v39, v39, v11, vcc_lo dst_sel:DWORD dst_unused:UNUSED_PAD src0_sel:DWORD src1_sel:WORD_1
	v_and_b32_e32 v40, 0xffff, v39
.LBB511_74:
	s_or_b32 exec_lo, exec_lo, s36
	ds_swizzle_b32 v11, v40 offset:swizzle(BROADCAST,32,15)
	v_and_b32_e32 v41, 16, v10
	s_mov_b32 s36, exec_lo
	v_cmpx_ne_u32_e32 0, v41
	s_cbranch_execz .LBB511_78
; %bb.75:
	v_lshlrev_b32_e32 v41, 16, v40
	s_waitcnt lgkmcnt(0)
	v_lshlrev_b32_e32 v39, 16, v11
	v_max_f32_e32 v11, v41, v41
	v_max_f32_e32 v40, v39, v39
	v_cmp_u_f32_e32 vcc_lo, v39, v39
	v_min_f32_e32 v42, v40, v11
	v_max_f32_e32 v11, v40, v11
	v_cndmask_b32_e32 v40, v42, v39, vcc_lo
	v_cndmask_b32_e32 v11, v11, v39, vcc_lo
	v_cmp_u_f32_e32 vcc_lo, v41, v41
	v_cndmask_b32_e32 v40, v40, v41, vcc_lo
	v_cndmask_b32_e32 v11, v11, v41, vcc_lo
	v_cmp_class_f32_e64 s37, v40, 0x1f8
	v_cmp_neq_f32_e32 vcc_lo, v40, v11
	s_or_b32 s38, vcc_lo, s37
	s_and_saveexec_b32 s37, s38
	s_cbranch_execz .LBB511_77
; %bb.76:
	v_sub_f32_e32 v39, v40, v11
	s_mov_b32 s38, 0x3e9b6dac
	v_mul_f32_e32 v40, 0x3fb8aa3b, v39
	v_cmp_ngt_f32_e32 vcc_lo, 0xc2ce8ed0, v39
	v_fma_f32 v41, 0x3fb8aa3b, v39, -v40
	v_rndne_f32_e32 v42, v40
	v_fmamk_f32 v41, v39, 0x32a5705f, v41
	v_sub_f32_e32 v40, v40, v42
	v_add_f32_e32 v40, v40, v41
	v_cvt_i32_f32_e32 v41, v42
	v_exp_f32_e32 v40, v40
	v_ldexp_f32 v40, v40, v41
	v_cndmask_b32_e32 v40, 0, v40, vcc_lo
	v_cmp_nlt_f32_e32 vcc_lo, 0x42b17218, v39
	v_cndmask_b32_e32 v41, 0x7f800000, v40, vcc_lo
	v_add_f32_e32 v42, 1.0, v41
	v_cvt_f64_f32_e32 v[39:40], v42
	v_frexp_exp_i32_f64_e32 v39, v[39:40]
	v_frexp_mant_f32_e32 v40, v42
	v_cmp_gt_f32_e32 vcc_lo, 0x3f2aaaab, v40
	v_add_f32_e32 v40, -1.0, v42
	v_sub_f32_e32 v44, v40, v42
	v_sub_f32_e32 v40, v41, v40
	v_add_f32_e32 v44, 1.0, v44
	v_add_f32_e32 v40, v40, v44
	v_subrev_co_ci_u32_e64 v39, null, 0, v39, vcc_lo
	v_cmp_neq_f32_e32 vcc_lo, 0x7f800000, v41
	v_sub_nc_u32_e32 v43, 0, v39
	v_cvt_f32_i32_e32 v39, v39
	v_ldexp_f32 v42, v42, v43
	v_ldexp_f32 v40, v40, v43
	v_add_f32_e32 v45, 1.0, v42
	v_add_f32_e32 v43, -1.0, v42
	v_add_f32_e32 v44, -1.0, v45
	v_add_f32_e32 v46, 1.0, v43
	v_sub_f32_e32 v44, v42, v44
	v_sub_f32_e32 v42, v42, v46
	v_add_f32_e32 v44, v40, v44
	v_add_f32_e32 v40, v40, v42
	;; [unrolled: 1-line block ×4, first 2 shown]
	v_rcp_f32_e32 v42, v46
	v_sub_f32_e32 v45, v45, v46
	v_sub_f32_e32 v43, v43, v47
	v_add_f32_e32 v44, v44, v45
	v_add_f32_e32 v40, v40, v43
	v_mul_f32_e32 v48, v47, v42
	v_mul_f32_e32 v49, v46, v48
	v_fma_f32 v45, v48, v46, -v49
	v_fmac_f32_e32 v45, v48, v44
	v_add_f32_e32 v50, v49, v45
	v_sub_f32_e32 v51, v47, v50
	v_sub_f32_e32 v43, v50, v49
	;; [unrolled: 1-line block ×5, first 2 shown]
	v_add_f32_e32 v40, v40, v47
	v_add_f32_e32 v40, v43, v40
	;; [unrolled: 1-line block ×3, first 2 shown]
	v_mul_f32_e32 v45, v42, v43
	v_sub_f32_e32 v50, v51, v43
	v_mul_f32_e32 v47, v46, v45
	v_add_f32_e32 v40, v40, v50
	v_fma_f32 v46, v45, v46, -v47
	v_fmac_f32_e32 v46, v45, v44
	v_add_f32_e32 v44, v47, v46
	v_sub_f32_e32 v49, v43, v44
	v_sub_f32_e32 v47, v44, v47
	;; [unrolled: 1-line block ×5, first 2 shown]
	v_add_f32_e32 v40, v40, v43
	v_add_f32_e32 v43, v48, v45
	;; [unrolled: 1-line block ×3, first 2 shown]
	v_sub_f32_e32 v44, v43, v48
	v_add_f32_e32 v40, v49, v40
	v_sub_f32_e32 v44, v45, v44
	v_mul_f32_e32 v40, v42, v40
	v_add_f32_e32 v40, v44, v40
	v_add_f32_e32 v42, v43, v40
	v_mul_f32_e32 v44, v42, v42
	v_fmaak_f32 v45, s38, v44, 0x3ecc95a3
	v_mul_f32_e32 v46, v42, v44
	v_fmaak_f32 v44, v44, v45, 0x3f2aaada
	v_ldexp_f32 v45, v42, 1
	v_sub_f32_e32 v42, v42, v43
	v_mul_f32_e32 v44, v46, v44
	v_mul_f32_e32 v46, 0x3f317218, v39
	v_sub_f32_e32 v40, v40, v42
	v_add_f32_e32 v43, v45, v44
	v_ldexp_f32 v40, v40, 1
	v_sub_f32_e32 v42, v43, v45
	v_fma_f32 v45, 0x3f317218, v39, -v46
	v_sub_f32_e32 v42, v44, v42
	v_fmamk_f32 v39, v39, 0xb102e308, v45
	v_add_f32_e32 v40, v40, v42
	v_add_f32_e32 v42, v46, v39
	;; [unrolled: 1-line block ×3, first 2 shown]
	v_sub_f32_e32 v46, v42, v46
	v_add_f32_e32 v45, v42, v44
	v_sub_f32_e32 v43, v44, v43
	v_sub_f32_e32 v39, v39, v46
	;; [unrolled: 1-line block ×6, first 2 shown]
	v_add_f32_e32 v44, v39, v40
	v_sub_f32_e32 v42, v42, v48
	v_add_f32_e32 v42, v43, v42
	v_sub_f32_e32 v43, v44, v39
	v_add_f32_e32 v42, v44, v42
	v_sub_f32_e32 v44, v44, v43
	v_sub_f32_e32 v40, v40, v43
	v_add_f32_e32 v46, v45, v42
	v_sub_f32_e32 v39, v39, v44
	v_sub_f32_e32 v43, v46, v45
	v_add_f32_e32 v39, v40, v39
	v_sub_f32_e32 v40, v42, v43
	v_add_f32_e32 v39, v39, v40
	v_add_f32_e32 v39, v46, v39
	v_cndmask_b32_e32 v39, 0x7f800000, v39, vcc_lo
	v_cmp_gt_f32_e64 vcc_lo, 0x33800000, |v41|
	v_cndmask_b32_e32 v39, v39, v41, vcc_lo
	v_add_f32_e32 v39, v11, v39
.LBB511_77:
	s_or_b32 exec_lo, exec_lo, s37
	v_bfe_u32 v11, v39, 16, 1
	v_cmp_o_f32_e32 vcc_lo, v39, v39
	v_add3_u32 v11, v39, v11, 0x7fff
	v_mov_b32_e32 v39, 0x7fc0
	v_cndmask_b32_sdwa v39, v39, v11, vcc_lo dst_sel:DWORD dst_unused:UNUSED_PAD src0_sel:DWORD src1_sel:WORD_1
.LBB511_78:
	s_or_b32 exec_lo, exec_lo, s36
	s_waitcnt lgkmcnt(0)
	v_add_nc_u32_e32 v11, -1, v10
	v_cmp_gt_i32_e32 vcc_lo, 0, v11
	v_cndmask_b32_e32 v10, v11, v10, vcc_lo
	v_and_b32_e32 v11, 0xffff, v39
	v_lshlrev_b32_e32 v10, 2, v10
	ds_bpermute_b32 v10, v10, v11
	s_waitcnt lgkmcnt(0)
	v_lshlrev_b32_e32 v10, 16, v10
	v_max_f32_e32 v11, v10, v10
	v_cmp_u_f32_e32 vcc_lo, v10, v10
	v_min_f32_e32 v39, v11, v9
	v_max_f32_e32 v9, v11, v9
	v_cndmask_b32_e32 v11, v39, v10, vcc_lo
	v_cndmask_b32_e32 v39, v9, v10, vcc_lo
	v_cndmask_b32_e64 v9, v11, v8, s16
	v_cndmask_b32_e64 v8, v39, v8, s16
	v_cmp_class_f32_e64 s16, v9, 0x1f8
	v_cmp_neq_f32_e32 vcc_lo, v9, v8
	s_or_b32 s36, vcc_lo, s16
	s_and_saveexec_b32 s16, s36
	s_cbranch_execz .LBB511_80
; %bb.79:
	v_sub_f32_e32 v9, v9, v8
	s_mov_b32 s36, 0x3e9b6dac
	v_mul_f32_e32 v10, 0x3fb8aa3b, v9
	v_cmp_ngt_f32_e32 vcc_lo, 0xc2ce8ed0, v9
	v_fma_f32 v11, 0x3fb8aa3b, v9, -v10
	v_rndne_f32_e32 v39, v10
	v_fmamk_f32 v11, v9, 0x32a5705f, v11
	v_sub_f32_e32 v10, v10, v39
	v_add_f32_e32 v10, v10, v11
	v_cvt_i32_f32_e32 v11, v39
	v_exp_f32_e32 v10, v10
	v_ldexp_f32 v10, v10, v11
	v_cndmask_b32_e32 v10, 0, v10, vcc_lo
	v_cmp_nlt_f32_e32 vcc_lo, 0x42b17218, v9
	v_cndmask_b32_e32 v11, 0x7f800000, v10, vcc_lo
	v_add_f32_e32 v39, 1.0, v11
	v_cvt_f64_f32_e32 v[9:10], v39
	v_frexp_exp_i32_f64_e32 v9, v[9:10]
	v_frexp_mant_f32_e32 v10, v39
	v_cmp_gt_f32_e32 vcc_lo, 0x3f2aaaab, v10
	v_add_f32_e32 v10, -1.0, v39
	v_sub_f32_e32 v41, v10, v39
	v_sub_f32_e32 v10, v11, v10
	v_add_f32_e32 v41, 1.0, v41
	v_add_f32_e32 v10, v10, v41
	v_subrev_co_ci_u32_e64 v9, null, 0, v9, vcc_lo
	v_cmp_neq_f32_e32 vcc_lo, 0x7f800000, v11
	v_sub_nc_u32_e32 v40, 0, v9
	v_cvt_f32_i32_e32 v9, v9
	v_ldexp_f32 v39, v39, v40
	v_ldexp_f32 v10, v10, v40
	v_add_f32_e32 v42, 1.0, v39
	v_add_f32_e32 v40, -1.0, v39
	v_add_f32_e32 v41, -1.0, v42
	v_add_f32_e32 v43, 1.0, v40
	v_sub_f32_e32 v41, v39, v41
	v_sub_f32_e32 v39, v39, v43
	v_add_f32_e32 v41, v10, v41
	v_add_f32_e32 v10, v10, v39
	v_add_f32_e32 v43, v42, v41
	v_add_f32_e32 v44, v40, v10
	v_rcp_f32_e32 v39, v43
	v_sub_f32_e32 v42, v42, v43
	v_sub_f32_e32 v40, v40, v44
	v_add_f32_e32 v41, v41, v42
	v_add_f32_e32 v10, v10, v40
	v_mul_f32_e32 v45, v44, v39
	v_mul_f32_e32 v46, v43, v45
	v_fma_f32 v42, v45, v43, -v46
	v_fmac_f32_e32 v42, v45, v41
	v_add_f32_e32 v47, v46, v42
	v_sub_f32_e32 v48, v44, v47
	v_sub_f32_e32 v40, v47, v46
	;; [unrolled: 1-line block ×5, first 2 shown]
	v_add_f32_e32 v10, v10, v44
	v_add_f32_e32 v10, v40, v10
	;; [unrolled: 1-line block ×3, first 2 shown]
	v_mul_f32_e32 v42, v39, v40
	v_sub_f32_e32 v47, v48, v40
	v_mul_f32_e32 v44, v43, v42
	v_add_f32_e32 v10, v10, v47
	v_fma_f32 v43, v42, v43, -v44
	v_fmac_f32_e32 v43, v42, v41
	v_add_f32_e32 v41, v44, v43
	v_sub_f32_e32 v46, v40, v41
	v_sub_f32_e32 v44, v41, v44
	;; [unrolled: 1-line block ×5, first 2 shown]
	v_add_f32_e32 v10, v10, v40
	v_add_f32_e32 v40, v45, v42
	;; [unrolled: 1-line block ×3, first 2 shown]
	v_sub_f32_e32 v41, v40, v45
	v_add_f32_e32 v10, v46, v10
	v_sub_f32_e32 v41, v42, v41
	v_mul_f32_e32 v10, v39, v10
	v_add_f32_e32 v10, v41, v10
	v_add_f32_e32 v39, v40, v10
	v_mul_f32_e32 v41, v39, v39
	v_fmaak_f32 v42, s36, v41, 0x3ecc95a3
	v_mul_f32_e32 v43, v39, v41
	v_fmaak_f32 v41, v41, v42, 0x3f2aaada
	v_ldexp_f32 v42, v39, 1
	v_sub_f32_e32 v39, v39, v40
	v_mul_f32_e32 v41, v43, v41
	v_mul_f32_e32 v43, 0x3f317218, v9
	v_sub_f32_e32 v10, v10, v39
	v_add_f32_e32 v40, v42, v41
	v_ldexp_f32 v10, v10, 1
	v_sub_f32_e32 v39, v40, v42
	v_fma_f32 v42, 0x3f317218, v9, -v43
	v_sub_f32_e32 v39, v41, v39
	v_fmamk_f32 v9, v9, 0xb102e308, v42
	v_add_f32_e32 v10, v10, v39
	v_add_f32_e32 v39, v43, v9
	;; [unrolled: 1-line block ×3, first 2 shown]
	v_sub_f32_e32 v43, v39, v43
	v_add_f32_e32 v42, v39, v41
	v_sub_f32_e32 v40, v41, v40
	v_sub_f32_e32 v9, v9, v43
	;; [unrolled: 1-line block ×6, first 2 shown]
	v_add_f32_e32 v41, v9, v10
	v_sub_f32_e32 v39, v39, v45
	v_add_f32_e32 v39, v40, v39
	v_sub_f32_e32 v40, v41, v9
	v_add_f32_e32 v39, v41, v39
	v_sub_f32_e32 v41, v41, v40
	v_sub_f32_e32 v10, v10, v40
	v_add_f32_e32 v43, v42, v39
	v_sub_f32_e32 v9, v9, v41
	v_sub_f32_e32 v40, v43, v42
	v_add_f32_e32 v9, v10, v9
	v_sub_f32_e32 v10, v39, v40
	v_add_f32_e32 v9, v9, v10
	v_add_f32_e32 v9, v43, v9
	v_cndmask_b32_e32 v9, 0x7f800000, v9, vcc_lo
	v_cmp_gt_f32_e64 vcc_lo, 0x33800000, |v11|
	v_cndmask_b32_e32 v9, v9, v11, vcc_lo
	v_add_f32_e32 v10, v8, v9
.LBB511_80:
	s_or_b32 exec_lo, exec_lo, s16
	v_bfe_u32 v9, v10, 16, 1
	v_cmp_o_f32_e32 vcc_lo, v10, v10
	v_mov_b32_e32 v8, 0x7fc0
	; wave barrier
	v_add3_u32 v9, v10, v9, 0x7fff
	v_cndmask_b32_sdwa v9, v8, v9, vcc_lo dst_sel:DWORD dst_unused:UNUSED_PAD src0_sel:DWORD src1_sel:WORD_1
	v_cndmask_b32_e64 v9, v9, v38, s2
	ds_write_b16 v7, v9
	; wave barrier
	ds_read_u16 v11, v7 offset:2
	v_lshlrev_b32_e32 v10, 16, v9
	v_cmp_u_f32_e32 vcc_lo, v10, v10
	s_waitcnt lgkmcnt(0)
	v_lshlrev_b32_e32 v9, 16, v11
	v_max_f32_e32 v11, v10, v10
	v_max_f32_e32 v39, v9, v9
	v_min_f32_e32 v40, v11, v39
	v_max_f32_e32 v11, v11, v39
	v_cndmask_b32_e32 v39, v40, v10, vcc_lo
	v_cndmask_b32_e32 v40, v11, v10, vcc_lo
	v_cmp_u_f32_e32 vcc_lo, v9, v9
	v_cndmask_b32_e32 v11, v39, v9, vcc_lo
	v_cndmask_b32_e32 v9, v40, v9, vcc_lo
	v_cmp_class_f32_e64 s16, v11, 0x1f8
	v_cmp_neq_f32_e32 vcc_lo, v11, v9
	s_or_b32 s36, vcc_lo, s16
	s_and_saveexec_b32 s16, s36
	s_cbranch_execz .LBB511_82
; %bb.81:
	v_sub_f32_e32 v10, v11, v9
	s_mov_b32 s36, 0x3e9b6dac
	v_mul_f32_e32 v11, 0x3fb8aa3b, v10
	v_cmp_ngt_f32_e32 vcc_lo, 0xc2ce8ed0, v10
	v_fma_f32 v39, 0x3fb8aa3b, v10, -v11
	v_rndne_f32_e32 v40, v11
	v_fmamk_f32 v39, v10, 0x32a5705f, v39
	v_sub_f32_e32 v11, v11, v40
	v_add_f32_e32 v11, v11, v39
	v_cvt_i32_f32_e32 v39, v40
	v_exp_f32_e32 v11, v11
	v_ldexp_f32 v11, v11, v39
	v_cndmask_b32_e32 v11, 0, v11, vcc_lo
	v_cmp_nlt_f32_e32 vcc_lo, 0x42b17218, v10
	v_cndmask_b32_e32 v39, 0x7f800000, v11, vcc_lo
	v_add_f32_e32 v40, 1.0, v39
	v_cvt_f64_f32_e32 v[10:11], v40
	v_frexp_exp_i32_f64_e32 v10, v[10:11]
	v_frexp_mant_f32_e32 v11, v40
	v_cmp_gt_f32_e32 vcc_lo, 0x3f2aaaab, v11
	v_add_f32_e32 v11, -1.0, v40
	v_sub_f32_e32 v42, v11, v40
	v_sub_f32_e32 v11, v39, v11
	v_add_f32_e32 v42, 1.0, v42
	v_add_f32_e32 v11, v11, v42
	v_subrev_co_ci_u32_e64 v10, null, 0, v10, vcc_lo
	v_cmp_neq_f32_e32 vcc_lo, 0x7f800000, v39
	v_sub_nc_u32_e32 v41, 0, v10
	v_cvt_f32_i32_e32 v10, v10
	v_ldexp_f32 v40, v40, v41
	v_ldexp_f32 v11, v11, v41
	v_add_f32_e32 v43, 1.0, v40
	v_add_f32_e32 v41, -1.0, v40
	v_add_f32_e32 v42, -1.0, v43
	v_add_f32_e32 v44, 1.0, v41
	v_sub_f32_e32 v42, v40, v42
	v_sub_f32_e32 v40, v40, v44
	v_add_f32_e32 v42, v11, v42
	v_add_f32_e32 v11, v11, v40
	;; [unrolled: 1-line block ×4, first 2 shown]
	v_rcp_f32_e32 v40, v44
	v_sub_f32_e32 v43, v43, v44
	v_sub_f32_e32 v41, v41, v45
	v_add_f32_e32 v42, v42, v43
	v_add_f32_e32 v11, v11, v41
	v_mul_f32_e32 v46, v45, v40
	v_mul_f32_e32 v47, v44, v46
	v_fma_f32 v43, v46, v44, -v47
	v_fmac_f32_e32 v43, v46, v42
	v_add_f32_e32 v48, v47, v43
	v_sub_f32_e32 v49, v45, v48
	v_sub_f32_e32 v41, v48, v47
	;; [unrolled: 1-line block ×5, first 2 shown]
	v_add_f32_e32 v11, v11, v45
	v_add_f32_e32 v11, v41, v11
	;; [unrolled: 1-line block ×3, first 2 shown]
	v_mul_f32_e32 v43, v40, v41
	v_sub_f32_e32 v48, v49, v41
	v_mul_f32_e32 v45, v44, v43
	v_add_f32_e32 v11, v11, v48
	v_fma_f32 v44, v43, v44, -v45
	v_fmac_f32_e32 v44, v43, v42
	v_add_f32_e32 v42, v45, v44
	v_sub_f32_e32 v47, v41, v42
	v_sub_f32_e32 v45, v42, v45
	;; [unrolled: 1-line block ×5, first 2 shown]
	v_add_f32_e32 v11, v11, v41
	v_add_f32_e32 v41, v46, v43
	;; [unrolled: 1-line block ×3, first 2 shown]
	v_sub_f32_e32 v42, v41, v46
	v_add_f32_e32 v11, v47, v11
	v_sub_f32_e32 v42, v43, v42
	v_mul_f32_e32 v11, v40, v11
	v_add_f32_e32 v11, v42, v11
	v_add_f32_e32 v40, v41, v11
	v_mul_f32_e32 v42, v40, v40
	v_fmaak_f32 v43, s36, v42, 0x3ecc95a3
	v_mul_f32_e32 v44, v40, v42
	v_fmaak_f32 v42, v42, v43, 0x3f2aaada
	v_ldexp_f32 v43, v40, 1
	v_sub_f32_e32 v40, v40, v41
	v_mul_f32_e32 v42, v44, v42
	v_mul_f32_e32 v44, 0x3f317218, v10
	v_sub_f32_e32 v11, v11, v40
	v_add_f32_e32 v41, v43, v42
	v_ldexp_f32 v11, v11, 1
	v_sub_f32_e32 v40, v41, v43
	v_fma_f32 v43, 0x3f317218, v10, -v44
	v_sub_f32_e32 v40, v42, v40
	v_fmamk_f32 v10, v10, 0xb102e308, v43
	v_add_f32_e32 v11, v11, v40
	v_add_f32_e32 v40, v44, v10
	;; [unrolled: 1-line block ×3, first 2 shown]
	v_sub_f32_e32 v44, v40, v44
	v_add_f32_e32 v43, v40, v42
	v_sub_f32_e32 v41, v42, v41
	v_sub_f32_e32 v10, v10, v44
	v_sub_f32_e32 v45, v43, v40
	v_sub_f32_e32 v11, v11, v41
	v_sub_f32_e32 v46, v43, v45
	v_sub_f32_e32 v41, v42, v45
	v_add_f32_e32 v42, v10, v11
	v_sub_f32_e32 v40, v40, v46
	v_add_f32_e32 v40, v41, v40
	v_sub_f32_e32 v41, v42, v10
	;; [unrolled: 2-line block ×3, first 2 shown]
	v_sub_f32_e32 v11, v11, v41
	v_add_f32_e32 v44, v43, v40
	v_sub_f32_e32 v10, v10, v42
	v_sub_f32_e32 v41, v44, v43
	v_add_f32_e32 v10, v11, v10
	v_sub_f32_e32 v11, v40, v41
	v_add_f32_e32 v10, v10, v11
	v_add_f32_e32 v10, v44, v10
	v_cndmask_b32_e32 v10, 0x7f800000, v10, vcc_lo
	v_cmp_gt_f32_e64 vcc_lo, 0x33800000, |v39|
	v_cndmask_b32_e32 v10, v10, v39, vcc_lo
	v_add_f32_e32 v10, v9, v10
.LBB511_82:
	s_or_b32 exec_lo, exec_lo, s16
	v_bfe_u32 v9, v10, 16, 1
	v_cmp_o_f32_e32 vcc_lo, v10, v10
	v_add3_u32 v9, v10, v9, 0x7fff
	v_cndmask_b32_sdwa v8, v8, v9, vcc_lo dst_sel:DWORD dst_unused:UNUSED_PAD src0_sel:DWORD src1_sel:WORD_1
	ds_write_b16 v7, v8 offset:2
.LBB511_83:
	s_or_b32 exec_lo, exec_lo, s17
	s_waitcnt lgkmcnt(0)
	s_barrier
	buffer_gl0_inv
	s_and_saveexec_b32 s16, s1
	s_cbranch_execz .LBB511_85
; %bb.84:
	v_add_nc_u32_e32 v7, -1, v0
	v_lshrrev_b32_e32 v8, 4, v7
	v_and_b32_e32 v8, 0xffffffe, v8
	v_lshl_add_u32 v7, v7, 1, v8
	ds_read_u16 v38, v7
.LBB511_85:
	s_or_b32 exec_lo, exec_lo, s16
	s_and_saveexec_b32 s36, s15
	s_cbranch_execz .LBB511_149
; %bb.86:
	v_mov_b32_e32 v9, 0
	v_mbcnt_lo_u32_b32 v40, -1, 0
	s_mov_b32 s17, 0
	ds_read_u16 v39, v9 offset:128
	v_cmp_eq_u32_e64 s15, 0, v40
	s_and_saveexec_b32 s37, s15
	s_cbranch_execz .LBB511_88
; %bb.87:
	s_add_i32 s16, s35, 32
	s_waitcnt lgkmcnt(0)
	v_or_b32_e32 v7, 0x10000, v39
	s_lshl_b64 s[16:17], s[16:17], 2
	s_add_u32 s16, s18, s16
	s_addc_u32 s17, s19, s17
	global_store_dword v9, v7, s[16:17]
.LBB511_88:
	s_or_b32 exec_lo, exec_lo, s37
	v_xad_u32 v7, v40, -1, s35
	v_add_nc_u32_e32 v8, 32, v7
	v_lshlrev_b64 v[10:11], 2, v[8:9]
	v_add_co_u32 v10, vcc_lo, s18, v10
	v_add_co_ci_u32_e64 v11, null, s19, v11, vcc_lo
	global_load_dword v54, v[10:11], off glc dlc
	s_waitcnt vmcnt(0)
	v_lshrrev_b32_e32 v41, 16, v54
	v_cmp_eq_u16_sdwa s17, v41, v9 src0_sel:BYTE_0 src1_sel:DWORD
	s_and_saveexec_b32 s16, s17
	s_cbranch_execz .LBB511_92
; %bb.89:
	v_mov_b32_e32 v8, 0
	s_mov_b32 s17, 0
.LBB511_90:                             ; =>This Inner Loop Header: Depth=1
	global_load_dword v54, v[10:11], off glc dlc
	s_waitcnt vmcnt(0)
	v_lshrrev_b32_e32 v41, 16, v54
	v_cmp_ne_u16_sdwa s37, v41, v8 src0_sel:BYTE_0 src1_sel:DWORD
	s_or_b32 s17, s37, s17
	s_andn2_b32 exec_lo, exec_lo, s17
	s_cbranch_execnz .LBB511_90
; %bb.91:
	s_or_b32 exec_lo, exec_lo, s17
.LBB511_92:
	s_or_b32 exec_lo, exec_lo, s16
	v_cmp_ne_u32_e32 vcc_lo, 31, v40
	v_mov_b32_e32 v10, 2
	v_and_b32_e32 v9, 0xffff, v54
	v_lshlrev_b32_e64 v42, v40, -1
	v_add_co_ci_u32_e64 v8, null, 0, v40, vcc_lo
	v_cmp_eq_u16_sdwa s16, v41, v10 src0_sel:BYTE_0 src1_sel:DWORD
	v_lshlrev_b32_e32 v11, 2, v8
	v_and_or_b32 v8, s16, v42, 0x80000000
	s_mov_b32 s16, exec_lo
	ds_bpermute_b32 v10, v11, v9
	v_ffbl_b32_e32 v8, v8
	v_cmpx_lt_u32_e64 v40, v8
	s_cbranch_execz .LBB511_96
; %bb.93:
	v_lshlrev_b32_e32 v9, 16, v9
	s_waitcnt lgkmcnt(0)
	v_lshlrev_b32_e32 v10, 16, v10
	v_max_f32_e32 v43, v9, v9
	v_max_f32_e32 v44, v10, v10
	v_cmp_u_f32_e32 vcc_lo, v10, v10
	v_min_f32_e32 v45, v44, v43
	v_max_f32_e32 v43, v44, v43
	v_cndmask_b32_e32 v44, v45, v10, vcc_lo
	v_cndmask_b32_e32 v45, v43, v10, vcc_lo
	v_cmp_u_f32_e32 vcc_lo, v9, v9
	v_cndmask_b32_e32 v43, v44, v9, vcc_lo
	v_cndmask_b32_e32 v9, v45, v9, vcc_lo
	v_cmp_class_f32_e64 s17, v43, 0x1f8
	v_cmp_neq_f32_e32 vcc_lo, v43, v9
	s_or_b32 s37, vcc_lo, s17
	s_and_saveexec_b32 s17, s37
	s_cbranch_execz .LBB511_95
; %bb.94:
	v_sub_f32_e32 v10, v43, v9
	s_mov_b32 s37, 0x3e9b6dac
	v_mul_f32_e32 v43, 0x3fb8aa3b, v10
	v_cmp_ngt_f32_e32 vcc_lo, 0xc2ce8ed0, v10
	v_fma_f32 v44, 0x3fb8aa3b, v10, -v43
	v_rndne_f32_e32 v45, v43
	v_fmamk_f32 v44, v10, 0x32a5705f, v44
	v_sub_f32_e32 v43, v43, v45
	v_add_f32_e32 v43, v43, v44
	v_cvt_i32_f32_e32 v44, v45
	v_exp_f32_e32 v43, v43
	v_ldexp_f32 v43, v43, v44
	v_cndmask_b32_e32 v43, 0, v43, vcc_lo
	v_cmp_nlt_f32_e32 vcc_lo, 0x42b17218, v10
	v_cndmask_b32_e32 v10, 0x7f800000, v43, vcc_lo
	v_add_f32_e32 v45, 1.0, v10
	v_cvt_f64_f32_e32 v[43:44], v45
	v_frexp_exp_i32_f64_e32 v43, v[43:44]
	v_frexp_mant_f32_e32 v44, v45
	v_cmp_gt_f32_e32 vcc_lo, 0x3f2aaaab, v44
	v_add_f32_e32 v44, -1.0, v45
	v_sub_f32_e32 v47, v44, v45
	v_sub_f32_e32 v44, v10, v44
	v_add_f32_e32 v47, 1.0, v47
	v_add_f32_e32 v44, v44, v47
	v_subrev_co_ci_u32_e64 v43, null, 0, v43, vcc_lo
	v_cmp_neq_f32_e32 vcc_lo, 0x7f800000, v10
	v_sub_nc_u32_e32 v46, 0, v43
	v_cvt_f32_i32_e32 v43, v43
	v_ldexp_f32 v45, v45, v46
	v_ldexp_f32 v44, v44, v46
	v_add_f32_e32 v48, 1.0, v45
	v_add_f32_e32 v46, -1.0, v45
	v_add_f32_e32 v47, -1.0, v48
	v_add_f32_e32 v49, 1.0, v46
	v_sub_f32_e32 v47, v45, v47
	v_sub_f32_e32 v45, v45, v49
	v_add_f32_e32 v47, v44, v47
	v_add_f32_e32 v44, v44, v45
	;; [unrolled: 1-line block ×4, first 2 shown]
	v_rcp_f32_e32 v45, v49
	v_sub_f32_e32 v48, v48, v49
	v_sub_f32_e32 v46, v46, v50
	v_add_f32_e32 v47, v47, v48
	v_add_f32_e32 v44, v44, v46
	v_mul_f32_e32 v51, v50, v45
	v_mul_f32_e32 v52, v49, v51
	v_fma_f32 v48, v51, v49, -v52
	v_fmac_f32_e32 v48, v51, v47
	v_add_f32_e32 v53, v52, v48
	v_sub_f32_e32 v54, v50, v53
	v_sub_f32_e32 v46, v53, v52
	;; [unrolled: 1-line block ×5, first 2 shown]
	v_add_f32_e32 v44, v44, v50
	v_add_f32_e32 v44, v46, v44
	;; [unrolled: 1-line block ×3, first 2 shown]
	v_mul_f32_e32 v48, v45, v46
	v_sub_f32_e32 v53, v54, v46
	v_mul_f32_e32 v50, v49, v48
	v_add_f32_e32 v44, v44, v53
	v_fma_f32 v49, v48, v49, -v50
	v_fmac_f32_e32 v49, v48, v47
	v_add_f32_e32 v47, v50, v49
	v_sub_f32_e32 v52, v46, v47
	v_sub_f32_e32 v50, v47, v50
	;; [unrolled: 1-line block ×5, first 2 shown]
	v_add_f32_e32 v44, v44, v46
	v_add_f32_e32 v46, v51, v48
	;; [unrolled: 1-line block ×3, first 2 shown]
	v_sub_f32_e32 v47, v46, v51
	v_add_f32_e32 v44, v52, v44
	v_sub_f32_e32 v47, v48, v47
	v_mul_f32_e32 v44, v45, v44
	v_add_f32_e32 v44, v47, v44
	v_add_f32_e32 v45, v46, v44
	v_mul_f32_e32 v47, v45, v45
	v_fmaak_f32 v48, s37, v47, 0x3ecc95a3
	v_mul_f32_e32 v49, v45, v47
	v_fmaak_f32 v47, v47, v48, 0x3f2aaada
	v_ldexp_f32 v48, v45, 1
	v_sub_f32_e32 v45, v45, v46
	v_mul_f32_e32 v47, v49, v47
	v_mul_f32_e32 v49, 0x3f317218, v43
	v_sub_f32_e32 v44, v44, v45
	v_add_f32_e32 v46, v48, v47
	v_ldexp_f32 v44, v44, 1
	v_sub_f32_e32 v45, v46, v48
	v_fma_f32 v48, 0x3f317218, v43, -v49
	v_sub_f32_e32 v45, v47, v45
	v_fmamk_f32 v43, v43, 0xb102e308, v48
	v_add_f32_e32 v44, v44, v45
	v_add_f32_e32 v45, v49, v43
	;; [unrolled: 1-line block ×3, first 2 shown]
	v_sub_f32_e32 v49, v45, v49
	v_add_f32_e32 v48, v45, v47
	v_sub_f32_e32 v46, v47, v46
	v_sub_f32_e32 v43, v43, v49
	v_sub_f32_e32 v50, v48, v45
	v_sub_f32_e32 v44, v44, v46
	v_sub_f32_e32 v51, v48, v50
	v_sub_f32_e32 v46, v47, v50
	v_add_f32_e32 v47, v43, v44
	v_sub_f32_e32 v45, v45, v51
	v_add_f32_e32 v45, v46, v45
	v_sub_f32_e32 v46, v47, v43
	;; [unrolled: 2-line block ×3, first 2 shown]
	v_sub_f32_e32 v44, v44, v46
	v_add_f32_e32 v49, v48, v45
	v_sub_f32_e32 v43, v43, v47
	v_sub_f32_e32 v46, v49, v48
	v_add_f32_e32 v43, v44, v43
	v_sub_f32_e32 v44, v45, v46
	v_add_f32_e32 v43, v43, v44
	v_add_f32_e32 v43, v49, v43
	v_cndmask_b32_e32 v43, 0x7f800000, v43, vcc_lo
	v_cmp_gt_f32_e64 vcc_lo, 0x33800000, |v10|
	v_cndmask_b32_e32 v10, v43, v10, vcc_lo
	v_add_f32_e32 v10, v9, v10
.LBB511_95:
	s_or_b32 exec_lo, exec_lo, s17
	v_bfe_u32 v9, v10, 16, 1
	v_cmp_o_f32_e32 vcc_lo, v10, v10
	v_add3_u32 v9, v10, v9, 0x7fff
	v_mov_b32_e32 v10, 0x7fc0
	v_cndmask_b32_sdwa v54, v10, v9, vcc_lo dst_sel:DWORD dst_unused:UNUSED_PAD src0_sel:DWORD src1_sel:WORD_1
	v_and_b32_e32 v9, 0xffff, v54
.LBB511_96:
	s_or_b32 exec_lo, exec_lo, s16
	v_cmp_gt_u32_e32 vcc_lo, 30, v40
	v_add_nc_u32_e32 v44, 2, v40
	s_mov_b32 s16, exec_lo
	s_waitcnt lgkmcnt(0)
	v_cndmask_b32_e64 v10, 0, 2, vcc_lo
	v_add_lshl_u32 v43, v10, v40, 2
	ds_bpermute_b32 v10, v43, v9
	v_cmpx_le_u32_e64 v44, v8
	s_cbranch_execz .LBB511_100
; %bb.97:
	v_lshlrev_b32_e32 v9, 16, v9
	s_waitcnt lgkmcnt(0)
	v_lshlrev_b32_e32 v10, 16, v10
	v_max_f32_e32 v45, v9, v9
	v_max_f32_e32 v46, v10, v10
	v_cmp_u_f32_e32 vcc_lo, v10, v10
	v_min_f32_e32 v47, v46, v45
	v_max_f32_e32 v45, v46, v45
	v_cndmask_b32_e32 v46, v47, v10, vcc_lo
	v_cndmask_b32_e32 v47, v45, v10, vcc_lo
	v_cmp_u_f32_e32 vcc_lo, v9, v9
	v_cndmask_b32_e32 v45, v46, v9, vcc_lo
	v_cndmask_b32_e32 v9, v47, v9, vcc_lo
	v_cmp_class_f32_e64 s17, v45, 0x1f8
	v_cmp_neq_f32_e32 vcc_lo, v45, v9
	s_or_b32 s37, vcc_lo, s17
	s_and_saveexec_b32 s17, s37
	s_cbranch_execz .LBB511_99
; %bb.98:
	v_sub_f32_e32 v10, v45, v9
	s_mov_b32 s37, 0x3e9b6dac
	v_mul_f32_e32 v45, 0x3fb8aa3b, v10
	v_cmp_ngt_f32_e32 vcc_lo, 0xc2ce8ed0, v10
	v_fma_f32 v46, 0x3fb8aa3b, v10, -v45
	v_rndne_f32_e32 v47, v45
	v_fmamk_f32 v46, v10, 0x32a5705f, v46
	v_sub_f32_e32 v45, v45, v47
	v_add_f32_e32 v45, v45, v46
	v_cvt_i32_f32_e32 v46, v47
	v_exp_f32_e32 v45, v45
	v_ldexp_f32 v45, v45, v46
	v_cndmask_b32_e32 v45, 0, v45, vcc_lo
	v_cmp_nlt_f32_e32 vcc_lo, 0x42b17218, v10
	v_cndmask_b32_e32 v10, 0x7f800000, v45, vcc_lo
	v_add_f32_e32 v47, 1.0, v10
	v_cvt_f64_f32_e32 v[45:46], v47
	v_frexp_exp_i32_f64_e32 v45, v[45:46]
	v_frexp_mant_f32_e32 v46, v47
	v_cmp_gt_f32_e32 vcc_lo, 0x3f2aaaab, v46
	v_add_f32_e32 v46, -1.0, v47
	v_sub_f32_e32 v49, v46, v47
	v_sub_f32_e32 v46, v10, v46
	v_add_f32_e32 v49, 1.0, v49
	v_add_f32_e32 v46, v46, v49
	v_subrev_co_ci_u32_e64 v45, null, 0, v45, vcc_lo
	v_cmp_neq_f32_e32 vcc_lo, 0x7f800000, v10
	v_sub_nc_u32_e32 v48, 0, v45
	v_cvt_f32_i32_e32 v45, v45
	v_ldexp_f32 v47, v47, v48
	v_ldexp_f32 v46, v46, v48
	v_add_f32_e32 v50, 1.0, v47
	v_add_f32_e32 v48, -1.0, v47
	v_add_f32_e32 v49, -1.0, v50
	v_add_f32_e32 v51, 1.0, v48
	v_sub_f32_e32 v49, v47, v49
	v_sub_f32_e32 v47, v47, v51
	v_add_f32_e32 v49, v46, v49
	v_add_f32_e32 v46, v46, v47
	;; [unrolled: 1-line block ×4, first 2 shown]
	v_rcp_f32_e32 v47, v51
	v_sub_f32_e32 v50, v50, v51
	v_sub_f32_e32 v48, v48, v52
	v_add_f32_e32 v49, v49, v50
	v_add_f32_e32 v46, v46, v48
	v_mul_f32_e32 v53, v52, v47
	v_mul_f32_e32 v54, v51, v53
	v_fma_f32 v50, v53, v51, -v54
	v_fmac_f32_e32 v50, v53, v49
	v_add_f32_e32 v55, v54, v50
	v_sub_f32_e32 v56, v52, v55
	v_sub_f32_e32 v48, v55, v54
	;; [unrolled: 1-line block ×5, first 2 shown]
	v_add_f32_e32 v46, v46, v52
	v_add_f32_e32 v46, v48, v46
	;; [unrolled: 1-line block ×3, first 2 shown]
	v_mul_f32_e32 v50, v47, v48
	v_sub_f32_e32 v55, v56, v48
	v_mul_f32_e32 v52, v51, v50
	v_add_f32_e32 v46, v46, v55
	v_fma_f32 v51, v50, v51, -v52
	v_fmac_f32_e32 v51, v50, v49
	v_add_f32_e32 v49, v52, v51
	v_sub_f32_e32 v54, v48, v49
	v_sub_f32_e32 v52, v49, v52
	;; [unrolled: 1-line block ×5, first 2 shown]
	v_add_f32_e32 v46, v46, v48
	v_add_f32_e32 v48, v53, v50
	v_add_f32_e32 v46, v49, v46
	v_sub_f32_e32 v49, v48, v53
	v_add_f32_e32 v46, v54, v46
	v_sub_f32_e32 v49, v50, v49
	v_mul_f32_e32 v46, v47, v46
	v_add_f32_e32 v46, v49, v46
	v_add_f32_e32 v47, v48, v46
	v_mul_f32_e32 v49, v47, v47
	v_fmaak_f32 v50, s37, v49, 0x3ecc95a3
	v_mul_f32_e32 v51, v47, v49
	v_fmaak_f32 v49, v49, v50, 0x3f2aaada
	v_ldexp_f32 v50, v47, 1
	v_sub_f32_e32 v47, v47, v48
	v_mul_f32_e32 v49, v51, v49
	v_mul_f32_e32 v51, 0x3f317218, v45
	v_sub_f32_e32 v46, v46, v47
	v_add_f32_e32 v48, v50, v49
	v_ldexp_f32 v46, v46, 1
	v_sub_f32_e32 v47, v48, v50
	v_fma_f32 v50, 0x3f317218, v45, -v51
	v_sub_f32_e32 v47, v49, v47
	v_fmamk_f32 v45, v45, 0xb102e308, v50
	v_add_f32_e32 v46, v46, v47
	v_add_f32_e32 v47, v51, v45
	;; [unrolled: 1-line block ×3, first 2 shown]
	v_sub_f32_e32 v51, v47, v51
	v_add_f32_e32 v50, v47, v49
	v_sub_f32_e32 v48, v49, v48
	v_sub_f32_e32 v45, v45, v51
	;; [unrolled: 1-line block ×6, first 2 shown]
	v_add_f32_e32 v49, v45, v46
	v_sub_f32_e32 v47, v47, v53
	v_add_f32_e32 v47, v48, v47
	v_sub_f32_e32 v48, v49, v45
	;; [unrolled: 2-line block ×3, first 2 shown]
	v_sub_f32_e32 v46, v46, v48
	v_add_f32_e32 v51, v50, v47
	v_sub_f32_e32 v45, v45, v49
	v_sub_f32_e32 v48, v51, v50
	v_add_f32_e32 v45, v46, v45
	v_sub_f32_e32 v46, v47, v48
	v_add_f32_e32 v45, v45, v46
	v_add_f32_e32 v45, v51, v45
	v_cndmask_b32_e32 v45, 0x7f800000, v45, vcc_lo
	v_cmp_gt_f32_e64 vcc_lo, 0x33800000, |v10|
	v_cndmask_b32_e32 v10, v45, v10, vcc_lo
	v_add_f32_e32 v10, v9, v10
.LBB511_99:
	s_or_b32 exec_lo, exec_lo, s17
	v_bfe_u32 v9, v10, 16, 1
	v_cmp_o_f32_e32 vcc_lo, v10, v10
	v_add3_u32 v9, v10, v9, 0x7fff
	v_mov_b32_e32 v10, 0x7fc0
	v_cndmask_b32_sdwa v54, v10, v9, vcc_lo dst_sel:DWORD dst_unused:UNUSED_PAD src0_sel:DWORD src1_sel:WORD_1
	v_and_b32_e32 v9, 0xffff, v54
.LBB511_100:
	s_or_b32 exec_lo, exec_lo, s16
	v_cmp_gt_u32_e32 vcc_lo, 28, v40
	v_add_nc_u32_e32 v46, 4, v40
	s_mov_b32 s16, exec_lo
	s_waitcnt lgkmcnt(0)
	v_cndmask_b32_e64 v10, 0, 4, vcc_lo
	v_add_lshl_u32 v45, v10, v40, 2
	ds_bpermute_b32 v10, v45, v9
	v_cmpx_le_u32_e64 v46, v8
	s_cbranch_execz .LBB511_104
; %bb.101:
	v_lshlrev_b32_e32 v9, 16, v9
	s_waitcnt lgkmcnt(0)
	v_lshlrev_b32_e32 v10, 16, v10
	v_max_f32_e32 v47, v9, v9
	v_max_f32_e32 v48, v10, v10
	v_cmp_u_f32_e32 vcc_lo, v10, v10
	v_min_f32_e32 v49, v48, v47
	v_max_f32_e32 v47, v48, v47
	v_cndmask_b32_e32 v48, v49, v10, vcc_lo
	v_cndmask_b32_e32 v49, v47, v10, vcc_lo
	v_cmp_u_f32_e32 vcc_lo, v9, v9
	v_cndmask_b32_e32 v47, v48, v9, vcc_lo
	v_cndmask_b32_e32 v9, v49, v9, vcc_lo
	v_cmp_class_f32_e64 s17, v47, 0x1f8
	v_cmp_neq_f32_e32 vcc_lo, v47, v9
	s_or_b32 s37, vcc_lo, s17
	s_and_saveexec_b32 s17, s37
	s_cbranch_execz .LBB511_103
; %bb.102:
	v_sub_f32_e32 v10, v47, v9
	s_mov_b32 s37, 0x3e9b6dac
	v_mul_f32_e32 v47, 0x3fb8aa3b, v10
	v_cmp_ngt_f32_e32 vcc_lo, 0xc2ce8ed0, v10
	v_fma_f32 v48, 0x3fb8aa3b, v10, -v47
	v_rndne_f32_e32 v49, v47
	v_fmamk_f32 v48, v10, 0x32a5705f, v48
	v_sub_f32_e32 v47, v47, v49
	v_add_f32_e32 v47, v47, v48
	v_cvt_i32_f32_e32 v48, v49
	v_exp_f32_e32 v47, v47
	v_ldexp_f32 v47, v47, v48
	v_cndmask_b32_e32 v47, 0, v47, vcc_lo
	v_cmp_nlt_f32_e32 vcc_lo, 0x42b17218, v10
	v_cndmask_b32_e32 v10, 0x7f800000, v47, vcc_lo
	v_add_f32_e32 v49, 1.0, v10
	v_cvt_f64_f32_e32 v[47:48], v49
	v_frexp_exp_i32_f64_e32 v47, v[47:48]
	v_frexp_mant_f32_e32 v48, v49
	v_cmp_gt_f32_e32 vcc_lo, 0x3f2aaaab, v48
	v_add_f32_e32 v48, -1.0, v49
	v_sub_f32_e32 v51, v48, v49
	v_sub_f32_e32 v48, v10, v48
	v_add_f32_e32 v51, 1.0, v51
	v_add_f32_e32 v48, v48, v51
	v_subrev_co_ci_u32_e64 v47, null, 0, v47, vcc_lo
	v_cmp_neq_f32_e32 vcc_lo, 0x7f800000, v10
	v_sub_nc_u32_e32 v50, 0, v47
	v_cvt_f32_i32_e32 v47, v47
	v_ldexp_f32 v49, v49, v50
	v_ldexp_f32 v48, v48, v50
	v_add_f32_e32 v52, 1.0, v49
	v_add_f32_e32 v50, -1.0, v49
	v_add_f32_e32 v51, -1.0, v52
	v_add_f32_e32 v53, 1.0, v50
	v_sub_f32_e32 v51, v49, v51
	v_sub_f32_e32 v49, v49, v53
	v_add_f32_e32 v51, v48, v51
	v_add_f32_e32 v48, v48, v49
	;; [unrolled: 1-line block ×4, first 2 shown]
	v_rcp_f32_e32 v49, v53
	v_sub_f32_e32 v52, v52, v53
	v_sub_f32_e32 v50, v50, v54
	v_add_f32_e32 v51, v51, v52
	v_add_f32_e32 v48, v48, v50
	v_mul_f32_e32 v55, v54, v49
	v_mul_f32_e32 v56, v53, v55
	v_fma_f32 v52, v55, v53, -v56
	v_fmac_f32_e32 v52, v55, v51
	v_add_f32_e32 v57, v56, v52
	v_sub_f32_e32 v58, v54, v57
	v_sub_f32_e32 v50, v57, v56
	;; [unrolled: 1-line block ×5, first 2 shown]
	v_add_f32_e32 v48, v48, v54
	v_add_f32_e32 v48, v50, v48
	;; [unrolled: 1-line block ×3, first 2 shown]
	v_mul_f32_e32 v52, v49, v50
	v_sub_f32_e32 v57, v58, v50
	v_mul_f32_e32 v54, v53, v52
	v_add_f32_e32 v48, v48, v57
	v_fma_f32 v53, v52, v53, -v54
	v_fmac_f32_e32 v53, v52, v51
	v_add_f32_e32 v51, v54, v53
	v_sub_f32_e32 v56, v50, v51
	v_sub_f32_e32 v54, v51, v54
	;; [unrolled: 1-line block ×5, first 2 shown]
	v_add_f32_e32 v48, v48, v50
	v_add_f32_e32 v50, v55, v52
	;; [unrolled: 1-line block ×3, first 2 shown]
	v_sub_f32_e32 v51, v50, v55
	v_add_f32_e32 v48, v56, v48
	v_sub_f32_e32 v51, v52, v51
	v_mul_f32_e32 v48, v49, v48
	v_add_f32_e32 v48, v51, v48
	v_add_f32_e32 v49, v50, v48
	v_mul_f32_e32 v51, v49, v49
	v_fmaak_f32 v52, s37, v51, 0x3ecc95a3
	v_mul_f32_e32 v53, v49, v51
	v_fmaak_f32 v51, v51, v52, 0x3f2aaada
	v_ldexp_f32 v52, v49, 1
	v_sub_f32_e32 v49, v49, v50
	v_mul_f32_e32 v51, v53, v51
	v_mul_f32_e32 v53, 0x3f317218, v47
	v_sub_f32_e32 v48, v48, v49
	v_add_f32_e32 v50, v52, v51
	v_ldexp_f32 v48, v48, 1
	v_sub_f32_e32 v49, v50, v52
	v_fma_f32 v52, 0x3f317218, v47, -v53
	v_sub_f32_e32 v49, v51, v49
	v_fmamk_f32 v47, v47, 0xb102e308, v52
	v_add_f32_e32 v48, v48, v49
	v_add_f32_e32 v49, v53, v47
	;; [unrolled: 1-line block ×3, first 2 shown]
	v_sub_f32_e32 v53, v49, v53
	v_add_f32_e32 v52, v49, v51
	v_sub_f32_e32 v50, v51, v50
	v_sub_f32_e32 v47, v47, v53
	;; [unrolled: 1-line block ×6, first 2 shown]
	v_add_f32_e32 v51, v47, v48
	v_sub_f32_e32 v49, v49, v55
	v_add_f32_e32 v49, v50, v49
	v_sub_f32_e32 v50, v51, v47
	;; [unrolled: 2-line block ×3, first 2 shown]
	v_sub_f32_e32 v48, v48, v50
	v_add_f32_e32 v53, v52, v49
	v_sub_f32_e32 v47, v47, v51
	v_sub_f32_e32 v50, v53, v52
	v_add_f32_e32 v47, v48, v47
	v_sub_f32_e32 v48, v49, v50
	v_add_f32_e32 v47, v47, v48
	v_add_f32_e32 v47, v53, v47
	v_cndmask_b32_e32 v47, 0x7f800000, v47, vcc_lo
	v_cmp_gt_f32_e64 vcc_lo, 0x33800000, |v10|
	v_cndmask_b32_e32 v10, v47, v10, vcc_lo
	v_add_f32_e32 v10, v9, v10
.LBB511_103:
	s_or_b32 exec_lo, exec_lo, s17
	v_bfe_u32 v9, v10, 16, 1
	v_cmp_o_f32_e32 vcc_lo, v10, v10
	v_add3_u32 v9, v10, v9, 0x7fff
	v_mov_b32_e32 v10, 0x7fc0
	v_cndmask_b32_sdwa v54, v10, v9, vcc_lo dst_sel:DWORD dst_unused:UNUSED_PAD src0_sel:DWORD src1_sel:WORD_1
	v_and_b32_e32 v9, 0xffff, v54
.LBB511_104:
	s_or_b32 exec_lo, exec_lo, s16
	v_cmp_gt_u32_e32 vcc_lo, 24, v40
	v_add_nc_u32_e32 v48, 8, v40
	s_mov_b32 s16, exec_lo
	s_waitcnt lgkmcnt(0)
	v_cndmask_b32_e64 v10, 0, 8, vcc_lo
	v_add_lshl_u32 v47, v10, v40, 2
	ds_bpermute_b32 v10, v47, v9
	v_cmpx_le_u32_e64 v48, v8
	s_cbranch_execz .LBB511_108
; %bb.105:
	v_lshlrev_b32_e32 v9, 16, v9
	s_waitcnt lgkmcnt(0)
	v_lshlrev_b32_e32 v10, 16, v10
	v_max_f32_e32 v49, v9, v9
	v_max_f32_e32 v50, v10, v10
	v_cmp_u_f32_e32 vcc_lo, v10, v10
	v_min_f32_e32 v51, v50, v49
	v_max_f32_e32 v49, v50, v49
	v_cndmask_b32_e32 v50, v51, v10, vcc_lo
	v_cndmask_b32_e32 v51, v49, v10, vcc_lo
	v_cmp_u_f32_e32 vcc_lo, v9, v9
	v_cndmask_b32_e32 v49, v50, v9, vcc_lo
	v_cndmask_b32_e32 v9, v51, v9, vcc_lo
	v_cmp_class_f32_e64 s17, v49, 0x1f8
	v_cmp_neq_f32_e32 vcc_lo, v49, v9
	s_or_b32 s37, vcc_lo, s17
	s_and_saveexec_b32 s17, s37
	s_cbranch_execz .LBB511_107
; %bb.106:
	v_sub_f32_e32 v10, v49, v9
	s_mov_b32 s37, 0x3e9b6dac
	v_mul_f32_e32 v49, 0x3fb8aa3b, v10
	v_cmp_ngt_f32_e32 vcc_lo, 0xc2ce8ed0, v10
	v_fma_f32 v50, 0x3fb8aa3b, v10, -v49
	v_rndne_f32_e32 v51, v49
	v_fmamk_f32 v50, v10, 0x32a5705f, v50
	v_sub_f32_e32 v49, v49, v51
	v_add_f32_e32 v49, v49, v50
	v_cvt_i32_f32_e32 v50, v51
	v_exp_f32_e32 v49, v49
	v_ldexp_f32 v49, v49, v50
	v_cndmask_b32_e32 v49, 0, v49, vcc_lo
	v_cmp_nlt_f32_e32 vcc_lo, 0x42b17218, v10
	v_cndmask_b32_e32 v10, 0x7f800000, v49, vcc_lo
	v_add_f32_e32 v51, 1.0, v10
	v_cvt_f64_f32_e32 v[49:50], v51
	v_frexp_exp_i32_f64_e32 v49, v[49:50]
	v_frexp_mant_f32_e32 v50, v51
	v_cmp_gt_f32_e32 vcc_lo, 0x3f2aaaab, v50
	v_add_f32_e32 v50, -1.0, v51
	v_sub_f32_e32 v53, v50, v51
	v_sub_f32_e32 v50, v10, v50
	v_add_f32_e32 v53, 1.0, v53
	v_add_f32_e32 v50, v50, v53
	v_subrev_co_ci_u32_e64 v49, null, 0, v49, vcc_lo
	v_cmp_neq_f32_e32 vcc_lo, 0x7f800000, v10
	v_sub_nc_u32_e32 v52, 0, v49
	v_cvt_f32_i32_e32 v49, v49
	v_ldexp_f32 v51, v51, v52
	v_ldexp_f32 v50, v50, v52
	v_add_f32_e32 v54, 1.0, v51
	v_add_f32_e32 v52, -1.0, v51
	v_add_f32_e32 v53, -1.0, v54
	v_add_f32_e32 v55, 1.0, v52
	v_sub_f32_e32 v53, v51, v53
	v_sub_f32_e32 v51, v51, v55
	v_add_f32_e32 v53, v50, v53
	v_add_f32_e32 v50, v50, v51
	;; [unrolled: 1-line block ×4, first 2 shown]
	v_rcp_f32_e32 v51, v55
	v_sub_f32_e32 v54, v54, v55
	v_sub_f32_e32 v52, v52, v56
	v_add_f32_e32 v53, v53, v54
	v_add_f32_e32 v50, v50, v52
	v_mul_f32_e32 v57, v56, v51
	v_mul_f32_e32 v58, v55, v57
	v_fma_f32 v54, v57, v55, -v58
	v_fmac_f32_e32 v54, v57, v53
	v_add_f32_e32 v59, v58, v54
	v_sub_f32_e32 v60, v56, v59
	v_sub_f32_e32 v52, v59, v58
	;; [unrolled: 1-line block ×5, first 2 shown]
	v_add_f32_e32 v50, v50, v56
	v_add_f32_e32 v50, v52, v50
	;; [unrolled: 1-line block ×3, first 2 shown]
	v_mul_f32_e32 v54, v51, v52
	v_sub_f32_e32 v59, v60, v52
	v_mul_f32_e32 v56, v55, v54
	v_add_f32_e32 v50, v50, v59
	v_fma_f32 v55, v54, v55, -v56
	v_fmac_f32_e32 v55, v54, v53
	v_add_f32_e32 v53, v56, v55
	v_sub_f32_e32 v58, v52, v53
	v_sub_f32_e32 v56, v53, v56
	;; [unrolled: 1-line block ×5, first 2 shown]
	v_add_f32_e32 v50, v50, v52
	v_add_f32_e32 v52, v57, v54
	;; [unrolled: 1-line block ×3, first 2 shown]
	v_sub_f32_e32 v53, v52, v57
	v_add_f32_e32 v50, v58, v50
	v_sub_f32_e32 v53, v54, v53
	v_mul_f32_e32 v50, v51, v50
	v_add_f32_e32 v50, v53, v50
	v_add_f32_e32 v51, v52, v50
	v_mul_f32_e32 v53, v51, v51
	v_fmaak_f32 v54, s37, v53, 0x3ecc95a3
	v_mul_f32_e32 v55, v51, v53
	v_fmaak_f32 v53, v53, v54, 0x3f2aaada
	v_ldexp_f32 v54, v51, 1
	v_sub_f32_e32 v51, v51, v52
	v_mul_f32_e32 v53, v55, v53
	v_mul_f32_e32 v55, 0x3f317218, v49
	v_sub_f32_e32 v50, v50, v51
	v_add_f32_e32 v52, v54, v53
	v_ldexp_f32 v50, v50, 1
	v_sub_f32_e32 v51, v52, v54
	v_fma_f32 v54, 0x3f317218, v49, -v55
	v_sub_f32_e32 v51, v53, v51
	v_fmamk_f32 v49, v49, 0xb102e308, v54
	v_add_f32_e32 v50, v50, v51
	v_add_f32_e32 v51, v55, v49
	;; [unrolled: 1-line block ×3, first 2 shown]
	v_sub_f32_e32 v55, v51, v55
	v_add_f32_e32 v54, v51, v53
	v_sub_f32_e32 v52, v53, v52
	v_sub_f32_e32 v49, v49, v55
	;; [unrolled: 1-line block ×6, first 2 shown]
	v_add_f32_e32 v53, v49, v50
	v_sub_f32_e32 v51, v51, v57
	v_add_f32_e32 v51, v52, v51
	v_sub_f32_e32 v52, v53, v49
	v_add_f32_e32 v51, v53, v51
	v_sub_f32_e32 v53, v53, v52
	v_sub_f32_e32 v50, v50, v52
	v_add_f32_e32 v55, v54, v51
	v_sub_f32_e32 v49, v49, v53
	v_sub_f32_e32 v52, v55, v54
	v_add_f32_e32 v49, v50, v49
	v_sub_f32_e32 v50, v51, v52
	v_add_f32_e32 v49, v49, v50
	v_add_f32_e32 v49, v55, v49
	v_cndmask_b32_e32 v49, 0x7f800000, v49, vcc_lo
	v_cmp_gt_f32_e64 vcc_lo, 0x33800000, |v10|
	v_cndmask_b32_e32 v10, v49, v10, vcc_lo
	v_add_f32_e32 v10, v9, v10
.LBB511_107:
	s_or_b32 exec_lo, exec_lo, s17
	v_bfe_u32 v9, v10, 16, 1
	v_cmp_o_f32_e32 vcc_lo, v10, v10
	v_add3_u32 v9, v10, v9, 0x7fff
	v_mov_b32_e32 v10, 0x7fc0
	v_cndmask_b32_sdwa v54, v10, v9, vcc_lo dst_sel:DWORD dst_unused:UNUSED_PAD src0_sel:DWORD src1_sel:WORD_1
	v_and_b32_e32 v9, 0xffff, v54
.LBB511_108:
	s_or_b32 exec_lo, exec_lo, s16
	v_lshl_or_b32 v50, v40, 2, 64
	v_add_nc_u32_e32 v51, 16, v40
	s_mov_b32 s16, exec_lo
	s_waitcnt lgkmcnt(0)
	ds_bpermute_b32 v10, v50, v9
	v_cmpx_le_u32_e64 v51, v8
	s_cbranch_execz .LBB511_112
; %bb.109:
	v_lshlrev_b32_e32 v8, 16, v9
	s_waitcnt lgkmcnt(0)
	v_lshlrev_b32_e32 v9, 16, v10
	v_max_f32_e32 v10, v8, v8
	v_max_f32_e32 v49, v9, v9
	v_cmp_u_f32_e32 vcc_lo, v9, v9
	v_min_f32_e32 v52, v49, v10
	v_max_f32_e32 v10, v49, v10
	v_cndmask_b32_e32 v49, v52, v9, vcc_lo
	v_cndmask_b32_e32 v52, v10, v9, vcc_lo
	v_cmp_u_f32_e32 vcc_lo, v8, v8
	v_cndmask_b32_e32 v10, v49, v8, vcc_lo
	v_cndmask_b32_e32 v8, v52, v8, vcc_lo
	v_cmp_class_f32_e64 s17, v10, 0x1f8
	v_cmp_neq_f32_e32 vcc_lo, v10, v8
	s_or_b32 s37, vcc_lo, s17
	s_and_saveexec_b32 s17, s37
	s_cbranch_execz .LBB511_111
; %bb.110:
	v_sub_f32_e32 v9, v10, v8
	s_mov_b32 s37, 0x3e9b6dac
	v_mul_f32_e32 v10, 0x3fb8aa3b, v9
	v_cmp_ngt_f32_e32 vcc_lo, 0xc2ce8ed0, v9
	v_fma_f32 v49, 0x3fb8aa3b, v9, -v10
	v_rndne_f32_e32 v52, v10
	v_fmamk_f32 v49, v9, 0x32a5705f, v49
	v_sub_f32_e32 v10, v10, v52
	v_add_f32_e32 v10, v10, v49
	v_cvt_i32_f32_e32 v49, v52
	v_exp_f32_e32 v10, v10
	v_ldexp_f32 v10, v10, v49
	v_cndmask_b32_e32 v10, 0, v10, vcc_lo
	v_cmp_nlt_f32_e32 vcc_lo, 0x42b17218, v9
	v_cndmask_b32_e32 v49, 0x7f800000, v10, vcc_lo
	v_add_f32_e32 v52, 1.0, v49
	v_cvt_f64_f32_e32 v[9:10], v52
	v_frexp_exp_i32_f64_e32 v9, v[9:10]
	v_frexp_mant_f32_e32 v10, v52
	v_cmp_gt_f32_e32 vcc_lo, 0x3f2aaaab, v10
	v_add_f32_e32 v10, -1.0, v52
	v_sub_f32_e32 v54, v10, v52
	v_sub_f32_e32 v10, v49, v10
	v_add_f32_e32 v54, 1.0, v54
	v_add_f32_e32 v10, v10, v54
	v_subrev_co_ci_u32_e64 v9, null, 0, v9, vcc_lo
	v_cmp_neq_f32_e32 vcc_lo, 0x7f800000, v49
	v_sub_nc_u32_e32 v53, 0, v9
	v_cvt_f32_i32_e32 v9, v9
	v_ldexp_f32 v52, v52, v53
	v_ldexp_f32 v10, v10, v53
	v_add_f32_e32 v55, 1.0, v52
	v_add_f32_e32 v53, -1.0, v52
	v_add_f32_e32 v54, -1.0, v55
	v_add_f32_e32 v56, 1.0, v53
	v_sub_f32_e32 v54, v52, v54
	v_sub_f32_e32 v52, v52, v56
	v_add_f32_e32 v54, v10, v54
	v_add_f32_e32 v10, v10, v52
	;; [unrolled: 1-line block ×4, first 2 shown]
	v_rcp_f32_e32 v52, v56
	v_sub_f32_e32 v55, v55, v56
	v_sub_f32_e32 v53, v53, v57
	v_add_f32_e32 v54, v54, v55
	v_add_f32_e32 v10, v10, v53
	v_mul_f32_e32 v58, v57, v52
	v_mul_f32_e32 v59, v56, v58
	v_fma_f32 v55, v58, v56, -v59
	v_fmac_f32_e32 v55, v58, v54
	v_add_f32_e32 v60, v59, v55
	v_sub_f32_e32 v61, v57, v60
	v_sub_f32_e32 v53, v60, v59
	;; [unrolled: 1-line block ×5, first 2 shown]
	v_add_f32_e32 v10, v10, v57
	v_add_f32_e32 v10, v53, v10
	v_add_f32_e32 v53, v61, v10
	v_mul_f32_e32 v55, v52, v53
	v_sub_f32_e32 v60, v61, v53
	v_mul_f32_e32 v57, v56, v55
	v_add_f32_e32 v10, v10, v60
	v_fma_f32 v56, v55, v56, -v57
	v_fmac_f32_e32 v56, v55, v54
	v_add_f32_e32 v54, v57, v56
	v_sub_f32_e32 v59, v53, v54
	v_sub_f32_e32 v57, v54, v57
	;; [unrolled: 1-line block ×5, first 2 shown]
	v_add_f32_e32 v10, v10, v53
	v_add_f32_e32 v53, v58, v55
	;; [unrolled: 1-line block ×3, first 2 shown]
	v_sub_f32_e32 v54, v53, v58
	v_add_f32_e32 v10, v59, v10
	v_sub_f32_e32 v54, v55, v54
	v_mul_f32_e32 v10, v52, v10
	v_add_f32_e32 v10, v54, v10
	v_add_f32_e32 v52, v53, v10
	v_mul_f32_e32 v54, v52, v52
	v_fmaak_f32 v55, s37, v54, 0x3ecc95a3
	v_mul_f32_e32 v56, v52, v54
	v_fmaak_f32 v54, v54, v55, 0x3f2aaada
	v_ldexp_f32 v55, v52, 1
	v_sub_f32_e32 v52, v52, v53
	v_mul_f32_e32 v54, v56, v54
	v_mul_f32_e32 v56, 0x3f317218, v9
	v_sub_f32_e32 v10, v10, v52
	v_add_f32_e32 v53, v55, v54
	v_ldexp_f32 v10, v10, 1
	v_sub_f32_e32 v52, v53, v55
	v_fma_f32 v55, 0x3f317218, v9, -v56
	v_sub_f32_e32 v52, v54, v52
	v_fmamk_f32 v9, v9, 0xb102e308, v55
	v_add_f32_e32 v10, v10, v52
	v_add_f32_e32 v52, v56, v9
	;; [unrolled: 1-line block ×3, first 2 shown]
	v_sub_f32_e32 v56, v52, v56
	v_add_f32_e32 v55, v52, v54
	v_sub_f32_e32 v53, v54, v53
	v_sub_f32_e32 v9, v9, v56
	;; [unrolled: 1-line block ×6, first 2 shown]
	v_add_f32_e32 v54, v9, v10
	v_sub_f32_e32 v52, v52, v58
	v_add_f32_e32 v52, v53, v52
	v_sub_f32_e32 v53, v54, v9
	;; [unrolled: 2-line block ×3, first 2 shown]
	v_sub_f32_e32 v10, v10, v53
	v_add_f32_e32 v56, v55, v52
	v_sub_f32_e32 v9, v9, v54
	v_sub_f32_e32 v53, v56, v55
	v_add_f32_e32 v9, v10, v9
	v_sub_f32_e32 v10, v52, v53
	v_add_f32_e32 v9, v9, v10
	v_add_f32_e32 v9, v56, v9
	v_cndmask_b32_e32 v9, 0x7f800000, v9, vcc_lo
	v_cmp_gt_f32_e64 vcc_lo, 0x33800000, |v49|
	v_cndmask_b32_e32 v9, v9, v49, vcc_lo
	v_add_f32_e32 v9, v8, v9
.LBB511_111:
	s_or_b32 exec_lo, exec_lo, s17
	v_bfe_u32 v8, v9, 16, 1
	v_cmp_o_f32_e32 vcc_lo, v9, v9
	v_add3_u32 v8, v9, v8, 0x7fff
	v_mov_b32_e32 v9, 0x7fc0
	v_cndmask_b32_sdwa v54, v9, v8, vcc_lo dst_sel:DWORD dst_unused:UNUSED_PAD src0_sel:DWORD src1_sel:WORD_1
.LBB511_112:
	s_or_b32 exec_lo, exec_lo, s16
	v_mov_b32_e32 v8, 0
	v_mov_b32_e32 v52, 2
	v_mov_b32_e32 v53, 0x7fc0
	s_mov_b32 s16, 0x3e9b6dac
	s_branch .LBB511_115
.LBB511_113:                            ;   in Loop: Header=BB511_115 Depth=1
	s_or_b32 exec_lo, exec_lo, s17
	v_bfe_u32 v9, v10, 16, 1
	v_cmp_o_f32_e32 vcc_lo, v10, v10
	v_subrev_nc_u32_e32 v7, 32, v7
	s_mov_b32 s17, 0
	v_add3_u32 v9, v10, v9, 0x7fff
	v_cndmask_b32_sdwa v54, v53, v9, vcc_lo dst_sel:DWORD dst_unused:UNUSED_PAD src0_sel:DWORD src1_sel:WORD_1
.LBB511_114:                            ;   in Loop: Header=BB511_115 Depth=1
	s_and_b32 vcc_lo, exec_lo, s17
	s_cbranch_vccnz .LBB511_143
.LBB511_115:                            ; =>This Loop Header: Depth=1
                                        ;     Child Loop BB511_118 Depth 2
	v_cmp_ne_u16_sdwa s17, v41, v52 src0_sel:BYTE_0 src1_sel:DWORD
	v_mov_b32_e32 v49, v54
                                        ; implicit-def: $vgpr54
                                        ; implicit-def: $vgpr41
	s_cmp_lg_u32 s17, exec_lo
	s_mov_b32 s17, -1
	s_cbranch_scc1 .LBB511_114
; %bb.116:                              ;   in Loop: Header=BB511_115 Depth=1
	s_waitcnt lgkmcnt(0)
	v_lshlrev_b64 v[9:10], 2, v[7:8]
	v_add_co_u32 v9, vcc_lo, s18, v9
	v_add_co_ci_u32_e64 v10, null, s19, v10, vcc_lo
	global_load_dword v54, v[9:10], off glc dlc
	s_waitcnt vmcnt(0)
	v_lshrrev_b32_e32 v41, 16, v54
	v_cmp_eq_u16_sdwa s37, v41, v8 src0_sel:BYTE_0 src1_sel:DWORD
	s_and_saveexec_b32 s17, s37
	s_cbranch_execz .LBB511_120
; %bb.117:                              ;   in Loop: Header=BB511_115 Depth=1
	s_mov_b32 s37, 0
.LBB511_118:                            ;   Parent Loop BB511_115 Depth=1
                                        ; =>  This Inner Loop Header: Depth=2
	global_load_dword v54, v[9:10], off glc dlc
	s_waitcnt vmcnt(0)
	v_lshrrev_b32_e32 v41, 16, v54
	v_cmp_ne_u16_sdwa s38, v41, v8 src0_sel:BYTE_0 src1_sel:DWORD
	s_or_b32 s37, s38, s37
	s_andn2_b32 exec_lo, exec_lo, s37
	s_cbranch_execnz .LBB511_118
; %bb.119:                              ;   in Loop: Header=BB511_115 Depth=1
	s_or_b32 exec_lo, exec_lo, s37
.LBB511_120:                            ;   in Loop: Header=BB511_115 Depth=1
	s_or_b32 exec_lo, exec_lo, s17
	v_and_b32_e32 v10, 0xffff, v54
	v_cmp_eq_u16_sdwa s17, v41, v52 src0_sel:BYTE_0 src1_sel:DWORD
	ds_bpermute_b32 v55, v11, v10
	v_and_or_b32 v9, s17, v42, 0x80000000
	s_mov_b32 s17, exec_lo
	v_ffbl_b32_e32 v9, v9
	v_cmpx_lt_u32_e64 v40, v9
	s_cbranch_execz .LBB511_124
; %bb.121:                              ;   in Loop: Header=BB511_115 Depth=1
	v_lshlrev_b32_e32 v10, 16, v10
	s_waitcnt lgkmcnt(0)
	v_lshlrev_b32_e32 v54, 16, v55
	v_max_f32_e32 v55, v10, v10
	v_max_f32_e32 v56, v54, v54
	v_cmp_u_f32_e32 vcc_lo, v54, v54
	v_min_f32_e32 v57, v56, v55
	v_max_f32_e32 v55, v56, v55
	v_cndmask_b32_e32 v56, v57, v54, vcc_lo
	v_cndmask_b32_e32 v57, v55, v54, vcc_lo
	v_cmp_u_f32_e32 vcc_lo, v10, v10
	v_cndmask_b32_e32 v55, v56, v10, vcc_lo
	v_cndmask_b32_e32 v10, v57, v10, vcc_lo
	v_cmp_class_f32_e64 s37, v55, 0x1f8
	v_cmp_neq_f32_e32 vcc_lo, v55, v10
	s_or_b32 s38, vcc_lo, s37
	s_and_saveexec_b32 s37, s38
	s_cbranch_execz .LBB511_123
; %bb.122:                              ;   in Loop: Header=BB511_115 Depth=1
	v_sub_f32_e32 v54, v55, v10
	v_mul_f32_e32 v55, 0x3fb8aa3b, v54
	v_cmp_ngt_f32_e32 vcc_lo, 0xc2ce8ed0, v54
	v_fma_f32 v56, 0x3fb8aa3b, v54, -v55
	v_rndne_f32_e32 v57, v55
	v_fmac_f32_e32 v56, 0x32a5705f, v54
	v_sub_f32_e32 v55, v55, v57
	v_add_f32_e32 v55, v55, v56
	v_cvt_i32_f32_e32 v56, v57
	v_exp_f32_e32 v55, v55
	v_ldexp_f32 v55, v55, v56
	v_cndmask_b32_e32 v55, 0, v55, vcc_lo
	v_cmp_nlt_f32_e32 vcc_lo, 0x42b17218, v54
	v_cndmask_b32_e32 v56, 0x7f800000, v55, vcc_lo
	v_add_f32_e32 v57, 1.0, v56
	v_cvt_f64_f32_e32 v[54:55], v57
	v_frexp_exp_i32_f64_e32 v54, v[54:55]
	v_frexp_mant_f32_e32 v55, v57
	v_cmp_gt_f32_e32 vcc_lo, 0x3f2aaaab, v55
	v_add_f32_e32 v55, -1.0, v57
	v_sub_f32_e32 v59, v55, v57
	v_sub_f32_e32 v55, v56, v55
	v_add_f32_e32 v59, 1.0, v59
	v_add_f32_e32 v55, v55, v59
	v_subrev_co_ci_u32_e64 v54, null, 0, v54, vcc_lo
	v_cmp_neq_f32_e32 vcc_lo, 0x7f800000, v56
	v_sub_nc_u32_e32 v58, 0, v54
	v_cvt_f32_i32_e32 v54, v54
	v_ldexp_f32 v57, v57, v58
	v_ldexp_f32 v55, v55, v58
	v_add_f32_e32 v60, 1.0, v57
	v_add_f32_e32 v58, -1.0, v57
	v_add_f32_e32 v59, -1.0, v60
	v_add_f32_e32 v61, 1.0, v58
	v_sub_f32_e32 v59, v57, v59
	v_sub_f32_e32 v57, v57, v61
	v_add_f32_e32 v59, v55, v59
	v_add_f32_e32 v55, v55, v57
	;; [unrolled: 1-line block ×4, first 2 shown]
	v_rcp_f32_e32 v57, v61
	v_sub_f32_e32 v60, v60, v61
	v_sub_f32_e32 v58, v58, v62
	v_add_f32_e32 v59, v59, v60
	v_add_f32_e32 v55, v55, v58
	v_mul_f32_e32 v63, v62, v57
	v_mul_f32_e32 v64, v61, v63
	v_fma_f32 v60, v63, v61, -v64
	v_fmac_f32_e32 v60, v63, v59
	v_add_f32_e32 v65, v64, v60
	v_sub_f32_e32 v66, v62, v65
	v_sub_f32_e32 v58, v65, v64
	;; [unrolled: 1-line block ×5, first 2 shown]
	v_add_f32_e32 v55, v55, v62
	v_add_f32_e32 v55, v58, v55
	;; [unrolled: 1-line block ×3, first 2 shown]
	v_mul_f32_e32 v60, v57, v58
	v_sub_f32_e32 v65, v66, v58
	v_mul_f32_e32 v62, v61, v60
	v_add_f32_e32 v55, v55, v65
	v_fma_f32 v61, v60, v61, -v62
	v_fmac_f32_e32 v61, v60, v59
	v_add_f32_e32 v59, v62, v61
	v_sub_f32_e32 v64, v58, v59
	v_sub_f32_e32 v62, v59, v62
	;; [unrolled: 1-line block ×5, first 2 shown]
	v_add_f32_e32 v55, v55, v58
	v_add_f32_e32 v58, v63, v60
	;; [unrolled: 1-line block ×3, first 2 shown]
	v_sub_f32_e32 v59, v58, v63
	v_add_f32_e32 v55, v64, v55
	v_sub_f32_e32 v59, v60, v59
	v_mul_f32_e32 v55, v57, v55
	v_add_f32_e32 v55, v59, v55
	v_add_f32_e32 v57, v58, v55
	v_mul_f32_e32 v59, v57, v57
	v_fmaak_f32 v60, s16, v59, 0x3ecc95a3
	v_mul_f32_e32 v61, v57, v59
	v_fmaak_f32 v59, v59, v60, 0x3f2aaada
	v_ldexp_f32 v60, v57, 1
	v_sub_f32_e32 v57, v57, v58
	v_mul_f32_e32 v59, v61, v59
	v_mul_f32_e32 v61, 0x3f317218, v54
	v_sub_f32_e32 v55, v55, v57
	v_add_f32_e32 v58, v60, v59
	v_ldexp_f32 v55, v55, 1
	v_sub_f32_e32 v57, v58, v60
	v_fma_f32 v60, 0x3f317218, v54, -v61
	v_sub_f32_e32 v57, v59, v57
	v_fmac_f32_e32 v60, 0xb102e308, v54
	v_add_f32_e32 v54, v55, v57
	v_add_f32_e32 v55, v61, v60
	;; [unrolled: 1-line block ×3, first 2 shown]
	v_sub_f32_e32 v61, v55, v61
	v_add_f32_e32 v59, v55, v57
	v_sub_f32_e32 v58, v57, v58
	v_sub_f32_e32 v60, v60, v61
	;; [unrolled: 1-line block ×6, first 2 shown]
	v_add_f32_e32 v58, v60, v54
	v_sub_f32_e32 v55, v55, v63
	v_add_f32_e32 v55, v57, v55
	v_sub_f32_e32 v57, v58, v60
	;; [unrolled: 2-line block ×3, first 2 shown]
	v_sub_f32_e32 v54, v54, v57
	v_add_f32_e32 v61, v59, v55
	v_sub_f32_e32 v58, v60, v58
	v_sub_f32_e32 v57, v61, v59
	v_add_f32_e32 v54, v54, v58
	v_sub_f32_e32 v55, v55, v57
	v_add_f32_e32 v54, v54, v55
	v_add_f32_e32 v54, v61, v54
	v_cndmask_b32_e32 v54, 0x7f800000, v54, vcc_lo
	v_cmp_gt_f32_e64 vcc_lo, 0x33800000, |v56|
	v_cndmask_b32_e32 v54, v54, v56, vcc_lo
	v_add_f32_e32 v54, v10, v54
.LBB511_123:                            ;   in Loop: Header=BB511_115 Depth=1
	s_or_b32 exec_lo, exec_lo, s37
	v_bfe_u32 v10, v54, 16, 1
	v_cmp_o_f32_e32 vcc_lo, v54, v54
	v_add3_u32 v10, v54, v10, 0x7fff
	v_cndmask_b32_sdwa v54, v53, v10, vcc_lo dst_sel:DWORD dst_unused:UNUSED_PAD src0_sel:DWORD src1_sel:WORD_1
	v_and_b32_e32 v10, 0xffff, v54
.LBB511_124:                            ;   in Loop: Header=BB511_115 Depth=1
	s_or_b32 exec_lo, exec_lo, s17
	s_waitcnt lgkmcnt(0)
	ds_bpermute_b32 v55, v43, v10
	s_mov_b32 s17, exec_lo
	v_cmpx_le_u32_e64 v44, v9
	s_cbranch_execz .LBB511_128
; %bb.125:                              ;   in Loop: Header=BB511_115 Depth=1
	v_lshlrev_b32_e32 v10, 16, v10
	s_waitcnt lgkmcnt(0)
	v_lshlrev_b32_e32 v54, 16, v55
	v_max_f32_e32 v55, v10, v10
	v_max_f32_e32 v56, v54, v54
	v_cmp_u_f32_e32 vcc_lo, v54, v54
	v_min_f32_e32 v57, v56, v55
	v_max_f32_e32 v55, v56, v55
	v_cndmask_b32_e32 v56, v57, v54, vcc_lo
	v_cndmask_b32_e32 v57, v55, v54, vcc_lo
	v_cmp_u_f32_e32 vcc_lo, v10, v10
	v_cndmask_b32_e32 v55, v56, v10, vcc_lo
	v_cndmask_b32_e32 v10, v57, v10, vcc_lo
	v_cmp_class_f32_e64 s37, v55, 0x1f8
	v_cmp_neq_f32_e32 vcc_lo, v55, v10
	s_or_b32 s38, vcc_lo, s37
	s_and_saveexec_b32 s37, s38
	s_cbranch_execz .LBB511_127
; %bb.126:                              ;   in Loop: Header=BB511_115 Depth=1
	v_sub_f32_e32 v54, v55, v10
	v_mul_f32_e32 v55, 0x3fb8aa3b, v54
	v_cmp_ngt_f32_e32 vcc_lo, 0xc2ce8ed0, v54
	v_fma_f32 v56, 0x3fb8aa3b, v54, -v55
	v_rndne_f32_e32 v57, v55
	v_fmac_f32_e32 v56, 0x32a5705f, v54
	v_sub_f32_e32 v55, v55, v57
	v_add_f32_e32 v55, v55, v56
	v_cvt_i32_f32_e32 v56, v57
	v_exp_f32_e32 v55, v55
	v_ldexp_f32 v55, v55, v56
	v_cndmask_b32_e32 v55, 0, v55, vcc_lo
	v_cmp_nlt_f32_e32 vcc_lo, 0x42b17218, v54
	v_cndmask_b32_e32 v56, 0x7f800000, v55, vcc_lo
	v_add_f32_e32 v57, 1.0, v56
	v_cvt_f64_f32_e32 v[54:55], v57
	v_frexp_exp_i32_f64_e32 v54, v[54:55]
	v_frexp_mant_f32_e32 v55, v57
	v_cmp_gt_f32_e32 vcc_lo, 0x3f2aaaab, v55
	v_add_f32_e32 v55, -1.0, v57
	v_sub_f32_e32 v59, v55, v57
	v_sub_f32_e32 v55, v56, v55
	v_add_f32_e32 v59, 1.0, v59
	v_add_f32_e32 v55, v55, v59
	v_subrev_co_ci_u32_e64 v54, null, 0, v54, vcc_lo
	v_cmp_neq_f32_e32 vcc_lo, 0x7f800000, v56
	v_sub_nc_u32_e32 v58, 0, v54
	v_cvt_f32_i32_e32 v54, v54
	v_ldexp_f32 v57, v57, v58
	v_ldexp_f32 v55, v55, v58
	v_add_f32_e32 v60, 1.0, v57
	v_add_f32_e32 v58, -1.0, v57
	v_add_f32_e32 v59, -1.0, v60
	v_add_f32_e32 v61, 1.0, v58
	v_sub_f32_e32 v59, v57, v59
	v_sub_f32_e32 v57, v57, v61
	v_add_f32_e32 v59, v55, v59
	v_add_f32_e32 v55, v55, v57
	;; [unrolled: 1-line block ×4, first 2 shown]
	v_rcp_f32_e32 v57, v61
	v_sub_f32_e32 v60, v60, v61
	v_sub_f32_e32 v58, v58, v62
	v_add_f32_e32 v59, v59, v60
	v_add_f32_e32 v55, v55, v58
	v_mul_f32_e32 v63, v62, v57
	v_mul_f32_e32 v64, v61, v63
	v_fma_f32 v60, v63, v61, -v64
	v_fmac_f32_e32 v60, v63, v59
	v_add_f32_e32 v65, v64, v60
	v_sub_f32_e32 v66, v62, v65
	v_sub_f32_e32 v58, v65, v64
	;; [unrolled: 1-line block ×5, first 2 shown]
	v_add_f32_e32 v55, v55, v62
	v_add_f32_e32 v55, v58, v55
	;; [unrolled: 1-line block ×3, first 2 shown]
	v_mul_f32_e32 v60, v57, v58
	v_sub_f32_e32 v65, v66, v58
	v_mul_f32_e32 v62, v61, v60
	v_add_f32_e32 v55, v55, v65
	v_fma_f32 v61, v60, v61, -v62
	v_fmac_f32_e32 v61, v60, v59
	v_add_f32_e32 v59, v62, v61
	v_sub_f32_e32 v64, v58, v59
	v_sub_f32_e32 v62, v59, v62
	;; [unrolled: 1-line block ×5, first 2 shown]
	v_add_f32_e32 v55, v55, v58
	v_add_f32_e32 v58, v63, v60
	v_add_f32_e32 v55, v59, v55
	v_sub_f32_e32 v59, v58, v63
	v_add_f32_e32 v55, v64, v55
	v_sub_f32_e32 v59, v60, v59
	v_mul_f32_e32 v55, v57, v55
	v_add_f32_e32 v55, v59, v55
	v_add_f32_e32 v57, v58, v55
	v_mul_f32_e32 v59, v57, v57
	v_fmaak_f32 v60, s16, v59, 0x3ecc95a3
	v_mul_f32_e32 v61, v57, v59
	v_fmaak_f32 v59, v59, v60, 0x3f2aaada
	v_ldexp_f32 v60, v57, 1
	v_sub_f32_e32 v57, v57, v58
	v_mul_f32_e32 v59, v61, v59
	v_mul_f32_e32 v61, 0x3f317218, v54
	v_sub_f32_e32 v55, v55, v57
	v_add_f32_e32 v58, v60, v59
	v_ldexp_f32 v55, v55, 1
	v_sub_f32_e32 v57, v58, v60
	v_fma_f32 v60, 0x3f317218, v54, -v61
	v_sub_f32_e32 v57, v59, v57
	v_fmac_f32_e32 v60, 0xb102e308, v54
	v_add_f32_e32 v54, v55, v57
	v_add_f32_e32 v55, v61, v60
	;; [unrolled: 1-line block ×3, first 2 shown]
	v_sub_f32_e32 v61, v55, v61
	v_add_f32_e32 v59, v55, v57
	v_sub_f32_e32 v58, v57, v58
	v_sub_f32_e32 v60, v60, v61
	;; [unrolled: 1-line block ×6, first 2 shown]
	v_add_f32_e32 v58, v60, v54
	v_sub_f32_e32 v55, v55, v63
	v_add_f32_e32 v55, v57, v55
	v_sub_f32_e32 v57, v58, v60
	;; [unrolled: 2-line block ×3, first 2 shown]
	v_sub_f32_e32 v54, v54, v57
	v_add_f32_e32 v61, v59, v55
	v_sub_f32_e32 v58, v60, v58
	v_sub_f32_e32 v57, v61, v59
	v_add_f32_e32 v54, v54, v58
	v_sub_f32_e32 v55, v55, v57
	v_add_f32_e32 v54, v54, v55
	v_add_f32_e32 v54, v61, v54
	v_cndmask_b32_e32 v54, 0x7f800000, v54, vcc_lo
	v_cmp_gt_f32_e64 vcc_lo, 0x33800000, |v56|
	v_cndmask_b32_e32 v54, v54, v56, vcc_lo
	v_add_f32_e32 v54, v10, v54
.LBB511_127:                            ;   in Loop: Header=BB511_115 Depth=1
	s_or_b32 exec_lo, exec_lo, s37
	v_bfe_u32 v10, v54, 16, 1
	v_cmp_o_f32_e32 vcc_lo, v54, v54
	v_add3_u32 v10, v54, v10, 0x7fff
	v_cndmask_b32_sdwa v54, v53, v10, vcc_lo dst_sel:DWORD dst_unused:UNUSED_PAD src0_sel:DWORD src1_sel:WORD_1
	v_and_b32_e32 v10, 0xffff, v54
.LBB511_128:                            ;   in Loop: Header=BB511_115 Depth=1
	s_or_b32 exec_lo, exec_lo, s17
	s_waitcnt lgkmcnt(0)
	ds_bpermute_b32 v55, v45, v10
	s_mov_b32 s17, exec_lo
	v_cmpx_le_u32_e64 v46, v9
	s_cbranch_execz .LBB511_132
; %bb.129:                              ;   in Loop: Header=BB511_115 Depth=1
	v_lshlrev_b32_e32 v10, 16, v10
	s_waitcnt lgkmcnt(0)
	v_lshlrev_b32_e32 v54, 16, v55
	v_max_f32_e32 v55, v10, v10
	v_max_f32_e32 v56, v54, v54
	v_cmp_u_f32_e32 vcc_lo, v54, v54
	v_min_f32_e32 v57, v56, v55
	v_max_f32_e32 v55, v56, v55
	v_cndmask_b32_e32 v56, v57, v54, vcc_lo
	v_cndmask_b32_e32 v57, v55, v54, vcc_lo
	v_cmp_u_f32_e32 vcc_lo, v10, v10
	v_cndmask_b32_e32 v55, v56, v10, vcc_lo
	v_cndmask_b32_e32 v10, v57, v10, vcc_lo
	v_cmp_class_f32_e64 s37, v55, 0x1f8
	v_cmp_neq_f32_e32 vcc_lo, v55, v10
	s_or_b32 s38, vcc_lo, s37
	s_and_saveexec_b32 s37, s38
	s_cbranch_execz .LBB511_131
; %bb.130:                              ;   in Loop: Header=BB511_115 Depth=1
	v_sub_f32_e32 v54, v55, v10
	v_mul_f32_e32 v55, 0x3fb8aa3b, v54
	v_cmp_ngt_f32_e32 vcc_lo, 0xc2ce8ed0, v54
	v_fma_f32 v56, 0x3fb8aa3b, v54, -v55
	v_rndne_f32_e32 v57, v55
	v_fmac_f32_e32 v56, 0x32a5705f, v54
	v_sub_f32_e32 v55, v55, v57
	v_add_f32_e32 v55, v55, v56
	v_cvt_i32_f32_e32 v56, v57
	v_exp_f32_e32 v55, v55
	v_ldexp_f32 v55, v55, v56
	v_cndmask_b32_e32 v55, 0, v55, vcc_lo
	v_cmp_nlt_f32_e32 vcc_lo, 0x42b17218, v54
	v_cndmask_b32_e32 v56, 0x7f800000, v55, vcc_lo
	v_add_f32_e32 v57, 1.0, v56
	v_cvt_f64_f32_e32 v[54:55], v57
	v_frexp_exp_i32_f64_e32 v54, v[54:55]
	v_frexp_mant_f32_e32 v55, v57
	v_cmp_gt_f32_e32 vcc_lo, 0x3f2aaaab, v55
	v_add_f32_e32 v55, -1.0, v57
	v_sub_f32_e32 v59, v55, v57
	v_sub_f32_e32 v55, v56, v55
	v_add_f32_e32 v59, 1.0, v59
	v_add_f32_e32 v55, v55, v59
	v_subrev_co_ci_u32_e64 v54, null, 0, v54, vcc_lo
	v_cmp_neq_f32_e32 vcc_lo, 0x7f800000, v56
	v_sub_nc_u32_e32 v58, 0, v54
	v_cvt_f32_i32_e32 v54, v54
	v_ldexp_f32 v57, v57, v58
	v_ldexp_f32 v55, v55, v58
	v_add_f32_e32 v60, 1.0, v57
	v_add_f32_e32 v58, -1.0, v57
	v_add_f32_e32 v59, -1.0, v60
	v_add_f32_e32 v61, 1.0, v58
	v_sub_f32_e32 v59, v57, v59
	v_sub_f32_e32 v57, v57, v61
	v_add_f32_e32 v59, v55, v59
	v_add_f32_e32 v55, v55, v57
	;; [unrolled: 1-line block ×4, first 2 shown]
	v_rcp_f32_e32 v57, v61
	v_sub_f32_e32 v60, v60, v61
	v_sub_f32_e32 v58, v58, v62
	v_add_f32_e32 v59, v59, v60
	v_add_f32_e32 v55, v55, v58
	v_mul_f32_e32 v63, v62, v57
	v_mul_f32_e32 v64, v61, v63
	v_fma_f32 v60, v63, v61, -v64
	v_fmac_f32_e32 v60, v63, v59
	v_add_f32_e32 v65, v64, v60
	v_sub_f32_e32 v66, v62, v65
	v_sub_f32_e32 v58, v65, v64
	;; [unrolled: 1-line block ×5, first 2 shown]
	v_add_f32_e32 v55, v55, v62
	v_add_f32_e32 v55, v58, v55
	;; [unrolled: 1-line block ×3, first 2 shown]
	v_mul_f32_e32 v60, v57, v58
	v_sub_f32_e32 v65, v66, v58
	v_mul_f32_e32 v62, v61, v60
	v_add_f32_e32 v55, v55, v65
	v_fma_f32 v61, v60, v61, -v62
	v_fmac_f32_e32 v61, v60, v59
	v_add_f32_e32 v59, v62, v61
	v_sub_f32_e32 v64, v58, v59
	v_sub_f32_e32 v62, v59, v62
	;; [unrolled: 1-line block ×5, first 2 shown]
	v_add_f32_e32 v55, v55, v58
	v_add_f32_e32 v58, v63, v60
	;; [unrolled: 1-line block ×3, first 2 shown]
	v_sub_f32_e32 v59, v58, v63
	v_add_f32_e32 v55, v64, v55
	v_sub_f32_e32 v59, v60, v59
	v_mul_f32_e32 v55, v57, v55
	v_add_f32_e32 v55, v59, v55
	v_add_f32_e32 v57, v58, v55
	v_mul_f32_e32 v59, v57, v57
	v_fmaak_f32 v60, s16, v59, 0x3ecc95a3
	v_mul_f32_e32 v61, v57, v59
	v_fmaak_f32 v59, v59, v60, 0x3f2aaada
	v_ldexp_f32 v60, v57, 1
	v_sub_f32_e32 v57, v57, v58
	v_mul_f32_e32 v59, v61, v59
	v_mul_f32_e32 v61, 0x3f317218, v54
	v_sub_f32_e32 v55, v55, v57
	v_add_f32_e32 v58, v60, v59
	v_ldexp_f32 v55, v55, 1
	v_sub_f32_e32 v57, v58, v60
	v_fma_f32 v60, 0x3f317218, v54, -v61
	v_sub_f32_e32 v57, v59, v57
	v_fmac_f32_e32 v60, 0xb102e308, v54
	v_add_f32_e32 v54, v55, v57
	v_add_f32_e32 v55, v61, v60
	;; [unrolled: 1-line block ×3, first 2 shown]
	v_sub_f32_e32 v61, v55, v61
	v_add_f32_e32 v59, v55, v57
	v_sub_f32_e32 v58, v57, v58
	v_sub_f32_e32 v60, v60, v61
	;; [unrolled: 1-line block ×6, first 2 shown]
	v_add_f32_e32 v58, v60, v54
	v_sub_f32_e32 v55, v55, v63
	v_add_f32_e32 v55, v57, v55
	v_sub_f32_e32 v57, v58, v60
	;; [unrolled: 2-line block ×3, first 2 shown]
	v_sub_f32_e32 v54, v54, v57
	v_add_f32_e32 v61, v59, v55
	v_sub_f32_e32 v58, v60, v58
	v_sub_f32_e32 v57, v61, v59
	v_add_f32_e32 v54, v54, v58
	v_sub_f32_e32 v55, v55, v57
	v_add_f32_e32 v54, v54, v55
	v_add_f32_e32 v54, v61, v54
	v_cndmask_b32_e32 v54, 0x7f800000, v54, vcc_lo
	v_cmp_gt_f32_e64 vcc_lo, 0x33800000, |v56|
	v_cndmask_b32_e32 v54, v54, v56, vcc_lo
	v_add_f32_e32 v54, v10, v54
.LBB511_131:                            ;   in Loop: Header=BB511_115 Depth=1
	s_or_b32 exec_lo, exec_lo, s37
	v_bfe_u32 v10, v54, 16, 1
	v_cmp_o_f32_e32 vcc_lo, v54, v54
	v_add3_u32 v10, v54, v10, 0x7fff
	v_cndmask_b32_sdwa v54, v53, v10, vcc_lo dst_sel:DWORD dst_unused:UNUSED_PAD src0_sel:DWORD src1_sel:WORD_1
	v_and_b32_e32 v10, 0xffff, v54
.LBB511_132:                            ;   in Loop: Header=BB511_115 Depth=1
	s_or_b32 exec_lo, exec_lo, s17
	s_waitcnt lgkmcnt(0)
	ds_bpermute_b32 v55, v47, v10
	s_mov_b32 s17, exec_lo
	v_cmpx_le_u32_e64 v48, v9
	s_cbranch_execz .LBB511_136
; %bb.133:                              ;   in Loop: Header=BB511_115 Depth=1
	v_lshlrev_b32_e32 v10, 16, v10
	s_waitcnt lgkmcnt(0)
	v_lshlrev_b32_e32 v54, 16, v55
	v_max_f32_e32 v55, v10, v10
	v_max_f32_e32 v56, v54, v54
	v_cmp_u_f32_e32 vcc_lo, v54, v54
	v_min_f32_e32 v57, v56, v55
	v_max_f32_e32 v55, v56, v55
	v_cndmask_b32_e32 v56, v57, v54, vcc_lo
	v_cndmask_b32_e32 v57, v55, v54, vcc_lo
	v_cmp_u_f32_e32 vcc_lo, v10, v10
	v_cndmask_b32_e32 v55, v56, v10, vcc_lo
	v_cndmask_b32_e32 v10, v57, v10, vcc_lo
	v_cmp_class_f32_e64 s37, v55, 0x1f8
	v_cmp_neq_f32_e32 vcc_lo, v55, v10
	s_or_b32 s38, vcc_lo, s37
	s_and_saveexec_b32 s37, s38
	s_cbranch_execz .LBB511_135
; %bb.134:                              ;   in Loop: Header=BB511_115 Depth=1
	v_sub_f32_e32 v54, v55, v10
	v_mul_f32_e32 v55, 0x3fb8aa3b, v54
	v_cmp_ngt_f32_e32 vcc_lo, 0xc2ce8ed0, v54
	v_fma_f32 v56, 0x3fb8aa3b, v54, -v55
	v_rndne_f32_e32 v57, v55
	v_fmac_f32_e32 v56, 0x32a5705f, v54
	v_sub_f32_e32 v55, v55, v57
	v_add_f32_e32 v55, v55, v56
	v_cvt_i32_f32_e32 v56, v57
	v_exp_f32_e32 v55, v55
	v_ldexp_f32 v55, v55, v56
	v_cndmask_b32_e32 v55, 0, v55, vcc_lo
	v_cmp_nlt_f32_e32 vcc_lo, 0x42b17218, v54
	v_cndmask_b32_e32 v56, 0x7f800000, v55, vcc_lo
	v_add_f32_e32 v57, 1.0, v56
	v_cvt_f64_f32_e32 v[54:55], v57
	v_frexp_exp_i32_f64_e32 v54, v[54:55]
	v_frexp_mant_f32_e32 v55, v57
	v_cmp_gt_f32_e32 vcc_lo, 0x3f2aaaab, v55
	v_add_f32_e32 v55, -1.0, v57
	v_sub_f32_e32 v59, v55, v57
	v_sub_f32_e32 v55, v56, v55
	v_add_f32_e32 v59, 1.0, v59
	v_add_f32_e32 v55, v55, v59
	v_subrev_co_ci_u32_e64 v54, null, 0, v54, vcc_lo
	v_cmp_neq_f32_e32 vcc_lo, 0x7f800000, v56
	v_sub_nc_u32_e32 v58, 0, v54
	v_cvt_f32_i32_e32 v54, v54
	v_ldexp_f32 v57, v57, v58
	v_ldexp_f32 v55, v55, v58
	v_add_f32_e32 v60, 1.0, v57
	v_add_f32_e32 v58, -1.0, v57
	v_add_f32_e32 v59, -1.0, v60
	v_add_f32_e32 v61, 1.0, v58
	v_sub_f32_e32 v59, v57, v59
	v_sub_f32_e32 v57, v57, v61
	v_add_f32_e32 v59, v55, v59
	v_add_f32_e32 v55, v55, v57
	;; [unrolled: 1-line block ×4, first 2 shown]
	v_rcp_f32_e32 v57, v61
	v_sub_f32_e32 v60, v60, v61
	v_sub_f32_e32 v58, v58, v62
	v_add_f32_e32 v59, v59, v60
	v_add_f32_e32 v55, v55, v58
	v_mul_f32_e32 v63, v62, v57
	v_mul_f32_e32 v64, v61, v63
	v_fma_f32 v60, v63, v61, -v64
	v_fmac_f32_e32 v60, v63, v59
	v_add_f32_e32 v65, v64, v60
	v_sub_f32_e32 v66, v62, v65
	v_sub_f32_e32 v58, v65, v64
	;; [unrolled: 1-line block ×5, first 2 shown]
	v_add_f32_e32 v55, v55, v62
	v_add_f32_e32 v55, v58, v55
	;; [unrolled: 1-line block ×3, first 2 shown]
	v_mul_f32_e32 v60, v57, v58
	v_sub_f32_e32 v65, v66, v58
	v_mul_f32_e32 v62, v61, v60
	v_add_f32_e32 v55, v55, v65
	v_fma_f32 v61, v60, v61, -v62
	v_fmac_f32_e32 v61, v60, v59
	v_add_f32_e32 v59, v62, v61
	v_sub_f32_e32 v64, v58, v59
	v_sub_f32_e32 v62, v59, v62
	;; [unrolled: 1-line block ×5, first 2 shown]
	v_add_f32_e32 v55, v55, v58
	v_add_f32_e32 v58, v63, v60
	;; [unrolled: 1-line block ×3, first 2 shown]
	v_sub_f32_e32 v59, v58, v63
	v_add_f32_e32 v55, v64, v55
	v_sub_f32_e32 v59, v60, v59
	v_mul_f32_e32 v55, v57, v55
	v_add_f32_e32 v55, v59, v55
	v_add_f32_e32 v57, v58, v55
	v_mul_f32_e32 v59, v57, v57
	v_fmaak_f32 v60, s16, v59, 0x3ecc95a3
	v_mul_f32_e32 v61, v57, v59
	v_fmaak_f32 v59, v59, v60, 0x3f2aaada
	v_ldexp_f32 v60, v57, 1
	v_sub_f32_e32 v57, v57, v58
	v_mul_f32_e32 v59, v61, v59
	v_mul_f32_e32 v61, 0x3f317218, v54
	v_sub_f32_e32 v55, v55, v57
	v_add_f32_e32 v58, v60, v59
	v_ldexp_f32 v55, v55, 1
	v_sub_f32_e32 v57, v58, v60
	v_fma_f32 v60, 0x3f317218, v54, -v61
	v_sub_f32_e32 v57, v59, v57
	v_fmac_f32_e32 v60, 0xb102e308, v54
	v_add_f32_e32 v54, v55, v57
	v_add_f32_e32 v55, v61, v60
	;; [unrolled: 1-line block ×3, first 2 shown]
	v_sub_f32_e32 v61, v55, v61
	v_add_f32_e32 v59, v55, v57
	v_sub_f32_e32 v58, v57, v58
	v_sub_f32_e32 v60, v60, v61
	;; [unrolled: 1-line block ×6, first 2 shown]
	v_add_f32_e32 v58, v60, v54
	v_sub_f32_e32 v55, v55, v63
	v_add_f32_e32 v55, v57, v55
	v_sub_f32_e32 v57, v58, v60
	;; [unrolled: 2-line block ×3, first 2 shown]
	v_sub_f32_e32 v54, v54, v57
	v_add_f32_e32 v61, v59, v55
	v_sub_f32_e32 v58, v60, v58
	v_sub_f32_e32 v57, v61, v59
	v_add_f32_e32 v54, v54, v58
	v_sub_f32_e32 v55, v55, v57
	v_add_f32_e32 v54, v54, v55
	v_add_f32_e32 v54, v61, v54
	v_cndmask_b32_e32 v54, 0x7f800000, v54, vcc_lo
	v_cmp_gt_f32_e64 vcc_lo, 0x33800000, |v56|
	v_cndmask_b32_e32 v54, v54, v56, vcc_lo
	v_add_f32_e32 v54, v10, v54
.LBB511_135:                            ;   in Loop: Header=BB511_115 Depth=1
	s_or_b32 exec_lo, exec_lo, s37
	v_bfe_u32 v10, v54, 16, 1
	v_cmp_o_f32_e32 vcc_lo, v54, v54
	v_add3_u32 v10, v54, v10, 0x7fff
	v_cndmask_b32_sdwa v54, v53, v10, vcc_lo dst_sel:DWORD dst_unused:UNUSED_PAD src0_sel:DWORD src1_sel:WORD_1
	v_and_b32_e32 v10, 0xffff, v54
.LBB511_136:                            ;   in Loop: Header=BB511_115 Depth=1
	s_or_b32 exec_lo, exec_lo, s17
	s_waitcnt lgkmcnt(0)
	ds_bpermute_b32 v55, v50, v10
	s_mov_b32 s17, exec_lo
	v_cmpx_le_u32_e64 v51, v9
	s_cbranch_execz .LBB511_140
; %bb.137:                              ;   in Loop: Header=BB511_115 Depth=1
	v_lshlrev_b32_e32 v9, 16, v10
	s_waitcnt lgkmcnt(0)
	v_lshlrev_b32_e32 v10, 16, v55
	v_max_f32_e32 v54, v9, v9
	v_max_f32_e32 v55, v10, v10
	v_cmp_u_f32_e32 vcc_lo, v10, v10
	v_min_f32_e32 v56, v55, v54
	v_max_f32_e32 v54, v55, v54
	v_cndmask_b32_e32 v55, v56, v10, vcc_lo
	v_cndmask_b32_e32 v56, v54, v10, vcc_lo
	v_cmp_u_f32_e32 vcc_lo, v9, v9
	v_cndmask_b32_e32 v54, v55, v9, vcc_lo
	v_cndmask_b32_e32 v9, v56, v9, vcc_lo
	v_cmp_class_f32_e64 s37, v54, 0x1f8
	v_cmp_neq_f32_e32 vcc_lo, v54, v9
	s_or_b32 s38, vcc_lo, s37
	s_and_saveexec_b32 s37, s38
	s_cbranch_execz .LBB511_139
; %bb.138:                              ;   in Loop: Header=BB511_115 Depth=1
	v_sub_f32_e32 v10, v54, v9
	v_mul_f32_e32 v54, 0x3fb8aa3b, v10
	v_cmp_ngt_f32_e32 vcc_lo, 0xc2ce8ed0, v10
	v_fma_f32 v55, 0x3fb8aa3b, v10, -v54
	v_rndne_f32_e32 v56, v54
	v_fmac_f32_e32 v55, 0x32a5705f, v10
	v_sub_f32_e32 v54, v54, v56
	v_add_f32_e32 v54, v54, v55
	v_cvt_i32_f32_e32 v55, v56
	v_exp_f32_e32 v54, v54
	v_ldexp_f32 v54, v54, v55
	v_cndmask_b32_e32 v54, 0, v54, vcc_lo
	v_cmp_nlt_f32_e32 vcc_lo, 0x42b17218, v10
	v_cndmask_b32_e32 v10, 0x7f800000, v54, vcc_lo
	v_add_f32_e32 v56, 1.0, v10
	v_cvt_f64_f32_e32 v[54:55], v56
	v_frexp_exp_i32_f64_e32 v54, v[54:55]
	v_frexp_mant_f32_e32 v55, v56
	v_cmp_gt_f32_e32 vcc_lo, 0x3f2aaaab, v55
	v_add_f32_e32 v55, -1.0, v56
	v_sub_f32_e32 v58, v55, v56
	v_sub_f32_e32 v55, v10, v55
	v_add_f32_e32 v58, 1.0, v58
	v_add_f32_e32 v55, v55, v58
	v_subrev_co_ci_u32_e64 v54, null, 0, v54, vcc_lo
	v_cmp_neq_f32_e32 vcc_lo, 0x7f800000, v10
	v_sub_nc_u32_e32 v57, 0, v54
	v_cvt_f32_i32_e32 v54, v54
	v_ldexp_f32 v56, v56, v57
	v_ldexp_f32 v55, v55, v57
	v_add_f32_e32 v59, 1.0, v56
	v_add_f32_e32 v57, -1.0, v56
	v_add_f32_e32 v58, -1.0, v59
	v_add_f32_e32 v60, 1.0, v57
	v_sub_f32_e32 v58, v56, v58
	v_sub_f32_e32 v56, v56, v60
	v_add_f32_e32 v58, v55, v58
	v_add_f32_e32 v55, v55, v56
	;; [unrolled: 1-line block ×4, first 2 shown]
	v_rcp_f32_e32 v56, v60
	v_sub_f32_e32 v59, v59, v60
	v_sub_f32_e32 v57, v57, v61
	v_add_f32_e32 v58, v58, v59
	v_add_f32_e32 v55, v55, v57
	v_mul_f32_e32 v62, v61, v56
	v_mul_f32_e32 v63, v60, v62
	v_fma_f32 v59, v62, v60, -v63
	v_fmac_f32_e32 v59, v62, v58
	v_add_f32_e32 v64, v63, v59
	v_sub_f32_e32 v65, v61, v64
	v_sub_f32_e32 v57, v64, v63
	;; [unrolled: 1-line block ×5, first 2 shown]
	v_add_f32_e32 v55, v55, v61
	v_add_f32_e32 v55, v57, v55
	;; [unrolled: 1-line block ×3, first 2 shown]
	v_mul_f32_e32 v59, v56, v57
	v_sub_f32_e32 v64, v65, v57
	v_mul_f32_e32 v61, v60, v59
	v_add_f32_e32 v55, v55, v64
	v_fma_f32 v60, v59, v60, -v61
	v_fmac_f32_e32 v60, v59, v58
	v_add_f32_e32 v58, v61, v60
	v_sub_f32_e32 v63, v57, v58
	v_sub_f32_e32 v61, v58, v61
	;; [unrolled: 1-line block ×5, first 2 shown]
	v_add_f32_e32 v55, v55, v57
	v_add_f32_e32 v57, v62, v59
	;; [unrolled: 1-line block ×3, first 2 shown]
	v_sub_f32_e32 v58, v57, v62
	v_add_f32_e32 v55, v63, v55
	v_sub_f32_e32 v58, v59, v58
	v_mul_f32_e32 v55, v56, v55
	v_add_f32_e32 v55, v58, v55
	v_add_f32_e32 v56, v57, v55
	v_mul_f32_e32 v58, v56, v56
	v_fmaak_f32 v59, s16, v58, 0x3ecc95a3
	v_mul_f32_e32 v60, v56, v58
	v_fmaak_f32 v58, v58, v59, 0x3f2aaada
	v_ldexp_f32 v59, v56, 1
	v_sub_f32_e32 v56, v56, v57
	v_mul_f32_e32 v58, v60, v58
	v_mul_f32_e32 v60, 0x3f317218, v54
	v_sub_f32_e32 v55, v55, v56
	v_add_f32_e32 v57, v59, v58
	v_ldexp_f32 v55, v55, 1
	v_sub_f32_e32 v56, v57, v59
	v_fma_f32 v59, 0x3f317218, v54, -v60
	v_sub_f32_e32 v56, v58, v56
	v_fmac_f32_e32 v59, 0xb102e308, v54
	v_add_f32_e32 v54, v55, v56
	v_add_f32_e32 v55, v60, v59
	;; [unrolled: 1-line block ×3, first 2 shown]
	v_sub_f32_e32 v60, v55, v60
	v_add_f32_e32 v58, v55, v56
	v_sub_f32_e32 v57, v56, v57
	v_sub_f32_e32 v59, v59, v60
	;; [unrolled: 1-line block ×6, first 2 shown]
	v_add_f32_e32 v57, v59, v54
	v_sub_f32_e32 v55, v55, v62
	v_add_f32_e32 v55, v56, v55
	v_sub_f32_e32 v56, v57, v59
	;; [unrolled: 2-line block ×3, first 2 shown]
	v_sub_f32_e32 v54, v54, v56
	v_add_f32_e32 v60, v58, v55
	v_sub_f32_e32 v57, v59, v57
	v_sub_f32_e32 v56, v60, v58
	v_add_f32_e32 v54, v54, v57
	v_sub_f32_e32 v55, v55, v56
	v_add_f32_e32 v54, v54, v55
	v_add_f32_e32 v54, v60, v54
	v_cndmask_b32_e32 v54, 0x7f800000, v54, vcc_lo
	v_cmp_gt_f32_e64 vcc_lo, 0x33800000, |v10|
	v_cndmask_b32_e32 v10, v54, v10, vcc_lo
	v_add_f32_e32 v10, v9, v10
.LBB511_139:                            ;   in Loop: Header=BB511_115 Depth=1
	s_or_b32 exec_lo, exec_lo, s37
	v_bfe_u32 v9, v10, 16, 1
	v_cmp_o_f32_e32 vcc_lo, v10, v10
	v_add3_u32 v9, v10, v9, 0x7fff
	v_cndmask_b32_sdwa v54, v53, v9, vcc_lo dst_sel:DWORD dst_unused:UNUSED_PAD src0_sel:DWORD src1_sel:WORD_1
.LBB511_140:                            ;   in Loop: Header=BB511_115 Depth=1
	s_or_b32 exec_lo, exec_lo, s17
	v_lshlrev_b32_e32 v9, 16, v49
	v_lshlrev_b32_e32 v10, 16, v54
	v_max_f32_e32 v54, v9, v9
	s_waitcnt lgkmcnt(0)
	v_max_f32_e32 v55, v10, v10
	v_cmp_u_f32_e32 vcc_lo, v10, v10
	v_min_f32_e32 v56, v55, v54
	v_max_f32_e32 v54, v55, v54
	v_cndmask_b32_e32 v55, v56, v10, vcc_lo
	v_cndmask_b32_e32 v56, v54, v10, vcc_lo
	v_cmp_u_f32_e32 vcc_lo, v9, v9
	v_cndmask_b32_e32 v54, v55, v9, vcc_lo
	v_cndmask_b32_e32 v9, v56, v9, vcc_lo
	v_cmp_class_f32_e64 s17, v54, 0x1f8
	v_cmp_neq_f32_e32 vcc_lo, v54, v9
	s_or_b32 s37, vcc_lo, s17
	s_and_saveexec_b32 s17, s37
	s_cbranch_execz .LBB511_113
; %bb.141:                              ;   in Loop: Header=BB511_115 Depth=1
	v_sub_f32_e32 v10, v54, v9
	v_mul_f32_e32 v54, 0x3fb8aa3b, v10
	v_cmp_ngt_f32_e32 vcc_lo, 0xc2ce8ed0, v10
	v_fma_f32 v55, 0x3fb8aa3b, v10, -v54
	v_rndne_f32_e32 v56, v54
	v_fmac_f32_e32 v55, 0x32a5705f, v10
	v_sub_f32_e32 v54, v54, v56
	v_add_f32_e32 v54, v54, v55
	v_cvt_i32_f32_e32 v55, v56
	v_exp_f32_e32 v54, v54
	v_ldexp_f32 v54, v54, v55
	v_cndmask_b32_e32 v54, 0, v54, vcc_lo
	v_cmp_nlt_f32_e32 vcc_lo, 0x42b17218, v10
	v_cndmask_b32_e32 v10, 0x7f800000, v54, vcc_lo
	v_add_f32_e32 v56, 1.0, v10
	v_cvt_f64_f32_e32 v[54:55], v56
	v_frexp_exp_i32_f64_e32 v54, v[54:55]
	v_frexp_mant_f32_e32 v55, v56
	v_cmp_gt_f32_e32 vcc_lo, 0x3f2aaaab, v55
	v_add_f32_e32 v55, -1.0, v56
	v_sub_f32_e32 v58, v55, v56
	v_sub_f32_e32 v55, v10, v55
	v_add_f32_e32 v58, 1.0, v58
	v_add_f32_e32 v55, v55, v58
	v_subrev_co_ci_u32_e64 v54, null, 0, v54, vcc_lo
	v_cmp_neq_f32_e32 vcc_lo, 0x7f800000, v10
	v_sub_nc_u32_e32 v57, 0, v54
	v_cvt_f32_i32_e32 v54, v54
	v_ldexp_f32 v56, v56, v57
	v_ldexp_f32 v55, v55, v57
	v_add_f32_e32 v59, 1.0, v56
	v_add_f32_e32 v57, -1.0, v56
	v_add_f32_e32 v58, -1.0, v59
	v_add_f32_e32 v60, 1.0, v57
	v_sub_f32_e32 v58, v56, v58
	v_sub_f32_e32 v56, v56, v60
	v_add_f32_e32 v58, v55, v58
	v_add_f32_e32 v55, v55, v56
	;; [unrolled: 1-line block ×4, first 2 shown]
	v_rcp_f32_e32 v56, v60
	v_sub_f32_e32 v59, v59, v60
	v_sub_f32_e32 v57, v57, v61
	v_add_f32_e32 v58, v58, v59
	v_add_f32_e32 v55, v55, v57
	v_mul_f32_e32 v62, v61, v56
	v_mul_f32_e32 v63, v60, v62
	v_fma_f32 v59, v62, v60, -v63
	v_fmac_f32_e32 v59, v62, v58
	v_add_f32_e32 v64, v63, v59
	v_sub_f32_e32 v65, v61, v64
	v_sub_f32_e32 v57, v64, v63
	;; [unrolled: 1-line block ×5, first 2 shown]
	v_add_f32_e32 v55, v55, v61
	v_add_f32_e32 v55, v57, v55
	;; [unrolled: 1-line block ×3, first 2 shown]
	v_mul_f32_e32 v59, v56, v57
	v_sub_f32_e32 v64, v65, v57
	v_mul_f32_e32 v61, v60, v59
	v_add_f32_e32 v55, v55, v64
	v_fma_f32 v60, v59, v60, -v61
	v_fmac_f32_e32 v60, v59, v58
	v_add_f32_e32 v58, v61, v60
	v_sub_f32_e32 v63, v57, v58
	v_sub_f32_e32 v61, v58, v61
	;; [unrolled: 1-line block ×5, first 2 shown]
	v_add_f32_e32 v55, v55, v57
	v_add_f32_e32 v57, v62, v59
	;; [unrolled: 1-line block ×3, first 2 shown]
	v_sub_f32_e32 v58, v57, v62
	v_add_f32_e32 v55, v63, v55
	v_sub_f32_e32 v58, v59, v58
	v_mul_f32_e32 v55, v56, v55
	v_add_f32_e32 v55, v58, v55
	v_add_f32_e32 v56, v57, v55
	v_mul_f32_e32 v58, v56, v56
	v_fmaak_f32 v59, s16, v58, 0x3ecc95a3
	v_mul_f32_e32 v60, v56, v58
	v_fmaak_f32 v58, v58, v59, 0x3f2aaada
	v_ldexp_f32 v59, v56, 1
	v_sub_f32_e32 v56, v56, v57
	v_mul_f32_e32 v58, v60, v58
	v_mul_f32_e32 v60, 0x3f317218, v54
	v_sub_f32_e32 v55, v55, v56
	v_add_f32_e32 v57, v59, v58
	v_ldexp_f32 v55, v55, 1
	v_sub_f32_e32 v56, v57, v59
	v_fma_f32 v59, 0x3f317218, v54, -v60
	v_sub_f32_e32 v56, v58, v56
	v_fmac_f32_e32 v59, 0xb102e308, v54
	v_add_f32_e32 v54, v55, v56
	v_add_f32_e32 v55, v60, v59
	;; [unrolled: 1-line block ×3, first 2 shown]
	v_sub_f32_e32 v60, v55, v60
	v_add_f32_e32 v58, v55, v56
	v_sub_f32_e32 v57, v56, v57
	v_sub_f32_e32 v59, v59, v60
	v_sub_f32_e32 v61, v58, v55
	v_sub_f32_e32 v54, v54, v57
	v_sub_f32_e32 v62, v58, v61
	v_sub_f32_e32 v56, v56, v61
	v_add_f32_e32 v57, v59, v54
	v_sub_f32_e32 v55, v55, v62
	v_add_f32_e32 v55, v56, v55
	v_sub_f32_e32 v56, v57, v59
	v_add_f32_e32 v55, v57, v55
	v_sub_f32_e32 v57, v57, v56
	v_sub_f32_e32 v54, v54, v56
	v_add_f32_e32 v60, v58, v55
	v_sub_f32_e32 v57, v59, v57
	v_sub_f32_e32 v56, v60, v58
	v_add_f32_e32 v54, v54, v57
	v_sub_f32_e32 v55, v55, v56
	v_add_f32_e32 v54, v54, v55
	v_add_f32_e32 v54, v60, v54
	v_cndmask_b32_e32 v54, 0x7f800000, v54, vcc_lo
	v_cmp_gt_f32_e64 vcc_lo, 0x33800000, |v10|
	v_cndmask_b32_e32 v10, v54, v10, vcc_lo
	v_add_f32_e32 v10, v9, v10
	s_branch .LBB511_113
.LBB511_142:
                                        ; implicit-def: $vgpr7
                                        ; implicit-def: $vgpr36
                                        ; implicit-def: $vgpr8
                                        ; implicit-def: $vgpr10
                                        ; implicit-def: $vgpr9
                                        ; implicit-def: $vgpr11
                                        ; implicit-def: $vgpr14
                                        ; implicit-def: $vgpr15
                                        ; implicit-def: $vgpr16
                                        ; implicit-def: $vgpr17
                                        ; implicit-def: $vgpr18
                                        ; implicit-def: $vgpr19
	s_cbranch_execnz .LBB511_178
	s_branch .LBB511_261
.LBB511_143:
	s_and_saveexec_b32 s16, s15
	s_cbranch_execz .LBB511_147
; %bb.144:
	v_lshlrev_b32_e32 v7, 16, v39
	v_lshlrev_b32_e32 v8, 16, v49
	v_max_f32_e32 v9, v7, v7
	s_waitcnt lgkmcnt(0)
	v_max_f32_e32 v10, v8, v8
	v_cmp_u_f32_e32 vcc_lo, v8, v8
	v_min_f32_e32 v11, v10, v9
	v_max_f32_e32 v9, v10, v9
	v_cndmask_b32_e32 v10, v11, v8, vcc_lo
	v_cndmask_b32_e32 v11, v9, v8, vcc_lo
	v_cmp_u_f32_e32 vcc_lo, v7, v7
	v_cndmask_b32_e32 v9, v10, v7, vcc_lo
	v_cndmask_b32_e32 v7, v11, v7, vcc_lo
	v_cmp_class_f32_e64 s15, v9, 0x1f8
	v_cmp_neq_f32_e32 vcc_lo, v9, v7
	s_or_b32 s17, vcc_lo, s15
	s_and_saveexec_b32 s15, s17
	s_cbranch_execz .LBB511_146
; %bb.145:
	v_sub_f32_e32 v8, v9, v7
	s_mov_b32 s17, 0x3e9b6dac
	v_mul_f32_e32 v9, 0x3fb8aa3b, v8
	v_cmp_ngt_f32_e32 vcc_lo, 0xc2ce8ed0, v8
	v_fma_f32 v10, 0x3fb8aa3b, v8, -v9
	v_rndne_f32_e32 v11, v9
	v_fmamk_f32 v10, v8, 0x32a5705f, v10
	v_sub_f32_e32 v9, v9, v11
	v_add_f32_e32 v9, v9, v10
	v_cvt_i32_f32_e32 v10, v11
	v_exp_f32_e32 v9, v9
	v_ldexp_f32 v9, v9, v10
	v_cndmask_b32_e32 v9, 0, v9, vcc_lo
	v_cmp_nlt_f32_e32 vcc_lo, 0x42b17218, v8
	v_cndmask_b32_e32 v10, 0x7f800000, v9, vcc_lo
	v_add_f32_e32 v11, 1.0, v10
	v_cvt_f64_f32_e32 v[8:9], v11
	v_frexp_exp_i32_f64_e32 v8, v[8:9]
	v_frexp_mant_f32_e32 v9, v11
	v_cmp_gt_f32_e32 vcc_lo, 0x3f2aaaab, v9
	v_add_f32_e32 v9, -1.0, v11
	v_sub_f32_e32 v40, v9, v11
	v_sub_f32_e32 v9, v10, v9
	v_add_f32_e32 v40, 1.0, v40
	v_add_f32_e32 v9, v9, v40
	v_subrev_co_ci_u32_e64 v8, null, 0, v8, vcc_lo
	v_cmp_neq_f32_e32 vcc_lo, 0x7f800000, v10
	v_sub_nc_u32_e32 v39, 0, v8
	v_cvt_f32_i32_e32 v8, v8
	v_ldexp_f32 v11, v11, v39
	v_ldexp_f32 v9, v9, v39
	v_add_f32_e32 v41, 1.0, v11
	v_add_f32_e32 v39, -1.0, v11
	v_add_f32_e32 v40, -1.0, v41
	v_add_f32_e32 v42, 1.0, v39
	v_sub_f32_e32 v40, v11, v40
	v_sub_f32_e32 v11, v11, v42
	v_add_f32_e32 v40, v9, v40
	v_add_f32_e32 v9, v9, v11
	v_add_f32_e32 v42, v41, v40
	v_add_f32_e32 v43, v39, v9
	v_rcp_f32_e32 v11, v42
	v_sub_f32_e32 v41, v41, v42
	v_sub_f32_e32 v39, v39, v43
	v_add_f32_e32 v40, v40, v41
	v_add_f32_e32 v9, v9, v39
	v_mul_f32_e32 v44, v43, v11
	v_mul_f32_e32 v45, v42, v44
	v_fma_f32 v41, v44, v42, -v45
	v_fmac_f32_e32 v41, v44, v40
	v_add_f32_e32 v46, v45, v41
	v_sub_f32_e32 v47, v43, v46
	v_sub_f32_e32 v39, v46, v45
	;; [unrolled: 1-line block ×5, first 2 shown]
	v_add_f32_e32 v9, v9, v43
	v_add_f32_e32 v9, v39, v9
	;; [unrolled: 1-line block ×3, first 2 shown]
	v_mul_f32_e32 v41, v11, v39
	v_sub_f32_e32 v46, v47, v39
	v_mul_f32_e32 v43, v42, v41
	v_add_f32_e32 v9, v9, v46
	v_fma_f32 v42, v41, v42, -v43
	v_fmac_f32_e32 v42, v41, v40
	v_add_f32_e32 v40, v43, v42
	v_sub_f32_e32 v45, v39, v40
	v_sub_f32_e32 v43, v40, v43
	;; [unrolled: 1-line block ×5, first 2 shown]
	v_add_f32_e32 v9, v9, v39
	v_add_f32_e32 v39, v44, v41
	;; [unrolled: 1-line block ×3, first 2 shown]
	v_sub_f32_e32 v40, v39, v44
	v_add_f32_e32 v9, v45, v9
	v_sub_f32_e32 v40, v41, v40
	v_mul_f32_e32 v9, v11, v9
	v_add_f32_e32 v9, v40, v9
	v_add_f32_e32 v11, v39, v9
	v_mul_f32_e32 v40, v11, v11
	v_fmaak_f32 v41, s17, v40, 0x3ecc95a3
	v_mul_f32_e32 v42, v11, v40
	v_fmaak_f32 v40, v40, v41, 0x3f2aaada
	v_ldexp_f32 v41, v11, 1
	v_sub_f32_e32 v11, v11, v39
	v_mul_f32_e32 v40, v42, v40
	v_mul_f32_e32 v42, 0x3f317218, v8
	v_sub_f32_e32 v9, v9, v11
	v_add_f32_e32 v39, v41, v40
	v_ldexp_f32 v9, v9, 1
	v_sub_f32_e32 v11, v39, v41
	v_fma_f32 v41, 0x3f317218, v8, -v42
	v_sub_f32_e32 v11, v40, v11
	v_fmamk_f32 v8, v8, 0xb102e308, v41
	v_add_f32_e32 v9, v9, v11
	v_add_f32_e32 v11, v42, v8
	;; [unrolled: 1-line block ×3, first 2 shown]
	v_sub_f32_e32 v42, v11, v42
	v_add_f32_e32 v41, v11, v40
	v_sub_f32_e32 v39, v40, v39
	v_sub_f32_e32 v8, v8, v42
	;; [unrolled: 1-line block ×6, first 2 shown]
	v_add_f32_e32 v40, v8, v9
	v_sub_f32_e32 v11, v11, v44
	v_add_f32_e32 v11, v39, v11
	v_sub_f32_e32 v39, v40, v8
	;; [unrolled: 2-line block ×3, first 2 shown]
	v_sub_f32_e32 v9, v9, v39
	v_add_f32_e32 v42, v41, v11
	v_sub_f32_e32 v8, v8, v40
	v_sub_f32_e32 v39, v42, v41
	v_add_f32_e32 v8, v9, v8
	v_sub_f32_e32 v9, v11, v39
	v_add_f32_e32 v8, v8, v9
	v_add_f32_e32 v8, v42, v8
	v_cndmask_b32_e32 v8, 0x7f800000, v8, vcc_lo
	v_cmp_gt_f32_e64 vcc_lo, 0x33800000, |v10|
	v_cndmask_b32_e32 v8, v8, v10, vcc_lo
	v_add_f32_e32 v8, v7, v8
.LBB511_146:
	s_or_b32 exec_lo, exec_lo, s15
	v_bfe_u32 v7, v8, 16, 1
	v_mov_b32_e32 v9, 0x20000
	v_cmp_o_f32_e32 vcc_lo, v8, v8
	s_add_i32 s38, s35, 32
	s_mov_b32 s39, 0
	v_add3_u32 v7, v8, v7, 0x7fff
	s_lshl_b64 s[38:39], s[38:39], 2
	s_add_u32 s38, s18, s38
	s_addc_u32 s39, s19, s39
	v_or_b32_sdwa v7, v7, v9 dst_sel:DWORD dst_unused:UNUSED_PAD src0_sel:WORD_1 src1_sel:DWORD
	v_mov_b32_e32 v9, 0
	v_cndmask_b32_e32 v7, 0x27fc0, v7, vcc_lo
	global_store_dword v9, v7, s[38:39]
.LBB511_147:
	s_or_b32 exec_lo, exec_lo, s16
	s_and_b32 exec_lo, exec_lo, s2
; %bb.148:
	v_mov_b32_e32 v7, 0
	ds_write_b16 v7, v49
.LBB511_149:
	s_or_b32 exec_lo, exec_lo, s36
	v_mov_b32_e32 v7, 0
	s_waitcnt lgkmcnt(0)
	s_waitcnt_vscnt null, 0x0
	s_barrier
	buffer_gl0_inv
	ds_read_u16 v7, v7
	s_and_saveexec_b32 s15, s1
	s_cbranch_execz .LBB511_153
; %bb.150:
	v_lshlrev_b32_e32 v9, 16, v38
	v_max_f32_e32 v8, v9, v9
	v_cmp_u_f32_e32 vcc_lo, v9, v9
	v_min_f32_e32 v10, v8, v37
	v_max_f32_e32 v8, v8, v37
	v_cndmask_b32_e32 v10, v10, v9, vcc_lo
	v_cndmask_b32_e32 v8, v8, v9, vcc_lo
	v_cndmask_b32_e64 v10, v10, v36, s14
	v_cndmask_b32_e64 v8, v8, v36, s14
	v_cmp_class_f32_e64 s14, v10, 0x1f8
	v_cmp_neq_f32_e32 vcc_lo, v10, v8
	s_or_b32 s16, vcc_lo, s14
	s_and_saveexec_b32 s14, s16
	s_cbranch_execz .LBB511_152
; %bb.151:
	v_sub_f32_e32 v9, v10, v8
	s_mov_b32 s16, 0x3e9b6dac
	v_mul_f32_e32 v10, 0x3fb8aa3b, v9
	v_cmp_ngt_f32_e32 vcc_lo, 0xc2ce8ed0, v9
	v_fma_f32 v11, 0x3fb8aa3b, v9, -v10
	v_rndne_f32_e32 v36, v10
	v_fmamk_f32 v11, v9, 0x32a5705f, v11
	v_sub_f32_e32 v10, v10, v36
	v_add_f32_e32 v10, v10, v11
	v_cvt_i32_f32_e32 v11, v36
	v_exp_f32_e32 v10, v10
	v_ldexp_f32 v10, v10, v11
	v_cndmask_b32_e32 v10, 0, v10, vcc_lo
	v_cmp_nlt_f32_e32 vcc_lo, 0x42b17218, v9
	v_cndmask_b32_e32 v11, 0x7f800000, v10, vcc_lo
	v_add_f32_e32 v36, 1.0, v11
	v_cvt_f64_f32_e32 v[9:10], v36
	v_frexp_exp_i32_f64_e32 v9, v[9:10]
	v_frexp_mant_f32_e32 v10, v36
	v_cmp_gt_f32_e32 vcc_lo, 0x3f2aaaab, v10
	v_add_f32_e32 v10, -1.0, v36
	v_sub_f32_e32 v38, v10, v36
	v_sub_f32_e32 v10, v11, v10
	v_add_f32_e32 v38, 1.0, v38
	v_add_f32_e32 v10, v10, v38
	v_subrev_co_ci_u32_e64 v9, null, 0, v9, vcc_lo
	v_cmp_neq_f32_e32 vcc_lo, 0x7f800000, v11
	v_sub_nc_u32_e32 v37, 0, v9
	v_cvt_f32_i32_e32 v9, v9
	v_ldexp_f32 v36, v36, v37
	v_ldexp_f32 v10, v10, v37
	v_add_f32_e32 v39, 1.0, v36
	v_add_f32_e32 v37, -1.0, v36
	v_add_f32_e32 v38, -1.0, v39
	v_add_f32_e32 v40, 1.0, v37
	v_sub_f32_e32 v38, v36, v38
	v_sub_f32_e32 v36, v36, v40
	v_add_f32_e32 v38, v10, v38
	v_add_f32_e32 v10, v10, v36
	;; [unrolled: 1-line block ×4, first 2 shown]
	v_rcp_f32_e32 v36, v40
	v_sub_f32_e32 v39, v39, v40
	v_sub_f32_e32 v37, v37, v41
	v_add_f32_e32 v38, v38, v39
	v_add_f32_e32 v10, v10, v37
	v_mul_f32_e32 v42, v41, v36
	v_mul_f32_e32 v43, v40, v42
	v_fma_f32 v39, v42, v40, -v43
	v_fmac_f32_e32 v39, v42, v38
	v_add_f32_e32 v44, v43, v39
	v_sub_f32_e32 v45, v41, v44
	v_sub_f32_e32 v37, v44, v43
	;; [unrolled: 1-line block ×5, first 2 shown]
	v_add_f32_e32 v10, v10, v41
	v_add_f32_e32 v10, v37, v10
	;; [unrolled: 1-line block ×3, first 2 shown]
	v_mul_f32_e32 v39, v36, v37
	v_sub_f32_e32 v44, v45, v37
	v_mul_f32_e32 v41, v40, v39
	v_add_f32_e32 v10, v10, v44
	v_fma_f32 v40, v39, v40, -v41
	v_fmac_f32_e32 v40, v39, v38
	v_add_f32_e32 v38, v41, v40
	v_sub_f32_e32 v43, v37, v38
	v_sub_f32_e32 v41, v38, v41
	;; [unrolled: 1-line block ×5, first 2 shown]
	v_add_f32_e32 v10, v10, v37
	v_add_f32_e32 v37, v42, v39
	;; [unrolled: 1-line block ×3, first 2 shown]
	v_sub_f32_e32 v38, v37, v42
	v_add_f32_e32 v10, v43, v10
	v_sub_f32_e32 v38, v39, v38
	v_mul_f32_e32 v10, v36, v10
	v_add_f32_e32 v10, v38, v10
	v_add_f32_e32 v36, v37, v10
	v_mul_f32_e32 v38, v36, v36
	v_fmaak_f32 v39, s16, v38, 0x3ecc95a3
	v_mul_f32_e32 v40, v36, v38
	v_fmaak_f32 v38, v38, v39, 0x3f2aaada
	v_ldexp_f32 v39, v36, 1
	v_sub_f32_e32 v36, v36, v37
	v_mul_f32_e32 v38, v40, v38
	v_mul_f32_e32 v40, 0x3f317218, v9
	v_sub_f32_e32 v10, v10, v36
	v_add_f32_e32 v37, v39, v38
	v_ldexp_f32 v10, v10, 1
	v_sub_f32_e32 v36, v37, v39
	v_fma_f32 v39, 0x3f317218, v9, -v40
	v_sub_f32_e32 v36, v38, v36
	v_fmamk_f32 v9, v9, 0xb102e308, v39
	v_add_f32_e32 v10, v10, v36
	v_add_f32_e32 v36, v40, v9
	;; [unrolled: 1-line block ×3, first 2 shown]
	v_sub_f32_e32 v40, v36, v40
	v_add_f32_e32 v39, v36, v38
	v_sub_f32_e32 v37, v38, v37
	v_sub_f32_e32 v9, v9, v40
	;; [unrolled: 1-line block ×6, first 2 shown]
	v_add_f32_e32 v38, v9, v10
	v_sub_f32_e32 v36, v36, v42
	v_add_f32_e32 v36, v37, v36
	v_sub_f32_e32 v37, v38, v9
	;; [unrolled: 2-line block ×3, first 2 shown]
	v_sub_f32_e32 v10, v10, v37
	v_add_f32_e32 v40, v39, v36
	v_sub_f32_e32 v9, v9, v38
	v_sub_f32_e32 v37, v40, v39
	v_add_f32_e32 v9, v10, v9
	v_sub_f32_e32 v10, v36, v37
	v_add_f32_e32 v9, v9, v10
	v_add_f32_e32 v9, v40, v9
	v_cndmask_b32_e32 v9, 0x7f800000, v9, vcc_lo
	v_cmp_gt_f32_e64 vcc_lo, 0x33800000, |v11|
	v_cndmask_b32_e32 v9, v9, v11, vcc_lo
	v_add_f32_e32 v9, v8, v9
.LBB511_152:
	s_or_b32 exec_lo, exec_lo, s14
	v_bfe_u32 v8, v9, 16, 1
	v_cmp_o_f32_e32 vcc_lo, v9, v9
	v_add3_u32 v8, v9, v8, 0x7fff
	v_and_b32_e32 v8, 0xffff0000, v8
	v_cndmask_b32_e32 v36, 0x7fc00000, v8, vcc_lo
.LBB511_153:
	s_or_b32 exec_lo, exec_lo, s15
	s_waitcnt lgkmcnt(0)
	v_lshlrev_b32_e32 v9, 16, v7
	v_max_f32_e32 v7, v36, v36
	v_max_f32_e32 v8, v9, v9
	v_cmp_u_f32_e32 vcc_lo, v9, v9
	v_min_f32_e32 v10, v8, v7
	v_max_f32_e32 v7, v8, v7
	v_cndmask_b32_e32 v8, v10, v9, vcc_lo
	v_cndmask_b32_e32 v7, v7, v9, vcc_lo
	v_cmp_u_f32_e32 vcc_lo, v36, v36
	v_cndmask_b32_e32 v8, v8, v36, vcc_lo
	v_cndmask_b32_e32 v7, v7, v36, vcc_lo
	v_cmp_class_f32_e64 s14, v8, 0x1f8
	v_cmp_neq_f32_e32 vcc_lo, v8, v7
	s_or_b32 s15, vcc_lo, s14
	s_and_saveexec_b32 s14, s15
	s_cbranch_execz .LBB511_155
; %bb.154:
	v_sub_f32_e32 v8, v8, v7
	s_mov_b32 s15, 0x3e9b6dac
	v_mul_f32_e32 v9, 0x3fb8aa3b, v8
	v_cmp_ngt_f32_e32 vcc_lo, 0xc2ce8ed0, v8
	v_fma_f32 v10, 0x3fb8aa3b, v8, -v9
	v_rndne_f32_e32 v11, v9
	v_fmamk_f32 v10, v8, 0x32a5705f, v10
	v_sub_f32_e32 v9, v9, v11
	v_add_f32_e32 v9, v9, v10
	v_cvt_i32_f32_e32 v10, v11
	v_exp_f32_e32 v9, v9
	v_ldexp_f32 v9, v9, v10
	v_cndmask_b32_e32 v9, 0, v9, vcc_lo
	v_cmp_nlt_f32_e32 vcc_lo, 0x42b17218, v8
	v_cndmask_b32_e32 v10, 0x7f800000, v9, vcc_lo
	v_add_f32_e32 v11, 1.0, v10
	v_cvt_f64_f32_e32 v[8:9], v11
	v_frexp_exp_i32_f64_e32 v8, v[8:9]
	v_frexp_mant_f32_e32 v9, v11
	v_cmp_gt_f32_e32 vcc_lo, 0x3f2aaaab, v9
	v_add_f32_e32 v9, -1.0, v11
	v_sub_f32_e32 v37, v9, v11
	v_sub_f32_e32 v9, v10, v9
	v_add_f32_e32 v37, 1.0, v37
	v_add_f32_e32 v9, v9, v37
	v_subrev_co_ci_u32_e64 v8, null, 0, v8, vcc_lo
	v_cmp_neq_f32_e32 vcc_lo, 0x7f800000, v10
	v_sub_nc_u32_e32 v36, 0, v8
	v_cvt_f32_i32_e32 v8, v8
	v_ldexp_f32 v11, v11, v36
	v_ldexp_f32 v9, v9, v36
	v_add_f32_e32 v38, 1.0, v11
	v_add_f32_e32 v36, -1.0, v11
	v_add_f32_e32 v37, -1.0, v38
	v_add_f32_e32 v39, 1.0, v36
	v_sub_f32_e32 v37, v11, v37
	v_sub_f32_e32 v11, v11, v39
	v_add_f32_e32 v37, v9, v37
	v_add_f32_e32 v9, v9, v11
	;; [unrolled: 1-line block ×4, first 2 shown]
	v_rcp_f32_e32 v11, v39
	v_sub_f32_e32 v38, v38, v39
	v_sub_f32_e32 v36, v36, v40
	v_add_f32_e32 v37, v37, v38
	v_add_f32_e32 v9, v9, v36
	v_mul_f32_e32 v41, v40, v11
	v_mul_f32_e32 v42, v39, v41
	v_fma_f32 v38, v41, v39, -v42
	v_fmac_f32_e32 v38, v41, v37
	v_add_f32_e32 v43, v42, v38
	v_sub_f32_e32 v44, v40, v43
	v_sub_f32_e32 v36, v43, v42
	;; [unrolled: 1-line block ×5, first 2 shown]
	v_add_f32_e32 v9, v9, v40
	v_add_f32_e32 v9, v36, v9
	;; [unrolled: 1-line block ×3, first 2 shown]
	v_mul_f32_e32 v38, v11, v36
	v_sub_f32_e32 v43, v44, v36
	v_mul_f32_e32 v40, v39, v38
	v_add_f32_e32 v9, v9, v43
	v_fma_f32 v39, v38, v39, -v40
	v_fmac_f32_e32 v39, v38, v37
	v_add_f32_e32 v37, v40, v39
	v_sub_f32_e32 v42, v36, v37
	v_sub_f32_e32 v40, v37, v40
	;; [unrolled: 1-line block ×5, first 2 shown]
	v_add_f32_e32 v9, v9, v36
	v_add_f32_e32 v36, v41, v38
	;; [unrolled: 1-line block ×3, first 2 shown]
	v_sub_f32_e32 v37, v36, v41
	v_add_f32_e32 v9, v42, v9
	v_sub_f32_e32 v37, v38, v37
	v_mul_f32_e32 v9, v11, v9
	v_add_f32_e32 v9, v37, v9
	v_add_f32_e32 v11, v36, v9
	v_mul_f32_e32 v37, v11, v11
	v_fmaak_f32 v38, s15, v37, 0x3ecc95a3
	v_mul_f32_e32 v39, v11, v37
	v_fmaak_f32 v37, v37, v38, 0x3f2aaada
	v_ldexp_f32 v38, v11, 1
	v_sub_f32_e32 v11, v11, v36
	v_mul_f32_e32 v37, v39, v37
	v_mul_f32_e32 v39, 0x3f317218, v8
	v_sub_f32_e32 v9, v9, v11
	v_add_f32_e32 v36, v38, v37
	v_ldexp_f32 v9, v9, 1
	v_sub_f32_e32 v11, v36, v38
	v_fma_f32 v38, 0x3f317218, v8, -v39
	v_sub_f32_e32 v11, v37, v11
	v_fmamk_f32 v8, v8, 0xb102e308, v38
	v_add_f32_e32 v9, v9, v11
	v_add_f32_e32 v11, v39, v8
	;; [unrolled: 1-line block ×3, first 2 shown]
	v_sub_f32_e32 v39, v11, v39
	v_add_f32_e32 v38, v11, v37
	v_sub_f32_e32 v36, v37, v36
	v_sub_f32_e32 v8, v8, v39
	v_sub_f32_e32 v40, v38, v11
	v_sub_f32_e32 v9, v9, v36
	v_sub_f32_e32 v41, v38, v40
	v_sub_f32_e32 v36, v37, v40
	v_add_f32_e32 v37, v8, v9
	v_sub_f32_e32 v11, v11, v41
	v_add_f32_e32 v11, v36, v11
	v_sub_f32_e32 v36, v37, v8
	;; [unrolled: 2-line block ×3, first 2 shown]
	v_sub_f32_e32 v9, v9, v36
	v_add_f32_e32 v39, v38, v11
	v_sub_f32_e32 v8, v8, v37
	v_sub_f32_e32 v36, v39, v38
	v_add_f32_e32 v8, v9, v8
	v_sub_f32_e32 v9, v11, v36
	v_add_f32_e32 v8, v8, v9
	v_add_f32_e32 v8, v39, v8
	v_cndmask_b32_e32 v8, 0x7f800000, v8, vcc_lo
	v_cmp_gt_f32_e64 vcc_lo, 0x33800000, |v10|
	v_cndmask_b32_e32 v8, v8, v10, vcc_lo
	v_add_f32_e32 v9, v7, v8
.LBB511_155:
	s_or_b32 exec_lo, exec_lo, s14
	v_bfe_u32 v7, v9, 16, 1
	v_cmp_o_f32_e32 vcc_lo, v9, v9
	v_mov_b32_e32 v8, 0x7fc0
	v_add3_u32 v7, v9, v7, 0x7fff
	v_cndmask_b32_sdwa v7, v8, v7, vcc_lo dst_sel:DWORD dst_unused:UNUSED_PAD src0_sel:DWORD src1_sel:WORD_1
	v_lshlrev_b32_e32 v10, 16, v7
	v_max_f32_e32 v9, v10, v10
	v_cmp_u_f32_e32 vcc_lo, v10, v10
	v_min_f32_e32 v11, v9, v17
	v_max_f32_e32 v9, v9, v17
	v_cndmask_b32_e32 v11, v11, v10, vcc_lo
	v_cndmask_b32_e32 v9, v9, v10, vcc_lo
	v_cndmask_b32_e64 v11, v11, v14, s3
	v_cndmask_b32_e64 v9, v9, v14, s3
	v_cmp_class_f32_e64 s3, v11, 0x1f8
	v_cmp_neq_f32_e32 vcc_lo, v11, v9
	s_or_b32 s14, vcc_lo, s3
	s_and_saveexec_b32 s3, s14
	s_cbranch_execz .LBB511_157
; %bb.156:
	v_sub_f32_e32 v10, v11, v9
	s_mov_b32 s14, 0x3e9b6dac
	v_mul_f32_e32 v11, 0x3fb8aa3b, v10
	v_cmp_ngt_f32_e32 vcc_lo, 0xc2ce8ed0, v10
	v_fma_f32 v14, 0x3fb8aa3b, v10, -v11
	v_rndne_f32_e32 v17, v11
	v_fmamk_f32 v14, v10, 0x32a5705f, v14
	v_sub_f32_e32 v11, v11, v17
	v_add_f32_e32 v11, v11, v14
	v_cvt_i32_f32_e32 v14, v17
	v_exp_f32_e32 v11, v11
	v_ldexp_f32 v11, v11, v14
	v_cndmask_b32_e32 v11, 0, v11, vcc_lo
	v_cmp_nlt_f32_e32 vcc_lo, 0x42b17218, v10
	v_cndmask_b32_e32 v14, 0x7f800000, v11, vcc_lo
	v_add_f32_e32 v17, 1.0, v14
	v_cvt_f64_f32_e32 v[10:11], v17
	v_frexp_exp_i32_f64_e32 v10, v[10:11]
	v_frexp_mant_f32_e32 v11, v17
	v_cmp_gt_f32_e32 vcc_lo, 0x3f2aaaab, v11
	v_add_f32_e32 v11, -1.0, v17
	v_sub_f32_e32 v37, v11, v17
	v_sub_f32_e32 v11, v14, v11
	v_add_f32_e32 v37, 1.0, v37
	v_add_f32_e32 v11, v11, v37
	v_subrev_co_ci_u32_e64 v10, null, 0, v10, vcc_lo
	v_cmp_neq_f32_e32 vcc_lo, 0x7f800000, v14
	v_sub_nc_u32_e32 v36, 0, v10
	v_cvt_f32_i32_e32 v10, v10
	v_ldexp_f32 v17, v17, v36
	v_ldexp_f32 v11, v11, v36
	v_add_f32_e32 v38, 1.0, v17
	v_add_f32_e32 v36, -1.0, v17
	v_add_f32_e32 v37, -1.0, v38
	v_add_f32_e32 v39, 1.0, v36
	v_sub_f32_e32 v37, v17, v37
	v_sub_f32_e32 v17, v17, v39
	v_add_f32_e32 v37, v11, v37
	v_add_f32_e32 v11, v11, v17
	;; [unrolled: 1-line block ×4, first 2 shown]
	v_rcp_f32_e32 v17, v39
	v_sub_f32_e32 v38, v38, v39
	v_sub_f32_e32 v36, v36, v40
	v_add_f32_e32 v37, v37, v38
	v_add_f32_e32 v11, v11, v36
	v_mul_f32_e32 v41, v40, v17
	v_mul_f32_e32 v42, v39, v41
	v_fma_f32 v38, v41, v39, -v42
	v_fmac_f32_e32 v38, v41, v37
	v_add_f32_e32 v43, v42, v38
	v_sub_f32_e32 v44, v40, v43
	v_sub_f32_e32 v36, v43, v42
	;; [unrolled: 1-line block ×5, first 2 shown]
	v_add_f32_e32 v11, v11, v40
	v_add_f32_e32 v11, v36, v11
	;; [unrolled: 1-line block ×3, first 2 shown]
	v_mul_f32_e32 v38, v17, v36
	v_sub_f32_e32 v43, v44, v36
	v_mul_f32_e32 v40, v39, v38
	v_add_f32_e32 v11, v11, v43
	v_fma_f32 v39, v38, v39, -v40
	v_fmac_f32_e32 v39, v38, v37
	v_add_f32_e32 v37, v40, v39
	v_sub_f32_e32 v42, v36, v37
	v_sub_f32_e32 v40, v37, v40
	;; [unrolled: 1-line block ×5, first 2 shown]
	v_add_f32_e32 v11, v11, v36
	v_add_f32_e32 v36, v41, v38
	;; [unrolled: 1-line block ×3, first 2 shown]
	v_sub_f32_e32 v37, v36, v41
	v_add_f32_e32 v11, v42, v11
	v_sub_f32_e32 v37, v38, v37
	v_mul_f32_e32 v11, v17, v11
	v_add_f32_e32 v11, v37, v11
	v_add_f32_e32 v17, v36, v11
	v_mul_f32_e32 v37, v17, v17
	v_fmaak_f32 v38, s14, v37, 0x3ecc95a3
	v_mul_f32_e32 v39, v17, v37
	v_fmaak_f32 v37, v37, v38, 0x3f2aaada
	v_ldexp_f32 v38, v17, 1
	v_sub_f32_e32 v17, v17, v36
	v_mul_f32_e32 v37, v39, v37
	v_mul_f32_e32 v39, 0x3f317218, v10
	v_sub_f32_e32 v11, v11, v17
	v_add_f32_e32 v36, v38, v37
	v_ldexp_f32 v11, v11, 1
	v_sub_f32_e32 v17, v36, v38
	v_fma_f32 v38, 0x3f317218, v10, -v39
	v_sub_f32_e32 v17, v37, v17
	v_fmamk_f32 v10, v10, 0xb102e308, v38
	v_add_f32_e32 v11, v11, v17
	v_add_f32_e32 v17, v39, v10
	;; [unrolled: 1-line block ×3, first 2 shown]
	v_sub_f32_e32 v39, v17, v39
	v_add_f32_e32 v38, v17, v37
	v_sub_f32_e32 v36, v37, v36
	v_sub_f32_e32 v10, v10, v39
	;; [unrolled: 1-line block ×6, first 2 shown]
	v_add_f32_e32 v37, v10, v11
	v_sub_f32_e32 v17, v17, v41
	v_add_f32_e32 v17, v36, v17
	v_sub_f32_e32 v36, v37, v10
	;; [unrolled: 2-line block ×3, first 2 shown]
	v_sub_f32_e32 v11, v11, v36
	v_add_f32_e32 v39, v38, v17
	v_sub_f32_e32 v10, v10, v37
	v_sub_f32_e32 v36, v39, v38
	v_add_f32_e32 v10, v11, v10
	v_sub_f32_e32 v11, v17, v36
	v_add_f32_e32 v10, v10, v11
	v_add_f32_e32 v10, v39, v10
	v_cndmask_b32_e32 v10, 0x7f800000, v10, vcc_lo
	v_cmp_gt_f32_e64 vcc_lo, 0x33800000, |v14|
	v_cndmask_b32_e32 v10, v10, v14, vcc_lo
	v_add_f32_e32 v10, v9, v10
.LBB511_157:
	s_or_b32 exec_lo, exec_lo, s3
	v_bfe_u32 v9, v10, 16, 1
	v_cmp_o_f32_e32 vcc_lo, v10, v10
	v_add3_u32 v9, v10, v9, 0x7fff
	v_cndmask_b32_sdwa v36, v8, v9, vcc_lo dst_sel:DWORD dst_unused:UNUSED_PAD src0_sel:DWORD src1_sel:WORD_1
	v_lshlrev_b32_e32 v10, 16, v36
	v_max_f32_e32 v8, v10, v10
	v_cmp_u_f32_e32 vcc_lo, v10, v10
	v_min_f32_e32 v9, v8, v19
	v_max_f32_e32 v8, v8, v19
	v_cndmask_b32_e32 v9, v9, v10, vcc_lo
	v_cndmask_b32_e32 v8, v8, v10, vcc_lo
	v_cndmask_b32_e64 v9, v9, v15, s4
	v_cndmask_b32_e64 v8, v8, v15, s4
	v_cmp_class_f32_e64 s3, v9, 0x1f8
	v_cmp_neq_f32_e32 vcc_lo, v9, v8
	s_or_b32 s4, vcc_lo, s3
	s_and_saveexec_b32 s3, s4
	s_cbranch_execz .LBB511_159
; %bb.158:
	v_sub_f32_e32 v9, v9, v8
	s_mov_b32 s4, 0x3e9b6dac
	v_mul_f32_e32 v10, 0x3fb8aa3b, v9
	v_cmp_ngt_f32_e32 vcc_lo, 0xc2ce8ed0, v9
	v_fma_f32 v11, 0x3fb8aa3b, v9, -v10
	v_rndne_f32_e32 v14, v10
	v_fmamk_f32 v11, v9, 0x32a5705f, v11
	v_sub_f32_e32 v10, v10, v14
	v_add_f32_e32 v10, v10, v11
	v_cvt_i32_f32_e32 v11, v14
	v_exp_f32_e32 v10, v10
	v_ldexp_f32 v10, v10, v11
	v_cndmask_b32_e32 v10, 0, v10, vcc_lo
	v_cmp_nlt_f32_e32 vcc_lo, 0x42b17218, v9
	v_cndmask_b32_e32 v11, 0x7f800000, v10, vcc_lo
	v_add_f32_e32 v14, 1.0, v11
	v_cvt_f64_f32_e32 v[9:10], v14
	v_frexp_exp_i32_f64_e32 v9, v[9:10]
	v_frexp_mant_f32_e32 v10, v14
	v_cmp_gt_f32_e32 vcc_lo, 0x3f2aaaab, v10
	v_add_f32_e32 v10, -1.0, v14
	v_sub_f32_e32 v17, v10, v14
	v_sub_f32_e32 v10, v11, v10
	v_add_f32_e32 v17, 1.0, v17
	v_add_f32_e32 v10, v10, v17
	v_subrev_co_ci_u32_e64 v9, null, 0, v9, vcc_lo
	v_cmp_neq_f32_e32 vcc_lo, 0x7f800000, v11
	v_sub_nc_u32_e32 v15, 0, v9
	v_cvt_f32_i32_e32 v9, v9
	v_ldexp_f32 v14, v14, v15
	v_ldexp_f32 v10, v10, v15
	v_add_f32_e32 v19, 1.0, v14
	v_add_f32_e32 v15, -1.0, v14
	v_add_f32_e32 v17, -1.0, v19
	v_add_f32_e32 v37, 1.0, v15
	v_sub_f32_e32 v17, v14, v17
	v_sub_f32_e32 v14, v14, v37
	v_add_f32_e32 v17, v10, v17
	v_add_f32_e32 v10, v10, v14
	v_add_f32_e32 v37, v19, v17
	v_add_f32_e32 v38, v15, v10
	v_rcp_f32_e32 v14, v37
	v_sub_f32_e32 v19, v19, v37
	v_sub_f32_e32 v15, v15, v38
	v_add_f32_e32 v17, v17, v19
	v_add_f32_e32 v10, v10, v15
	v_mul_f32_e32 v39, v38, v14
	v_mul_f32_e32 v40, v37, v39
	v_fma_f32 v19, v39, v37, -v40
	v_fmac_f32_e32 v19, v39, v17
	v_add_f32_e32 v41, v40, v19
	v_sub_f32_e32 v42, v38, v41
	v_sub_f32_e32 v15, v41, v40
	;; [unrolled: 1-line block ×5, first 2 shown]
	v_add_f32_e32 v10, v10, v38
	v_add_f32_e32 v10, v15, v10
	;; [unrolled: 1-line block ×3, first 2 shown]
	v_mul_f32_e32 v19, v14, v15
	v_sub_f32_e32 v41, v42, v15
	v_mul_f32_e32 v38, v37, v19
	v_add_f32_e32 v10, v10, v41
	v_fma_f32 v37, v19, v37, -v38
	v_fmac_f32_e32 v37, v19, v17
	v_add_f32_e32 v17, v38, v37
	v_sub_f32_e32 v40, v15, v17
	v_sub_f32_e32 v38, v17, v38
	;; [unrolled: 1-line block ×5, first 2 shown]
	v_add_f32_e32 v10, v10, v15
	v_add_f32_e32 v15, v39, v19
	;; [unrolled: 1-line block ×3, first 2 shown]
	v_sub_f32_e32 v17, v15, v39
	v_add_f32_e32 v10, v40, v10
	v_sub_f32_e32 v17, v19, v17
	v_mul_f32_e32 v10, v14, v10
	v_add_f32_e32 v10, v17, v10
	v_add_f32_e32 v14, v15, v10
	v_mul_f32_e32 v17, v14, v14
	v_fmaak_f32 v19, s4, v17, 0x3ecc95a3
	v_mul_f32_e32 v37, v14, v17
	v_fmaak_f32 v17, v17, v19, 0x3f2aaada
	v_ldexp_f32 v19, v14, 1
	v_sub_f32_e32 v14, v14, v15
	v_mul_f32_e32 v17, v37, v17
	v_mul_f32_e32 v37, 0x3f317218, v9
	v_sub_f32_e32 v10, v10, v14
	v_add_f32_e32 v15, v19, v17
	v_ldexp_f32 v10, v10, 1
	v_sub_f32_e32 v14, v15, v19
	v_fma_f32 v19, 0x3f317218, v9, -v37
	v_sub_f32_e32 v14, v17, v14
	v_fmamk_f32 v9, v9, 0xb102e308, v19
	v_add_f32_e32 v10, v10, v14
	v_add_f32_e32 v14, v37, v9
	;; [unrolled: 1-line block ×3, first 2 shown]
	v_sub_f32_e32 v37, v14, v37
	v_add_f32_e32 v19, v14, v17
	v_sub_f32_e32 v15, v17, v15
	v_sub_f32_e32 v9, v9, v37
	;; [unrolled: 1-line block ×6, first 2 shown]
	v_add_f32_e32 v17, v9, v10
	v_sub_f32_e32 v14, v14, v39
	v_add_f32_e32 v14, v15, v14
	v_sub_f32_e32 v15, v17, v9
	;; [unrolled: 2-line block ×3, first 2 shown]
	v_sub_f32_e32 v10, v10, v15
	v_add_f32_e32 v37, v19, v14
	v_sub_f32_e32 v9, v9, v17
	v_sub_f32_e32 v15, v37, v19
	v_add_f32_e32 v9, v10, v9
	v_sub_f32_e32 v10, v14, v15
	v_add_f32_e32 v9, v9, v10
	v_add_f32_e32 v9, v37, v9
	v_cndmask_b32_e32 v9, 0x7f800000, v9, vcc_lo
	v_cmp_gt_f32_e64 vcc_lo, 0x33800000, |v11|
	v_cndmask_b32_e32 v9, v9, v11, vcc_lo
	v_add_f32_e32 v10, v8, v9
.LBB511_159:
	s_or_b32 exec_lo, exec_lo, s3
	v_bfe_u32 v8, v10, 16, 1
	v_cmp_o_f32_e32 vcc_lo, v10, v10
	v_mov_b32_e32 v9, 0x7fc0
	v_add3_u32 v8, v10, v8, 0x7fff
	v_cndmask_b32_sdwa v8, v9, v8, vcc_lo dst_sel:DWORD dst_unused:UNUSED_PAD src0_sel:DWORD src1_sel:WORD_1
	v_lshlrev_b32_e32 v11, 16, v8
	v_max_f32_e32 v10, v11, v11
	v_cmp_u_f32_e32 vcc_lo, v11, v11
	v_min_f32_e32 v14, v10, v21
	v_max_f32_e32 v10, v10, v21
	v_cndmask_b32_e32 v14, v14, v11, vcc_lo
	v_cndmask_b32_e32 v10, v10, v11, vcc_lo
	v_cndmask_b32_e64 v14, v14, v16, s5
	v_cndmask_b32_e64 v10, v10, v16, s5
	v_cmp_class_f32_e64 s3, v14, 0x1f8
	v_cmp_neq_f32_e32 vcc_lo, v14, v10
	s_or_b32 s4, vcc_lo, s3
	s_and_saveexec_b32 s3, s4
	s_cbranch_execz .LBB511_161
; %bb.160:
	v_sub_f32_e32 v11, v14, v10
	s_mov_b32 s4, 0x3e9b6dac
	v_mul_f32_e32 v14, 0x3fb8aa3b, v11
	v_cmp_ngt_f32_e32 vcc_lo, 0xc2ce8ed0, v11
	v_fma_f32 v15, 0x3fb8aa3b, v11, -v14
	v_rndne_f32_e32 v16, v14
	v_fmamk_f32 v15, v11, 0x32a5705f, v15
	v_sub_f32_e32 v14, v14, v16
	v_add_f32_e32 v14, v14, v15
	v_cvt_i32_f32_e32 v15, v16
	v_exp_f32_e32 v14, v14
	v_ldexp_f32 v14, v14, v15
	v_cndmask_b32_e32 v14, 0, v14, vcc_lo
	v_cmp_nlt_f32_e32 vcc_lo, 0x42b17218, v11
	v_cndmask_b32_e32 v11, 0x7f800000, v14, vcc_lo
	v_add_f32_e32 v16, 1.0, v11
	v_cvt_f64_f32_e32 v[14:15], v16
	v_frexp_exp_i32_f64_e32 v14, v[14:15]
	v_frexp_mant_f32_e32 v15, v16
	v_cmp_gt_f32_e32 vcc_lo, 0x3f2aaaab, v15
	v_add_f32_e32 v15, -1.0, v16
	v_sub_f32_e32 v19, v15, v16
	v_sub_f32_e32 v15, v11, v15
	v_add_f32_e32 v19, 1.0, v19
	v_add_f32_e32 v15, v15, v19
	v_subrev_co_ci_u32_e64 v14, null, 0, v14, vcc_lo
	v_cmp_neq_f32_e32 vcc_lo, 0x7f800000, v11
	v_sub_nc_u32_e32 v17, 0, v14
	v_cvt_f32_i32_e32 v14, v14
	v_ldexp_f32 v16, v16, v17
	v_ldexp_f32 v15, v15, v17
	v_add_f32_e32 v21, 1.0, v16
	v_add_f32_e32 v17, -1.0, v16
	v_add_f32_e32 v19, -1.0, v21
	v_add_f32_e32 v37, 1.0, v17
	v_sub_f32_e32 v19, v16, v19
	v_sub_f32_e32 v16, v16, v37
	v_add_f32_e32 v19, v15, v19
	v_add_f32_e32 v15, v15, v16
	;; [unrolled: 1-line block ×4, first 2 shown]
	v_rcp_f32_e32 v16, v37
	v_sub_f32_e32 v21, v21, v37
	v_sub_f32_e32 v17, v17, v38
	v_add_f32_e32 v19, v19, v21
	v_add_f32_e32 v15, v15, v17
	v_mul_f32_e32 v39, v38, v16
	v_mul_f32_e32 v40, v37, v39
	v_fma_f32 v21, v39, v37, -v40
	v_fmac_f32_e32 v21, v39, v19
	v_add_f32_e32 v41, v40, v21
	v_sub_f32_e32 v42, v38, v41
	v_sub_f32_e32 v17, v41, v40
	v_sub_f32_e32 v38, v38, v42
	v_sub_f32_e32 v17, v17, v21
	v_sub_f32_e32 v38, v38, v41
	v_add_f32_e32 v15, v15, v38
	v_add_f32_e32 v15, v17, v15
	;; [unrolled: 1-line block ×3, first 2 shown]
	v_mul_f32_e32 v21, v16, v17
	v_sub_f32_e32 v41, v42, v17
	v_mul_f32_e32 v38, v37, v21
	v_add_f32_e32 v15, v15, v41
	v_fma_f32 v37, v21, v37, -v38
	v_fmac_f32_e32 v37, v21, v19
	v_add_f32_e32 v19, v38, v37
	v_sub_f32_e32 v40, v17, v19
	v_sub_f32_e32 v38, v19, v38
	;; [unrolled: 1-line block ×5, first 2 shown]
	v_add_f32_e32 v15, v15, v17
	v_add_f32_e32 v17, v39, v21
	;; [unrolled: 1-line block ×3, first 2 shown]
	v_sub_f32_e32 v19, v17, v39
	v_add_f32_e32 v15, v40, v15
	v_sub_f32_e32 v19, v21, v19
	v_mul_f32_e32 v15, v16, v15
	v_add_f32_e32 v15, v19, v15
	v_add_f32_e32 v16, v17, v15
	v_mul_f32_e32 v19, v16, v16
	v_fmaak_f32 v21, s4, v19, 0x3ecc95a3
	v_mul_f32_e32 v37, v16, v19
	v_fmaak_f32 v19, v19, v21, 0x3f2aaada
	v_ldexp_f32 v21, v16, 1
	v_sub_f32_e32 v16, v16, v17
	v_mul_f32_e32 v19, v37, v19
	v_mul_f32_e32 v37, 0x3f317218, v14
	v_sub_f32_e32 v15, v15, v16
	v_add_f32_e32 v17, v21, v19
	v_ldexp_f32 v15, v15, 1
	v_sub_f32_e32 v16, v17, v21
	v_fma_f32 v21, 0x3f317218, v14, -v37
	v_sub_f32_e32 v16, v19, v16
	v_fmamk_f32 v14, v14, 0xb102e308, v21
	v_add_f32_e32 v15, v15, v16
	v_add_f32_e32 v16, v37, v14
	;; [unrolled: 1-line block ×3, first 2 shown]
	v_sub_f32_e32 v37, v16, v37
	v_add_f32_e32 v21, v16, v19
	v_sub_f32_e32 v17, v19, v17
	v_sub_f32_e32 v14, v14, v37
	;; [unrolled: 1-line block ×6, first 2 shown]
	v_add_f32_e32 v19, v14, v15
	v_sub_f32_e32 v16, v16, v39
	v_add_f32_e32 v16, v17, v16
	v_sub_f32_e32 v17, v19, v14
	;; [unrolled: 2-line block ×3, first 2 shown]
	v_sub_f32_e32 v15, v15, v17
	v_add_f32_e32 v37, v21, v16
	v_sub_f32_e32 v14, v14, v19
	v_sub_f32_e32 v17, v37, v21
	v_add_f32_e32 v14, v15, v14
	v_sub_f32_e32 v15, v16, v17
	v_add_f32_e32 v14, v14, v15
	v_add_f32_e32 v14, v37, v14
	v_cndmask_b32_e32 v14, 0x7f800000, v14, vcc_lo
	v_cmp_gt_f32_e64 vcc_lo, 0x33800000, |v11|
	v_cndmask_b32_e32 v11, v14, v11, vcc_lo
	v_add_f32_e32 v11, v10, v11
.LBB511_161:
	s_or_b32 exec_lo, exec_lo, s3
	v_bfe_u32 v10, v11, 16, 1
	v_cmp_o_f32_e32 vcc_lo, v11, v11
	v_add3_u32 v10, v11, v10, 0x7fff
	v_cndmask_b32_sdwa v10, v9, v10, vcc_lo dst_sel:DWORD dst_unused:UNUSED_PAD src0_sel:DWORD src1_sel:WORD_1
	v_lshlrev_b32_e32 v14, 16, v10
	v_max_f32_e32 v9, v14, v14
	v_cmp_u_f32_e32 vcc_lo, v14, v14
	v_min_f32_e32 v11, v9, v23
	v_max_f32_e32 v9, v9, v23
	v_cndmask_b32_e32 v11, v11, v14, vcc_lo
	v_cndmask_b32_e32 v9, v9, v14, vcc_lo
	v_cndmask_b32_e64 v11, v11, v18, s6
	v_cndmask_b32_e64 v9, v9, v18, s6
	v_cmp_class_f32_e64 s3, v11, 0x1f8
	v_cmp_neq_f32_e32 vcc_lo, v11, v9
	s_or_b32 s4, vcc_lo, s3
	s_and_saveexec_b32 s3, s4
	s_cbranch_execz .LBB511_163
; %bb.162:
	v_sub_f32_e32 v11, v11, v9
	s_mov_b32 s4, 0x3e9b6dac
	v_mul_f32_e32 v14, 0x3fb8aa3b, v11
	v_cmp_ngt_f32_e32 vcc_lo, 0xc2ce8ed0, v11
	v_fma_f32 v15, 0x3fb8aa3b, v11, -v14
	v_rndne_f32_e32 v16, v14
	v_fmamk_f32 v15, v11, 0x32a5705f, v15
	v_sub_f32_e32 v14, v14, v16
	v_add_f32_e32 v14, v14, v15
	v_cvt_i32_f32_e32 v15, v16
	v_exp_f32_e32 v14, v14
	v_ldexp_f32 v14, v14, v15
	v_cndmask_b32_e32 v14, 0, v14, vcc_lo
	v_cmp_nlt_f32_e32 vcc_lo, 0x42b17218, v11
	v_cndmask_b32_e32 v11, 0x7f800000, v14, vcc_lo
	v_add_f32_e32 v16, 1.0, v11
	v_cvt_f64_f32_e32 v[14:15], v16
	v_frexp_exp_i32_f64_e32 v14, v[14:15]
	v_frexp_mant_f32_e32 v15, v16
	v_cmp_gt_f32_e32 vcc_lo, 0x3f2aaaab, v15
	v_add_f32_e32 v15, -1.0, v16
	v_sub_f32_e32 v18, v15, v16
	v_sub_f32_e32 v15, v11, v15
	v_add_f32_e32 v18, 1.0, v18
	v_add_f32_e32 v15, v15, v18
	v_subrev_co_ci_u32_e64 v14, null, 0, v14, vcc_lo
	v_cmp_neq_f32_e32 vcc_lo, 0x7f800000, v11
	v_sub_nc_u32_e32 v17, 0, v14
	v_cvt_f32_i32_e32 v14, v14
	v_ldexp_f32 v16, v16, v17
	v_ldexp_f32 v15, v15, v17
	v_add_f32_e32 v19, 1.0, v16
	v_add_f32_e32 v17, -1.0, v16
	v_add_f32_e32 v18, -1.0, v19
	v_add_f32_e32 v21, 1.0, v17
	v_sub_f32_e32 v18, v16, v18
	v_sub_f32_e32 v16, v16, v21
	v_add_f32_e32 v18, v15, v18
	v_add_f32_e32 v15, v15, v16
	;; [unrolled: 1-line block ×4, first 2 shown]
	v_rcp_f32_e32 v16, v21
	v_sub_f32_e32 v19, v19, v21
	v_sub_f32_e32 v17, v17, v23
	v_add_f32_e32 v18, v18, v19
	v_add_f32_e32 v15, v15, v17
	v_mul_f32_e32 v37, v23, v16
	v_mul_f32_e32 v38, v21, v37
	v_fma_f32 v19, v37, v21, -v38
	v_fmac_f32_e32 v19, v37, v18
	v_add_f32_e32 v39, v38, v19
	v_sub_f32_e32 v40, v23, v39
	v_sub_f32_e32 v17, v39, v38
	;; [unrolled: 1-line block ×5, first 2 shown]
	v_add_f32_e32 v15, v15, v23
	v_add_f32_e32 v15, v17, v15
	;; [unrolled: 1-line block ×3, first 2 shown]
	v_mul_f32_e32 v19, v16, v17
	v_sub_f32_e32 v39, v40, v17
	v_mul_f32_e32 v23, v21, v19
	v_add_f32_e32 v15, v15, v39
	v_fma_f32 v21, v19, v21, -v23
	v_fmac_f32_e32 v21, v19, v18
	v_add_f32_e32 v18, v23, v21
	v_sub_f32_e32 v38, v17, v18
	v_sub_f32_e32 v23, v18, v23
	v_sub_f32_e32 v17, v17, v38
	v_sub_f32_e32 v17, v17, v18
	v_sub_f32_e32 v18, v23, v21
	v_add_f32_e32 v15, v15, v17
	v_add_f32_e32 v17, v37, v19
	;; [unrolled: 1-line block ×3, first 2 shown]
	v_sub_f32_e32 v18, v17, v37
	v_add_f32_e32 v15, v38, v15
	v_sub_f32_e32 v18, v19, v18
	v_mul_f32_e32 v15, v16, v15
	v_add_f32_e32 v15, v18, v15
	v_add_f32_e32 v16, v17, v15
	v_mul_f32_e32 v18, v16, v16
	v_fmaak_f32 v19, s4, v18, 0x3ecc95a3
	v_mul_f32_e32 v21, v16, v18
	v_fmaak_f32 v18, v18, v19, 0x3f2aaada
	v_ldexp_f32 v19, v16, 1
	v_sub_f32_e32 v16, v16, v17
	v_mul_f32_e32 v18, v21, v18
	v_mul_f32_e32 v21, 0x3f317218, v14
	v_sub_f32_e32 v15, v15, v16
	v_add_f32_e32 v17, v19, v18
	v_ldexp_f32 v15, v15, 1
	v_sub_f32_e32 v16, v17, v19
	v_fma_f32 v19, 0x3f317218, v14, -v21
	v_sub_f32_e32 v16, v18, v16
	v_fmamk_f32 v14, v14, 0xb102e308, v19
	v_add_f32_e32 v15, v15, v16
	v_add_f32_e32 v16, v21, v14
	;; [unrolled: 1-line block ×3, first 2 shown]
	v_sub_f32_e32 v21, v16, v21
	v_add_f32_e32 v19, v16, v18
	v_sub_f32_e32 v17, v18, v17
	v_sub_f32_e32 v14, v14, v21
	;; [unrolled: 1-line block ×6, first 2 shown]
	v_add_f32_e32 v18, v14, v15
	v_sub_f32_e32 v16, v16, v37
	v_add_f32_e32 v16, v17, v16
	v_sub_f32_e32 v17, v18, v14
	;; [unrolled: 2-line block ×3, first 2 shown]
	v_sub_f32_e32 v15, v15, v17
	v_add_f32_e32 v21, v19, v16
	v_sub_f32_e32 v14, v14, v18
	v_sub_f32_e32 v17, v21, v19
	v_add_f32_e32 v14, v15, v14
	v_sub_f32_e32 v15, v16, v17
	v_add_f32_e32 v14, v14, v15
	v_add_f32_e32 v14, v21, v14
	v_cndmask_b32_e32 v14, 0x7f800000, v14, vcc_lo
	v_cmp_gt_f32_e64 vcc_lo, 0x33800000, |v11|
	v_cndmask_b32_e32 v11, v14, v11, vcc_lo
	v_add_f32_e32 v14, v9, v11
.LBB511_163:
	s_or_b32 exec_lo, exec_lo, s3
	v_bfe_u32 v9, v14, 16, 1
	v_cmp_o_f32_e32 vcc_lo, v14, v14
	v_mov_b32_e32 v11, 0x7fc0
	v_add3_u32 v9, v14, v9, 0x7fff
	v_cndmask_b32_sdwa v9, v11, v9, vcc_lo dst_sel:DWORD dst_unused:UNUSED_PAD src0_sel:DWORD src1_sel:WORD_1
	v_lshlrev_b32_e32 v15, 16, v9
	v_max_f32_e32 v14, v15, v15
	v_cmp_u_f32_e32 vcc_lo, v15, v15
	v_min_f32_e32 v16, v14, v25
	v_max_f32_e32 v14, v14, v25
	v_cndmask_b32_e32 v16, v16, v15, vcc_lo
	v_cndmask_b32_e32 v14, v14, v15, vcc_lo
	v_cndmask_b32_e64 v16, v16, v20, s7
	v_cndmask_b32_e64 v14, v14, v20, s7
	v_cmp_class_f32_e64 s3, v16, 0x1f8
	v_cmp_neq_f32_e32 vcc_lo, v16, v14
	s_or_b32 s4, vcc_lo, s3
	s_and_saveexec_b32 s3, s4
	s_cbranch_execz .LBB511_165
; %bb.164:
	v_sub_f32_e32 v15, v16, v14
	s_mov_b32 s4, 0x3e9b6dac
	v_mul_f32_e32 v16, 0x3fb8aa3b, v15
	v_cmp_ngt_f32_e32 vcc_lo, 0xc2ce8ed0, v15
	v_fma_f32 v17, 0x3fb8aa3b, v15, -v16
	v_rndne_f32_e32 v18, v16
	v_fmamk_f32 v17, v15, 0x32a5705f, v17
	v_sub_f32_e32 v16, v16, v18
	v_add_f32_e32 v16, v16, v17
	v_cvt_i32_f32_e32 v17, v18
	v_exp_f32_e32 v16, v16
	v_ldexp_f32 v16, v16, v17
	v_cndmask_b32_e32 v16, 0, v16, vcc_lo
	v_cmp_nlt_f32_e32 vcc_lo, 0x42b17218, v15
	v_cndmask_b32_e32 v17, 0x7f800000, v16, vcc_lo
	v_add_f32_e32 v18, 1.0, v17
	v_cvt_f64_f32_e32 v[15:16], v18
	v_frexp_exp_i32_f64_e32 v15, v[15:16]
	v_frexp_mant_f32_e32 v16, v18
	v_cmp_gt_f32_e32 vcc_lo, 0x3f2aaaab, v16
	v_add_f32_e32 v16, -1.0, v18
	v_sub_f32_e32 v20, v16, v18
	v_sub_f32_e32 v16, v17, v16
	v_add_f32_e32 v20, 1.0, v20
	v_add_f32_e32 v16, v16, v20
	v_subrev_co_ci_u32_e64 v15, null, 0, v15, vcc_lo
	v_cmp_neq_f32_e32 vcc_lo, 0x7f800000, v17
	v_sub_nc_u32_e32 v19, 0, v15
	v_cvt_f32_i32_e32 v15, v15
	v_ldexp_f32 v18, v18, v19
	v_ldexp_f32 v16, v16, v19
	v_add_f32_e32 v21, 1.0, v18
	v_add_f32_e32 v19, -1.0, v18
	v_add_f32_e32 v20, -1.0, v21
	v_add_f32_e32 v23, 1.0, v19
	v_sub_f32_e32 v20, v18, v20
	v_sub_f32_e32 v18, v18, v23
	v_add_f32_e32 v20, v16, v20
	v_add_f32_e32 v16, v16, v18
	;; [unrolled: 1-line block ×4, first 2 shown]
	v_rcp_f32_e32 v18, v23
	v_sub_f32_e32 v21, v21, v23
	v_sub_f32_e32 v19, v19, v25
	v_add_f32_e32 v20, v20, v21
	v_add_f32_e32 v16, v16, v19
	v_mul_f32_e32 v37, v25, v18
	v_mul_f32_e32 v38, v23, v37
	v_fma_f32 v21, v37, v23, -v38
	v_fmac_f32_e32 v21, v37, v20
	v_add_f32_e32 v39, v38, v21
	v_sub_f32_e32 v40, v25, v39
	v_sub_f32_e32 v19, v39, v38
	;; [unrolled: 1-line block ×5, first 2 shown]
	v_add_f32_e32 v16, v16, v25
	v_add_f32_e32 v16, v19, v16
	;; [unrolled: 1-line block ×3, first 2 shown]
	v_mul_f32_e32 v21, v18, v19
	v_sub_f32_e32 v39, v40, v19
	v_mul_f32_e32 v25, v23, v21
	v_add_f32_e32 v16, v16, v39
	v_fma_f32 v23, v21, v23, -v25
	v_fmac_f32_e32 v23, v21, v20
	v_add_f32_e32 v20, v25, v23
	v_sub_f32_e32 v38, v19, v20
	v_sub_f32_e32 v25, v20, v25
	;; [unrolled: 1-line block ×5, first 2 shown]
	v_add_f32_e32 v16, v16, v19
	v_add_f32_e32 v19, v37, v21
	;; [unrolled: 1-line block ×3, first 2 shown]
	v_sub_f32_e32 v20, v19, v37
	v_add_f32_e32 v16, v38, v16
	v_sub_f32_e32 v20, v21, v20
	v_mul_f32_e32 v16, v18, v16
	v_add_f32_e32 v16, v20, v16
	v_add_f32_e32 v18, v19, v16
	v_mul_f32_e32 v20, v18, v18
	v_fmaak_f32 v21, s4, v20, 0x3ecc95a3
	v_mul_f32_e32 v23, v18, v20
	v_fmaak_f32 v20, v20, v21, 0x3f2aaada
	v_ldexp_f32 v21, v18, 1
	v_sub_f32_e32 v18, v18, v19
	v_mul_f32_e32 v20, v23, v20
	v_mul_f32_e32 v23, 0x3f317218, v15
	v_sub_f32_e32 v16, v16, v18
	v_add_f32_e32 v19, v21, v20
	v_ldexp_f32 v16, v16, 1
	v_sub_f32_e32 v18, v19, v21
	v_fma_f32 v21, 0x3f317218, v15, -v23
	v_sub_f32_e32 v18, v20, v18
	v_fmamk_f32 v15, v15, 0xb102e308, v21
	v_add_f32_e32 v16, v16, v18
	v_add_f32_e32 v18, v23, v15
	;; [unrolled: 1-line block ×3, first 2 shown]
	v_sub_f32_e32 v23, v18, v23
	v_add_f32_e32 v21, v18, v20
	v_sub_f32_e32 v19, v20, v19
	v_sub_f32_e32 v15, v15, v23
	;; [unrolled: 1-line block ×6, first 2 shown]
	v_add_f32_e32 v20, v15, v16
	v_sub_f32_e32 v18, v18, v37
	v_add_f32_e32 v18, v19, v18
	v_sub_f32_e32 v19, v20, v15
	;; [unrolled: 2-line block ×3, first 2 shown]
	v_sub_f32_e32 v16, v16, v19
	v_add_f32_e32 v23, v21, v18
	v_sub_f32_e32 v15, v15, v20
	v_sub_f32_e32 v19, v23, v21
	v_add_f32_e32 v15, v16, v15
	v_sub_f32_e32 v16, v18, v19
	v_add_f32_e32 v15, v15, v16
	v_add_f32_e32 v15, v23, v15
	v_cndmask_b32_e32 v15, 0x7f800000, v15, vcc_lo
	v_cmp_gt_f32_e64 vcc_lo, 0x33800000, |v17|
	v_cndmask_b32_e32 v15, v15, v17, vcc_lo
	v_add_f32_e32 v15, v14, v15
.LBB511_165:
	s_or_b32 exec_lo, exec_lo, s3
	v_bfe_u32 v14, v15, 16, 1
	v_cmp_o_f32_e32 vcc_lo, v15, v15
	v_add3_u32 v14, v15, v14, 0x7fff
	v_cndmask_b32_sdwa v11, v11, v14, vcc_lo dst_sel:DWORD dst_unused:UNUSED_PAD src0_sel:DWORD src1_sel:WORD_1
	v_lshlrev_b32_e32 v16, 16, v11
	v_max_f32_e32 v14, v16, v16
	v_cmp_u_f32_e32 vcc_lo, v16, v16
	v_min_f32_e32 v15, v14, v27
	v_max_f32_e32 v14, v14, v27
	v_cndmask_b32_e32 v15, v15, v16, vcc_lo
	v_cndmask_b32_e32 v14, v14, v16, vcc_lo
	v_cndmask_b32_e64 v15, v15, v22, s8
	v_cndmask_b32_e64 v14, v14, v22, s8
	v_cmp_class_f32_e64 s3, v15, 0x1f8
	v_cmp_neq_f32_e32 vcc_lo, v15, v14
	s_or_b32 s4, vcc_lo, s3
	s_and_saveexec_b32 s3, s4
	s_cbranch_execz .LBB511_167
; %bb.166:
	v_sub_f32_e32 v15, v15, v14
	s_mov_b32 s4, 0x3e9b6dac
	v_mul_f32_e32 v16, 0x3fb8aa3b, v15
	v_cmp_ngt_f32_e32 vcc_lo, 0xc2ce8ed0, v15
	v_fma_f32 v17, 0x3fb8aa3b, v15, -v16
	v_rndne_f32_e32 v18, v16
	v_fmamk_f32 v17, v15, 0x32a5705f, v17
	v_sub_f32_e32 v16, v16, v18
	v_add_f32_e32 v16, v16, v17
	v_cvt_i32_f32_e32 v17, v18
	v_exp_f32_e32 v16, v16
	v_ldexp_f32 v16, v16, v17
	v_cndmask_b32_e32 v16, 0, v16, vcc_lo
	v_cmp_nlt_f32_e32 vcc_lo, 0x42b17218, v15
	v_cndmask_b32_e32 v17, 0x7f800000, v16, vcc_lo
	v_add_f32_e32 v18, 1.0, v17
	v_cvt_f64_f32_e32 v[15:16], v18
	v_frexp_exp_i32_f64_e32 v15, v[15:16]
	v_frexp_mant_f32_e32 v16, v18
	v_cmp_gt_f32_e32 vcc_lo, 0x3f2aaaab, v16
	v_add_f32_e32 v16, -1.0, v18
	v_sub_f32_e32 v20, v16, v18
	v_sub_f32_e32 v16, v17, v16
	v_add_f32_e32 v20, 1.0, v20
	v_add_f32_e32 v16, v16, v20
	v_subrev_co_ci_u32_e64 v15, null, 0, v15, vcc_lo
	v_cmp_neq_f32_e32 vcc_lo, 0x7f800000, v17
	v_sub_nc_u32_e32 v19, 0, v15
	v_cvt_f32_i32_e32 v15, v15
	v_ldexp_f32 v18, v18, v19
	v_ldexp_f32 v16, v16, v19
	v_add_f32_e32 v21, 1.0, v18
	v_add_f32_e32 v19, -1.0, v18
	v_add_f32_e32 v20, -1.0, v21
	v_add_f32_e32 v22, 1.0, v19
	v_sub_f32_e32 v20, v18, v20
	v_sub_f32_e32 v18, v18, v22
	v_add_f32_e32 v20, v16, v20
	v_add_f32_e32 v16, v16, v18
	;; [unrolled: 1-line block ×4, first 2 shown]
	v_rcp_f32_e32 v18, v22
	v_sub_f32_e32 v21, v21, v22
	v_sub_f32_e32 v19, v19, v23
	v_add_f32_e32 v20, v20, v21
	v_add_f32_e32 v16, v16, v19
	v_mul_f32_e32 v25, v23, v18
	v_mul_f32_e32 v27, v22, v25
	v_fma_f32 v21, v25, v22, -v27
	v_fmac_f32_e32 v21, v25, v20
	v_add_f32_e32 v37, v27, v21
	v_sub_f32_e32 v38, v23, v37
	v_sub_f32_e32 v19, v37, v27
	;; [unrolled: 1-line block ×5, first 2 shown]
	v_add_f32_e32 v16, v16, v23
	v_add_f32_e32 v16, v19, v16
	;; [unrolled: 1-line block ×3, first 2 shown]
	v_mul_f32_e32 v21, v18, v19
	v_sub_f32_e32 v37, v38, v19
	v_mul_f32_e32 v23, v22, v21
	v_add_f32_e32 v16, v16, v37
	v_fma_f32 v22, v21, v22, -v23
	v_fmac_f32_e32 v22, v21, v20
	v_add_f32_e32 v20, v23, v22
	v_sub_f32_e32 v27, v19, v20
	v_sub_f32_e32 v23, v20, v23
	;; [unrolled: 1-line block ×5, first 2 shown]
	v_add_f32_e32 v16, v16, v19
	v_add_f32_e32 v19, v25, v21
	;; [unrolled: 1-line block ×3, first 2 shown]
	v_sub_f32_e32 v20, v19, v25
	v_add_f32_e32 v16, v27, v16
	v_sub_f32_e32 v20, v21, v20
	v_mul_f32_e32 v16, v18, v16
	v_add_f32_e32 v16, v20, v16
	v_add_f32_e32 v18, v19, v16
	v_mul_f32_e32 v20, v18, v18
	v_fmaak_f32 v21, s4, v20, 0x3ecc95a3
	v_mul_f32_e32 v22, v18, v20
	v_fmaak_f32 v20, v20, v21, 0x3f2aaada
	v_ldexp_f32 v21, v18, 1
	v_sub_f32_e32 v18, v18, v19
	v_mul_f32_e32 v20, v22, v20
	v_mul_f32_e32 v22, 0x3f317218, v15
	v_sub_f32_e32 v16, v16, v18
	v_add_f32_e32 v19, v21, v20
	v_ldexp_f32 v16, v16, 1
	v_sub_f32_e32 v18, v19, v21
	v_fma_f32 v21, 0x3f317218, v15, -v22
	v_sub_f32_e32 v18, v20, v18
	v_fmamk_f32 v15, v15, 0xb102e308, v21
	v_add_f32_e32 v16, v16, v18
	v_add_f32_e32 v18, v22, v15
	;; [unrolled: 1-line block ×3, first 2 shown]
	v_sub_f32_e32 v22, v18, v22
	v_add_f32_e32 v21, v18, v20
	v_sub_f32_e32 v19, v20, v19
	v_sub_f32_e32 v15, v15, v22
	;; [unrolled: 1-line block ×6, first 2 shown]
	v_add_f32_e32 v20, v15, v16
	v_sub_f32_e32 v18, v18, v25
	v_add_f32_e32 v18, v19, v18
	v_sub_f32_e32 v19, v20, v15
	;; [unrolled: 2-line block ×3, first 2 shown]
	v_sub_f32_e32 v16, v16, v19
	v_add_f32_e32 v22, v21, v18
	v_sub_f32_e32 v15, v15, v20
	v_sub_f32_e32 v19, v22, v21
	v_add_f32_e32 v15, v16, v15
	v_sub_f32_e32 v16, v18, v19
	v_add_f32_e32 v15, v15, v16
	v_add_f32_e32 v15, v22, v15
	v_cndmask_b32_e32 v15, 0x7f800000, v15, vcc_lo
	v_cmp_gt_f32_e64 vcc_lo, 0x33800000, |v17|
	v_cndmask_b32_e32 v15, v15, v17, vcc_lo
	v_add_f32_e32 v16, v14, v15
.LBB511_167:
	s_or_b32 exec_lo, exec_lo, s3
	v_bfe_u32 v14, v16, 16, 1
	v_cmp_o_f32_e32 vcc_lo, v16, v16
	v_mov_b32_e32 v15, 0x7fc0
	v_add3_u32 v14, v16, v14, 0x7fff
	v_cndmask_b32_sdwa v14, v15, v14, vcc_lo dst_sel:DWORD dst_unused:UNUSED_PAD src0_sel:DWORD src1_sel:WORD_1
	v_lshlrev_b32_e32 v17, 16, v14
	v_max_f32_e32 v16, v17, v17
	v_cmp_u_f32_e32 vcc_lo, v17, v17
	v_min_f32_e32 v18, v16, v29
	v_max_f32_e32 v16, v16, v29
	v_cndmask_b32_e32 v18, v18, v17, vcc_lo
	v_cndmask_b32_e32 v16, v16, v17, vcc_lo
	v_cndmask_b32_e64 v18, v18, v24, s9
	v_cndmask_b32_e64 v16, v16, v24, s9
	v_cmp_class_f32_e64 s3, v18, 0x1f8
	v_cmp_neq_f32_e32 vcc_lo, v18, v16
	s_or_b32 s4, vcc_lo, s3
	s_and_saveexec_b32 s3, s4
	s_cbranch_execz .LBB511_169
; %bb.168:
	v_sub_f32_e32 v17, v18, v16
	s_mov_b32 s4, 0x3e9b6dac
	v_mul_f32_e32 v18, 0x3fb8aa3b, v17
	v_cmp_ngt_f32_e32 vcc_lo, 0xc2ce8ed0, v17
	v_fma_f32 v19, 0x3fb8aa3b, v17, -v18
	v_rndne_f32_e32 v20, v18
	v_fmamk_f32 v19, v17, 0x32a5705f, v19
	v_sub_f32_e32 v18, v18, v20
	v_add_f32_e32 v18, v18, v19
	v_cvt_i32_f32_e32 v19, v20
	v_exp_f32_e32 v18, v18
	v_ldexp_f32 v18, v18, v19
	v_cndmask_b32_e32 v18, 0, v18, vcc_lo
	v_cmp_nlt_f32_e32 vcc_lo, 0x42b17218, v17
	v_cndmask_b32_e32 v19, 0x7f800000, v18, vcc_lo
	v_add_f32_e32 v20, 1.0, v19
	v_cvt_f64_f32_e32 v[17:18], v20
	v_frexp_exp_i32_f64_e32 v17, v[17:18]
	v_frexp_mant_f32_e32 v18, v20
	v_cmp_gt_f32_e32 vcc_lo, 0x3f2aaaab, v18
	v_add_f32_e32 v18, -1.0, v20
	v_sub_f32_e32 v22, v18, v20
	v_sub_f32_e32 v18, v19, v18
	v_add_f32_e32 v22, 1.0, v22
	v_add_f32_e32 v18, v18, v22
	v_subrev_co_ci_u32_e64 v17, null, 0, v17, vcc_lo
	v_cmp_neq_f32_e32 vcc_lo, 0x7f800000, v19
	v_sub_nc_u32_e32 v21, 0, v17
	v_cvt_f32_i32_e32 v17, v17
	v_ldexp_f32 v20, v20, v21
	v_ldexp_f32 v18, v18, v21
	v_add_f32_e32 v23, 1.0, v20
	v_add_f32_e32 v21, -1.0, v20
	v_add_f32_e32 v22, -1.0, v23
	v_add_f32_e32 v24, 1.0, v21
	v_sub_f32_e32 v22, v20, v22
	v_sub_f32_e32 v20, v20, v24
	v_add_f32_e32 v22, v18, v22
	v_add_f32_e32 v18, v18, v20
	;; [unrolled: 1-line block ×4, first 2 shown]
	v_rcp_f32_e32 v20, v24
	v_sub_f32_e32 v23, v23, v24
	v_sub_f32_e32 v21, v21, v25
	v_add_f32_e32 v22, v22, v23
	v_add_f32_e32 v18, v18, v21
	v_mul_f32_e32 v27, v25, v20
	v_mul_f32_e32 v29, v24, v27
	v_fma_f32 v23, v27, v24, -v29
	v_fmac_f32_e32 v23, v27, v22
	v_add_f32_e32 v37, v29, v23
	v_sub_f32_e32 v38, v25, v37
	v_sub_f32_e32 v21, v37, v29
	;; [unrolled: 1-line block ×5, first 2 shown]
	v_add_f32_e32 v18, v18, v25
	v_add_f32_e32 v18, v21, v18
	;; [unrolled: 1-line block ×3, first 2 shown]
	v_mul_f32_e32 v23, v20, v21
	v_sub_f32_e32 v37, v38, v21
	v_mul_f32_e32 v25, v24, v23
	v_add_f32_e32 v18, v18, v37
	v_fma_f32 v24, v23, v24, -v25
	v_fmac_f32_e32 v24, v23, v22
	v_add_f32_e32 v22, v25, v24
	v_sub_f32_e32 v29, v21, v22
	v_sub_f32_e32 v25, v22, v25
	;; [unrolled: 1-line block ×5, first 2 shown]
	v_add_f32_e32 v18, v18, v21
	v_add_f32_e32 v21, v27, v23
	;; [unrolled: 1-line block ×3, first 2 shown]
	v_sub_f32_e32 v22, v21, v27
	v_add_f32_e32 v18, v29, v18
	v_sub_f32_e32 v22, v23, v22
	v_mul_f32_e32 v18, v20, v18
	v_add_f32_e32 v18, v22, v18
	v_add_f32_e32 v20, v21, v18
	v_mul_f32_e32 v22, v20, v20
	v_fmaak_f32 v23, s4, v22, 0x3ecc95a3
	v_mul_f32_e32 v24, v20, v22
	v_fmaak_f32 v22, v22, v23, 0x3f2aaada
	v_ldexp_f32 v23, v20, 1
	v_sub_f32_e32 v20, v20, v21
	v_mul_f32_e32 v22, v24, v22
	v_mul_f32_e32 v24, 0x3f317218, v17
	v_sub_f32_e32 v18, v18, v20
	v_add_f32_e32 v21, v23, v22
	v_ldexp_f32 v18, v18, 1
	v_sub_f32_e32 v20, v21, v23
	v_fma_f32 v23, 0x3f317218, v17, -v24
	v_sub_f32_e32 v20, v22, v20
	v_fmamk_f32 v17, v17, 0xb102e308, v23
	v_add_f32_e32 v18, v18, v20
	v_add_f32_e32 v20, v24, v17
	;; [unrolled: 1-line block ×3, first 2 shown]
	v_sub_f32_e32 v24, v20, v24
	v_add_f32_e32 v23, v20, v22
	v_sub_f32_e32 v21, v22, v21
	v_sub_f32_e32 v17, v17, v24
	;; [unrolled: 1-line block ×6, first 2 shown]
	v_add_f32_e32 v22, v17, v18
	v_sub_f32_e32 v20, v20, v27
	v_add_f32_e32 v20, v21, v20
	v_sub_f32_e32 v21, v22, v17
	;; [unrolled: 2-line block ×3, first 2 shown]
	v_sub_f32_e32 v18, v18, v21
	v_add_f32_e32 v24, v23, v20
	v_sub_f32_e32 v17, v17, v22
	v_sub_f32_e32 v21, v24, v23
	v_add_f32_e32 v17, v18, v17
	v_sub_f32_e32 v18, v20, v21
	v_add_f32_e32 v17, v17, v18
	v_add_f32_e32 v17, v24, v17
	v_cndmask_b32_e32 v17, 0x7f800000, v17, vcc_lo
	v_cmp_gt_f32_e64 vcc_lo, 0x33800000, |v19|
	v_cndmask_b32_e32 v17, v17, v19, vcc_lo
	v_add_f32_e32 v17, v16, v17
.LBB511_169:
	s_or_b32 exec_lo, exec_lo, s3
	v_bfe_u32 v16, v17, 16, 1
	v_cmp_o_f32_e32 vcc_lo, v17, v17
	v_add3_u32 v16, v17, v16, 0x7fff
	v_cndmask_b32_sdwa v15, v15, v16, vcc_lo dst_sel:DWORD dst_unused:UNUSED_PAD src0_sel:DWORD src1_sel:WORD_1
	v_lshlrev_b32_e32 v18, 16, v15
	v_max_f32_e32 v16, v18, v18
	v_cmp_u_f32_e32 vcc_lo, v18, v18
	v_min_f32_e32 v17, v16, v31
	v_max_f32_e32 v16, v16, v31
	v_cndmask_b32_e32 v17, v17, v18, vcc_lo
	v_cndmask_b32_e32 v16, v16, v18, vcc_lo
	v_cndmask_b32_e64 v17, v17, v26, s10
	v_cndmask_b32_e64 v16, v16, v26, s10
	v_cmp_class_f32_e64 s3, v17, 0x1f8
	v_cmp_neq_f32_e32 vcc_lo, v17, v16
	s_or_b32 s4, vcc_lo, s3
	s_and_saveexec_b32 s3, s4
	s_cbranch_execz .LBB511_171
; %bb.170:
	v_sub_f32_e32 v17, v17, v16
	s_mov_b32 s4, 0x3e9b6dac
	v_mul_f32_e32 v18, 0x3fb8aa3b, v17
	v_cmp_ngt_f32_e32 vcc_lo, 0xc2ce8ed0, v17
	v_fma_f32 v19, 0x3fb8aa3b, v17, -v18
	v_rndne_f32_e32 v20, v18
	v_fmamk_f32 v19, v17, 0x32a5705f, v19
	v_sub_f32_e32 v18, v18, v20
	v_add_f32_e32 v18, v18, v19
	v_cvt_i32_f32_e32 v19, v20
	v_exp_f32_e32 v18, v18
	v_ldexp_f32 v18, v18, v19
	v_cndmask_b32_e32 v18, 0, v18, vcc_lo
	v_cmp_nlt_f32_e32 vcc_lo, 0x42b17218, v17
	v_cndmask_b32_e32 v19, 0x7f800000, v18, vcc_lo
	v_add_f32_e32 v20, 1.0, v19
	v_cvt_f64_f32_e32 v[17:18], v20
	v_frexp_exp_i32_f64_e32 v17, v[17:18]
	v_frexp_mant_f32_e32 v18, v20
	v_cmp_gt_f32_e32 vcc_lo, 0x3f2aaaab, v18
	v_add_f32_e32 v18, -1.0, v20
	v_sub_f32_e32 v22, v18, v20
	v_sub_f32_e32 v18, v19, v18
	v_add_f32_e32 v22, 1.0, v22
	v_add_f32_e32 v18, v18, v22
	v_subrev_co_ci_u32_e64 v17, null, 0, v17, vcc_lo
	v_cmp_neq_f32_e32 vcc_lo, 0x7f800000, v19
	v_sub_nc_u32_e32 v21, 0, v17
	v_cvt_f32_i32_e32 v17, v17
	v_ldexp_f32 v20, v20, v21
	v_ldexp_f32 v18, v18, v21
	v_add_f32_e32 v23, 1.0, v20
	v_add_f32_e32 v21, -1.0, v20
	v_add_f32_e32 v22, -1.0, v23
	v_add_f32_e32 v24, 1.0, v21
	v_sub_f32_e32 v22, v20, v22
	v_sub_f32_e32 v20, v20, v24
	v_add_f32_e32 v22, v18, v22
	v_add_f32_e32 v18, v18, v20
	;; [unrolled: 1-line block ×4, first 2 shown]
	v_rcp_f32_e32 v20, v24
	v_sub_f32_e32 v23, v23, v24
	v_sub_f32_e32 v21, v21, v25
	v_add_f32_e32 v22, v22, v23
	v_add_f32_e32 v18, v18, v21
	v_mul_f32_e32 v26, v25, v20
	v_mul_f32_e32 v27, v24, v26
	v_fma_f32 v23, v26, v24, -v27
	v_fmac_f32_e32 v23, v26, v22
	v_add_f32_e32 v29, v27, v23
	v_sub_f32_e32 v31, v25, v29
	v_sub_f32_e32 v21, v29, v27
	;; [unrolled: 1-line block ×5, first 2 shown]
	v_add_f32_e32 v18, v18, v25
	v_add_f32_e32 v18, v21, v18
	;; [unrolled: 1-line block ×3, first 2 shown]
	v_mul_f32_e32 v23, v20, v21
	v_sub_f32_e32 v29, v31, v21
	v_mul_f32_e32 v25, v24, v23
	v_add_f32_e32 v18, v18, v29
	v_fma_f32 v24, v23, v24, -v25
	v_fmac_f32_e32 v24, v23, v22
	v_add_f32_e32 v22, v25, v24
	v_sub_f32_e32 v27, v21, v22
	v_sub_f32_e32 v25, v22, v25
	;; [unrolled: 1-line block ×5, first 2 shown]
	v_add_f32_e32 v18, v18, v21
	v_add_f32_e32 v21, v26, v23
	;; [unrolled: 1-line block ×3, first 2 shown]
	v_sub_f32_e32 v22, v21, v26
	v_add_f32_e32 v18, v27, v18
	v_sub_f32_e32 v22, v23, v22
	v_mul_f32_e32 v18, v20, v18
	v_add_f32_e32 v18, v22, v18
	v_add_f32_e32 v20, v21, v18
	v_mul_f32_e32 v22, v20, v20
	v_fmaak_f32 v23, s4, v22, 0x3ecc95a3
	v_mul_f32_e32 v24, v20, v22
	v_fmaak_f32 v22, v22, v23, 0x3f2aaada
	v_ldexp_f32 v23, v20, 1
	v_sub_f32_e32 v20, v20, v21
	v_mul_f32_e32 v22, v24, v22
	v_mul_f32_e32 v24, 0x3f317218, v17
	v_sub_f32_e32 v18, v18, v20
	v_add_f32_e32 v21, v23, v22
	v_ldexp_f32 v18, v18, 1
	v_sub_f32_e32 v20, v21, v23
	v_fma_f32 v23, 0x3f317218, v17, -v24
	v_sub_f32_e32 v20, v22, v20
	v_fmamk_f32 v17, v17, 0xb102e308, v23
	v_add_f32_e32 v18, v18, v20
	v_add_f32_e32 v20, v24, v17
	;; [unrolled: 1-line block ×3, first 2 shown]
	v_sub_f32_e32 v24, v20, v24
	v_add_f32_e32 v23, v20, v22
	v_sub_f32_e32 v21, v22, v21
	v_sub_f32_e32 v17, v17, v24
	v_sub_f32_e32 v25, v23, v20
	v_sub_f32_e32 v18, v18, v21
	v_sub_f32_e32 v26, v23, v25
	v_sub_f32_e32 v21, v22, v25
	v_add_f32_e32 v22, v17, v18
	v_sub_f32_e32 v20, v20, v26
	v_add_f32_e32 v20, v21, v20
	v_sub_f32_e32 v21, v22, v17
	;; [unrolled: 2-line block ×3, first 2 shown]
	v_sub_f32_e32 v18, v18, v21
	v_add_f32_e32 v24, v23, v20
	v_sub_f32_e32 v17, v17, v22
	v_sub_f32_e32 v21, v24, v23
	v_add_f32_e32 v17, v18, v17
	v_sub_f32_e32 v18, v20, v21
	v_add_f32_e32 v17, v17, v18
	v_add_f32_e32 v17, v24, v17
	v_cndmask_b32_e32 v17, 0x7f800000, v17, vcc_lo
	v_cmp_gt_f32_e64 vcc_lo, 0x33800000, |v19|
	v_cndmask_b32_e32 v17, v17, v19, vcc_lo
	v_add_f32_e32 v18, v16, v17
.LBB511_171:
	s_or_b32 exec_lo, exec_lo, s3
	v_bfe_u32 v16, v18, 16, 1
	v_cmp_o_f32_e32 vcc_lo, v18, v18
	v_mov_b32_e32 v17, 0x7fc0
	v_add3_u32 v16, v18, v16, 0x7fff
	v_cndmask_b32_sdwa v16, v17, v16, vcc_lo dst_sel:DWORD dst_unused:UNUSED_PAD src0_sel:DWORD src1_sel:WORD_1
	v_lshlrev_b32_e32 v19, 16, v16
	v_max_f32_e32 v18, v19, v19
	v_cmp_u_f32_e32 vcc_lo, v19, v19
	v_min_f32_e32 v20, v18, v33
	v_max_f32_e32 v18, v18, v33
	v_cndmask_b32_e32 v20, v20, v19, vcc_lo
	v_cndmask_b32_e32 v18, v18, v19, vcc_lo
	v_cndmask_b32_e64 v20, v20, v28, s11
	v_cndmask_b32_e64 v18, v18, v28, s11
	v_cmp_class_f32_e64 s3, v20, 0x1f8
	v_cmp_neq_f32_e32 vcc_lo, v20, v18
	s_or_b32 s4, vcc_lo, s3
	s_and_saveexec_b32 s3, s4
	s_cbranch_execz .LBB511_173
; %bb.172:
	v_sub_f32_e32 v19, v20, v18
	s_mov_b32 s4, 0x3e9b6dac
	v_mul_f32_e32 v20, 0x3fb8aa3b, v19
	v_cmp_ngt_f32_e32 vcc_lo, 0xc2ce8ed0, v19
	v_fma_f32 v21, 0x3fb8aa3b, v19, -v20
	v_rndne_f32_e32 v22, v20
	v_fmamk_f32 v21, v19, 0x32a5705f, v21
	v_sub_f32_e32 v20, v20, v22
	v_add_f32_e32 v20, v20, v21
	v_cvt_i32_f32_e32 v21, v22
	v_exp_f32_e32 v20, v20
	v_ldexp_f32 v20, v20, v21
	v_cndmask_b32_e32 v20, 0, v20, vcc_lo
	v_cmp_nlt_f32_e32 vcc_lo, 0x42b17218, v19
	v_cndmask_b32_e32 v21, 0x7f800000, v20, vcc_lo
	v_add_f32_e32 v22, 1.0, v21
	v_cvt_f64_f32_e32 v[19:20], v22
	v_frexp_exp_i32_f64_e32 v19, v[19:20]
	v_frexp_mant_f32_e32 v20, v22
	v_cmp_gt_f32_e32 vcc_lo, 0x3f2aaaab, v20
	v_add_f32_e32 v20, -1.0, v22
	v_sub_f32_e32 v24, v20, v22
	v_sub_f32_e32 v20, v21, v20
	v_add_f32_e32 v24, 1.0, v24
	v_add_f32_e32 v20, v20, v24
	v_subrev_co_ci_u32_e64 v19, null, 0, v19, vcc_lo
	v_cmp_neq_f32_e32 vcc_lo, 0x7f800000, v21
	v_sub_nc_u32_e32 v23, 0, v19
	v_cvt_f32_i32_e32 v19, v19
	v_ldexp_f32 v22, v22, v23
	v_ldexp_f32 v20, v20, v23
	v_add_f32_e32 v25, 1.0, v22
	v_add_f32_e32 v23, -1.0, v22
	v_add_f32_e32 v24, -1.0, v25
	v_add_f32_e32 v26, 1.0, v23
	v_sub_f32_e32 v24, v22, v24
	v_sub_f32_e32 v22, v22, v26
	v_add_f32_e32 v24, v20, v24
	v_add_f32_e32 v20, v20, v22
	;; [unrolled: 1-line block ×4, first 2 shown]
	v_rcp_f32_e32 v22, v26
	v_sub_f32_e32 v25, v25, v26
	v_sub_f32_e32 v23, v23, v27
	v_add_f32_e32 v24, v24, v25
	v_add_f32_e32 v20, v20, v23
	v_mul_f32_e32 v28, v27, v22
	v_mul_f32_e32 v29, v26, v28
	v_fma_f32 v25, v28, v26, -v29
	v_fmac_f32_e32 v25, v28, v24
	v_add_f32_e32 v31, v29, v25
	v_sub_f32_e32 v33, v27, v31
	v_sub_f32_e32 v23, v31, v29
	;; [unrolled: 1-line block ×5, first 2 shown]
	v_add_f32_e32 v20, v20, v27
	v_add_f32_e32 v20, v23, v20
	;; [unrolled: 1-line block ×3, first 2 shown]
	v_mul_f32_e32 v25, v22, v23
	v_sub_f32_e32 v31, v33, v23
	v_mul_f32_e32 v27, v26, v25
	v_add_f32_e32 v20, v20, v31
	v_fma_f32 v26, v25, v26, -v27
	v_fmac_f32_e32 v26, v25, v24
	v_add_f32_e32 v24, v27, v26
	v_sub_f32_e32 v29, v23, v24
	v_sub_f32_e32 v27, v24, v27
	;; [unrolled: 1-line block ×5, first 2 shown]
	v_add_f32_e32 v20, v20, v23
	v_add_f32_e32 v23, v28, v25
	v_add_f32_e32 v20, v24, v20
	v_sub_f32_e32 v24, v23, v28
	v_add_f32_e32 v20, v29, v20
	v_sub_f32_e32 v24, v25, v24
	v_mul_f32_e32 v20, v22, v20
	v_add_f32_e32 v20, v24, v20
	v_add_f32_e32 v22, v23, v20
	v_mul_f32_e32 v24, v22, v22
	v_fmaak_f32 v25, s4, v24, 0x3ecc95a3
	v_mul_f32_e32 v26, v22, v24
	v_fmaak_f32 v24, v24, v25, 0x3f2aaada
	v_ldexp_f32 v25, v22, 1
	v_sub_f32_e32 v22, v22, v23
	v_mul_f32_e32 v24, v26, v24
	v_mul_f32_e32 v26, 0x3f317218, v19
	v_sub_f32_e32 v20, v20, v22
	v_add_f32_e32 v23, v25, v24
	v_ldexp_f32 v20, v20, 1
	v_sub_f32_e32 v22, v23, v25
	v_fma_f32 v25, 0x3f317218, v19, -v26
	v_sub_f32_e32 v22, v24, v22
	v_fmamk_f32 v19, v19, 0xb102e308, v25
	v_add_f32_e32 v20, v20, v22
	v_add_f32_e32 v22, v26, v19
	v_add_f32_e32 v24, v23, v20
	v_sub_f32_e32 v26, v22, v26
	v_add_f32_e32 v25, v22, v24
	v_sub_f32_e32 v23, v24, v23
	v_sub_f32_e32 v19, v19, v26
	v_sub_f32_e32 v27, v25, v22
	v_sub_f32_e32 v20, v20, v23
	v_sub_f32_e32 v28, v25, v27
	v_sub_f32_e32 v23, v24, v27
	v_add_f32_e32 v24, v19, v20
	v_sub_f32_e32 v22, v22, v28
	v_add_f32_e32 v22, v23, v22
	v_sub_f32_e32 v23, v24, v19
	;; [unrolled: 2-line block ×3, first 2 shown]
	v_sub_f32_e32 v20, v20, v23
	v_add_f32_e32 v26, v25, v22
	v_sub_f32_e32 v19, v19, v24
	v_sub_f32_e32 v23, v26, v25
	v_add_f32_e32 v19, v20, v19
	v_sub_f32_e32 v20, v22, v23
	v_add_f32_e32 v19, v19, v20
	v_add_f32_e32 v19, v26, v19
	v_cndmask_b32_e32 v19, 0x7f800000, v19, vcc_lo
	v_cmp_gt_f32_e64 vcc_lo, 0x33800000, |v21|
	v_cndmask_b32_e32 v19, v19, v21, vcc_lo
	v_add_f32_e32 v19, v18, v19
.LBB511_173:
	s_or_b32 exec_lo, exec_lo, s3
	v_bfe_u32 v18, v19, 16, 1
	v_cmp_o_f32_e32 vcc_lo, v19, v19
	v_add3_u32 v18, v19, v18, 0x7fff
	v_cndmask_b32_sdwa v17, v17, v18, vcc_lo dst_sel:DWORD dst_unused:UNUSED_PAD src0_sel:DWORD src1_sel:WORD_1
	v_lshlrev_b32_e32 v20, 16, v17
	v_max_f32_e32 v18, v20, v20
	v_cmp_u_f32_e32 vcc_lo, v20, v20
	v_min_f32_e32 v19, v18, v34
	v_max_f32_e32 v18, v18, v34
	v_cndmask_b32_e32 v19, v19, v20, vcc_lo
	v_cndmask_b32_e32 v18, v18, v20, vcc_lo
	v_cndmask_b32_e64 v19, v19, v30, s12
	v_cndmask_b32_e64 v18, v18, v30, s12
	v_cmp_class_f32_e64 s3, v19, 0x1f8
	v_cmp_neq_f32_e32 vcc_lo, v19, v18
	s_or_b32 s4, vcc_lo, s3
	s_and_saveexec_b32 s3, s4
	s_cbranch_execz .LBB511_175
; %bb.174:
	v_sub_f32_e32 v19, v19, v18
	s_mov_b32 s4, 0x3e9b6dac
	v_mul_f32_e32 v20, 0x3fb8aa3b, v19
	v_cmp_ngt_f32_e32 vcc_lo, 0xc2ce8ed0, v19
	v_fma_f32 v21, 0x3fb8aa3b, v19, -v20
	v_rndne_f32_e32 v22, v20
	v_fmamk_f32 v21, v19, 0x32a5705f, v21
	v_sub_f32_e32 v20, v20, v22
	v_add_f32_e32 v20, v20, v21
	v_cvt_i32_f32_e32 v21, v22
	v_exp_f32_e32 v20, v20
	v_ldexp_f32 v20, v20, v21
	v_cndmask_b32_e32 v20, 0, v20, vcc_lo
	v_cmp_nlt_f32_e32 vcc_lo, 0x42b17218, v19
	v_cndmask_b32_e32 v21, 0x7f800000, v20, vcc_lo
	v_add_f32_e32 v22, 1.0, v21
	v_cvt_f64_f32_e32 v[19:20], v22
	v_frexp_exp_i32_f64_e32 v19, v[19:20]
	v_frexp_mant_f32_e32 v20, v22
	v_cmp_gt_f32_e32 vcc_lo, 0x3f2aaaab, v20
	v_add_f32_e32 v20, -1.0, v22
	v_sub_f32_e32 v24, v20, v22
	v_sub_f32_e32 v20, v21, v20
	v_add_f32_e32 v24, 1.0, v24
	v_add_f32_e32 v20, v20, v24
	v_subrev_co_ci_u32_e64 v19, null, 0, v19, vcc_lo
	v_cmp_neq_f32_e32 vcc_lo, 0x7f800000, v21
	v_sub_nc_u32_e32 v23, 0, v19
	v_cvt_f32_i32_e32 v19, v19
	v_ldexp_f32 v22, v22, v23
	v_ldexp_f32 v20, v20, v23
	v_add_f32_e32 v25, 1.0, v22
	v_add_f32_e32 v23, -1.0, v22
	v_add_f32_e32 v24, -1.0, v25
	v_add_f32_e32 v26, 1.0, v23
	v_sub_f32_e32 v24, v22, v24
	v_sub_f32_e32 v22, v22, v26
	v_add_f32_e32 v24, v20, v24
	v_add_f32_e32 v20, v20, v22
	;; [unrolled: 1-line block ×4, first 2 shown]
	v_rcp_f32_e32 v22, v26
	v_sub_f32_e32 v25, v25, v26
	v_sub_f32_e32 v23, v23, v27
	v_add_f32_e32 v24, v24, v25
	v_add_f32_e32 v20, v20, v23
	v_mul_f32_e32 v28, v27, v22
	v_mul_f32_e32 v29, v26, v28
	v_fma_f32 v25, v28, v26, -v29
	v_fmac_f32_e32 v25, v28, v24
	v_add_f32_e32 v30, v29, v25
	v_sub_f32_e32 v31, v27, v30
	v_sub_f32_e32 v23, v30, v29
	;; [unrolled: 1-line block ×5, first 2 shown]
	v_add_f32_e32 v20, v20, v27
	v_add_f32_e32 v20, v23, v20
	;; [unrolled: 1-line block ×3, first 2 shown]
	v_mul_f32_e32 v25, v22, v23
	v_sub_f32_e32 v30, v31, v23
	v_mul_f32_e32 v27, v26, v25
	v_add_f32_e32 v20, v20, v30
	v_fma_f32 v26, v25, v26, -v27
	v_fmac_f32_e32 v26, v25, v24
	v_add_f32_e32 v24, v27, v26
	v_sub_f32_e32 v29, v23, v24
	v_sub_f32_e32 v27, v24, v27
	;; [unrolled: 1-line block ×5, first 2 shown]
	v_add_f32_e32 v20, v20, v23
	v_add_f32_e32 v23, v28, v25
	;; [unrolled: 1-line block ×3, first 2 shown]
	v_sub_f32_e32 v24, v23, v28
	v_add_f32_e32 v20, v29, v20
	v_sub_f32_e32 v24, v25, v24
	v_mul_f32_e32 v20, v22, v20
	v_add_f32_e32 v20, v24, v20
	v_add_f32_e32 v22, v23, v20
	v_mul_f32_e32 v24, v22, v22
	v_fmaak_f32 v25, s4, v24, 0x3ecc95a3
	v_mul_f32_e32 v26, v22, v24
	v_fmaak_f32 v24, v24, v25, 0x3f2aaada
	v_ldexp_f32 v25, v22, 1
	v_sub_f32_e32 v22, v22, v23
	v_mul_f32_e32 v24, v26, v24
	v_mul_f32_e32 v26, 0x3f317218, v19
	v_sub_f32_e32 v20, v20, v22
	v_add_f32_e32 v23, v25, v24
	v_ldexp_f32 v20, v20, 1
	v_sub_f32_e32 v22, v23, v25
	v_fma_f32 v25, 0x3f317218, v19, -v26
	v_sub_f32_e32 v22, v24, v22
	v_fmamk_f32 v19, v19, 0xb102e308, v25
	v_add_f32_e32 v20, v20, v22
	v_add_f32_e32 v22, v26, v19
	;; [unrolled: 1-line block ×3, first 2 shown]
	v_sub_f32_e32 v26, v22, v26
	v_add_f32_e32 v25, v22, v24
	v_sub_f32_e32 v23, v24, v23
	v_sub_f32_e32 v19, v19, v26
	;; [unrolled: 1-line block ×6, first 2 shown]
	v_add_f32_e32 v24, v19, v20
	v_sub_f32_e32 v22, v22, v28
	v_add_f32_e32 v22, v23, v22
	v_sub_f32_e32 v23, v24, v19
	;; [unrolled: 2-line block ×3, first 2 shown]
	v_sub_f32_e32 v20, v20, v23
	v_add_f32_e32 v26, v25, v22
	v_sub_f32_e32 v19, v19, v24
	v_sub_f32_e32 v23, v26, v25
	v_add_f32_e32 v19, v20, v19
	v_sub_f32_e32 v20, v22, v23
	v_add_f32_e32 v19, v19, v20
	v_add_f32_e32 v19, v26, v19
	v_cndmask_b32_e32 v19, 0x7f800000, v19, vcc_lo
	v_cmp_gt_f32_e64 vcc_lo, 0x33800000, |v21|
	v_cndmask_b32_e32 v19, v19, v21, vcc_lo
	v_add_f32_e32 v20, v18, v19
.LBB511_175:
	s_or_b32 exec_lo, exec_lo, s3
	v_bfe_u32 v18, v20, 16, 1
	v_cmp_o_f32_e32 vcc_lo, v20, v20
	v_mov_b32_e32 v19, 0x7fc0
	v_add3_u32 v18, v20, v18, 0x7fff
	v_cndmask_b32_sdwa v18, v19, v18, vcc_lo dst_sel:DWORD dst_unused:UNUSED_PAD src0_sel:DWORD src1_sel:WORD_1
	v_lshlrev_b32_e32 v21, 16, v18
	v_max_f32_e32 v20, v21, v21
	v_cmp_u_f32_e32 vcc_lo, v21, v21
	v_min_f32_e32 v22, v20, v35
	v_max_f32_e32 v20, v20, v35
	v_cndmask_b32_e32 v22, v22, v21, vcc_lo
	v_cndmask_b32_e32 v20, v20, v21, vcc_lo
	v_cndmask_b32_e64 v22, v22, v32, s13
	v_cndmask_b32_e64 v20, v20, v32, s13
	v_cmp_class_f32_e64 s3, v22, 0x1f8
	v_cmp_neq_f32_e32 vcc_lo, v22, v20
	s_or_b32 s4, vcc_lo, s3
	s_and_saveexec_b32 s3, s4
	s_cbranch_execz .LBB511_177
; %bb.176:
	v_sub_f32_e32 v21, v22, v20
	s_mov_b32 s4, 0x3e9b6dac
	v_mul_f32_e32 v22, 0x3fb8aa3b, v21
	v_cmp_ngt_f32_e32 vcc_lo, 0xc2ce8ed0, v21
	v_fma_f32 v23, 0x3fb8aa3b, v21, -v22
	v_rndne_f32_e32 v24, v22
	v_fmamk_f32 v23, v21, 0x32a5705f, v23
	v_sub_f32_e32 v22, v22, v24
	v_add_f32_e32 v22, v22, v23
	v_cvt_i32_f32_e32 v23, v24
	v_exp_f32_e32 v22, v22
	v_ldexp_f32 v22, v22, v23
	v_cndmask_b32_e32 v22, 0, v22, vcc_lo
	v_cmp_nlt_f32_e32 vcc_lo, 0x42b17218, v21
	v_cndmask_b32_e32 v23, 0x7f800000, v22, vcc_lo
	v_add_f32_e32 v24, 1.0, v23
	v_cvt_f64_f32_e32 v[21:22], v24
	v_frexp_exp_i32_f64_e32 v21, v[21:22]
	v_frexp_mant_f32_e32 v22, v24
	v_cmp_gt_f32_e32 vcc_lo, 0x3f2aaaab, v22
	v_add_f32_e32 v22, -1.0, v24
	v_sub_f32_e32 v26, v22, v24
	v_sub_f32_e32 v22, v23, v22
	v_add_f32_e32 v26, 1.0, v26
	v_add_f32_e32 v22, v22, v26
	v_subrev_co_ci_u32_e64 v21, null, 0, v21, vcc_lo
	v_cmp_neq_f32_e32 vcc_lo, 0x7f800000, v23
	v_sub_nc_u32_e32 v25, 0, v21
	v_cvt_f32_i32_e32 v21, v21
	v_ldexp_f32 v24, v24, v25
	v_ldexp_f32 v22, v22, v25
	v_add_f32_e32 v27, 1.0, v24
	v_add_f32_e32 v25, -1.0, v24
	v_add_f32_e32 v26, -1.0, v27
	v_add_f32_e32 v28, 1.0, v25
	v_sub_f32_e32 v26, v24, v26
	v_sub_f32_e32 v24, v24, v28
	v_add_f32_e32 v26, v22, v26
	v_add_f32_e32 v22, v22, v24
	;; [unrolled: 1-line block ×4, first 2 shown]
	v_rcp_f32_e32 v24, v28
	v_sub_f32_e32 v27, v27, v28
	v_sub_f32_e32 v25, v25, v29
	v_add_f32_e32 v26, v26, v27
	v_add_f32_e32 v22, v22, v25
	v_mul_f32_e32 v30, v29, v24
	v_mul_f32_e32 v31, v28, v30
	v_fma_f32 v27, v30, v28, -v31
	v_fmac_f32_e32 v27, v30, v26
	v_add_f32_e32 v32, v31, v27
	v_sub_f32_e32 v33, v29, v32
	v_sub_f32_e32 v25, v32, v31
	;; [unrolled: 1-line block ×5, first 2 shown]
	v_add_f32_e32 v22, v22, v29
	v_add_f32_e32 v22, v25, v22
	;; [unrolled: 1-line block ×3, first 2 shown]
	v_mul_f32_e32 v27, v24, v25
	v_sub_f32_e32 v32, v33, v25
	v_mul_f32_e32 v29, v28, v27
	v_add_f32_e32 v22, v22, v32
	v_fma_f32 v28, v27, v28, -v29
	v_fmac_f32_e32 v28, v27, v26
	v_add_f32_e32 v26, v29, v28
	v_sub_f32_e32 v31, v25, v26
	v_sub_f32_e32 v29, v26, v29
	v_sub_f32_e32 v25, v25, v31
	v_sub_f32_e32 v25, v25, v26
	v_sub_f32_e32 v26, v29, v28
	v_add_f32_e32 v22, v22, v25
	v_add_f32_e32 v25, v30, v27
	;; [unrolled: 1-line block ×3, first 2 shown]
	v_sub_f32_e32 v26, v25, v30
	v_add_f32_e32 v22, v31, v22
	v_sub_f32_e32 v26, v27, v26
	v_mul_f32_e32 v22, v24, v22
	v_add_f32_e32 v22, v26, v22
	v_add_f32_e32 v24, v25, v22
	v_mul_f32_e32 v26, v24, v24
	v_fmaak_f32 v27, s4, v26, 0x3ecc95a3
	v_mul_f32_e32 v28, v24, v26
	v_fmaak_f32 v26, v26, v27, 0x3f2aaada
	v_ldexp_f32 v27, v24, 1
	v_sub_f32_e32 v24, v24, v25
	v_mul_f32_e32 v26, v28, v26
	v_mul_f32_e32 v28, 0x3f317218, v21
	v_sub_f32_e32 v22, v22, v24
	v_add_f32_e32 v25, v27, v26
	v_ldexp_f32 v22, v22, 1
	v_sub_f32_e32 v24, v25, v27
	v_fma_f32 v27, 0x3f317218, v21, -v28
	v_sub_f32_e32 v24, v26, v24
	v_fmamk_f32 v21, v21, 0xb102e308, v27
	v_add_f32_e32 v22, v22, v24
	v_add_f32_e32 v24, v28, v21
	;; [unrolled: 1-line block ×3, first 2 shown]
	v_sub_f32_e32 v28, v24, v28
	v_add_f32_e32 v27, v24, v26
	v_sub_f32_e32 v25, v26, v25
	v_sub_f32_e32 v21, v21, v28
	;; [unrolled: 1-line block ×6, first 2 shown]
	v_add_f32_e32 v26, v21, v22
	v_sub_f32_e32 v24, v24, v30
	v_add_f32_e32 v24, v25, v24
	v_sub_f32_e32 v25, v26, v21
	;; [unrolled: 2-line block ×3, first 2 shown]
	v_sub_f32_e32 v22, v22, v25
	v_add_f32_e32 v28, v27, v24
	v_sub_f32_e32 v21, v21, v26
	v_sub_f32_e32 v25, v28, v27
	v_add_f32_e32 v21, v22, v21
	v_sub_f32_e32 v22, v24, v25
	v_add_f32_e32 v21, v21, v22
	v_add_f32_e32 v21, v28, v21
	v_cndmask_b32_e32 v21, 0x7f800000, v21, vcc_lo
	v_cmp_gt_f32_e64 vcc_lo, 0x33800000, |v23|
	v_cndmask_b32_e32 v21, v21, v23, vcc_lo
	v_add_f32_e32 v21, v20, v21
.LBB511_177:
	s_or_b32 exec_lo, exec_lo, s3
	v_bfe_u32 v20, v21, 16, 1
	v_cmp_o_f32_e32 vcc_lo, v21, v21
	v_add3_u32 v20, v21, v20, 0x7fff
	v_cndmask_b32_sdwa v19, v19, v20, vcc_lo dst_sel:DWORD dst_unused:UNUSED_PAD src0_sel:DWORD src1_sel:WORD_1
	s_branch .LBB511_261
.LBB511_178:
	s_cmp_lg_u64 s[24:25], 0
	v_mov_b32_e32 v7, v1
	s_cselect_b32 s3, -1, 0
	s_and_b32 s4, s2, s3
	s_and_saveexec_b32 s3, s4
	s_cbranch_execz .LBB511_182
; %bb.179:
	v_mov_b32_e32 v7, 0
	v_lshlrev_b32_e32 v10, 16, v1
	global_load_ushort v7, v7, s[20:21]
	s_waitcnt vmcnt(0)
	v_lshlrev_b32_e32 v8, 16, v7
	v_max_f32_e32 v7, v10, v10
	v_max_f32_e32 v9, v8, v8
	v_cmp_u_f32_e32 vcc_lo, v8, v8
	v_min_f32_e32 v11, v9, v7
	v_max_f32_e32 v7, v9, v7
	v_cndmask_b32_e32 v9, v11, v8, vcc_lo
	v_cndmask_b32_e32 v7, v7, v8, vcc_lo
	v_cmp_u_f32_e32 vcc_lo, v10, v10
	v_cndmask_b32_e32 v9, v9, v10, vcc_lo
	v_cndmask_b32_e32 v7, v7, v10, vcc_lo
	v_cmp_class_f32_e64 s4, v9, 0x1f8
	v_cmp_neq_f32_e32 vcc_lo, v9, v7
	s_or_b32 s5, vcc_lo, s4
	s_and_saveexec_b32 s4, s5
	s_cbranch_execz .LBB511_181
; %bb.180:
	v_sub_f32_e32 v8, v9, v7
	s_mov_b32 s5, 0x3e9b6dac
	v_mul_f32_e32 v9, 0x3fb8aa3b, v8
	v_cmp_ngt_f32_e32 vcc_lo, 0xc2ce8ed0, v8
	v_fma_f32 v10, 0x3fb8aa3b, v8, -v9
	v_rndne_f32_e32 v11, v9
	v_fmamk_f32 v10, v8, 0x32a5705f, v10
	v_sub_f32_e32 v9, v9, v11
	v_add_f32_e32 v9, v9, v10
	v_cvt_i32_f32_e32 v10, v11
	v_exp_f32_e32 v9, v9
	v_ldexp_f32 v9, v9, v10
	v_cndmask_b32_e32 v9, 0, v9, vcc_lo
	v_cmp_nlt_f32_e32 vcc_lo, 0x42b17218, v8
	v_cndmask_b32_e32 v10, 0x7f800000, v9, vcc_lo
	v_add_f32_e32 v11, 1.0, v10
	v_cvt_f64_f32_e32 v[8:9], v11
	v_frexp_exp_i32_f64_e32 v8, v[8:9]
	v_frexp_mant_f32_e32 v9, v11
	v_cmp_gt_f32_e32 vcc_lo, 0x3f2aaaab, v9
	v_add_f32_e32 v9, -1.0, v11
	v_sub_f32_e32 v15, v9, v11
	v_sub_f32_e32 v9, v10, v9
	v_add_f32_e32 v15, 1.0, v15
	v_add_f32_e32 v9, v9, v15
	v_subrev_co_ci_u32_e64 v8, null, 0, v8, vcc_lo
	v_cmp_neq_f32_e32 vcc_lo, 0x7f800000, v10
	v_sub_nc_u32_e32 v14, 0, v8
	v_cvt_f32_i32_e32 v8, v8
	v_ldexp_f32 v11, v11, v14
	v_ldexp_f32 v9, v9, v14
	v_add_f32_e32 v16, 1.0, v11
	v_add_f32_e32 v14, -1.0, v11
	v_add_f32_e32 v15, -1.0, v16
	v_add_f32_e32 v17, 1.0, v14
	v_sub_f32_e32 v15, v11, v15
	v_sub_f32_e32 v11, v11, v17
	v_add_f32_e32 v15, v9, v15
	v_add_f32_e32 v9, v9, v11
	;; [unrolled: 1-line block ×4, first 2 shown]
	v_rcp_f32_e32 v11, v17
	v_sub_f32_e32 v16, v16, v17
	v_sub_f32_e32 v14, v14, v18
	v_add_f32_e32 v15, v15, v16
	v_add_f32_e32 v9, v9, v14
	v_mul_f32_e32 v19, v18, v11
	v_mul_f32_e32 v20, v17, v19
	v_fma_f32 v16, v19, v17, -v20
	v_fmac_f32_e32 v16, v19, v15
	v_add_f32_e32 v21, v20, v16
	v_sub_f32_e32 v22, v18, v21
	v_sub_f32_e32 v14, v21, v20
	;; [unrolled: 1-line block ×5, first 2 shown]
	v_add_f32_e32 v9, v9, v18
	v_add_f32_e32 v9, v14, v9
	;; [unrolled: 1-line block ×3, first 2 shown]
	v_mul_f32_e32 v16, v11, v14
	v_sub_f32_e32 v21, v22, v14
	v_mul_f32_e32 v18, v17, v16
	v_add_f32_e32 v9, v9, v21
	v_fma_f32 v17, v16, v17, -v18
	v_fmac_f32_e32 v17, v16, v15
	v_add_f32_e32 v15, v18, v17
	v_sub_f32_e32 v20, v14, v15
	v_sub_f32_e32 v18, v15, v18
	;; [unrolled: 1-line block ×5, first 2 shown]
	v_add_f32_e32 v9, v9, v14
	v_add_f32_e32 v14, v19, v16
	;; [unrolled: 1-line block ×3, first 2 shown]
	v_sub_f32_e32 v15, v14, v19
	v_add_f32_e32 v9, v20, v9
	v_sub_f32_e32 v15, v16, v15
	v_mul_f32_e32 v9, v11, v9
	v_add_f32_e32 v9, v15, v9
	v_add_f32_e32 v11, v14, v9
	v_mul_f32_e32 v15, v11, v11
	v_fmaak_f32 v16, s5, v15, 0x3ecc95a3
	v_mul_f32_e32 v17, v11, v15
	v_fmaak_f32 v15, v15, v16, 0x3f2aaada
	v_ldexp_f32 v16, v11, 1
	v_sub_f32_e32 v11, v11, v14
	v_mul_f32_e32 v15, v17, v15
	v_mul_f32_e32 v17, 0x3f317218, v8
	v_sub_f32_e32 v9, v9, v11
	v_add_f32_e32 v14, v16, v15
	v_ldexp_f32 v9, v9, 1
	v_sub_f32_e32 v11, v14, v16
	v_fma_f32 v16, 0x3f317218, v8, -v17
	v_sub_f32_e32 v11, v15, v11
	v_fmamk_f32 v8, v8, 0xb102e308, v16
	v_add_f32_e32 v9, v9, v11
	v_add_f32_e32 v11, v17, v8
	;; [unrolled: 1-line block ×3, first 2 shown]
	v_sub_f32_e32 v17, v11, v17
	v_add_f32_e32 v16, v11, v15
	v_sub_f32_e32 v14, v15, v14
	v_sub_f32_e32 v8, v8, v17
	;; [unrolled: 1-line block ×6, first 2 shown]
	v_add_f32_e32 v15, v8, v9
	v_sub_f32_e32 v11, v11, v19
	v_add_f32_e32 v11, v14, v11
	v_sub_f32_e32 v14, v15, v8
	;; [unrolled: 2-line block ×3, first 2 shown]
	v_sub_f32_e32 v9, v9, v14
	v_add_f32_e32 v17, v16, v11
	v_sub_f32_e32 v8, v8, v15
	v_sub_f32_e32 v14, v17, v16
	v_add_f32_e32 v8, v9, v8
	v_sub_f32_e32 v9, v11, v14
	v_add_f32_e32 v8, v8, v9
	v_add_f32_e32 v8, v17, v8
	v_cndmask_b32_e32 v8, 0x7f800000, v8, vcc_lo
	v_cmp_gt_f32_e64 vcc_lo, 0x33800000, |v10|
	v_cndmask_b32_e32 v8, v8, v10, vcc_lo
	v_add_f32_e32 v8, v7, v8
.LBB511_181:
	s_or_b32 exec_lo, exec_lo, s4
	v_bfe_u32 v7, v8, 16, 1
	v_cmp_o_f32_e32 vcc_lo, v8, v8
	v_add3_u32 v7, v8, v7, 0x7fff
	v_mov_b32_e32 v8, 0x7fc0
	v_cndmask_b32_sdwa v7, v8, v7, vcc_lo dst_sel:DWORD dst_unused:UNUSED_PAD src0_sel:DWORD src1_sel:WORD_1
.LBB511_182:
	s_or_b32 exec_lo, exec_lo, s3
	v_mov_b32_e32 v8, 16
	v_lshlrev_b32_e32 v26, 16, v7
	v_lshlrev_b32_sdwa v1, v8, v1 dst_sel:DWORD dst_unused:UNUSED_PAD src0_sel:DWORD src1_sel:WORD_1
	v_max_f32_e32 v28, v26, v26
	v_cmp_u_f32_e64 s14, v26, v26
	v_max_f32_e32 v16, v1, v1
	v_cmp_u_f32_e64 s3, v1, v1
	v_min_f32_e32 v27, v28, v16
	v_max_f32_e32 v29, v28, v16
	v_cndmask_b32_e64 v9, v27, v26, s14
	v_cndmask_b32_e64 v10, v29, v26, s14
	;; [unrolled: 1-line block ×4, first 2 shown]
	v_mov_b32_e32 v10, v26
	v_cmp_class_f32_e64 s4, v11, 0x1f8
	v_cmp_neq_f32_e32 vcc_lo, v11, v9
	s_or_b32 s5, vcc_lo, s4
	s_and_saveexec_b32 s4, s5
	s_cbranch_execz .LBB511_184
; %bb.183:
	v_sub_f32_e32 v10, v11, v9
	s_mov_b32 s5, 0x3e9b6dac
	v_mul_f32_e32 v11, 0x3fb8aa3b, v10
	v_cmp_ngt_f32_e32 vcc_lo, 0xc2ce8ed0, v10
	v_fma_f32 v14, 0x3fb8aa3b, v10, -v11
	v_rndne_f32_e32 v15, v11
	v_fmamk_f32 v14, v10, 0x32a5705f, v14
	v_sub_f32_e32 v11, v11, v15
	v_add_f32_e32 v11, v11, v14
	v_cvt_i32_f32_e32 v14, v15
	v_exp_f32_e32 v11, v11
	v_ldexp_f32 v11, v11, v14
	v_cndmask_b32_e32 v11, 0, v11, vcc_lo
	v_cmp_nlt_f32_e32 vcc_lo, 0x42b17218, v10
	v_cndmask_b32_e32 v14, 0x7f800000, v11, vcc_lo
	v_add_f32_e32 v15, 1.0, v14
	v_cvt_f64_f32_e32 v[10:11], v15
	v_frexp_exp_i32_f64_e32 v10, v[10:11]
	v_frexp_mant_f32_e32 v11, v15
	v_cmp_gt_f32_e32 vcc_lo, 0x3f2aaaab, v11
	v_add_f32_e32 v11, -1.0, v15
	v_sub_f32_e32 v18, v11, v15
	v_sub_f32_e32 v11, v14, v11
	v_add_f32_e32 v18, 1.0, v18
	v_add_f32_e32 v11, v11, v18
	v_subrev_co_ci_u32_e64 v10, null, 0, v10, vcc_lo
	v_cmp_neq_f32_e32 vcc_lo, 0x7f800000, v14
	v_sub_nc_u32_e32 v17, 0, v10
	v_cvt_f32_i32_e32 v10, v10
	v_ldexp_f32 v15, v15, v17
	v_ldexp_f32 v11, v11, v17
	v_add_f32_e32 v19, 1.0, v15
	v_add_f32_e32 v17, -1.0, v15
	v_add_f32_e32 v18, -1.0, v19
	v_add_f32_e32 v20, 1.0, v17
	v_sub_f32_e32 v18, v15, v18
	v_sub_f32_e32 v15, v15, v20
	v_add_f32_e32 v18, v11, v18
	v_add_f32_e32 v11, v11, v15
	;; [unrolled: 1-line block ×4, first 2 shown]
	v_rcp_f32_e32 v15, v20
	v_sub_f32_e32 v19, v19, v20
	v_sub_f32_e32 v17, v17, v21
	v_add_f32_e32 v18, v18, v19
	v_add_f32_e32 v11, v11, v17
	v_mul_f32_e32 v22, v21, v15
	v_mul_f32_e32 v23, v20, v22
	v_fma_f32 v19, v22, v20, -v23
	v_fmac_f32_e32 v19, v22, v18
	v_add_f32_e32 v24, v23, v19
	v_sub_f32_e32 v25, v21, v24
	v_sub_f32_e32 v17, v24, v23
	;; [unrolled: 1-line block ×5, first 2 shown]
	v_add_f32_e32 v11, v11, v21
	v_add_f32_e32 v11, v17, v11
	;; [unrolled: 1-line block ×3, first 2 shown]
	v_mul_f32_e32 v19, v15, v17
	v_sub_f32_e32 v24, v25, v17
	v_mul_f32_e32 v21, v20, v19
	v_add_f32_e32 v11, v11, v24
	v_fma_f32 v20, v19, v20, -v21
	v_fmac_f32_e32 v20, v19, v18
	v_add_f32_e32 v18, v21, v20
	v_sub_f32_e32 v23, v17, v18
	v_sub_f32_e32 v21, v18, v21
	;; [unrolled: 1-line block ×5, first 2 shown]
	v_add_f32_e32 v11, v11, v17
	v_add_f32_e32 v17, v22, v19
	;; [unrolled: 1-line block ×3, first 2 shown]
	v_sub_f32_e32 v18, v17, v22
	v_add_f32_e32 v11, v23, v11
	v_sub_f32_e32 v18, v19, v18
	v_mul_f32_e32 v11, v15, v11
	v_add_f32_e32 v11, v18, v11
	v_add_f32_e32 v15, v17, v11
	v_mul_f32_e32 v18, v15, v15
	v_fmaak_f32 v19, s5, v18, 0x3ecc95a3
	v_mul_f32_e32 v20, v15, v18
	v_fmaak_f32 v18, v18, v19, 0x3f2aaada
	v_ldexp_f32 v19, v15, 1
	v_sub_f32_e32 v15, v15, v17
	v_mul_f32_e32 v18, v20, v18
	v_mul_f32_e32 v20, 0x3f317218, v10
	v_sub_f32_e32 v11, v11, v15
	v_add_f32_e32 v17, v19, v18
	v_ldexp_f32 v11, v11, 1
	v_sub_f32_e32 v15, v17, v19
	v_fma_f32 v19, 0x3f317218, v10, -v20
	v_sub_f32_e32 v15, v18, v15
	v_fmamk_f32 v10, v10, 0xb102e308, v19
	v_add_f32_e32 v11, v11, v15
	v_add_f32_e32 v15, v20, v10
	;; [unrolled: 1-line block ×3, first 2 shown]
	v_sub_f32_e32 v20, v15, v20
	v_add_f32_e32 v19, v15, v18
	v_sub_f32_e32 v17, v18, v17
	v_sub_f32_e32 v10, v10, v20
	;; [unrolled: 1-line block ×6, first 2 shown]
	v_add_f32_e32 v18, v10, v11
	v_sub_f32_e32 v15, v15, v22
	v_add_f32_e32 v15, v17, v15
	v_sub_f32_e32 v17, v18, v10
	;; [unrolled: 2-line block ×3, first 2 shown]
	v_sub_f32_e32 v11, v11, v17
	v_add_f32_e32 v20, v19, v15
	v_sub_f32_e32 v10, v10, v18
	v_sub_f32_e32 v17, v20, v19
	v_add_f32_e32 v10, v11, v10
	v_sub_f32_e32 v11, v15, v17
	v_add_f32_e32 v10, v10, v11
	v_add_f32_e32 v10, v20, v10
	v_cndmask_b32_e32 v10, 0x7f800000, v10, vcc_lo
	v_cmp_gt_f32_e64 vcc_lo, 0x33800000, |v14|
	v_cndmask_b32_e32 v10, v10, v14, vcc_lo
	v_add_f32_e32 v10, v9, v10
.LBB511_184:
	s_or_b32 exec_lo, exec_lo, s4
	v_bfe_u32 v9, v10, 16, 1
	v_cmp_o_f32_e32 vcc_lo, v10, v10
	v_lshlrev_b32_sdwa v8, v8, v2 dst_sel:DWORD dst_unused:UNUSED_PAD src0_sel:DWORD src1_sel:WORD_0
	v_add3_u32 v9, v10, v9, 0x7fff
	v_max_f32_e32 v10, v8, v8
	v_cmp_u_f32_e64 s4, v8, v8
	v_and_b32_e32 v9, 0xffff0000, v9
	v_cndmask_b32_e32 v11, 0x7fc00000, v9, vcc_lo
	v_max_f32_e32 v9, v11, v11
	v_cmp_u_f32_e32 vcc_lo, v11, v11
	v_min_f32_e32 v14, v9, v10
	v_max_f32_e32 v9, v9, v10
	v_cndmask_b32_e32 v14, v14, v11, vcc_lo
	v_cndmask_b32_e32 v9, v9, v11, vcc_lo
	v_cndmask_b32_e64 v14, v14, v8, s4
	v_cndmask_b32_e64 v9, v9, v8, s4
	v_cmp_class_f32_e64 s5, v14, 0x1f8
	v_cmp_neq_f32_e32 vcc_lo, v14, v9
	s_or_b32 s6, vcc_lo, s5
	s_and_saveexec_b32 s5, s6
	s_cbranch_execz .LBB511_186
; %bb.185:
	v_sub_f32_e32 v11, v14, v9
	s_mov_b32 s6, 0x3e9b6dac
	v_mul_f32_e32 v14, 0x3fb8aa3b, v11
	v_cmp_ngt_f32_e32 vcc_lo, 0xc2ce8ed0, v11
	v_fma_f32 v15, 0x3fb8aa3b, v11, -v14
	v_rndne_f32_e32 v17, v14
	v_fmamk_f32 v15, v11, 0x32a5705f, v15
	v_sub_f32_e32 v14, v14, v17
	v_add_f32_e32 v14, v14, v15
	v_cvt_i32_f32_e32 v15, v17
	v_exp_f32_e32 v14, v14
	v_ldexp_f32 v14, v14, v15
	v_cndmask_b32_e32 v14, 0, v14, vcc_lo
	v_cmp_nlt_f32_e32 vcc_lo, 0x42b17218, v11
	v_cndmask_b32_e32 v11, 0x7f800000, v14, vcc_lo
	v_add_f32_e32 v17, 1.0, v11
	v_cvt_f64_f32_e32 v[14:15], v17
	v_frexp_exp_i32_f64_e32 v14, v[14:15]
	v_frexp_mant_f32_e32 v15, v17
	v_cmp_gt_f32_e32 vcc_lo, 0x3f2aaaab, v15
	v_add_f32_e32 v15, -1.0, v17
	v_sub_f32_e32 v19, v15, v17
	v_sub_f32_e32 v15, v11, v15
	v_add_f32_e32 v19, 1.0, v19
	v_add_f32_e32 v15, v15, v19
	v_subrev_co_ci_u32_e64 v14, null, 0, v14, vcc_lo
	v_cmp_neq_f32_e32 vcc_lo, 0x7f800000, v11
	v_sub_nc_u32_e32 v18, 0, v14
	v_cvt_f32_i32_e32 v14, v14
	v_ldexp_f32 v17, v17, v18
	v_ldexp_f32 v15, v15, v18
	v_add_f32_e32 v20, 1.0, v17
	v_add_f32_e32 v18, -1.0, v17
	v_add_f32_e32 v19, -1.0, v20
	v_add_f32_e32 v21, 1.0, v18
	v_sub_f32_e32 v19, v17, v19
	v_sub_f32_e32 v17, v17, v21
	v_add_f32_e32 v19, v15, v19
	v_add_f32_e32 v15, v15, v17
	;; [unrolled: 1-line block ×4, first 2 shown]
	v_rcp_f32_e32 v17, v21
	v_sub_f32_e32 v20, v20, v21
	v_sub_f32_e32 v18, v18, v22
	v_add_f32_e32 v19, v19, v20
	v_add_f32_e32 v15, v15, v18
	v_mul_f32_e32 v23, v22, v17
	v_mul_f32_e32 v24, v21, v23
	v_fma_f32 v20, v23, v21, -v24
	v_fmac_f32_e32 v20, v23, v19
	v_add_f32_e32 v25, v24, v20
	v_sub_f32_e32 v30, v22, v25
	v_sub_f32_e32 v18, v25, v24
	;; [unrolled: 1-line block ×5, first 2 shown]
	v_add_f32_e32 v15, v15, v22
	v_add_f32_e32 v15, v18, v15
	;; [unrolled: 1-line block ×3, first 2 shown]
	v_mul_f32_e32 v20, v17, v18
	v_sub_f32_e32 v25, v30, v18
	v_mul_f32_e32 v22, v21, v20
	v_add_f32_e32 v15, v15, v25
	v_fma_f32 v21, v20, v21, -v22
	v_fmac_f32_e32 v21, v20, v19
	v_add_f32_e32 v19, v22, v21
	v_sub_f32_e32 v24, v18, v19
	v_sub_f32_e32 v22, v19, v22
	;; [unrolled: 1-line block ×5, first 2 shown]
	v_add_f32_e32 v15, v15, v18
	v_add_f32_e32 v18, v23, v20
	;; [unrolled: 1-line block ×3, first 2 shown]
	v_sub_f32_e32 v19, v18, v23
	v_add_f32_e32 v15, v24, v15
	v_sub_f32_e32 v19, v20, v19
	v_mul_f32_e32 v15, v17, v15
	v_add_f32_e32 v15, v19, v15
	v_add_f32_e32 v17, v18, v15
	v_mul_f32_e32 v19, v17, v17
	v_fmaak_f32 v20, s6, v19, 0x3ecc95a3
	v_mul_f32_e32 v21, v17, v19
	v_fmaak_f32 v19, v19, v20, 0x3f2aaada
	v_ldexp_f32 v20, v17, 1
	v_sub_f32_e32 v17, v17, v18
	v_mul_f32_e32 v19, v21, v19
	v_mul_f32_e32 v21, 0x3f317218, v14
	v_sub_f32_e32 v15, v15, v17
	v_add_f32_e32 v18, v20, v19
	v_ldexp_f32 v15, v15, 1
	v_sub_f32_e32 v17, v18, v20
	v_fma_f32 v20, 0x3f317218, v14, -v21
	v_sub_f32_e32 v17, v19, v17
	v_fmamk_f32 v14, v14, 0xb102e308, v20
	v_add_f32_e32 v15, v15, v17
	v_add_f32_e32 v17, v21, v14
	v_add_f32_e32 v19, v18, v15
	v_sub_f32_e32 v21, v17, v21
	v_add_f32_e32 v20, v17, v19
	v_sub_f32_e32 v18, v19, v18
	v_sub_f32_e32 v14, v14, v21
	;; [unrolled: 1-line block ×6, first 2 shown]
	v_add_f32_e32 v19, v14, v15
	v_sub_f32_e32 v17, v17, v23
	v_add_f32_e32 v17, v18, v17
	v_sub_f32_e32 v18, v19, v14
	;; [unrolled: 2-line block ×3, first 2 shown]
	v_sub_f32_e32 v15, v15, v18
	v_add_f32_e32 v21, v20, v17
	v_sub_f32_e32 v14, v14, v19
	v_sub_f32_e32 v18, v21, v20
	v_add_f32_e32 v14, v15, v14
	v_sub_f32_e32 v15, v17, v18
	v_add_f32_e32 v14, v14, v15
	v_add_f32_e32 v14, v21, v14
	v_cndmask_b32_e32 v14, 0x7f800000, v14, vcc_lo
	v_cmp_gt_f32_e64 vcc_lo, 0x33800000, |v11|
	v_cndmask_b32_e32 v11, v14, v11, vcc_lo
	v_add_f32_e32 v11, v9, v11
.LBB511_186:
	s_or_b32 exec_lo, exec_lo, s5
	v_bfe_u32 v9, v11, 16, 1
	v_cmp_o_f32_e32 vcc_lo, v11, v11
	v_add3_u32 v14, v11, v9, 0x7fff
	v_mov_b32_e32 v9, 16
	v_and_b32_e32 v14, 0xffff0000, v14
	v_lshlrev_b32_sdwa v2, v9, v2 dst_sel:DWORD dst_unused:UNUSED_PAD src0_sel:DWORD src1_sel:WORD_1
	v_cndmask_b32_e32 v15, 0x7fc00000, v14, vcc_lo
	v_max_f32_e32 v11, v2, v2
	v_cmp_u_f32_e64 s5, v2, v2
	v_max_f32_e32 v14, v15, v15
	v_cmp_u_f32_e32 vcc_lo, v15, v15
	v_min_f32_e32 v17, v14, v11
	v_max_f32_e32 v14, v14, v11
	v_cndmask_b32_e32 v17, v17, v15, vcc_lo
	v_cndmask_b32_e32 v14, v14, v15, vcc_lo
	v_cndmask_b32_e64 v17, v17, v2, s5
	v_cndmask_b32_e64 v14, v14, v2, s5
	v_cmp_class_f32_e64 s6, v17, 0x1f8
	v_cmp_neq_f32_e32 vcc_lo, v17, v14
	s_or_b32 s7, vcc_lo, s6
	s_and_saveexec_b32 s6, s7
	s_cbranch_execz .LBB511_188
; %bb.187:
	v_sub_f32_e32 v15, v17, v14
	s_mov_b32 s7, 0x3e9b6dac
	v_mul_f32_e32 v17, 0x3fb8aa3b, v15
	v_cmp_ngt_f32_e32 vcc_lo, 0xc2ce8ed0, v15
	v_fma_f32 v18, 0x3fb8aa3b, v15, -v17
	v_rndne_f32_e32 v19, v17
	v_fmamk_f32 v18, v15, 0x32a5705f, v18
	v_sub_f32_e32 v17, v17, v19
	v_add_f32_e32 v17, v17, v18
	v_cvt_i32_f32_e32 v18, v19
	v_exp_f32_e32 v17, v17
	v_ldexp_f32 v17, v17, v18
	v_cndmask_b32_e32 v17, 0, v17, vcc_lo
	v_cmp_nlt_f32_e32 vcc_lo, 0x42b17218, v15
	v_cndmask_b32_e32 v15, 0x7f800000, v17, vcc_lo
	v_add_f32_e32 v19, 1.0, v15
	v_cvt_f64_f32_e32 v[17:18], v19
	v_frexp_exp_i32_f64_e32 v17, v[17:18]
	v_frexp_mant_f32_e32 v18, v19
	v_cmp_gt_f32_e32 vcc_lo, 0x3f2aaaab, v18
	v_add_f32_e32 v18, -1.0, v19
	v_sub_f32_e32 v21, v18, v19
	v_sub_f32_e32 v18, v15, v18
	v_add_f32_e32 v21, 1.0, v21
	v_add_f32_e32 v18, v18, v21
	v_subrev_co_ci_u32_e64 v17, null, 0, v17, vcc_lo
	v_cmp_neq_f32_e32 vcc_lo, 0x7f800000, v15
	v_sub_nc_u32_e32 v20, 0, v17
	v_cvt_f32_i32_e32 v17, v17
	v_ldexp_f32 v19, v19, v20
	v_ldexp_f32 v18, v18, v20
	v_add_f32_e32 v22, 1.0, v19
	v_add_f32_e32 v20, -1.0, v19
	v_add_f32_e32 v21, -1.0, v22
	v_add_f32_e32 v23, 1.0, v20
	v_sub_f32_e32 v21, v19, v21
	v_sub_f32_e32 v19, v19, v23
	v_add_f32_e32 v21, v18, v21
	v_add_f32_e32 v18, v18, v19
	;; [unrolled: 1-line block ×4, first 2 shown]
	v_rcp_f32_e32 v19, v23
	v_sub_f32_e32 v22, v22, v23
	v_sub_f32_e32 v20, v20, v24
	v_add_f32_e32 v21, v21, v22
	v_add_f32_e32 v18, v18, v20
	v_mul_f32_e32 v25, v24, v19
	v_mul_f32_e32 v30, v23, v25
	v_fma_f32 v22, v25, v23, -v30
	v_fmac_f32_e32 v22, v25, v21
	v_add_f32_e32 v31, v30, v22
	v_sub_f32_e32 v32, v24, v31
	v_sub_f32_e32 v20, v31, v30
	;; [unrolled: 1-line block ×5, first 2 shown]
	v_add_f32_e32 v18, v18, v24
	v_add_f32_e32 v18, v20, v18
	;; [unrolled: 1-line block ×3, first 2 shown]
	v_mul_f32_e32 v22, v19, v20
	v_sub_f32_e32 v31, v32, v20
	v_mul_f32_e32 v24, v23, v22
	v_add_f32_e32 v18, v18, v31
	v_fma_f32 v23, v22, v23, -v24
	v_fmac_f32_e32 v23, v22, v21
	v_add_f32_e32 v21, v24, v23
	v_sub_f32_e32 v30, v20, v21
	v_sub_f32_e32 v24, v21, v24
	;; [unrolled: 1-line block ×5, first 2 shown]
	v_add_f32_e32 v18, v18, v20
	v_add_f32_e32 v20, v25, v22
	;; [unrolled: 1-line block ×3, first 2 shown]
	v_sub_f32_e32 v21, v20, v25
	v_add_f32_e32 v18, v30, v18
	v_sub_f32_e32 v21, v22, v21
	v_mul_f32_e32 v18, v19, v18
	v_add_f32_e32 v18, v21, v18
	v_add_f32_e32 v19, v20, v18
	v_mul_f32_e32 v21, v19, v19
	v_fmaak_f32 v22, s7, v21, 0x3ecc95a3
	v_mul_f32_e32 v23, v19, v21
	v_fmaak_f32 v21, v21, v22, 0x3f2aaada
	v_ldexp_f32 v22, v19, 1
	v_sub_f32_e32 v19, v19, v20
	v_mul_f32_e32 v21, v23, v21
	v_mul_f32_e32 v23, 0x3f317218, v17
	v_sub_f32_e32 v18, v18, v19
	v_add_f32_e32 v20, v22, v21
	v_ldexp_f32 v18, v18, 1
	v_sub_f32_e32 v19, v20, v22
	v_fma_f32 v22, 0x3f317218, v17, -v23
	v_sub_f32_e32 v19, v21, v19
	v_fmamk_f32 v17, v17, 0xb102e308, v22
	v_add_f32_e32 v18, v18, v19
	v_add_f32_e32 v19, v23, v17
	;; [unrolled: 1-line block ×3, first 2 shown]
	v_sub_f32_e32 v23, v19, v23
	v_add_f32_e32 v22, v19, v21
	v_sub_f32_e32 v20, v21, v20
	v_sub_f32_e32 v17, v17, v23
	;; [unrolled: 1-line block ×6, first 2 shown]
	v_add_f32_e32 v21, v17, v18
	v_sub_f32_e32 v19, v19, v25
	v_add_f32_e32 v19, v20, v19
	v_sub_f32_e32 v20, v21, v17
	;; [unrolled: 2-line block ×3, first 2 shown]
	v_sub_f32_e32 v18, v18, v20
	v_add_f32_e32 v23, v22, v19
	v_sub_f32_e32 v17, v17, v21
	v_sub_f32_e32 v20, v23, v22
	v_add_f32_e32 v17, v18, v17
	v_sub_f32_e32 v18, v19, v20
	v_add_f32_e32 v17, v17, v18
	v_add_f32_e32 v17, v23, v17
	v_cndmask_b32_e32 v17, 0x7f800000, v17, vcc_lo
	v_cmp_gt_f32_e64 vcc_lo, 0x33800000, |v15|
	v_cndmask_b32_e32 v15, v17, v15, vcc_lo
	v_add_f32_e32 v15, v14, v15
.LBB511_188:
	s_or_b32 exec_lo, exec_lo, s6
	v_bfe_u32 v14, v15, 16, 1
	v_cmp_o_f32_e32 vcc_lo, v15, v15
	v_lshlrev_b32_sdwa v9, v9, v3 dst_sel:DWORD dst_unused:UNUSED_PAD src0_sel:DWORD src1_sel:WORD_0
	v_add3_u32 v14, v15, v14, 0x7fff
	v_max_f32_e32 v15, v9, v9
	v_cmp_u_f32_e64 s6, v9, v9
	v_and_b32_e32 v14, 0xffff0000, v14
	v_cndmask_b32_e32 v17, 0x7fc00000, v14, vcc_lo
	v_max_f32_e32 v14, v17, v17
	v_cmp_u_f32_e32 vcc_lo, v17, v17
	v_min_f32_e32 v18, v14, v15
	v_max_f32_e32 v14, v14, v15
	v_cndmask_b32_e32 v18, v18, v17, vcc_lo
	v_cndmask_b32_e32 v14, v14, v17, vcc_lo
	v_cndmask_b32_e64 v18, v18, v9, s6
	v_cndmask_b32_e64 v14, v14, v9, s6
	v_cmp_class_f32_e64 s7, v18, 0x1f8
	v_cmp_neq_f32_e32 vcc_lo, v18, v14
	s_or_b32 s8, vcc_lo, s7
	s_and_saveexec_b32 s7, s8
	s_cbranch_execz .LBB511_190
; %bb.189:
	v_sub_f32_e32 v17, v18, v14
	s_mov_b32 s8, 0x3e9b6dac
	v_mul_f32_e32 v18, 0x3fb8aa3b, v17
	v_cmp_ngt_f32_e32 vcc_lo, 0xc2ce8ed0, v17
	v_fma_f32 v19, 0x3fb8aa3b, v17, -v18
	v_rndne_f32_e32 v20, v18
	v_fmamk_f32 v19, v17, 0x32a5705f, v19
	v_sub_f32_e32 v18, v18, v20
	v_add_f32_e32 v18, v18, v19
	v_cvt_i32_f32_e32 v19, v20
	v_exp_f32_e32 v18, v18
	v_ldexp_f32 v18, v18, v19
	v_cndmask_b32_e32 v18, 0, v18, vcc_lo
	v_cmp_nlt_f32_e32 vcc_lo, 0x42b17218, v17
	v_cndmask_b32_e32 v19, 0x7f800000, v18, vcc_lo
	v_add_f32_e32 v20, 1.0, v19
	v_cvt_f64_f32_e32 v[17:18], v20
	v_frexp_exp_i32_f64_e32 v17, v[17:18]
	v_frexp_mant_f32_e32 v18, v20
	v_cmp_gt_f32_e32 vcc_lo, 0x3f2aaaab, v18
	v_add_f32_e32 v18, -1.0, v20
	v_sub_f32_e32 v22, v18, v20
	v_sub_f32_e32 v18, v19, v18
	v_add_f32_e32 v22, 1.0, v22
	v_add_f32_e32 v18, v18, v22
	v_subrev_co_ci_u32_e64 v17, null, 0, v17, vcc_lo
	v_cmp_neq_f32_e32 vcc_lo, 0x7f800000, v19
	v_sub_nc_u32_e32 v21, 0, v17
	v_cvt_f32_i32_e32 v17, v17
	v_ldexp_f32 v20, v20, v21
	v_ldexp_f32 v18, v18, v21
	v_add_f32_e32 v23, 1.0, v20
	v_add_f32_e32 v21, -1.0, v20
	v_add_f32_e32 v22, -1.0, v23
	v_add_f32_e32 v24, 1.0, v21
	v_sub_f32_e32 v22, v20, v22
	v_sub_f32_e32 v20, v20, v24
	v_add_f32_e32 v22, v18, v22
	v_add_f32_e32 v18, v18, v20
	;; [unrolled: 1-line block ×4, first 2 shown]
	v_rcp_f32_e32 v20, v24
	v_sub_f32_e32 v23, v23, v24
	v_sub_f32_e32 v21, v21, v25
	v_add_f32_e32 v22, v22, v23
	v_add_f32_e32 v18, v18, v21
	v_mul_f32_e32 v30, v25, v20
	v_mul_f32_e32 v31, v24, v30
	v_fma_f32 v23, v30, v24, -v31
	v_fmac_f32_e32 v23, v30, v22
	v_add_f32_e32 v32, v31, v23
	v_sub_f32_e32 v33, v25, v32
	v_sub_f32_e32 v21, v32, v31
	v_sub_f32_e32 v25, v25, v33
	v_sub_f32_e32 v21, v21, v23
	v_sub_f32_e32 v25, v25, v32
	v_add_f32_e32 v18, v18, v25
	v_add_f32_e32 v18, v21, v18
	v_add_f32_e32 v21, v33, v18
	v_mul_f32_e32 v23, v20, v21
	v_sub_f32_e32 v32, v33, v21
	v_mul_f32_e32 v25, v24, v23
	v_add_f32_e32 v18, v18, v32
	v_fma_f32 v24, v23, v24, -v25
	v_fmac_f32_e32 v24, v23, v22
	v_add_f32_e32 v22, v25, v24
	v_sub_f32_e32 v31, v21, v22
	v_sub_f32_e32 v25, v22, v25
	;; [unrolled: 1-line block ×5, first 2 shown]
	v_add_f32_e32 v18, v18, v21
	v_add_f32_e32 v21, v30, v23
	;; [unrolled: 1-line block ×3, first 2 shown]
	v_sub_f32_e32 v22, v21, v30
	v_add_f32_e32 v18, v31, v18
	v_sub_f32_e32 v22, v23, v22
	v_mul_f32_e32 v18, v20, v18
	v_add_f32_e32 v18, v22, v18
	v_add_f32_e32 v20, v21, v18
	v_mul_f32_e32 v22, v20, v20
	v_fmaak_f32 v23, s8, v22, 0x3ecc95a3
	v_mul_f32_e32 v24, v20, v22
	v_fmaak_f32 v22, v22, v23, 0x3f2aaada
	v_ldexp_f32 v23, v20, 1
	v_sub_f32_e32 v20, v20, v21
	v_mul_f32_e32 v22, v24, v22
	v_mul_f32_e32 v24, 0x3f317218, v17
	v_sub_f32_e32 v18, v18, v20
	v_add_f32_e32 v21, v23, v22
	v_ldexp_f32 v18, v18, 1
	v_sub_f32_e32 v20, v21, v23
	v_fma_f32 v23, 0x3f317218, v17, -v24
	v_sub_f32_e32 v20, v22, v20
	v_fmamk_f32 v17, v17, 0xb102e308, v23
	v_add_f32_e32 v18, v18, v20
	v_add_f32_e32 v20, v24, v17
	;; [unrolled: 1-line block ×3, first 2 shown]
	v_sub_f32_e32 v24, v20, v24
	v_add_f32_e32 v23, v20, v22
	v_sub_f32_e32 v21, v22, v21
	v_sub_f32_e32 v17, v17, v24
	;; [unrolled: 1-line block ×6, first 2 shown]
	v_add_f32_e32 v22, v17, v18
	v_sub_f32_e32 v20, v20, v30
	v_add_f32_e32 v20, v21, v20
	v_sub_f32_e32 v21, v22, v17
	;; [unrolled: 2-line block ×3, first 2 shown]
	v_sub_f32_e32 v18, v18, v21
	v_add_f32_e32 v24, v23, v20
	v_sub_f32_e32 v17, v17, v22
	v_sub_f32_e32 v21, v24, v23
	v_add_f32_e32 v17, v18, v17
	v_sub_f32_e32 v18, v20, v21
	v_add_f32_e32 v17, v17, v18
	v_add_f32_e32 v17, v24, v17
	v_cndmask_b32_e32 v17, 0x7f800000, v17, vcc_lo
	v_cmp_gt_f32_e64 vcc_lo, 0x33800000, |v19|
	v_cndmask_b32_e32 v17, v17, v19, vcc_lo
	v_add_f32_e32 v17, v14, v17
.LBB511_190:
	s_or_b32 exec_lo, exec_lo, s7
	v_bfe_u32 v14, v17, 16, 1
	v_cmp_o_f32_e32 vcc_lo, v17, v17
	v_add3_u32 v18, v17, v14, 0x7fff
	v_mov_b32_e32 v14, 16
	v_and_b32_e32 v18, 0xffff0000, v18
	v_lshlrev_b32_sdwa v3, v14, v3 dst_sel:DWORD dst_unused:UNUSED_PAD src0_sel:DWORD src1_sel:WORD_1
	v_cndmask_b32_e32 v19, 0x7fc00000, v18, vcc_lo
	v_max_f32_e32 v17, v3, v3
	v_cmp_u_f32_e64 s7, v3, v3
	v_max_f32_e32 v18, v19, v19
	v_cmp_u_f32_e32 vcc_lo, v19, v19
	v_min_f32_e32 v20, v18, v17
	v_max_f32_e32 v18, v18, v17
	v_cndmask_b32_e32 v20, v20, v19, vcc_lo
	v_cndmask_b32_e32 v18, v18, v19, vcc_lo
	v_cndmask_b32_e64 v20, v20, v3, s7
	v_cndmask_b32_e64 v18, v18, v3, s7
	v_cmp_class_f32_e64 s8, v20, 0x1f8
	v_cmp_neq_f32_e32 vcc_lo, v20, v18
	s_or_b32 s9, vcc_lo, s8
	s_and_saveexec_b32 s8, s9
	s_cbranch_execz .LBB511_192
; %bb.191:
	v_sub_f32_e32 v19, v20, v18
	s_mov_b32 s9, 0x3e9b6dac
	v_mul_f32_e32 v20, 0x3fb8aa3b, v19
	v_cmp_ngt_f32_e32 vcc_lo, 0xc2ce8ed0, v19
	v_fma_f32 v21, 0x3fb8aa3b, v19, -v20
	v_rndne_f32_e32 v22, v20
	v_fmamk_f32 v21, v19, 0x32a5705f, v21
	v_sub_f32_e32 v20, v20, v22
	v_add_f32_e32 v20, v20, v21
	v_cvt_i32_f32_e32 v21, v22
	v_exp_f32_e32 v20, v20
	v_ldexp_f32 v20, v20, v21
	v_cndmask_b32_e32 v20, 0, v20, vcc_lo
	v_cmp_nlt_f32_e32 vcc_lo, 0x42b17218, v19
	v_cndmask_b32_e32 v21, 0x7f800000, v20, vcc_lo
	v_add_f32_e32 v22, 1.0, v21
	v_cvt_f64_f32_e32 v[19:20], v22
	v_frexp_exp_i32_f64_e32 v19, v[19:20]
	v_frexp_mant_f32_e32 v20, v22
	v_cmp_gt_f32_e32 vcc_lo, 0x3f2aaaab, v20
	v_add_f32_e32 v20, -1.0, v22
	v_sub_f32_e32 v24, v20, v22
	v_sub_f32_e32 v20, v21, v20
	v_add_f32_e32 v24, 1.0, v24
	v_add_f32_e32 v20, v20, v24
	v_subrev_co_ci_u32_e64 v19, null, 0, v19, vcc_lo
	v_cmp_neq_f32_e32 vcc_lo, 0x7f800000, v21
	v_sub_nc_u32_e32 v23, 0, v19
	v_cvt_f32_i32_e32 v19, v19
	v_ldexp_f32 v22, v22, v23
	v_ldexp_f32 v20, v20, v23
	v_add_f32_e32 v25, 1.0, v22
	v_add_f32_e32 v23, -1.0, v22
	v_add_f32_e32 v24, -1.0, v25
	v_add_f32_e32 v30, 1.0, v23
	v_sub_f32_e32 v24, v22, v24
	v_sub_f32_e32 v22, v22, v30
	v_add_f32_e32 v24, v20, v24
	v_add_f32_e32 v20, v20, v22
	;; [unrolled: 1-line block ×4, first 2 shown]
	v_rcp_f32_e32 v22, v30
	v_sub_f32_e32 v25, v25, v30
	v_sub_f32_e32 v23, v23, v31
	v_add_f32_e32 v24, v24, v25
	v_add_f32_e32 v20, v20, v23
	v_mul_f32_e32 v32, v31, v22
	v_mul_f32_e32 v33, v30, v32
	v_fma_f32 v25, v32, v30, -v33
	v_fmac_f32_e32 v25, v32, v24
	v_add_f32_e32 v34, v33, v25
	v_sub_f32_e32 v35, v31, v34
	v_sub_f32_e32 v23, v34, v33
	;; [unrolled: 1-line block ×5, first 2 shown]
	v_add_f32_e32 v20, v20, v31
	v_add_f32_e32 v20, v23, v20
	;; [unrolled: 1-line block ×3, first 2 shown]
	v_mul_f32_e32 v25, v22, v23
	v_sub_f32_e32 v34, v35, v23
	v_mul_f32_e32 v31, v30, v25
	v_add_f32_e32 v20, v20, v34
	v_fma_f32 v30, v25, v30, -v31
	v_fmac_f32_e32 v30, v25, v24
	v_add_f32_e32 v24, v31, v30
	v_sub_f32_e32 v33, v23, v24
	v_sub_f32_e32 v31, v24, v31
	;; [unrolled: 1-line block ×5, first 2 shown]
	v_add_f32_e32 v20, v20, v23
	v_add_f32_e32 v23, v32, v25
	;; [unrolled: 1-line block ×3, first 2 shown]
	v_sub_f32_e32 v24, v23, v32
	v_add_f32_e32 v20, v33, v20
	v_sub_f32_e32 v24, v25, v24
	v_mul_f32_e32 v20, v22, v20
	v_add_f32_e32 v20, v24, v20
	v_add_f32_e32 v22, v23, v20
	v_mul_f32_e32 v24, v22, v22
	v_fmaak_f32 v25, s9, v24, 0x3ecc95a3
	v_mul_f32_e32 v30, v22, v24
	v_fmaak_f32 v24, v24, v25, 0x3f2aaada
	v_ldexp_f32 v25, v22, 1
	v_sub_f32_e32 v22, v22, v23
	v_mul_f32_e32 v24, v30, v24
	v_mul_f32_e32 v30, 0x3f317218, v19
	v_sub_f32_e32 v20, v20, v22
	v_add_f32_e32 v23, v25, v24
	v_ldexp_f32 v20, v20, 1
	v_sub_f32_e32 v22, v23, v25
	v_fma_f32 v25, 0x3f317218, v19, -v30
	v_sub_f32_e32 v22, v24, v22
	v_fmamk_f32 v19, v19, 0xb102e308, v25
	v_add_f32_e32 v20, v20, v22
	v_add_f32_e32 v22, v30, v19
	;; [unrolled: 1-line block ×3, first 2 shown]
	v_sub_f32_e32 v30, v22, v30
	v_add_f32_e32 v25, v22, v24
	v_sub_f32_e32 v23, v24, v23
	v_sub_f32_e32 v19, v19, v30
	;; [unrolled: 1-line block ×6, first 2 shown]
	v_add_f32_e32 v24, v19, v20
	v_sub_f32_e32 v22, v22, v32
	v_add_f32_e32 v22, v23, v22
	v_sub_f32_e32 v23, v24, v19
	;; [unrolled: 2-line block ×3, first 2 shown]
	v_sub_f32_e32 v20, v20, v23
	v_add_f32_e32 v30, v25, v22
	v_sub_f32_e32 v19, v19, v24
	v_sub_f32_e32 v23, v30, v25
	v_add_f32_e32 v19, v20, v19
	v_sub_f32_e32 v20, v22, v23
	v_add_f32_e32 v19, v19, v20
	v_add_f32_e32 v19, v30, v19
	v_cndmask_b32_e32 v19, 0x7f800000, v19, vcc_lo
	v_cmp_gt_f32_e64 vcc_lo, 0x33800000, |v21|
	v_cndmask_b32_e32 v19, v19, v21, vcc_lo
	v_add_f32_e32 v19, v18, v19
.LBB511_192:
	s_or_b32 exec_lo, exec_lo, s8
	v_bfe_u32 v18, v19, 16, 1
	v_cmp_o_f32_e32 vcc_lo, v19, v19
	v_lshlrev_b32_sdwa v14, v14, v4 dst_sel:DWORD dst_unused:UNUSED_PAD src0_sel:DWORD src1_sel:WORD_0
	v_add3_u32 v18, v19, v18, 0x7fff
	v_max_f32_e32 v19, v14, v14
	v_cmp_u_f32_e64 s8, v14, v14
	v_and_b32_e32 v18, 0xffff0000, v18
	v_cndmask_b32_e32 v20, 0x7fc00000, v18, vcc_lo
	v_max_f32_e32 v18, v20, v20
	v_cmp_u_f32_e32 vcc_lo, v20, v20
	v_min_f32_e32 v21, v18, v19
	v_max_f32_e32 v18, v18, v19
	v_cndmask_b32_e32 v21, v21, v20, vcc_lo
	v_cndmask_b32_e32 v18, v18, v20, vcc_lo
	v_cndmask_b32_e64 v21, v21, v14, s8
	v_cndmask_b32_e64 v18, v18, v14, s8
	v_cmp_class_f32_e64 s9, v21, 0x1f8
	v_cmp_neq_f32_e32 vcc_lo, v21, v18
	s_or_b32 s10, vcc_lo, s9
	s_and_saveexec_b32 s9, s10
	s_cbranch_execz .LBB511_194
; %bb.193:
	v_sub_f32_e32 v20, v21, v18
	s_mov_b32 s10, 0x3e9b6dac
	v_mul_f32_e32 v21, 0x3fb8aa3b, v20
	v_cmp_ngt_f32_e32 vcc_lo, 0xc2ce8ed0, v20
	v_fma_f32 v22, 0x3fb8aa3b, v20, -v21
	v_rndne_f32_e32 v23, v21
	v_fmamk_f32 v22, v20, 0x32a5705f, v22
	v_sub_f32_e32 v21, v21, v23
	v_add_f32_e32 v21, v21, v22
	v_cvt_i32_f32_e32 v22, v23
	v_exp_f32_e32 v21, v21
	v_ldexp_f32 v21, v21, v22
	v_cndmask_b32_e32 v21, 0, v21, vcc_lo
	v_cmp_nlt_f32_e32 vcc_lo, 0x42b17218, v20
	v_cndmask_b32_e32 v22, 0x7f800000, v21, vcc_lo
	v_add_f32_e32 v23, 1.0, v22
	v_cvt_f64_f32_e32 v[20:21], v23
	v_frexp_exp_i32_f64_e32 v20, v[20:21]
	v_frexp_mant_f32_e32 v21, v23
	v_cmp_gt_f32_e32 vcc_lo, 0x3f2aaaab, v21
	v_add_f32_e32 v21, -1.0, v23
	v_sub_f32_e32 v25, v21, v23
	v_sub_f32_e32 v21, v22, v21
	v_add_f32_e32 v25, 1.0, v25
	v_add_f32_e32 v21, v21, v25
	v_subrev_co_ci_u32_e64 v20, null, 0, v20, vcc_lo
	v_cmp_neq_f32_e32 vcc_lo, 0x7f800000, v22
	v_sub_nc_u32_e32 v24, 0, v20
	v_cvt_f32_i32_e32 v20, v20
	v_ldexp_f32 v23, v23, v24
	v_ldexp_f32 v21, v21, v24
	v_add_f32_e32 v30, 1.0, v23
	v_add_f32_e32 v24, -1.0, v23
	v_add_f32_e32 v25, -1.0, v30
	v_add_f32_e32 v31, 1.0, v24
	v_sub_f32_e32 v25, v23, v25
	v_sub_f32_e32 v23, v23, v31
	v_add_f32_e32 v25, v21, v25
	v_add_f32_e32 v21, v21, v23
	;; [unrolled: 1-line block ×4, first 2 shown]
	v_rcp_f32_e32 v23, v31
	v_sub_f32_e32 v30, v30, v31
	v_sub_f32_e32 v24, v24, v32
	v_add_f32_e32 v25, v25, v30
	v_add_f32_e32 v21, v21, v24
	v_mul_f32_e32 v33, v32, v23
	v_mul_f32_e32 v34, v31, v33
	v_fma_f32 v30, v33, v31, -v34
	v_fmac_f32_e32 v30, v33, v25
	v_add_f32_e32 v35, v34, v30
	v_sub_f32_e32 v36, v32, v35
	v_sub_f32_e32 v24, v35, v34
	;; [unrolled: 1-line block ×5, first 2 shown]
	v_add_f32_e32 v21, v21, v32
	v_add_f32_e32 v21, v24, v21
	;; [unrolled: 1-line block ×3, first 2 shown]
	v_mul_f32_e32 v30, v23, v24
	v_sub_f32_e32 v35, v36, v24
	v_mul_f32_e32 v32, v31, v30
	v_add_f32_e32 v21, v21, v35
	v_fma_f32 v31, v30, v31, -v32
	v_fmac_f32_e32 v31, v30, v25
	v_add_f32_e32 v25, v32, v31
	v_sub_f32_e32 v34, v24, v25
	v_sub_f32_e32 v32, v25, v32
	;; [unrolled: 1-line block ×5, first 2 shown]
	v_add_f32_e32 v21, v21, v24
	v_add_f32_e32 v24, v33, v30
	;; [unrolled: 1-line block ×3, first 2 shown]
	v_sub_f32_e32 v25, v24, v33
	v_add_f32_e32 v21, v34, v21
	v_sub_f32_e32 v25, v30, v25
	v_mul_f32_e32 v21, v23, v21
	v_add_f32_e32 v21, v25, v21
	v_add_f32_e32 v23, v24, v21
	v_mul_f32_e32 v25, v23, v23
	v_fmaak_f32 v30, s10, v25, 0x3ecc95a3
	v_mul_f32_e32 v31, v23, v25
	v_fmaak_f32 v25, v25, v30, 0x3f2aaada
	v_ldexp_f32 v30, v23, 1
	v_sub_f32_e32 v23, v23, v24
	v_mul_f32_e32 v25, v31, v25
	v_mul_f32_e32 v31, 0x3f317218, v20
	v_sub_f32_e32 v21, v21, v23
	v_add_f32_e32 v24, v30, v25
	v_ldexp_f32 v21, v21, 1
	v_sub_f32_e32 v23, v24, v30
	v_fma_f32 v30, 0x3f317218, v20, -v31
	v_sub_f32_e32 v23, v25, v23
	v_fmamk_f32 v20, v20, 0xb102e308, v30
	v_add_f32_e32 v21, v21, v23
	v_add_f32_e32 v23, v31, v20
	;; [unrolled: 1-line block ×3, first 2 shown]
	v_sub_f32_e32 v31, v23, v31
	v_add_f32_e32 v30, v23, v25
	v_sub_f32_e32 v24, v25, v24
	v_sub_f32_e32 v20, v20, v31
	v_sub_f32_e32 v32, v30, v23
	v_sub_f32_e32 v21, v21, v24
	v_sub_f32_e32 v33, v30, v32
	v_sub_f32_e32 v24, v25, v32
	v_add_f32_e32 v25, v20, v21
	v_sub_f32_e32 v23, v23, v33
	v_add_f32_e32 v23, v24, v23
	v_sub_f32_e32 v24, v25, v20
	;; [unrolled: 2-line block ×3, first 2 shown]
	v_sub_f32_e32 v21, v21, v24
	v_add_f32_e32 v31, v30, v23
	v_sub_f32_e32 v20, v20, v25
	v_sub_f32_e32 v24, v31, v30
	v_add_f32_e32 v20, v21, v20
	v_sub_f32_e32 v21, v23, v24
	v_add_f32_e32 v20, v20, v21
	v_add_f32_e32 v20, v31, v20
	v_cndmask_b32_e32 v20, 0x7f800000, v20, vcc_lo
	v_cmp_gt_f32_e64 vcc_lo, 0x33800000, |v22|
	v_cndmask_b32_e32 v20, v20, v22, vcc_lo
	v_add_f32_e32 v20, v18, v20
.LBB511_194:
	s_or_b32 exec_lo, exec_lo, s9
	v_bfe_u32 v18, v20, 16, 1
	v_cmp_o_f32_e32 vcc_lo, v20, v20
	v_add3_u32 v21, v20, v18, 0x7fff
	v_mov_b32_e32 v18, 16
	v_and_b32_e32 v21, 0xffff0000, v21
	v_lshlrev_b32_sdwa v4, v18, v4 dst_sel:DWORD dst_unused:UNUSED_PAD src0_sel:DWORD src1_sel:WORD_1
	v_cndmask_b32_e32 v22, 0x7fc00000, v21, vcc_lo
	v_max_f32_e32 v20, v4, v4
	v_cmp_u_f32_e64 s9, v4, v4
	v_max_f32_e32 v21, v22, v22
	v_cmp_u_f32_e32 vcc_lo, v22, v22
	v_min_f32_e32 v23, v21, v20
	v_max_f32_e32 v21, v21, v20
	v_cndmask_b32_e32 v23, v23, v22, vcc_lo
	v_cndmask_b32_e32 v21, v21, v22, vcc_lo
	v_cndmask_b32_e64 v23, v23, v4, s9
	v_cndmask_b32_e64 v21, v21, v4, s9
	v_cmp_class_f32_e64 s10, v23, 0x1f8
	v_cmp_neq_f32_e32 vcc_lo, v23, v21
	s_or_b32 s11, vcc_lo, s10
	s_and_saveexec_b32 s10, s11
	s_cbranch_execz .LBB511_196
; %bb.195:
	v_sub_f32_e32 v22, v23, v21
	s_mov_b32 s11, 0x3e9b6dac
	v_mul_f32_e32 v23, 0x3fb8aa3b, v22
	v_cmp_ngt_f32_e32 vcc_lo, 0xc2ce8ed0, v22
	v_fma_f32 v24, 0x3fb8aa3b, v22, -v23
	v_rndne_f32_e32 v25, v23
	v_fmamk_f32 v24, v22, 0x32a5705f, v24
	v_sub_f32_e32 v23, v23, v25
	v_add_f32_e32 v23, v23, v24
	v_cvt_i32_f32_e32 v24, v25
	v_exp_f32_e32 v23, v23
	v_ldexp_f32 v23, v23, v24
	v_cndmask_b32_e32 v23, 0, v23, vcc_lo
	v_cmp_nlt_f32_e32 vcc_lo, 0x42b17218, v22
	v_cndmask_b32_e32 v24, 0x7f800000, v23, vcc_lo
	v_add_f32_e32 v25, 1.0, v24
	v_cvt_f64_f32_e32 v[22:23], v25
	v_frexp_exp_i32_f64_e32 v22, v[22:23]
	v_frexp_mant_f32_e32 v23, v25
	v_cmp_gt_f32_e32 vcc_lo, 0x3f2aaaab, v23
	v_add_f32_e32 v23, -1.0, v25
	v_sub_f32_e32 v31, v23, v25
	v_sub_f32_e32 v23, v24, v23
	v_add_f32_e32 v31, 1.0, v31
	v_add_f32_e32 v23, v23, v31
	v_subrev_co_ci_u32_e64 v22, null, 0, v22, vcc_lo
	v_cmp_neq_f32_e32 vcc_lo, 0x7f800000, v24
	v_sub_nc_u32_e32 v30, 0, v22
	v_cvt_f32_i32_e32 v22, v22
	v_ldexp_f32 v25, v25, v30
	v_ldexp_f32 v23, v23, v30
	v_add_f32_e32 v32, 1.0, v25
	v_add_f32_e32 v30, -1.0, v25
	v_add_f32_e32 v31, -1.0, v32
	v_add_f32_e32 v33, 1.0, v30
	v_sub_f32_e32 v31, v25, v31
	v_sub_f32_e32 v25, v25, v33
	v_add_f32_e32 v31, v23, v31
	v_add_f32_e32 v23, v23, v25
	;; [unrolled: 1-line block ×4, first 2 shown]
	v_rcp_f32_e32 v25, v33
	v_sub_f32_e32 v32, v32, v33
	v_sub_f32_e32 v30, v30, v34
	v_add_f32_e32 v31, v31, v32
	v_add_f32_e32 v23, v23, v30
	v_mul_f32_e32 v35, v34, v25
	v_mul_f32_e32 v36, v33, v35
	v_fma_f32 v32, v35, v33, -v36
	v_fmac_f32_e32 v32, v35, v31
	v_add_f32_e32 v37, v36, v32
	v_sub_f32_e32 v38, v34, v37
	v_sub_f32_e32 v30, v37, v36
	;; [unrolled: 1-line block ×5, first 2 shown]
	v_add_f32_e32 v23, v23, v34
	v_add_f32_e32 v23, v30, v23
	;; [unrolled: 1-line block ×3, first 2 shown]
	v_mul_f32_e32 v32, v25, v30
	v_sub_f32_e32 v37, v38, v30
	v_mul_f32_e32 v34, v33, v32
	v_add_f32_e32 v23, v23, v37
	v_fma_f32 v33, v32, v33, -v34
	v_fmac_f32_e32 v33, v32, v31
	v_add_f32_e32 v31, v34, v33
	v_sub_f32_e32 v36, v30, v31
	v_sub_f32_e32 v34, v31, v34
	;; [unrolled: 1-line block ×5, first 2 shown]
	v_add_f32_e32 v23, v23, v30
	v_add_f32_e32 v30, v35, v32
	;; [unrolled: 1-line block ×3, first 2 shown]
	v_sub_f32_e32 v31, v30, v35
	v_add_f32_e32 v23, v36, v23
	v_sub_f32_e32 v31, v32, v31
	v_mul_f32_e32 v23, v25, v23
	v_add_f32_e32 v23, v31, v23
	v_add_f32_e32 v25, v30, v23
	v_mul_f32_e32 v31, v25, v25
	v_fmaak_f32 v32, s11, v31, 0x3ecc95a3
	v_mul_f32_e32 v33, v25, v31
	v_fmaak_f32 v31, v31, v32, 0x3f2aaada
	v_ldexp_f32 v32, v25, 1
	v_sub_f32_e32 v25, v25, v30
	v_mul_f32_e32 v31, v33, v31
	v_mul_f32_e32 v33, 0x3f317218, v22
	v_sub_f32_e32 v23, v23, v25
	v_add_f32_e32 v30, v32, v31
	v_ldexp_f32 v23, v23, 1
	v_sub_f32_e32 v25, v30, v32
	v_fma_f32 v32, 0x3f317218, v22, -v33
	v_sub_f32_e32 v25, v31, v25
	v_fmamk_f32 v22, v22, 0xb102e308, v32
	v_add_f32_e32 v23, v23, v25
	v_add_f32_e32 v25, v33, v22
	v_add_f32_e32 v31, v30, v23
	v_sub_f32_e32 v33, v25, v33
	v_add_f32_e32 v32, v25, v31
	v_sub_f32_e32 v30, v31, v30
	v_sub_f32_e32 v22, v22, v33
	;; [unrolled: 1-line block ×6, first 2 shown]
	v_add_f32_e32 v31, v22, v23
	v_sub_f32_e32 v25, v25, v35
	v_add_f32_e32 v25, v30, v25
	v_sub_f32_e32 v30, v31, v22
	;; [unrolled: 2-line block ×3, first 2 shown]
	v_sub_f32_e32 v23, v23, v30
	v_add_f32_e32 v33, v32, v25
	v_sub_f32_e32 v22, v22, v31
	v_sub_f32_e32 v30, v33, v32
	v_add_f32_e32 v22, v23, v22
	v_sub_f32_e32 v23, v25, v30
	v_add_f32_e32 v22, v22, v23
	v_add_f32_e32 v22, v33, v22
	v_cndmask_b32_e32 v22, 0x7f800000, v22, vcc_lo
	v_cmp_gt_f32_e64 vcc_lo, 0x33800000, |v24|
	v_cndmask_b32_e32 v22, v22, v24, vcc_lo
	v_add_f32_e32 v22, v21, v22
.LBB511_196:
	s_or_b32 exec_lo, exec_lo, s10
	v_bfe_u32 v21, v22, 16, 1
	v_cmp_o_f32_e32 vcc_lo, v22, v22
	v_lshlrev_b32_sdwa v18, v18, v5 dst_sel:DWORD dst_unused:UNUSED_PAD src0_sel:DWORD src1_sel:WORD_0
	v_add3_u32 v21, v22, v21, 0x7fff
	v_max_f32_e32 v22, v18, v18
	v_cmp_u_f32_e64 s10, v18, v18
	v_and_b32_e32 v21, 0xffff0000, v21
	v_cndmask_b32_e32 v23, 0x7fc00000, v21, vcc_lo
	v_max_f32_e32 v21, v23, v23
	v_cmp_u_f32_e32 vcc_lo, v23, v23
	v_min_f32_e32 v24, v21, v22
	v_max_f32_e32 v21, v21, v22
	v_cndmask_b32_e32 v24, v24, v23, vcc_lo
	v_cndmask_b32_e32 v21, v21, v23, vcc_lo
	v_cndmask_b32_e64 v24, v24, v18, s10
	v_cndmask_b32_e64 v21, v21, v18, s10
	v_cmp_class_f32_e64 s11, v24, 0x1f8
	v_cmp_neq_f32_e32 vcc_lo, v24, v21
	s_or_b32 s12, vcc_lo, s11
	s_and_saveexec_b32 s11, s12
	s_cbranch_execz .LBB511_198
; %bb.197:
	v_sub_f32_e32 v23, v24, v21
	s_mov_b32 s12, 0x3e9b6dac
	v_mul_f32_e32 v24, 0x3fb8aa3b, v23
	v_cmp_ngt_f32_e32 vcc_lo, 0xc2ce8ed0, v23
	v_fma_f32 v25, 0x3fb8aa3b, v23, -v24
	v_rndne_f32_e32 v30, v24
	v_fmamk_f32 v25, v23, 0x32a5705f, v25
	v_sub_f32_e32 v24, v24, v30
	v_add_f32_e32 v24, v24, v25
	v_cvt_i32_f32_e32 v25, v30
	v_exp_f32_e32 v24, v24
	v_ldexp_f32 v24, v24, v25
	v_cndmask_b32_e32 v24, 0, v24, vcc_lo
	v_cmp_nlt_f32_e32 vcc_lo, 0x42b17218, v23
	v_cndmask_b32_e32 v25, 0x7f800000, v24, vcc_lo
	v_add_f32_e32 v30, 1.0, v25
	v_cvt_f64_f32_e32 v[23:24], v30
	v_frexp_exp_i32_f64_e32 v23, v[23:24]
	v_frexp_mant_f32_e32 v24, v30
	v_cmp_gt_f32_e32 vcc_lo, 0x3f2aaaab, v24
	v_add_f32_e32 v24, -1.0, v30
	v_sub_f32_e32 v32, v24, v30
	v_sub_f32_e32 v24, v25, v24
	v_add_f32_e32 v32, 1.0, v32
	v_add_f32_e32 v24, v24, v32
	v_subrev_co_ci_u32_e64 v23, null, 0, v23, vcc_lo
	v_cmp_neq_f32_e32 vcc_lo, 0x7f800000, v25
	v_sub_nc_u32_e32 v31, 0, v23
	v_cvt_f32_i32_e32 v23, v23
	v_ldexp_f32 v30, v30, v31
	v_ldexp_f32 v24, v24, v31
	v_add_f32_e32 v33, 1.0, v30
	v_add_f32_e32 v31, -1.0, v30
	v_add_f32_e32 v32, -1.0, v33
	v_add_f32_e32 v34, 1.0, v31
	v_sub_f32_e32 v32, v30, v32
	v_sub_f32_e32 v30, v30, v34
	v_add_f32_e32 v32, v24, v32
	v_add_f32_e32 v24, v24, v30
	;; [unrolled: 1-line block ×4, first 2 shown]
	v_rcp_f32_e32 v30, v34
	v_sub_f32_e32 v33, v33, v34
	v_sub_f32_e32 v31, v31, v35
	v_add_f32_e32 v32, v32, v33
	v_add_f32_e32 v24, v24, v31
	v_mul_f32_e32 v36, v35, v30
	v_mul_f32_e32 v37, v34, v36
	v_fma_f32 v33, v36, v34, -v37
	v_fmac_f32_e32 v33, v36, v32
	v_add_f32_e32 v38, v37, v33
	v_sub_f32_e32 v39, v35, v38
	v_sub_f32_e32 v31, v38, v37
	v_sub_f32_e32 v35, v35, v39
	v_sub_f32_e32 v31, v31, v33
	v_sub_f32_e32 v35, v35, v38
	v_add_f32_e32 v24, v24, v35
	v_add_f32_e32 v24, v31, v24
	;; [unrolled: 1-line block ×3, first 2 shown]
	v_mul_f32_e32 v33, v30, v31
	v_sub_f32_e32 v38, v39, v31
	v_mul_f32_e32 v35, v34, v33
	v_add_f32_e32 v24, v24, v38
	v_fma_f32 v34, v33, v34, -v35
	v_fmac_f32_e32 v34, v33, v32
	v_add_f32_e32 v32, v35, v34
	v_sub_f32_e32 v37, v31, v32
	v_sub_f32_e32 v35, v32, v35
	;; [unrolled: 1-line block ×5, first 2 shown]
	v_add_f32_e32 v24, v24, v31
	v_add_f32_e32 v31, v36, v33
	;; [unrolled: 1-line block ×3, first 2 shown]
	v_sub_f32_e32 v32, v31, v36
	v_add_f32_e32 v24, v37, v24
	v_sub_f32_e32 v32, v33, v32
	v_mul_f32_e32 v24, v30, v24
	v_add_f32_e32 v24, v32, v24
	v_add_f32_e32 v30, v31, v24
	v_mul_f32_e32 v32, v30, v30
	v_fmaak_f32 v33, s12, v32, 0x3ecc95a3
	v_mul_f32_e32 v34, v30, v32
	v_fmaak_f32 v32, v32, v33, 0x3f2aaada
	v_ldexp_f32 v33, v30, 1
	v_sub_f32_e32 v30, v30, v31
	v_mul_f32_e32 v32, v34, v32
	v_mul_f32_e32 v34, 0x3f317218, v23
	v_sub_f32_e32 v24, v24, v30
	v_add_f32_e32 v31, v33, v32
	v_ldexp_f32 v24, v24, 1
	v_sub_f32_e32 v30, v31, v33
	v_fma_f32 v33, 0x3f317218, v23, -v34
	v_sub_f32_e32 v30, v32, v30
	v_fmamk_f32 v23, v23, 0xb102e308, v33
	v_add_f32_e32 v24, v24, v30
	v_add_f32_e32 v30, v34, v23
	;; [unrolled: 1-line block ×3, first 2 shown]
	v_sub_f32_e32 v34, v30, v34
	v_add_f32_e32 v33, v30, v32
	v_sub_f32_e32 v31, v32, v31
	v_sub_f32_e32 v23, v23, v34
	;; [unrolled: 1-line block ×6, first 2 shown]
	v_add_f32_e32 v32, v23, v24
	v_sub_f32_e32 v30, v30, v36
	v_add_f32_e32 v30, v31, v30
	v_sub_f32_e32 v31, v32, v23
	v_add_f32_e32 v30, v32, v30
	v_sub_f32_e32 v32, v32, v31
	v_sub_f32_e32 v24, v24, v31
	v_add_f32_e32 v34, v33, v30
	v_sub_f32_e32 v23, v23, v32
	v_sub_f32_e32 v31, v34, v33
	v_add_f32_e32 v23, v24, v23
	v_sub_f32_e32 v24, v30, v31
	v_add_f32_e32 v23, v23, v24
	v_add_f32_e32 v23, v34, v23
	v_cndmask_b32_e32 v23, 0x7f800000, v23, vcc_lo
	v_cmp_gt_f32_e64 vcc_lo, 0x33800000, |v25|
	v_cndmask_b32_e32 v23, v23, v25, vcc_lo
	v_add_f32_e32 v23, v21, v23
.LBB511_198:
	s_or_b32 exec_lo, exec_lo, s11
	v_bfe_u32 v21, v23, 16, 1
	v_cmp_o_f32_e32 vcc_lo, v23, v23
	v_add3_u32 v24, v23, v21, 0x7fff
	v_mov_b32_e32 v21, 16
	v_and_b32_e32 v24, 0xffff0000, v24
	v_lshlrev_b32_sdwa v5, v21, v5 dst_sel:DWORD dst_unused:UNUSED_PAD src0_sel:DWORD src1_sel:WORD_1
	v_cndmask_b32_e32 v25, 0x7fc00000, v24, vcc_lo
	v_max_f32_e32 v23, v5, v5
	v_cmp_u_f32_e64 s11, v5, v5
	v_max_f32_e32 v24, v25, v25
	v_cmp_u_f32_e32 vcc_lo, v25, v25
	v_min_f32_e32 v30, v24, v23
	v_max_f32_e32 v24, v24, v23
	v_cndmask_b32_e32 v30, v30, v25, vcc_lo
	v_cndmask_b32_e32 v24, v24, v25, vcc_lo
	v_cndmask_b32_e64 v30, v30, v5, s11
	v_cndmask_b32_e64 v24, v24, v5, s11
	v_cmp_class_f32_e64 s12, v30, 0x1f8
	v_cmp_neq_f32_e32 vcc_lo, v30, v24
	s_or_b32 s13, vcc_lo, s12
	s_and_saveexec_b32 s12, s13
	s_cbranch_execz .LBB511_200
; %bb.199:
	v_sub_f32_e32 v25, v30, v24
	s_mov_b32 s13, 0x3e9b6dac
	v_mul_f32_e32 v30, 0x3fb8aa3b, v25
	v_cmp_ngt_f32_e32 vcc_lo, 0xc2ce8ed0, v25
	v_fma_f32 v31, 0x3fb8aa3b, v25, -v30
	v_rndne_f32_e32 v32, v30
	v_fmamk_f32 v31, v25, 0x32a5705f, v31
	v_sub_f32_e32 v30, v30, v32
	v_add_f32_e32 v30, v30, v31
	v_cvt_i32_f32_e32 v31, v32
	v_exp_f32_e32 v30, v30
	v_ldexp_f32 v30, v30, v31
	v_cndmask_b32_e32 v30, 0, v30, vcc_lo
	v_cmp_nlt_f32_e32 vcc_lo, 0x42b17218, v25
	v_cndmask_b32_e32 v25, 0x7f800000, v30, vcc_lo
	v_add_f32_e32 v32, 1.0, v25
	v_cvt_f64_f32_e32 v[30:31], v32
	v_frexp_exp_i32_f64_e32 v30, v[30:31]
	v_frexp_mant_f32_e32 v31, v32
	v_cmp_gt_f32_e32 vcc_lo, 0x3f2aaaab, v31
	v_add_f32_e32 v31, -1.0, v32
	v_sub_f32_e32 v34, v31, v32
	v_sub_f32_e32 v31, v25, v31
	v_add_f32_e32 v34, 1.0, v34
	v_add_f32_e32 v31, v31, v34
	v_subrev_co_ci_u32_e64 v30, null, 0, v30, vcc_lo
	v_cmp_neq_f32_e32 vcc_lo, 0x7f800000, v25
	v_sub_nc_u32_e32 v33, 0, v30
	v_cvt_f32_i32_e32 v30, v30
	v_ldexp_f32 v32, v32, v33
	v_ldexp_f32 v31, v31, v33
	v_add_f32_e32 v35, 1.0, v32
	v_add_f32_e32 v33, -1.0, v32
	v_add_f32_e32 v34, -1.0, v35
	v_add_f32_e32 v36, 1.0, v33
	v_sub_f32_e32 v34, v32, v34
	v_sub_f32_e32 v32, v32, v36
	v_add_f32_e32 v34, v31, v34
	v_add_f32_e32 v31, v31, v32
	;; [unrolled: 1-line block ×4, first 2 shown]
	v_rcp_f32_e32 v32, v36
	v_sub_f32_e32 v35, v35, v36
	v_sub_f32_e32 v33, v33, v37
	v_add_f32_e32 v34, v34, v35
	v_add_f32_e32 v31, v31, v33
	v_mul_f32_e32 v38, v37, v32
	v_mul_f32_e32 v39, v36, v38
	v_fma_f32 v35, v38, v36, -v39
	v_fmac_f32_e32 v35, v38, v34
	v_add_f32_e32 v40, v39, v35
	v_sub_f32_e32 v41, v37, v40
	v_sub_f32_e32 v33, v40, v39
	;; [unrolled: 1-line block ×5, first 2 shown]
	v_add_f32_e32 v31, v31, v37
	v_add_f32_e32 v31, v33, v31
	;; [unrolled: 1-line block ×3, first 2 shown]
	v_mul_f32_e32 v35, v32, v33
	v_sub_f32_e32 v40, v41, v33
	v_mul_f32_e32 v37, v36, v35
	v_add_f32_e32 v31, v31, v40
	v_fma_f32 v36, v35, v36, -v37
	v_fmac_f32_e32 v36, v35, v34
	v_add_f32_e32 v34, v37, v36
	v_sub_f32_e32 v39, v33, v34
	v_sub_f32_e32 v37, v34, v37
	;; [unrolled: 1-line block ×5, first 2 shown]
	v_add_f32_e32 v31, v31, v33
	v_add_f32_e32 v33, v38, v35
	v_add_f32_e32 v31, v34, v31
	v_sub_f32_e32 v34, v33, v38
	v_add_f32_e32 v31, v39, v31
	v_sub_f32_e32 v34, v35, v34
	v_mul_f32_e32 v31, v32, v31
	v_add_f32_e32 v31, v34, v31
	v_add_f32_e32 v32, v33, v31
	v_mul_f32_e32 v34, v32, v32
	v_fmaak_f32 v35, s13, v34, 0x3ecc95a3
	v_mul_f32_e32 v36, v32, v34
	v_fmaak_f32 v34, v34, v35, 0x3f2aaada
	v_ldexp_f32 v35, v32, 1
	v_sub_f32_e32 v32, v32, v33
	v_mul_f32_e32 v34, v36, v34
	v_mul_f32_e32 v36, 0x3f317218, v30
	v_sub_f32_e32 v31, v31, v32
	v_add_f32_e32 v33, v35, v34
	v_ldexp_f32 v31, v31, 1
	v_sub_f32_e32 v32, v33, v35
	v_fma_f32 v35, 0x3f317218, v30, -v36
	v_sub_f32_e32 v32, v34, v32
	v_fmamk_f32 v30, v30, 0xb102e308, v35
	v_add_f32_e32 v31, v31, v32
	v_add_f32_e32 v32, v36, v30
	;; [unrolled: 1-line block ×3, first 2 shown]
	v_sub_f32_e32 v36, v32, v36
	v_add_f32_e32 v35, v32, v34
	v_sub_f32_e32 v33, v34, v33
	v_sub_f32_e32 v30, v30, v36
	;; [unrolled: 1-line block ×6, first 2 shown]
	v_add_f32_e32 v34, v30, v31
	v_sub_f32_e32 v32, v32, v38
	v_add_f32_e32 v32, v33, v32
	v_sub_f32_e32 v33, v34, v30
	v_add_f32_e32 v32, v34, v32
	v_sub_f32_e32 v34, v34, v33
	v_sub_f32_e32 v31, v31, v33
	v_add_f32_e32 v36, v35, v32
	v_sub_f32_e32 v30, v30, v34
	v_sub_f32_e32 v33, v36, v35
	v_add_f32_e32 v30, v31, v30
	v_sub_f32_e32 v31, v32, v33
	v_add_f32_e32 v30, v30, v31
	v_add_f32_e32 v30, v36, v30
	v_cndmask_b32_e32 v30, 0x7f800000, v30, vcc_lo
	v_cmp_gt_f32_e64 vcc_lo, 0x33800000, |v25|
	v_cndmask_b32_e32 v25, v30, v25, vcc_lo
	v_add_f32_e32 v25, v24, v25
.LBB511_200:
	s_or_b32 exec_lo, exec_lo, s12
	v_bfe_u32 v24, v25, 16, 1
	v_cmp_o_f32_e32 vcc_lo, v25, v25
	v_lshlrev_b32_sdwa v21, v21, v6 dst_sel:DWORD dst_unused:UNUSED_PAD src0_sel:DWORD src1_sel:WORD_0
	v_add3_u32 v24, v25, v24, 0x7fff
	v_cmp_u_f32_e64 s12, v21, v21
	v_and_b32_e32 v24, 0xffff0000, v24
	v_cndmask_b32_e32 v30, 0x7fc00000, v24, vcc_lo
	v_max_f32_e32 v24, v21, v21
	v_max_f32_e32 v25, v30, v30
	v_cmp_u_f32_e32 vcc_lo, v30, v30
	v_min_f32_e32 v31, v25, v24
	v_max_f32_e32 v25, v25, v24
	v_cndmask_b32_e32 v31, v31, v30, vcc_lo
	v_cndmask_b32_e32 v25, v25, v30, vcc_lo
	v_cndmask_b32_e64 v31, v31, v21, s12
	v_cndmask_b32_e64 v25, v25, v21, s12
	v_cmp_class_f32_e64 s13, v31, 0x1f8
	v_cmp_neq_f32_e32 vcc_lo, v31, v25
	s_or_b32 s15, vcc_lo, s13
	s_and_saveexec_b32 s13, s15
	s_cbranch_execz .LBB511_202
; %bb.201:
	v_sub_f32_e32 v30, v31, v25
	s_mov_b32 s15, 0x3e9b6dac
	v_mul_f32_e32 v31, 0x3fb8aa3b, v30
	v_cmp_ngt_f32_e32 vcc_lo, 0xc2ce8ed0, v30
	v_fma_f32 v32, 0x3fb8aa3b, v30, -v31
	v_rndne_f32_e32 v33, v31
	v_fmamk_f32 v32, v30, 0x32a5705f, v32
	v_sub_f32_e32 v31, v31, v33
	v_add_f32_e32 v31, v31, v32
	v_cvt_i32_f32_e32 v32, v33
	v_exp_f32_e32 v31, v31
	v_ldexp_f32 v31, v31, v32
	v_cndmask_b32_e32 v31, 0, v31, vcc_lo
	v_cmp_nlt_f32_e32 vcc_lo, 0x42b17218, v30
	v_cndmask_b32_e32 v32, 0x7f800000, v31, vcc_lo
	v_add_f32_e32 v33, 1.0, v32
	v_cvt_f64_f32_e32 v[30:31], v33
	v_frexp_exp_i32_f64_e32 v30, v[30:31]
	v_frexp_mant_f32_e32 v31, v33
	v_cmp_gt_f32_e32 vcc_lo, 0x3f2aaaab, v31
	v_add_f32_e32 v31, -1.0, v33
	v_sub_f32_e32 v35, v31, v33
	v_sub_f32_e32 v31, v32, v31
	v_add_f32_e32 v35, 1.0, v35
	v_add_f32_e32 v31, v31, v35
	v_subrev_co_ci_u32_e64 v30, null, 0, v30, vcc_lo
	v_cmp_neq_f32_e32 vcc_lo, 0x7f800000, v32
	v_sub_nc_u32_e32 v34, 0, v30
	v_cvt_f32_i32_e32 v30, v30
	v_ldexp_f32 v33, v33, v34
	v_ldexp_f32 v31, v31, v34
	v_add_f32_e32 v36, 1.0, v33
	v_add_f32_e32 v34, -1.0, v33
	v_add_f32_e32 v35, -1.0, v36
	v_add_f32_e32 v37, 1.0, v34
	v_sub_f32_e32 v35, v33, v35
	v_sub_f32_e32 v33, v33, v37
	v_add_f32_e32 v35, v31, v35
	v_add_f32_e32 v31, v31, v33
	v_add_f32_e32 v37, v36, v35
	v_add_f32_e32 v38, v34, v31
	v_rcp_f32_e32 v33, v37
	v_sub_f32_e32 v36, v36, v37
	v_sub_f32_e32 v34, v34, v38
	v_add_f32_e32 v35, v35, v36
	v_add_f32_e32 v31, v31, v34
	v_mul_f32_e32 v39, v38, v33
	v_mul_f32_e32 v40, v37, v39
	v_fma_f32 v36, v39, v37, -v40
	v_fmac_f32_e32 v36, v39, v35
	v_add_f32_e32 v41, v40, v36
	v_sub_f32_e32 v42, v38, v41
	v_sub_f32_e32 v34, v41, v40
	;; [unrolled: 1-line block ×5, first 2 shown]
	v_add_f32_e32 v31, v31, v38
	v_add_f32_e32 v31, v34, v31
	;; [unrolled: 1-line block ×3, first 2 shown]
	v_mul_f32_e32 v36, v33, v34
	v_sub_f32_e32 v41, v42, v34
	v_mul_f32_e32 v38, v37, v36
	v_add_f32_e32 v31, v31, v41
	v_fma_f32 v37, v36, v37, -v38
	v_fmac_f32_e32 v37, v36, v35
	v_add_f32_e32 v35, v38, v37
	v_sub_f32_e32 v40, v34, v35
	v_sub_f32_e32 v38, v35, v38
	;; [unrolled: 1-line block ×5, first 2 shown]
	v_add_f32_e32 v31, v31, v34
	v_add_f32_e32 v34, v39, v36
	v_add_f32_e32 v31, v35, v31
	v_sub_f32_e32 v35, v34, v39
	v_add_f32_e32 v31, v40, v31
	v_sub_f32_e32 v35, v36, v35
	v_mul_f32_e32 v31, v33, v31
	v_add_f32_e32 v31, v35, v31
	v_add_f32_e32 v33, v34, v31
	v_mul_f32_e32 v35, v33, v33
	v_fmaak_f32 v36, s15, v35, 0x3ecc95a3
	v_mul_f32_e32 v37, v33, v35
	v_fmaak_f32 v35, v35, v36, 0x3f2aaada
	v_ldexp_f32 v36, v33, 1
	v_sub_f32_e32 v33, v33, v34
	v_mul_f32_e32 v35, v37, v35
	v_mul_f32_e32 v37, 0x3f317218, v30
	v_sub_f32_e32 v31, v31, v33
	v_add_f32_e32 v34, v36, v35
	v_ldexp_f32 v31, v31, 1
	v_sub_f32_e32 v33, v34, v36
	v_fma_f32 v36, 0x3f317218, v30, -v37
	v_sub_f32_e32 v33, v35, v33
	v_fmamk_f32 v30, v30, 0xb102e308, v36
	v_add_f32_e32 v31, v31, v33
	v_add_f32_e32 v33, v37, v30
	;; [unrolled: 1-line block ×3, first 2 shown]
	v_sub_f32_e32 v37, v33, v37
	v_add_f32_e32 v36, v33, v35
	v_sub_f32_e32 v34, v35, v34
	v_sub_f32_e32 v30, v30, v37
	;; [unrolled: 1-line block ×6, first 2 shown]
	v_add_f32_e32 v35, v30, v31
	v_sub_f32_e32 v33, v33, v39
	v_add_f32_e32 v33, v34, v33
	v_sub_f32_e32 v34, v35, v30
	;; [unrolled: 2-line block ×3, first 2 shown]
	v_sub_f32_e32 v31, v31, v34
	v_add_f32_e32 v37, v36, v33
	v_sub_f32_e32 v30, v30, v35
	v_sub_f32_e32 v34, v37, v36
	v_add_f32_e32 v30, v31, v30
	v_sub_f32_e32 v31, v33, v34
	v_add_f32_e32 v30, v30, v31
	v_add_f32_e32 v30, v37, v30
	v_cndmask_b32_e32 v30, 0x7f800000, v30, vcc_lo
	v_cmp_gt_f32_e64 vcc_lo, 0x33800000, |v32|
	v_cndmask_b32_e32 v30, v30, v32, vcc_lo
	v_add_f32_e32 v30, v25, v30
.LBB511_202:
	s_or_b32 exec_lo, exec_lo, s13
	v_bfe_u32 v25, v30, 16, 1
	v_mov_b32_e32 v31, 16
	v_cmp_o_f32_e32 vcc_lo, v30, v30
	v_add3_u32 v25, v30, v25, 0x7fff
	v_lshlrev_b32_sdwa v6, v31, v6 dst_sel:DWORD dst_unused:UNUSED_PAD src0_sel:DWORD src1_sel:WORD_1
	v_and_b32_e32 v25, 0xffff0000, v25
	v_cmp_u_f32_e64 s13, v6, v6
	v_cndmask_b32_e32 v31, 0x7fc00000, v25, vcc_lo
	v_max_f32_e32 v25, v6, v6
	v_max_f32_e32 v30, v31, v31
	v_cmp_u_f32_e32 vcc_lo, v31, v31
	v_min_f32_e32 v32, v30, v25
	v_max_f32_e32 v30, v30, v25
	v_cndmask_b32_e32 v32, v32, v31, vcc_lo
	v_cndmask_b32_e32 v30, v30, v31, vcc_lo
	v_cndmask_b32_e64 v32, v32, v6, s13
	v_cndmask_b32_e64 v30, v30, v6, s13
	v_cmp_class_f32_e64 s15, v32, 0x1f8
	v_cmp_neq_f32_e32 vcc_lo, v32, v30
	s_or_b32 s16, vcc_lo, s15
	s_and_saveexec_b32 s15, s16
	s_cbranch_execz .LBB511_204
; %bb.203:
	v_sub_f32_e32 v31, v32, v30
	s_mov_b32 s16, 0x3e9b6dac
	v_mul_f32_e32 v32, 0x3fb8aa3b, v31
	v_cmp_ngt_f32_e32 vcc_lo, 0xc2ce8ed0, v31
	v_fma_f32 v33, 0x3fb8aa3b, v31, -v32
	v_rndne_f32_e32 v34, v32
	v_fmamk_f32 v33, v31, 0x32a5705f, v33
	v_sub_f32_e32 v32, v32, v34
	v_add_f32_e32 v32, v32, v33
	v_cvt_i32_f32_e32 v33, v34
	v_exp_f32_e32 v32, v32
	v_ldexp_f32 v32, v32, v33
	v_cndmask_b32_e32 v32, 0, v32, vcc_lo
	v_cmp_nlt_f32_e32 vcc_lo, 0x42b17218, v31
	v_cndmask_b32_e32 v33, 0x7f800000, v32, vcc_lo
	v_add_f32_e32 v34, 1.0, v33
	v_cvt_f64_f32_e32 v[31:32], v34
	v_frexp_exp_i32_f64_e32 v31, v[31:32]
	v_frexp_mant_f32_e32 v32, v34
	v_cmp_gt_f32_e32 vcc_lo, 0x3f2aaaab, v32
	v_add_f32_e32 v32, -1.0, v34
	v_sub_f32_e32 v36, v32, v34
	v_sub_f32_e32 v32, v33, v32
	v_add_f32_e32 v36, 1.0, v36
	v_add_f32_e32 v32, v32, v36
	v_subrev_co_ci_u32_e64 v31, null, 0, v31, vcc_lo
	v_cmp_neq_f32_e32 vcc_lo, 0x7f800000, v33
	v_sub_nc_u32_e32 v35, 0, v31
	v_cvt_f32_i32_e32 v31, v31
	v_ldexp_f32 v34, v34, v35
	v_ldexp_f32 v32, v32, v35
	v_add_f32_e32 v37, 1.0, v34
	v_add_f32_e32 v35, -1.0, v34
	v_add_f32_e32 v36, -1.0, v37
	v_add_f32_e32 v38, 1.0, v35
	v_sub_f32_e32 v36, v34, v36
	v_sub_f32_e32 v34, v34, v38
	v_add_f32_e32 v36, v32, v36
	v_add_f32_e32 v32, v32, v34
	;; [unrolled: 1-line block ×4, first 2 shown]
	v_rcp_f32_e32 v34, v38
	v_sub_f32_e32 v37, v37, v38
	v_sub_f32_e32 v35, v35, v39
	v_add_f32_e32 v36, v36, v37
	v_add_f32_e32 v32, v32, v35
	v_mul_f32_e32 v40, v39, v34
	v_mul_f32_e32 v41, v38, v40
	v_fma_f32 v37, v40, v38, -v41
	v_fmac_f32_e32 v37, v40, v36
	v_add_f32_e32 v42, v41, v37
	v_sub_f32_e32 v43, v39, v42
	v_sub_f32_e32 v35, v42, v41
	;; [unrolled: 1-line block ×5, first 2 shown]
	v_add_f32_e32 v32, v32, v39
	v_add_f32_e32 v32, v35, v32
	;; [unrolled: 1-line block ×3, first 2 shown]
	v_mul_f32_e32 v37, v34, v35
	v_sub_f32_e32 v42, v43, v35
	v_mul_f32_e32 v39, v38, v37
	v_add_f32_e32 v32, v32, v42
	v_fma_f32 v38, v37, v38, -v39
	v_fmac_f32_e32 v38, v37, v36
	v_add_f32_e32 v36, v39, v38
	v_sub_f32_e32 v41, v35, v36
	v_sub_f32_e32 v39, v36, v39
	;; [unrolled: 1-line block ×5, first 2 shown]
	v_add_f32_e32 v32, v32, v35
	v_add_f32_e32 v35, v40, v37
	;; [unrolled: 1-line block ×3, first 2 shown]
	v_sub_f32_e32 v36, v35, v40
	v_add_f32_e32 v32, v41, v32
	v_sub_f32_e32 v36, v37, v36
	v_mul_f32_e32 v32, v34, v32
	v_add_f32_e32 v32, v36, v32
	v_add_f32_e32 v34, v35, v32
	v_mul_f32_e32 v36, v34, v34
	v_fmaak_f32 v37, s16, v36, 0x3ecc95a3
	v_mul_f32_e32 v38, v34, v36
	v_fmaak_f32 v36, v36, v37, 0x3f2aaada
	v_ldexp_f32 v37, v34, 1
	v_sub_f32_e32 v34, v34, v35
	v_mul_f32_e32 v36, v38, v36
	v_mul_f32_e32 v38, 0x3f317218, v31
	v_sub_f32_e32 v32, v32, v34
	v_add_f32_e32 v35, v37, v36
	v_ldexp_f32 v32, v32, 1
	v_sub_f32_e32 v34, v35, v37
	v_fma_f32 v37, 0x3f317218, v31, -v38
	v_sub_f32_e32 v34, v36, v34
	v_fmamk_f32 v31, v31, 0xb102e308, v37
	v_add_f32_e32 v32, v32, v34
	v_add_f32_e32 v34, v38, v31
	;; [unrolled: 1-line block ×3, first 2 shown]
	v_sub_f32_e32 v38, v34, v38
	v_add_f32_e32 v37, v34, v36
	v_sub_f32_e32 v35, v36, v35
	v_sub_f32_e32 v31, v31, v38
	;; [unrolled: 1-line block ×6, first 2 shown]
	v_add_f32_e32 v36, v31, v32
	v_sub_f32_e32 v34, v34, v40
	v_add_f32_e32 v34, v35, v34
	v_sub_f32_e32 v35, v36, v31
	;; [unrolled: 2-line block ×3, first 2 shown]
	v_sub_f32_e32 v32, v32, v35
	v_add_f32_e32 v38, v37, v34
	v_sub_f32_e32 v31, v31, v36
	v_sub_f32_e32 v35, v38, v37
	v_add_f32_e32 v31, v32, v31
	v_sub_f32_e32 v32, v34, v35
	v_add_f32_e32 v31, v31, v32
	v_add_f32_e32 v31, v38, v31
	v_cndmask_b32_e32 v31, 0x7f800000, v31, vcc_lo
	v_cmp_gt_f32_e64 vcc_lo, 0x33800000, |v33|
	v_cndmask_b32_e32 v31, v31, v33, vcc_lo
	v_add_f32_e32 v31, v30, v31
.LBB511_204:
	s_or_b32 exec_lo, exec_lo, s15
	v_bfe_u32 v30, v31, 16, 1
	v_lshrrev_b32_e32 v32, 4, v0
	v_cmp_o_f32_e32 vcc_lo, v31, v31
	v_mov_b32_e32 v33, 0x7fc0
	s_mov_b32 s16, exec_lo
	v_add3_u32 v30, v31, v30, 0x7fff
	v_and_b32_e32 v32, 2, v32
	v_cndmask_b32_sdwa v31, v33, v30, vcc_lo dst_sel:DWORD dst_unused:UNUSED_PAD src0_sel:DWORD src1_sel:WORD_1
	v_lshl_add_u32 v30, v0, 1, v32
	ds_write_b16 v30, v31
	s_waitcnt lgkmcnt(0)
	s_barrier
	buffer_gl0_inv
	v_cmpx_gt_u32_e32 32, v0
	s_cbranch_execz .LBB511_232
; %bb.205:
	v_lshrrev_b32_e32 v30, 3, v0
	v_lshlrev_b32_e32 v32, 2, v0
	v_and_b32_e32 v30, 6, v30
	v_add_nc_u32_e32 v30, v30, v32
	ds_read_u16 v32, v30 offset:2
	ds_read_u16 v33, v30
	s_waitcnt lgkmcnt(1)
	v_lshlrev_b32_e32 v34, 16, v32
	s_waitcnt lgkmcnt(0)
	v_lshlrev_b32_e32 v32, 16, v33
	v_max_f32_e32 v35, v34, v34
	v_max_f32_e32 v33, v32, v32
	v_cmp_u_f32_e64 s15, v32, v32
	v_cmp_u_f32_e32 vcc_lo, v34, v34
	v_min_f32_e32 v36, v33, v35
	v_max_f32_e32 v35, v33, v35
	v_cndmask_b32_e64 v36, v36, v32, s15
	v_cndmask_b32_e64 v35, v35, v32, s15
	v_cndmask_b32_e32 v36, v36, v34, vcc_lo
	v_cndmask_b32_e32 v34, v35, v34, vcc_lo
	v_mov_b32_e32 v35, v32
	v_cmp_class_f32_e64 s17, v36, 0x1f8
	v_cmp_neq_f32_e32 vcc_lo, v36, v34
	s_or_b32 s20, vcc_lo, s17
	s_and_saveexec_b32 s17, s20
	s_cbranch_execz .LBB511_207
; %bb.206:
	v_sub_f32_e32 v35, v36, v34
	s_mov_b32 s20, 0x3e9b6dac
	v_mul_f32_e32 v36, 0x3fb8aa3b, v35
	v_cmp_ngt_f32_e32 vcc_lo, 0xc2ce8ed0, v35
	v_fma_f32 v37, 0x3fb8aa3b, v35, -v36
	v_rndne_f32_e32 v38, v36
	v_fmamk_f32 v37, v35, 0x32a5705f, v37
	v_sub_f32_e32 v36, v36, v38
	v_add_f32_e32 v36, v36, v37
	v_cvt_i32_f32_e32 v37, v38
	v_exp_f32_e32 v36, v36
	v_ldexp_f32 v36, v36, v37
	v_cndmask_b32_e32 v36, 0, v36, vcc_lo
	v_cmp_nlt_f32_e32 vcc_lo, 0x42b17218, v35
	v_cndmask_b32_e32 v37, 0x7f800000, v36, vcc_lo
	v_add_f32_e32 v38, 1.0, v37
	v_cvt_f64_f32_e32 v[35:36], v38
	v_frexp_exp_i32_f64_e32 v35, v[35:36]
	v_frexp_mant_f32_e32 v36, v38
	v_cmp_gt_f32_e32 vcc_lo, 0x3f2aaaab, v36
	v_add_f32_e32 v36, -1.0, v38
	v_sub_f32_e32 v40, v36, v38
	v_sub_f32_e32 v36, v37, v36
	v_add_f32_e32 v40, 1.0, v40
	v_add_f32_e32 v36, v36, v40
	v_subrev_co_ci_u32_e64 v35, null, 0, v35, vcc_lo
	v_cmp_neq_f32_e32 vcc_lo, 0x7f800000, v37
	v_sub_nc_u32_e32 v39, 0, v35
	v_cvt_f32_i32_e32 v35, v35
	v_ldexp_f32 v38, v38, v39
	v_ldexp_f32 v36, v36, v39
	v_add_f32_e32 v41, 1.0, v38
	v_add_f32_e32 v39, -1.0, v38
	v_add_f32_e32 v40, -1.0, v41
	v_add_f32_e32 v42, 1.0, v39
	v_sub_f32_e32 v40, v38, v40
	v_sub_f32_e32 v38, v38, v42
	v_add_f32_e32 v40, v36, v40
	v_add_f32_e32 v36, v36, v38
	;; [unrolled: 1-line block ×4, first 2 shown]
	v_rcp_f32_e32 v38, v42
	v_sub_f32_e32 v41, v41, v42
	v_sub_f32_e32 v39, v39, v43
	v_add_f32_e32 v40, v40, v41
	v_add_f32_e32 v36, v36, v39
	v_mul_f32_e32 v44, v43, v38
	v_mul_f32_e32 v45, v42, v44
	v_fma_f32 v41, v44, v42, -v45
	v_fmac_f32_e32 v41, v44, v40
	v_add_f32_e32 v46, v45, v41
	v_sub_f32_e32 v47, v43, v46
	v_sub_f32_e32 v39, v46, v45
	;; [unrolled: 1-line block ×5, first 2 shown]
	v_add_f32_e32 v36, v36, v43
	v_add_f32_e32 v36, v39, v36
	;; [unrolled: 1-line block ×3, first 2 shown]
	v_mul_f32_e32 v41, v38, v39
	v_sub_f32_e32 v46, v47, v39
	v_mul_f32_e32 v43, v42, v41
	v_add_f32_e32 v36, v36, v46
	v_fma_f32 v42, v41, v42, -v43
	v_fmac_f32_e32 v42, v41, v40
	v_add_f32_e32 v40, v43, v42
	v_sub_f32_e32 v45, v39, v40
	v_sub_f32_e32 v43, v40, v43
	;; [unrolled: 1-line block ×5, first 2 shown]
	v_add_f32_e32 v36, v36, v39
	v_add_f32_e32 v39, v44, v41
	v_add_f32_e32 v36, v40, v36
	v_sub_f32_e32 v40, v39, v44
	v_add_f32_e32 v36, v45, v36
	v_sub_f32_e32 v40, v41, v40
	v_mul_f32_e32 v36, v38, v36
	v_add_f32_e32 v36, v40, v36
	v_add_f32_e32 v38, v39, v36
	v_mul_f32_e32 v40, v38, v38
	v_fmaak_f32 v41, s20, v40, 0x3ecc95a3
	v_mul_f32_e32 v42, v38, v40
	v_fmaak_f32 v40, v40, v41, 0x3f2aaada
	v_ldexp_f32 v41, v38, 1
	v_sub_f32_e32 v38, v38, v39
	v_mul_f32_e32 v40, v42, v40
	v_mul_f32_e32 v42, 0x3f317218, v35
	v_sub_f32_e32 v36, v36, v38
	v_add_f32_e32 v39, v41, v40
	v_ldexp_f32 v36, v36, 1
	v_sub_f32_e32 v38, v39, v41
	v_fma_f32 v41, 0x3f317218, v35, -v42
	v_sub_f32_e32 v38, v40, v38
	v_fmamk_f32 v35, v35, 0xb102e308, v41
	v_add_f32_e32 v36, v36, v38
	v_add_f32_e32 v38, v42, v35
	;; [unrolled: 1-line block ×3, first 2 shown]
	v_sub_f32_e32 v42, v38, v42
	v_add_f32_e32 v41, v38, v40
	v_sub_f32_e32 v39, v40, v39
	v_sub_f32_e32 v35, v35, v42
	;; [unrolled: 1-line block ×6, first 2 shown]
	v_add_f32_e32 v40, v35, v36
	v_sub_f32_e32 v38, v38, v44
	v_add_f32_e32 v38, v39, v38
	v_sub_f32_e32 v39, v40, v35
	;; [unrolled: 2-line block ×3, first 2 shown]
	v_sub_f32_e32 v36, v36, v39
	v_add_f32_e32 v42, v41, v38
	v_sub_f32_e32 v35, v35, v40
	v_sub_f32_e32 v39, v42, v41
	v_add_f32_e32 v35, v36, v35
	v_sub_f32_e32 v36, v38, v39
	v_add_f32_e32 v35, v35, v36
	v_add_f32_e32 v35, v42, v35
	v_cndmask_b32_e32 v35, 0x7f800000, v35, vcc_lo
	v_cmp_gt_f32_e64 vcc_lo, 0x33800000, |v37|
	v_cndmask_b32_e32 v35, v35, v37, vcc_lo
	v_add_f32_e32 v35, v34, v35
.LBB511_207:
	s_or_b32 exec_lo, exec_lo, s17
	v_bfe_u32 v34, v35, 16, 1
	v_cmp_o_f32_e32 vcc_lo, v35, v35
	v_mov_b32_e32 v36, 0x7fc0
	s_mov_b32 s17, exec_lo
	v_add3_u32 v34, v35, v34, 0x7fff
	v_cndmask_b32_sdwa v36, v36, v34, vcc_lo dst_sel:DWORD dst_unused:UNUSED_PAD src0_sel:DWORD src1_sel:WORD_1
	v_mbcnt_lo_u32_b32 v34, -1, 0
	v_and_b32_e32 v37, 0xffff, v36
	v_and_b32_e32 v35, 15, v34
	v_mov_b32_dpp v38, v37 row_shr:1 row_mask:0xf bank_mask:0xf
	v_cmpx_ne_u32_e32 0, v35
	s_xor_b32 s17, exec_lo, s17
	s_cbranch_execz .LBB511_211
; %bb.208:
	v_lshlrev_b32_e32 v36, 16, v37
	v_lshlrev_b32_e32 v37, 16, v38
	v_max_f32_e32 v38, v36, v36
	v_max_f32_e32 v39, v37, v37
	v_cmp_u_f32_e32 vcc_lo, v37, v37
	v_min_f32_e32 v40, v39, v38
	v_max_f32_e32 v38, v39, v38
	v_cndmask_b32_e32 v39, v40, v37, vcc_lo
	v_cndmask_b32_e32 v40, v38, v37, vcc_lo
	v_cmp_u_f32_e32 vcc_lo, v36, v36
	v_cndmask_b32_e32 v38, v39, v36, vcc_lo
	v_cndmask_b32_e32 v36, v40, v36, vcc_lo
	v_cmp_class_f32_e64 s20, v38, 0x1f8
	v_cmp_neq_f32_e32 vcc_lo, v38, v36
	s_or_b32 s21, vcc_lo, s20
	s_and_saveexec_b32 s20, s21
	s_cbranch_execz .LBB511_210
; %bb.209:
	v_sub_f32_e32 v37, v38, v36
	s_mov_b32 s21, 0x3e9b6dac
	v_mul_f32_e32 v38, 0x3fb8aa3b, v37
	v_cmp_ngt_f32_e32 vcc_lo, 0xc2ce8ed0, v37
	v_fma_f32 v39, 0x3fb8aa3b, v37, -v38
	v_rndne_f32_e32 v40, v38
	v_fmamk_f32 v39, v37, 0x32a5705f, v39
	v_sub_f32_e32 v38, v38, v40
	v_add_f32_e32 v38, v38, v39
	v_cvt_i32_f32_e32 v39, v40
	v_exp_f32_e32 v38, v38
	v_ldexp_f32 v38, v38, v39
	v_cndmask_b32_e32 v38, 0, v38, vcc_lo
	v_cmp_nlt_f32_e32 vcc_lo, 0x42b17218, v37
	v_cndmask_b32_e32 v39, 0x7f800000, v38, vcc_lo
	v_add_f32_e32 v40, 1.0, v39
	v_cvt_f64_f32_e32 v[37:38], v40
	v_frexp_exp_i32_f64_e32 v37, v[37:38]
	v_frexp_mant_f32_e32 v38, v40
	v_cmp_gt_f32_e32 vcc_lo, 0x3f2aaaab, v38
	v_add_f32_e32 v38, -1.0, v40
	v_sub_f32_e32 v42, v38, v40
	v_sub_f32_e32 v38, v39, v38
	v_add_f32_e32 v42, 1.0, v42
	v_add_f32_e32 v38, v38, v42
	v_subrev_co_ci_u32_e64 v37, null, 0, v37, vcc_lo
	v_cmp_neq_f32_e32 vcc_lo, 0x7f800000, v39
	v_sub_nc_u32_e32 v41, 0, v37
	v_cvt_f32_i32_e32 v37, v37
	v_ldexp_f32 v40, v40, v41
	v_ldexp_f32 v38, v38, v41
	v_add_f32_e32 v43, 1.0, v40
	v_add_f32_e32 v41, -1.0, v40
	v_add_f32_e32 v42, -1.0, v43
	v_add_f32_e32 v44, 1.0, v41
	v_sub_f32_e32 v42, v40, v42
	v_sub_f32_e32 v40, v40, v44
	v_add_f32_e32 v42, v38, v42
	v_add_f32_e32 v38, v38, v40
	;; [unrolled: 1-line block ×4, first 2 shown]
	v_rcp_f32_e32 v40, v44
	v_sub_f32_e32 v43, v43, v44
	v_sub_f32_e32 v41, v41, v45
	v_add_f32_e32 v42, v42, v43
	v_add_f32_e32 v38, v38, v41
	v_mul_f32_e32 v46, v45, v40
	v_mul_f32_e32 v47, v44, v46
	v_fma_f32 v43, v46, v44, -v47
	v_fmac_f32_e32 v43, v46, v42
	v_add_f32_e32 v48, v47, v43
	v_sub_f32_e32 v49, v45, v48
	v_sub_f32_e32 v41, v48, v47
	;; [unrolled: 1-line block ×5, first 2 shown]
	v_add_f32_e32 v38, v38, v45
	v_add_f32_e32 v38, v41, v38
	;; [unrolled: 1-line block ×3, first 2 shown]
	v_mul_f32_e32 v43, v40, v41
	v_sub_f32_e32 v48, v49, v41
	v_mul_f32_e32 v45, v44, v43
	v_add_f32_e32 v38, v38, v48
	v_fma_f32 v44, v43, v44, -v45
	v_fmac_f32_e32 v44, v43, v42
	v_add_f32_e32 v42, v45, v44
	v_sub_f32_e32 v47, v41, v42
	v_sub_f32_e32 v45, v42, v45
	;; [unrolled: 1-line block ×5, first 2 shown]
	v_add_f32_e32 v38, v38, v41
	v_add_f32_e32 v41, v46, v43
	;; [unrolled: 1-line block ×3, first 2 shown]
	v_sub_f32_e32 v42, v41, v46
	v_add_f32_e32 v38, v47, v38
	v_sub_f32_e32 v42, v43, v42
	v_mul_f32_e32 v38, v40, v38
	v_add_f32_e32 v38, v42, v38
	v_add_f32_e32 v40, v41, v38
	v_mul_f32_e32 v42, v40, v40
	v_fmaak_f32 v43, s21, v42, 0x3ecc95a3
	v_mul_f32_e32 v44, v40, v42
	v_fmaak_f32 v42, v42, v43, 0x3f2aaada
	v_ldexp_f32 v43, v40, 1
	v_sub_f32_e32 v40, v40, v41
	v_mul_f32_e32 v42, v44, v42
	v_mul_f32_e32 v44, 0x3f317218, v37
	v_sub_f32_e32 v38, v38, v40
	v_add_f32_e32 v41, v43, v42
	v_ldexp_f32 v38, v38, 1
	v_sub_f32_e32 v40, v41, v43
	v_fma_f32 v43, 0x3f317218, v37, -v44
	v_sub_f32_e32 v40, v42, v40
	v_fmamk_f32 v37, v37, 0xb102e308, v43
	v_add_f32_e32 v38, v38, v40
	v_add_f32_e32 v40, v44, v37
	;; [unrolled: 1-line block ×3, first 2 shown]
	v_sub_f32_e32 v44, v40, v44
	v_add_f32_e32 v43, v40, v42
	v_sub_f32_e32 v41, v42, v41
	v_sub_f32_e32 v37, v37, v44
	;; [unrolled: 1-line block ×6, first 2 shown]
	v_add_f32_e32 v42, v37, v38
	v_sub_f32_e32 v40, v40, v46
	v_add_f32_e32 v40, v41, v40
	v_sub_f32_e32 v41, v42, v37
	;; [unrolled: 2-line block ×3, first 2 shown]
	v_sub_f32_e32 v38, v38, v41
	v_add_f32_e32 v44, v43, v40
	v_sub_f32_e32 v37, v37, v42
	v_sub_f32_e32 v41, v44, v43
	v_add_f32_e32 v37, v38, v37
	v_sub_f32_e32 v38, v40, v41
	v_add_f32_e32 v37, v37, v38
	v_add_f32_e32 v37, v44, v37
	v_cndmask_b32_e32 v37, 0x7f800000, v37, vcc_lo
	v_cmp_gt_f32_e64 vcc_lo, 0x33800000, |v39|
	v_cndmask_b32_e32 v37, v37, v39, vcc_lo
	v_add_f32_e32 v37, v36, v37
.LBB511_210:
	s_or_b32 exec_lo, exec_lo, s20
	v_bfe_u32 v36, v37, 16, 1
	v_cmp_o_f32_e32 vcc_lo, v37, v37
	v_add3_u32 v36, v37, v36, 0x7fff
	v_mov_b32_e32 v37, 0x7fc0
	v_cndmask_b32_sdwa v36, v37, v36, vcc_lo dst_sel:DWORD dst_unused:UNUSED_PAD src0_sel:DWORD src1_sel:WORD_1
	v_and_b32_e32 v37, 0xffff, v36
.LBB511_211:
	s_or_b32 exec_lo, exec_lo, s17
	v_mov_b32_dpp v38, v37 row_shr:2 row_mask:0xf bank_mask:0xf
	s_mov_b32 s17, exec_lo
	v_cmpx_lt_u32_e32 1, v35
	s_cbranch_execz .LBB511_215
; %bb.212:
	v_lshlrev_b32_e32 v36, 16, v37
	v_lshlrev_b32_e32 v37, 16, v38
	v_max_f32_e32 v38, v36, v36
	v_max_f32_e32 v39, v37, v37
	v_cmp_u_f32_e32 vcc_lo, v37, v37
	v_min_f32_e32 v40, v39, v38
	v_max_f32_e32 v38, v39, v38
	v_cndmask_b32_e32 v39, v40, v37, vcc_lo
	v_cndmask_b32_e32 v40, v38, v37, vcc_lo
	v_cmp_u_f32_e32 vcc_lo, v36, v36
	v_cndmask_b32_e32 v38, v39, v36, vcc_lo
	v_cndmask_b32_e32 v36, v40, v36, vcc_lo
	v_cmp_class_f32_e64 s20, v38, 0x1f8
	v_cmp_neq_f32_e32 vcc_lo, v38, v36
	s_or_b32 s21, vcc_lo, s20
	s_and_saveexec_b32 s20, s21
	s_cbranch_execz .LBB511_214
; %bb.213:
	v_sub_f32_e32 v37, v38, v36
	s_mov_b32 s21, 0x3e9b6dac
	v_mul_f32_e32 v38, 0x3fb8aa3b, v37
	v_cmp_ngt_f32_e32 vcc_lo, 0xc2ce8ed0, v37
	v_fma_f32 v39, 0x3fb8aa3b, v37, -v38
	v_rndne_f32_e32 v40, v38
	v_fmamk_f32 v39, v37, 0x32a5705f, v39
	v_sub_f32_e32 v38, v38, v40
	v_add_f32_e32 v38, v38, v39
	v_cvt_i32_f32_e32 v39, v40
	v_exp_f32_e32 v38, v38
	v_ldexp_f32 v38, v38, v39
	v_cndmask_b32_e32 v38, 0, v38, vcc_lo
	v_cmp_nlt_f32_e32 vcc_lo, 0x42b17218, v37
	v_cndmask_b32_e32 v39, 0x7f800000, v38, vcc_lo
	v_add_f32_e32 v40, 1.0, v39
	v_cvt_f64_f32_e32 v[37:38], v40
	v_frexp_exp_i32_f64_e32 v37, v[37:38]
	v_frexp_mant_f32_e32 v38, v40
	v_cmp_gt_f32_e32 vcc_lo, 0x3f2aaaab, v38
	v_add_f32_e32 v38, -1.0, v40
	v_sub_f32_e32 v42, v38, v40
	v_sub_f32_e32 v38, v39, v38
	v_add_f32_e32 v42, 1.0, v42
	v_add_f32_e32 v38, v38, v42
	v_subrev_co_ci_u32_e64 v37, null, 0, v37, vcc_lo
	v_cmp_neq_f32_e32 vcc_lo, 0x7f800000, v39
	v_sub_nc_u32_e32 v41, 0, v37
	v_cvt_f32_i32_e32 v37, v37
	v_ldexp_f32 v40, v40, v41
	v_ldexp_f32 v38, v38, v41
	v_add_f32_e32 v43, 1.0, v40
	v_add_f32_e32 v41, -1.0, v40
	v_add_f32_e32 v42, -1.0, v43
	v_add_f32_e32 v44, 1.0, v41
	v_sub_f32_e32 v42, v40, v42
	v_sub_f32_e32 v40, v40, v44
	v_add_f32_e32 v42, v38, v42
	v_add_f32_e32 v38, v38, v40
	;; [unrolled: 1-line block ×4, first 2 shown]
	v_rcp_f32_e32 v40, v44
	v_sub_f32_e32 v43, v43, v44
	v_sub_f32_e32 v41, v41, v45
	v_add_f32_e32 v42, v42, v43
	v_add_f32_e32 v38, v38, v41
	v_mul_f32_e32 v46, v45, v40
	v_mul_f32_e32 v47, v44, v46
	v_fma_f32 v43, v46, v44, -v47
	v_fmac_f32_e32 v43, v46, v42
	v_add_f32_e32 v48, v47, v43
	v_sub_f32_e32 v49, v45, v48
	v_sub_f32_e32 v41, v48, v47
	;; [unrolled: 1-line block ×5, first 2 shown]
	v_add_f32_e32 v38, v38, v45
	v_add_f32_e32 v38, v41, v38
	;; [unrolled: 1-line block ×3, first 2 shown]
	v_mul_f32_e32 v43, v40, v41
	v_sub_f32_e32 v48, v49, v41
	v_mul_f32_e32 v45, v44, v43
	v_add_f32_e32 v38, v38, v48
	v_fma_f32 v44, v43, v44, -v45
	v_fmac_f32_e32 v44, v43, v42
	v_add_f32_e32 v42, v45, v44
	v_sub_f32_e32 v47, v41, v42
	v_sub_f32_e32 v45, v42, v45
	;; [unrolled: 1-line block ×5, first 2 shown]
	v_add_f32_e32 v38, v38, v41
	v_add_f32_e32 v41, v46, v43
	;; [unrolled: 1-line block ×3, first 2 shown]
	v_sub_f32_e32 v42, v41, v46
	v_add_f32_e32 v38, v47, v38
	v_sub_f32_e32 v42, v43, v42
	v_mul_f32_e32 v38, v40, v38
	v_add_f32_e32 v38, v42, v38
	v_add_f32_e32 v40, v41, v38
	v_mul_f32_e32 v42, v40, v40
	v_fmaak_f32 v43, s21, v42, 0x3ecc95a3
	v_mul_f32_e32 v44, v40, v42
	v_fmaak_f32 v42, v42, v43, 0x3f2aaada
	v_ldexp_f32 v43, v40, 1
	v_sub_f32_e32 v40, v40, v41
	v_mul_f32_e32 v42, v44, v42
	v_mul_f32_e32 v44, 0x3f317218, v37
	v_sub_f32_e32 v38, v38, v40
	v_add_f32_e32 v41, v43, v42
	v_ldexp_f32 v38, v38, 1
	v_sub_f32_e32 v40, v41, v43
	v_fma_f32 v43, 0x3f317218, v37, -v44
	v_sub_f32_e32 v40, v42, v40
	v_fmamk_f32 v37, v37, 0xb102e308, v43
	v_add_f32_e32 v38, v38, v40
	v_add_f32_e32 v40, v44, v37
	;; [unrolled: 1-line block ×3, first 2 shown]
	v_sub_f32_e32 v44, v40, v44
	v_add_f32_e32 v43, v40, v42
	v_sub_f32_e32 v41, v42, v41
	v_sub_f32_e32 v37, v37, v44
	;; [unrolled: 1-line block ×6, first 2 shown]
	v_add_f32_e32 v42, v37, v38
	v_sub_f32_e32 v40, v40, v46
	v_add_f32_e32 v40, v41, v40
	v_sub_f32_e32 v41, v42, v37
	;; [unrolled: 2-line block ×3, first 2 shown]
	v_sub_f32_e32 v38, v38, v41
	v_add_f32_e32 v44, v43, v40
	v_sub_f32_e32 v37, v37, v42
	v_sub_f32_e32 v41, v44, v43
	v_add_f32_e32 v37, v38, v37
	v_sub_f32_e32 v38, v40, v41
	v_add_f32_e32 v37, v37, v38
	v_add_f32_e32 v37, v44, v37
	v_cndmask_b32_e32 v37, 0x7f800000, v37, vcc_lo
	v_cmp_gt_f32_e64 vcc_lo, 0x33800000, |v39|
	v_cndmask_b32_e32 v37, v37, v39, vcc_lo
	v_add_f32_e32 v37, v36, v37
.LBB511_214:
	s_or_b32 exec_lo, exec_lo, s20
	v_bfe_u32 v36, v37, 16, 1
	v_cmp_o_f32_e32 vcc_lo, v37, v37
	v_add3_u32 v36, v37, v36, 0x7fff
	v_mov_b32_e32 v37, 0x7fc0
	v_cndmask_b32_sdwa v36, v37, v36, vcc_lo dst_sel:DWORD dst_unused:UNUSED_PAD src0_sel:DWORD src1_sel:WORD_1
	v_and_b32_e32 v37, 0xffff, v36
.LBB511_215:
	s_or_b32 exec_lo, exec_lo, s17
	v_mov_b32_dpp v38, v37 row_shr:4 row_mask:0xf bank_mask:0xf
	s_mov_b32 s17, exec_lo
	v_cmpx_lt_u32_e32 3, v35
	s_cbranch_execz .LBB511_219
; %bb.216:
	v_lshlrev_b32_e32 v36, 16, v37
	v_lshlrev_b32_e32 v37, 16, v38
	v_max_f32_e32 v38, v36, v36
	v_max_f32_e32 v39, v37, v37
	v_cmp_u_f32_e32 vcc_lo, v37, v37
	v_min_f32_e32 v40, v39, v38
	v_max_f32_e32 v38, v39, v38
	v_cndmask_b32_e32 v39, v40, v37, vcc_lo
	v_cndmask_b32_e32 v40, v38, v37, vcc_lo
	v_cmp_u_f32_e32 vcc_lo, v36, v36
	v_cndmask_b32_e32 v38, v39, v36, vcc_lo
	v_cndmask_b32_e32 v36, v40, v36, vcc_lo
	v_cmp_class_f32_e64 s20, v38, 0x1f8
	v_cmp_neq_f32_e32 vcc_lo, v38, v36
	s_or_b32 s21, vcc_lo, s20
	s_and_saveexec_b32 s20, s21
	s_cbranch_execz .LBB511_218
; %bb.217:
	v_sub_f32_e32 v37, v38, v36
	s_mov_b32 s21, 0x3e9b6dac
	v_mul_f32_e32 v38, 0x3fb8aa3b, v37
	v_cmp_ngt_f32_e32 vcc_lo, 0xc2ce8ed0, v37
	v_fma_f32 v39, 0x3fb8aa3b, v37, -v38
	v_rndne_f32_e32 v40, v38
	v_fmamk_f32 v39, v37, 0x32a5705f, v39
	v_sub_f32_e32 v38, v38, v40
	v_add_f32_e32 v38, v38, v39
	v_cvt_i32_f32_e32 v39, v40
	v_exp_f32_e32 v38, v38
	v_ldexp_f32 v38, v38, v39
	v_cndmask_b32_e32 v38, 0, v38, vcc_lo
	v_cmp_nlt_f32_e32 vcc_lo, 0x42b17218, v37
	v_cndmask_b32_e32 v39, 0x7f800000, v38, vcc_lo
	v_add_f32_e32 v40, 1.0, v39
	v_cvt_f64_f32_e32 v[37:38], v40
	v_frexp_exp_i32_f64_e32 v37, v[37:38]
	v_frexp_mant_f32_e32 v38, v40
	v_cmp_gt_f32_e32 vcc_lo, 0x3f2aaaab, v38
	v_add_f32_e32 v38, -1.0, v40
	v_sub_f32_e32 v42, v38, v40
	v_sub_f32_e32 v38, v39, v38
	v_add_f32_e32 v42, 1.0, v42
	v_add_f32_e32 v38, v38, v42
	v_subrev_co_ci_u32_e64 v37, null, 0, v37, vcc_lo
	v_cmp_neq_f32_e32 vcc_lo, 0x7f800000, v39
	v_sub_nc_u32_e32 v41, 0, v37
	v_cvt_f32_i32_e32 v37, v37
	v_ldexp_f32 v40, v40, v41
	v_ldexp_f32 v38, v38, v41
	v_add_f32_e32 v43, 1.0, v40
	v_add_f32_e32 v41, -1.0, v40
	v_add_f32_e32 v42, -1.0, v43
	v_add_f32_e32 v44, 1.0, v41
	v_sub_f32_e32 v42, v40, v42
	v_sub_f32_e32 v40, v40, v44
	v_add_f32_e32 v42, v38, v42
	v_add_f32_e32 v38, v38, v40
	;; [unrolled: 1-line block ×4, first 2 shown]
	v_rcp_f32_e32 v40, v44
	v_sub_f32_e32 v43, v43, v44
	v_sub_f32_e32 v41, v41, v45
	v_add_f32_e32 v42, v42, v43
	v_add_f32_e32 v38, v38, v41
	v_mul_f32_e32 v46, v45, v40
	v_mul_f32_e32 v47, v44, v46
	v_fma_f32 v43, v46, v44, -v47
	v_fmac_f32_e32 v43, v46, v42
	v_add_f32_e32 v48, v47, v43
	v_sub_f32_e32 v49, v45, v48
	v_sub_f32_e32 v41, v48, v47
	;; [unrolled: 1-line block ×5, first 2 shown]
	v_add_f32_e32 v38, v38, v45
	v_add_f32_e32 v38, v41, v38
	;; [unrolled: 1-line block ×3, first 2 shown]
	v_mul_f32_e32 v43, v40, v41
	v_sub_f32_e32 v48, v49, v41
	v_mul_f32_e32 v45, v44, v43
	v_add_f32_e32 v38, v38, v48
	v_fma_f32 v44, v43, v44, -v45
	v_fmac_f32_e32 v44, v43, v42
	v_add_f32_e32 v42, v45, v44
	v_sub_f32_e32 v47, v41, v42
	v_sub_f32_e32 v45, v42, v45
	;; [unrolled: 1-line block ×5, first 2 shown]
	v_add_f32_e32 v38, v38, v41
	v_add_f32_e32 v41, v46, v43
	;; [unrolled: 1-line block ×3, first 2 shown]
	v_sub_f32_e32 v42, v41, v46
	v_add_f32_e32 v38, v47, v38
	v_sub_f32_e32 v42, v43, v42
	v_mul_f32_e32 v38, v40, v38
	v_add_f32_e32 v38, v42, v38
	v_add_f32_e32 v40, v41, v38
	v_mul_f32_e32 v42, v40, v40
	v_fmaak_f32 v43, s21, v42, 0x3ecc95a3
	v_mul_f32_e32 v44, v40, v42
	v_fmaak_f32 v42, v42, v43, 0x3f2aaada
	v_ldexp_f32 v43, v40, 1
	v_sub_f32_e32 v40, v40, v41
	v_mul_f32_e32 v42, v44, v42
	v_mul_f32_e32 v44, 0x3f317218, v37
	v_sub_f32_e32 v38, v38, v40
	v_add_f32_e32 v41, v43, v42
	v_ldexp_f32 v38, v38, 1
	v_sub_f32_e32 v40, v41, v43
	v_fma_f32 v43, 0x3f317218, v37, -v44
	v_sub_f32_e32 v40, v42, v40
	v_fmamk_f32 v37, v37, 0xb102e308, v43
	v_add_f32_e32 v38, v38, v40
	v_add_f32_e32 v40, v44, v37
	v_add_f32_e32 v42, v41, v38
	v_sub_f32_e32 v44, v40, v44
	v_add_f32_e32 v43, v40, v42
	v_sub_f32_e32 v41, v42, v41
	v_sub_f32_e32 v37, v37, v44
	;; [unrolled: 1-line block ×6, first 2 shown]
	v_add_f32_e32 v42, v37, v38
	v_sub_f32_e32 v40, v40, v46
	v_add_f32_e32 v40, v41, v40
	v_sub_f32_e32 v41, v42, v37
	;; [unrolled: 2-line block ×3, first 2 shown]
	v_sub_f32_e32 v38, v38, v41
	v_add_f32_e32 v44, v43, v40
	v_sub_f32_e32 v37, v37, v42
	v_sub_f32_e32 v41, v44, v43
	v_add_f32_e32 v37, v38, v37
	v_sub_f32_e32 v38, v40, v41
	v_add_f32_e32 v37, v37, v38
	v_add_f32_e32 v37, v44, v37
	v_cndmask_b32_e32 v37, 0x7f800000, v37, vcc_lo
	v_cmp_gt_f32_e64 vcc_lo, 0x33800000, |v39|
	v_cndmask_b32_e32 v37, v37, v39, vcc_lo
	v_add_f32_e32 v37, v36, v37
.LBB511_218:
	s_or_b32 exec_lo, exec_lo, s20
	v_bfe_u32 v36, v37, 16, 1
	v_cmp_o_f32_e32 vcc_lo, v37, v37
	v_add3_u32 v36, v37, v36, 0x7fff
	v_mov_b32_e32 v37, 0x7fc0
	v_cndmask_b32_sdwa v36, v37, v36, vcc_lo dst_sel:DWORD dst_unused:UNUSED_PAD src0_sel:DWORD src1_sel:WORD_1
	v_and_b32_e32 v37, 0xffff, v36
.LBB511_219:
	s_or_b32 exec_lo, exec_lo, s17
	v_mov_b32_dpp v38, v37 row_shr:8 row_mask:0xf bank_mask:0xf
	s_mov_b32 s17, exec_lo
	v_cmpx_lt_u32_e32 7, v35
	s_cbranch_execz .LBB511_223
; %bb.220:
	v_lshlrev_b32_e32 v35, 16, v37
	v_lshlrev_b32_e32 v36, 16, v38
	v_max_f32_e32 v37, v35, v35
	v_max_f32_e32 v38, v36, v36
	v_cmp_u_f32_e32 vcc_lo, v36, v36
	v_min_f32_e32 v39, v38, v37
	v_max_f32_e32 v37, v38, v37
	v_cndmask_b32_e32 v38, v39, v36, vcc_lo
	v_cndmask_b32_e32 v39, v37, v36, vcc_lo
	v_cmp_u_f32_e32 vcc_lo, v35, v35
	v_cndmask_b32_e32 v37, v38, v35, vcc_lo
	v_cndmask_b32_e32 v35, v39, v35, vcc_lo
	v_cmp_class_f32_e64 s20, v37, 0x1f8
	v_cmp_neq_f32_e32 vcc_lo, v37, v35
	s_or_b32 s21, vcc_lo, s20
	s_and_saveexec_b32 s20, s21
	s_cbranch_execz .LBB511_222
; %bb.221:
	v_sub_f32_e32 v36, v37, v35
	s_mov_b32 s21, 0x3e9b6dac
	v_mul_f32_e32 v37, 0x3fb8aa3b, v36
	v_cmp_ngt_f32_e32 vcc_lo, 0xc2ce8ed0, v36
	v_fma_f32 v38, 0x3fb8aa3b, v36, -v37
	v_rndne_f32_e32 v39, v37
	v_fmamk_f32 v38, v36, 0x32a5705f, v38
	v_sub_f32_e32 v37, v37, v39
	v_add_f32_e32 v37, v37, v38
	v_cvt_i32_f32_e32 v38, v39
	v_exp_f32_e32 v37, v37
	v_ldexp_f32 v37, v37, v38
	v_cndmask_b32_e32 v37, 0, v37, vcc_lo
	v_cmp_nlt_f32_e32 vcc_lo, 0x42b17218, v36
	v_cndmask_b32_e32 v38, 0x7f800000, v37, vcc_lo
	v_add_f32_e32 v39, 1.0, v38
	v_cvt_f64_f32_e32 v[36:37], v39
	v_frexp_exp_i32_f64_e32 v36, v[36:37]
	v_frexp_mant_f32_e32 v37, v39
	v_cmp_gt_f32_e32 vcc_lo, 0x3f2aaaab, v37
	v_add_f32_e32 v37, -1.0, v39
	v_sub_f32_e32 v41, v37, v39
	v_sub_f32_e32 v37, v38, v37
	v_add_f32_e32 v41, 1.0, v41
	v_add_f32_e32 v37, v37, v41
	v_subrev_co_ci_u32_e64 v36, null, 0, v36, vcc_lo
	v_cmp_neq_f32_e32 vcc_lo, 0x7f800000, v38
	v_sub_nc_u32_e32 v40, 0, v36
	v_cvt_f32_i32_e32 v36, v36
	v_ldexp_f32 v39, v39, v40
	v_ldexp_f32 v37, v37, v40
	v_add_f32_e32 v42, 1.0, v39
	v_add_f32_e32 v40, -1.0, v39
	v_add_f32_e32 v41, -1.0, v42
	v_add_f32_e32 v43, 1.0, v40
	v_sub_f32_e32 v41, v39, v41
	v_sub_f32_e32 v39, v39, v43
	v_add_f32_e32 v41, v37, v41
	v_add_f32_e32 v37, v37, v39
	;; [unrolled: 1-line block ×4, first 2 shown]
	v_rcp_f32_e32 v39, v43
	v_sub_f32_e32 v42, v42, v43
	v_sub_f32_e32 v40, v40, v44
	v_add_f32_e32 v41, v41, v42
	v_add_f32_e32 v37, v37, v40
	v_mul_f32_e32 v45, v44, v39
	v_mul_f32_e32 v46, v43, v45
	v_fma_f32 v42, v45, v43, -v46
	v_fmac_f32_e32 v42, v45, v41
	v_add_f32_e32 v47, v46, v42
	v_sub_f32_e32 v48, v44, v47
	v_sub_f32_e32 v40, v47, v46
	;; [unrolled: 1-line block ×5, first 2 shown]
	v_add_f32_e32 v37, v37, v44
	v_add_f32_e32 v37, v40, v37
	;; [unrolled: 1-line block ×3, first 2 shown]
	v_mul_f32_e32 v42, v39, v40
	v_sub_f32_e32 v47, v48, v40
	v_mul_f32_e32 v44, v43, v42
	v_add_f32_e32 v37, v37, v47
	v_fma_f32 v43, v42, v43, -v44
	v_fmac_f32_e32 v43, v42, v41
	v_add_f32_e32 v41, v44, v43
	v_sub_f32_e32 v46, v40, v41
	v_sub_f32_e32 v44, v41, v44
	;; [unrolled: 1-line block ×5, first 2 shown]
	v_add_f32_e32 v37, v37, v40
	v_add_f32_e32 v40, v45, v42
	;; [unrolled: 1-line block ×3, first 2 shown]
	v_sub_f32_e32 v41, v40, v45
	v_add_f32_e32 v37, v46, v37
	v_sub_f32_e32 v41, v42, v41
	v_mul_f32_e32 v37, v39, v37
	v_add_f32_e32 v37, v41, v37
	v_add_f32_e32 v39, v40, v37
	v_mul_f32_e32 v41, v39, v39
	v_fmaak_f32 v42, s21, v41, 0x3ecc95a3
	v_mul_f32_e32 v43, v39, v41
	v_fmaak_f32 v41, v41, v42, 0x3f2aaada
	v_ldexp_f32 v42, v39, 1
	v_sub_f32_e32 v39, v39, v40
	v_mul_f32_e32 v41, v43, v41
	v_mul_f32_e32 v43, 0x3f317218, v36
	v_sub_f32_e32 v37, v37, v39
	v_add_f32_e32 v40, v42, v41
	v_ldexp_f32 v37, v37, 1
	v_sub_f32_e32 v39, v40, v42
	v_fma_f32 v42, 0x3f317218, v36, -v43
	v_sub_f32_e32 v39, v41, v39
	v_fmamk_f32 v36, v36, 0xb102e308, v42
	v_add_f32_e32 v37, v37, v39
	v_add_f32_e32 v39, v43, v36
	;; [unrolled: 1-line block ×3, first 2 shown]
	v_sub_f32_e32 v43, v39, v43
	v_add_f32_e32 v42, v39, v41
	v_sub_f32_e32 v40, v41, v40
	v_sub_f32_e32 v36, v36, v43
	;; [unrolled: 1-line block ×6, first 2 shown]
	v_add_f32_e32 v41, v36, v37
	v_sub_f32_e32 v39, v39, v45
	v_add_f32_e32 v39, v40, v39
	v_sub_f32_e32 v40, v41, v36
	;; [unrolled: 2-line block ×3, first 2 shown]
	v_sub_f32_e32 v37, v37, v40
	v_add_f32_e32 v43, v42, v39
	v_sub_f32_e32 v36, v36, v41
	v_sub_f32_e32 v40, v43, v42
	v_add_f32_e32 v36, v37, v36
	v_sub_f32_e32 v37, v39, v40
	v_add_f32_e32 v36, v36, v37
	v_add_f32_e32 v36, v43, v36
	v_cndmask_b32_e32 v36, 0x7f800000, v36, vcc_lo
	v_cmp_gt_f32_e64 vcc_lo, 0x33800000, |v38|
	v_cndmask_b32_e32 v36, v36, v38, vcc_lo
	v_add_f32_e32 v36, v35, v36
.LBB511_222:
	s_or_b32 exec_lo, exec_lo, s20
	v_bfe_u32 v35, v36, 16, 1
	v_cmp_o_f32_e32 vcc_lo, v36, v36
	v_add3_u32 v35, v36, v35, 0x7fff
	v_mov_b32_e32 v36, 0x7fc0
	v_cndmask_b32_sdwa v36, v36, v35, vcc_lo dst_sel:DWORD dst_unused:UNUSED_PAD src0_sel:DWORD src1_sel:WORD_1
	v_and_b32_e32 v37, 0xffff, v36
.LBB511_223:
	s_or_b32 exec_lo, exec_lo, s17
	ds_swizzle_b32 v35, v37 offset:swizzle(BROADCAST,32,15)
	v_and_b32_e32 v38, 16, v34
	s_mov_b32 s17, exec_lo
	v_cmpx_ne_u32_e32 0, v38
	s_cbranch_execz .LBB511_227
; %bb.224:
	v_lshlrev_b32_e32 v38, 16, v37
	s_waitcnt lgkmcnt(0)
	v_lshlrev_b32_e32 v36, 16, v35
	v_max_f32_e32 v35, v38, v38
	v_max_f32_e32 v37, v36, v36
	v_cmp_u_f32_e32 vcc_lo, v36, v36
	v_min_f32_e32 v39, v37, v35
	v_max_f32_e32 v35, v37, v35
	v_cndmask_b32_e32 v37, v39, v36, vcc_lo
	v_cndmask_b32_e32 v35, v35, v36, vcc_lo
	v_cmp_u_f32_e32 vcc_lo, v38, v38
	v_cndmask_b32_e32 v37, v37, v38, vcc_lo
	v_cndmask_b32_e32 v35, v35, v38, vcc_lo
	v_cmp_class_f32_e64 s20, v37, 0x1f8
	v_cmp_neq_f32_e32 vcc_lo, v37, v35
	s_or_b32 s21, vcc_lo, s20
	s_and_saveexec_b32 s20, s21
	s_cbranch_execz .LBB511_226
; %bb.225:
	v_sub_f32_e32 v36, v37, v35
	s_mov_b32 s21, 0x3e9b6dac
	v_mul_f32_e32 v37, 0x3fb8aa3b, v36
	v_cmp_ngt_f32_e32 vcc_lo, 0xc2ce8ed0, v36
	v_fma_f32 v38, 0x3fb8aa3b, v36, -v37
	v_rndne_f32_e32 v39, v37
	v_fmamk_f32 v38, v36, 0x32a5705f, v38
	v_sub_f32_e32 v37, v37, v39
	v_add_f32_e32 v37, v37, v38
	v_cvt_i32_f32_e32 v38, v39
	v_exp_f32_e32 v37, v37
	v_ldexp_f32 v37, v37, v38
	v_cndmask_b32_e32 v37, 0, v37, vcc_lo
	v_cmp_nlt_f32_e32 vcc_lo, 0x42b17218, v36
	v_cndmask_b32_e32 v38, 0x7f800000, v37, vcc_lo
	v_add_f32_e32 v39, 1.0, v38
	v_cvt_f64_f32_e32 v[36:37], v39
	v_frexp_exp_i32_f64_e32 v36, v[36:37]
	v_frexp_mant_f32_e32 v37, v39
	v_cmp_gt_f32_e32 vcc_lo, 0x3f2aaaab, v37
	v_add_f32_e32 v37, -1.0, v39
	v_sub_f32_e32 v41, v37, v39
	v_sub_f32_e32 v37, v38, v37
	v_add_f32_e32 v41, 1.0, v41
	v_add_f32_e32 v37, v37, v41
	v_subrev_co_ci_u32_e64 v36, null, 0, v36, vcc_lo
	v_cmp_neq_f32_e32 vcc_lo, 0x7f800000, v38
	v_sub_nc_u32_e32 v40, 0, v36
	v_cvt_f32_i32_e32 v36, v36
	v_ldexp_f32 v39, v39, v40
	v_ldexp_f32 v37, v37, v40
	v_add_f32_e32 v42, 1.0, v39
	v_add_f32_e32 v40, -1.0, v39
	v_add_f32_e32 v41, -1.0, v42
	v_add_f32_e32 v43, 1.0, v40
	v_sub_f32_e32 v41, v39, v41
	v_sub_f32_e32 v39, v39, v43
	v_add_f32_e32 v41, v37, v41
	v_add_f32_e32 v37, v37, v39
	;; [unrolled: 1-line block ×4, first 2 shown]
	v_rcp_f32_e32 v39, v43
	v_sub_f32_e32 v42, v42, v43
	v_sub_f32_e32 v40, v40, v44
	v_add_f32_e32 v41, v41, v42
	v_add_f32_e32 v37, v37, v40
	v_mul_f32_e32 v45, v44, v39
	v_mul_f32_e32 v46, v43, v45
	v_fma_f32 v42, v45, v43, -v46
	v_fmac_f32_e32 v42, v45, v41
	v_add_f32_e32 v47, v46, v42
	v_sub_f32_e32 v48, v44, v47
	v_sub_f32_e32 v40, v47, v46
	;; [unrolled: 1-line block ×5, first 2 shown]
	v_add_f32_e32 v37, v37, v44
	v_add_f32_e32 v37, v40, v37
	;; [unrolled: 1-line block ×3, first 2 shown]
	v_mul_f32_e32 v42, v39, v40
	v_sub_f32_e32 v47, v48, v40
	v_mul_f32_e32 v44, v43, v42
	v_add_f32_e32 v37, v37, v47
	v_fma_f32 v43, v42, v43, -v44
	v_fmac_f32_e32 v43, v42, v41
	v_add_f32_e32 v41, v44, v43
	v_sub_f32_e32 v46, v40, v41
	v_sub_f32_e32 v44, v41, v44
	;; [unrolled: 1-line block ×5, first 2 shown]
	v_add_f32_e32 v37, v37, v40
	v_add_f32_e32 v40, v45, v42
	;; [unrolled: 1-line block ×3, first 2 shown]
	v_sub_f32_e32 v41, v40, v45
	v_add_f32_e32 v37, v46, v37
	v_sub_f32_e32 v41, v42, v41
	v_mul_f32_e32 v37, v39, v37
	v_add_f32_e32 v37, v41, v37
	v_add_f32_e32 v39, v40, v37
	v_mul_f32_e32 v41, v39, v39
	v_fmaak_f32 v42, s21, v41, 0x3ecc95a3
	v_mul_f32_e32 v43, v39, v41
	v_fmaak_f32 v41, v41, v42, 0x3f2aaada
	v_ldexp_f32 v42, v39, 1
	v_sub_f32_e32 v39, v39, v40
	v_mul_f32_e32 v41, v43, v41
	v_mul_f32_e32 v43, 0x3f317218, v36
	v_sub_f32_e32 v37, v37, v39
	v_add_f32_e32 v40, v42, v41
	v_ldexp_f32 v37, v37, 1
	v_sub_f32_e32 v39, v40, v42
	v_fma_f32 v42, 0x3f317218, v36, -v43
	v_sub_f32_e32 v39, v41, v39
	v_fmamk_f32 v36, v36, 0xb102e308, v42
	v_add_f32_e32 v37, v37, v39
	v_add_f32_e32 v39, v43, v36
	;; [unrolled: 1-line block ×3, first 2 shown]
	v_sub_f32_e32 v43, v39, v43
	v_add_f32_e32 v42, v39, v41
	v_sub_f32_e32 v40, v41, v40
	v_sub_f32_e32 v36, v36, v43
	;; [unrolled: 1-line block ×6, first 2 shown]
	v_add_f32_e32 v41, v36, v37
	v_sub_f32_e32 v39, v39, v45
	v_add_f32_e32 v39, v40, v39
	v_sub_f32_e32 v40, v41, v36
	;; [unrolled: 2-line block ×3, first 2 shown]
	v_sub_f32_e32 v37, v37, v40
	v_add_f32_e32 v43, v42, v39
	v_sub_f32_e32 v36, v36, v41
	v_sub_f32_e32 v40, v43, v42
	v_add_f32_e32 v36, v37, v36
	v_sub_f32_e32 v37, v39, v40
	v_add_f32_e32 v36, v36, v37
	v_add_f32_e32 v36, v43, v36
	v_cndmask_b32_e32 v36, 0x7f800000, v36, vcc_lo
	v_cmp_gt_f32_e64 vcc_lo, 0x33800000, |v38|
	v_cndmask_b32_e32 v36, v36, v38, vcc_lo
	v_add_f32_e32 v36, v35, v36
.LBB511_226:
	s_or_b32 exec_lo, exec_lo, s20
	v_bfe_u32 v35, v36, 16, 1
	v_cmp_o_f32_e32 vcc_lo, v36, v36
	v_add3_u32 v35, v36, v35, 0x7fff
	v_mov_b32_e32 v36, 0x7fc0
	v_cndmask_b32_sdwa v36, v36, v35, vcc_lo dst_sel:DWORD dst_unused:UNUSED_PAD src0_sel:DWORD src1_sel:WORD_1
.LBB511_227:
	s_or_b32 exec_lo, exec_lo, s17
	s_waitcnt lgkmcnt(0)
	v_add_nc_u32_e32 v35, -1, v34
	v_cmp_gt_i32_e32 vcc_lo, 0, v35
	v_cndmask_b32_e32 v34, v35, v34, vcc_lo
	v_and_b32_e32 v35, 0xffff, v36
	v_lshlrev_b32_e32 v34, 2, v34
	ds_bpermute_b32 v34, v34, v35
	s_waitcnt lgkmcnt(0)
	v_lshlrev_b32_e32 v34, 16, v34
	v_max_f32_e32 v35, v34, v34
	v_cmp_u_f32_e32 vcc_lo, v34, v34
	v_min_f32_e32 v36, v35, v33
	v_max_f32_e32 v33, v35, v33
	v_cndmask_b32_e32 v35, v36, v34, vcc_lo
	v_cndmask_b32_e32 v36, v33, v34, vcc_lo
	v_cndmask_b32_e64 v33, v35, v32, s15
	v_cndmask_b32_e64 v32, v36, v32, s15
	v_cmp_class_f32_e64 s15, v33, 0x1f8
	v_cmp_neq_f32_e32 vcc_lo, v33, v32
	s_or_b32 s17, vcc_lo, s15
	s_and_saveexec_b32 s15, s17
	s_cbranch_execz .LBB511_229
; %bb.228:
	v_sub_f32_e32 v33, v33, v32
	s_mov_b32 s17, 0x3e9b6dac
	v_mul_f32_e32 v34, 0x3fb8aa3b, v33
	v_cmp_ngt_f32_e32 vcc_lo, 0xc2ce8ed0, v33
	v_fma_f32 v35, 0x3fb8aa3b, v33, -v34
	v_rndne_f32_e32 v36, v34
	v_fmamk_f32 v35, v33, 0x32a5705f, v35
	v_sub_f32_e32 v34, v34, v36
	v_add_f32_e32 v34, v34, v35
	v_cvt_i32_f32_e32 v35, v36
	v_exp_f32_e32 v34, v34
	v_ldexp_f32 v34, v34, v35
	v_cndmask_b32_e32 v34, 0, v34, vcc_lo
	v_cmp_nlt_f32_e32 vcc_lo, 0x42b17218, v33
	v_cndmask_b32_e32 v35, 0x7f800000, v34, vcc_lo
	v_add_f32_e32 v36, 1.0, v35
	v_cvt_f64_f32_e32 v[33:34], v36
	v_frexp_exp_i32_f64_e32 v33, v[33:34]
	v_frexp_mant_f32_e32 v34, v36
	v_cmp_gt_f32_e32 vcc_lo, 0x3f2aaaab, v34
	v_add_f32_e32 v34, -1.0, v36
	v_sub_f32_e32 v38, v34, v36
	v_sub_f32_e32 v34, v35, v34
	v_add_f32_e32 v38, 1.0, v38
	v_add_f32_e32 v34, v34, v38
	v_subrev_co_ci_u32_e64 v33, null, 0, v33, vcc_lo
	v_cmp_neq_f32_e32 vcc_lo, 0x7f800000, v35
	v_sub_nc_u32_e32 v37, 0, v33
	v_cvt_f32_i32_e32 v33, v33
	v_ldexp_f32 v36, v36, v37
	v_ldexp_f32 v34, v34, v37
	v_add_f32_e32 v39, 1.0, v36
	v_add_f32_e32 v37, -1.0, v36
	v_add_f32_e32 v38, -1.0, v39
	v_add_f32_e32 v40, 1.0, v37
	v_sub_f32_e32 v38, v36, v38
	v_sub_f32_e32 v36, v36, v40
	v_add_f32_e32 v38, v34, v38
	v_add_f32_e32 v34, v34, v36
	;; [unrolled: 1-line block ×4, first 2 shown]
	v_rcp_f32_e32 v36, v40
	v_sub_f32_e32 v39, v39, v40
	v_sub_f32_e32 v37, v37, v41
	v_add_f32_e32 v38, v38, v39
	v_add_f32_e32 v34, v34, v37
	v_mul_f32_e32 v42, v41, v36
	v_mul_f32_e32 v43, v40, v42
	v_fma_f32 v39, v42, v40, -v43
	v_fmac_f32_e32 v39, v42, v38
	v_add_f32_e32 v44, v43, v39
	v_sub_f32_e32 v45, v41, v44
	v_sub_f32_e32 v37, v44, v43
	;; [unrolled: 1-line block ×5, first 2 shown]
	v_add_f32_e32 v34, v34, v41
	v_add_f32_e32 v34, v37, v34
	;; [unrolled: 1-line block ×3, first 2 shown]
	v_mul_f32_e32 v39, v36, v37
	v_sub_f32_e32 v44, v45, v37
	v_mul_f32_e32 v41, v40, v39
	v_add_f32_e32 v34, v34, v44
	v_fma_f32 v40, v39, v40, -v41
	v_fmac_f32_e32 v40, v39, v38
	v_add_f32_e32 v38, v41, v40
	v_sub_f32_e32 v43, v37, v38
	v_sub_f32_e32 v41, v38, v41
	;; [unrolled: 1-line block ×5, first 2 shown]
	v_add_f32_e32 v34, v34, v37
	v_add_f32_e32 v37, v42, v39
	;; [unrolled: 1-line block ×3, first 2 shown]
	v_sub_f32_e32 v38, v37, v42
	v_add_f32_e32 v34, v43, v34
	v_sub_f32_e32 v38, v39, v38
	v_mul_f32_e32 v34, v36, v34
	v_add_f32_e32 v34, v38, v34
	v_add_f32_e32 v36, v37, v34
	v_mul_f32_e32 v38, v36, v36
	v_fmaak_f32 v39, s17, v38, 0x3ecc95a3
	v_mul_f32_e32 v40, v36, v38
	v_fmaak_f32 v38, v38, v39, 0x3f2aaada
	v_ldexp_f32 v39, v36, 1
	v_sub_f32_e32 v36, v36, v37
	v_mul_f32_e32 v38, v40, v38
	v_mul_f32_e32 v40, 0x3f317218, v33
	v_sub_f32_e32 v34, v34, v36
	v_add_f32_e32 v37, v39, v38
	v_ldexp_f32 v34, v34, 1
	v_sub_f32_e32 v36, v37, v39
	v_fma_f32 v39, 0x3f317218, v33, -v40
	v_sub_f32_e32 v36, v38, v36
	v_fmamk_f32 v33, v33, 0xb102e308, v39
	v_add_f32_e32 v34, v34, v36
	v_add_f32_e32 v36, v40, v33
	;; [unrolled: 1-line block ×3, first 2 shown]
	v_sub_f32_e32 v40, v36, v40
	v_add_f32_e32 v39, v36, v38
	v_sub_f32_e32 v37, v38, v37
	v_sub_f32_e32 v33, v33, v40
	;; [unrolled: 1-line block ×6, first 2 shown]
	v_add_f32_e32 v38, v33, v34
	v_sub_f32_e32 v36, v36, v42
	v_add_f32_e32 v36, v37, v36
	v_sub_f32_e32 v37, v38, v33
	;; [unrolled: 2-line block ×3, first 2 shown]
	v_sub_f32_e32 v34, v34, v37
	v_add_f32_e32 v40, v39, v36
	v_sub_f32_e32 v33, v33, v38
	v_sub_f32_e32 v37, v40, v39
	v_add_f32_e32 v33, v34, v33
	v_sub_f32_e32 v34, v36, v37
	v_add_f32_e32 v33, v33, v34
	v_add_f32_e32 v33, v40, v33
	v_cndmask_b32_e32 v33, 0x7f800000, v33, vcc_lo
	v_cmp_gt_f32_e64 vcc_lo, 0x33800000, |v35|
	v_cndmask_b32_e32 v33, v33, v35, vcc_lo
	v_add_f32_e32 v34, v32, v33
.LBB511_229:
	s_or_b32 exec_lo, exec_lo, s15
	v_bfe_u32 v33, v34, 16, 1
	v_cmp_o_f32_e32 vcc_lo, v34, v34
	v_mov_b32_e32 v32, 0x7fc0
	; wave barrier
	v_add3_u32 v33, v34, v33, 0x7fff
	v_cndmask_b32_sdwa v33, v32, v33, vcc_lo dst_sel:DWORD dst_unused:UNUSED_PAD src0_sel:DWORD src1_sel:WORD_1
	v_cndmask_b32_e64 v31, v33, v31, s2
	ds_write_b16 v30, v31
	; wave barrier
	ds_read_u16 v34, v30 offset:2
	v_lshlrev_b32_e32 v33, 16, v31
	v_cmp_u_f32_e32 vcc_lo, v33, v33
	s_waitcnt lgkmcnt(0)
	v_lshlrev_b32_e32 v31, 16, v34
	v_max_f32_e32 v34, v33, v33
	v_max_f32_e32 v35, v31, v31
	v_min_f32_e32 v36, v34, v35
	v_max_f32_e32 v34, v34, v35
	v_cndmask_b32_e32 v35, v36, v33, vcc_lo
	v_cndmask_b32_e32 v36, v34, v33, vcc_lo
	v_cmp_u_f32_e32 vcc_lo, v31, v31
	v_cndmask_b32_e32 v34, v35, v31, vcc_lo
	v_cndmask_b32_e32 v31, v36, v31, vcc_lo
	v_cmp_class_f32_e64 s2, v34, 0x1f8
	v_cmp_neq_f32_e32 vcc_lo, v34, v31
	s_or_b32 s15, vcc_lo, s2
	s_and_saveexec_b32 s2, s15
	s_cbranch_execz .LBB511_231
; %bb.230:
	v_sub_f32_e32 v33, v34, v31
	s_mov_b32 s15, 0x3e9b6dac
	v_mul_f32_e32 v34, 0x3fb8aa3b, v33
	v_cmp_ngt_f32_e32 vcc_lo, 0xc2ce8ed0, v33
	v_fma_f32 v35, 0x3fb8aa3b, v33, -v34
	v_rndne_f32_e32 v36, v34
	v_fmamk_f32 v35, v33, 0x32a5705f, v35
	v_sub_f32_e32 v34, v34, v36
	v_add_f32_e32 v34, v34, v35
	v_cvt_i32_f32_e32 v35, v36
	v_exp_f32_e32 v34, v34
	v_ldexp_f32 v34, v34, v35
	v_cndmask_b32_e32 v34, 0, v34, vcc_lo
	v_cmp_nlt_f32_e32 vcc_lo, 0x42b17218, v33
	v_cndmask_b32_e32 v35, 0x7f800000, v34, vcc_lo
	v_add_f32_e32 v36, 1.0, v35
	v_cvt_f64_f32_e32 v[33:34], v36
	v_frexp_exp_i32_f64_e32 v33, v[33:34]
	v_frexp_mant_f32_e32 v34, v36
	v_cmp_gt_f32_e32 vcc_lo, 0x3f2aaaab, v34
	v_add_f32_e32 v34, -1.0, v36
	v_sub_f32_e32 v38, v34, v36
	v_sub_f32_e32 v34, v35, v34
	v_add_f32_e32 v38, 1.0, v38
	v_add_f32_e32 v34, v34, v38
	v_subrev_co_ci_u32_e64 v33, null, 0, v33, vcc_lo
	v_cmp_neq_f32_e32 vcc_lo, 0x7f800000, v35
	v_sub_nc_u32_e32 v37, 0, v33
	v_cvt_f32_i32_e32 v33, v33
	v_ldexp_f32 v36, v36, v37
	v_ldexp_f32 v34, v34, v37
	v_add_f32_e32 v39, 1.0, v36
	v_add_f32_e32 v37, -1.0, v36
	v_add_f32_e32 v38, -1.0, v39
	v_add_f32_e32 v40, 1.0, v37
	v_sub_f32_e32 v38, v36, v38
	v_sub_f32_e32 v36, v36, v40
	v_add_f32_e32 v38, v34, v38
	v_add_f32_e32 v34, v34, v36
	;; [unrolled: 1-line block ×4, first 2 shown]
	v_rcp_f32_e32 v36, v40
	v_sub_f32_e32 v39, v39, v40
	v_sub_f32_e32 v37, v37, v41
	v_add_f32_e32 v38, v38, v39
	v_add_f32_e32 v34, v34, v37
	v_mul_f32_e32 v42, v41, v36
	v_mul_f32_e32 v43, v40, v42
	v_fma_f32 v39, v42, v40, -v43
	v_fmac_f32_e32 v39, v42, v38
	v_add_f32_e32 v44, v43, v39
	v_sub_f32_e32 v45, v41, v44
	v_sub_f32_e32 v37, v44, v43
	;; [unrolled: 1-line block ×5, first 2 shown]
	v_add_f32_e32 v34, v34, v41
	v_add_f32_e32 v34, v37, v34
	;; [unrolled: 1-line block ×3, first 2 shown]
	v_mul_f32_e32 v39, v36, v37
	v_sub_f32_e32 v44, v45, v37
	v_mul_f32_e32 v41, v40, v39
	v_add_f32_e32 v34, v34, v44
	v_fma_f32 v40, v39, v40, -v41
	v_fmac_f32_e32 v40, v39, v38
	v_add_f32_e32 v38, v41, v40
	v_sub_f32_e32 v43, v37, v38
	v_sub_f32_e32 v41, v38, v41
	;; [unrolled: 1-line block ×5, first 2 shown]
	v_add_f32_e32 v34, v34, v37
	v_add_f32_e32 v37, v42, v39
	;; [unrolled: 1-line block ×3, first 2 shown]
	v_sub_f32_e32 v38, v37, v42
	v_add_f32_e32 v34, v43, v34
	v_sub_f32_e32 v38, v39, v38
	v_mul_f32_e32 v34, v36, v34
	v_add_f32_e32 v34, v38, v34
	v_add_f32_e32 v36, v37, v34
	v_mul_f32_e32 v38, v36, v36
	v_fmaak_f32 v39, s15, v38, 0x3ecc95a3
	v_mul_f32_e32 v40, v36, v38
	v_fmaak_f32 v38, v38, v39, 0x3f2aaada
	v_ldexp_f32 v39, v36, 1
	v_sub_f32_e32 v36, v36, v37
	v_mul_f32_e32 v38, v40, v38
	v_mul_f32_e32 v40, 0x3f317218, v33
	v_sub_f32_e32 v34, v34, v36
	v_add_f32_e32 v37, v39, v38
	v_ldexp_f32 v34, v34, 1
	v_sub_f32_e32 v36, v37, v39
	v_fma_f32 v39, 0x3f317218, v33, -v40
	v_sub_f32_e32 v36, v38, v36
	v_fmamk_f32 v33, v33, 0xb102e308, v39
	v_add_f32_e32 v34, v34, v36
	v_add_f32_e32 v36, v40, v33
	;; [unrolled: 1-line block ×3, first 2 shown]
	v_sub_f32_e32 v40, v36, v40
	v_add_f32_e32 v39, v36, v38
	v_sub_f32_e32 v37, v38, v37
	v_sub_f32_e32 v33, v33, v40
	v_sub_f32_e32 v41, v39, v36
	v_sub_f32_e32 v34, v34, v37
	v_sub_f32_e32 v42, v39, v41
	v_sub_f32_e32 v37, v38, v41
	v_add_f32_e32 v38, v33, v34
	v_sub_f32_e32 v36, v36, v42
	v_add_f32_e32 v36, v37, v36
	v_sub_f32_e32 v37, v38, v33
	;; [unrolled: 2-line block ×3, first 2 shown]
	v_sub_f32_e32 v34, v34, v37
	v_add_f32_e32 v40, v39, v36
	v_sub_f32_e32 v33, v33, v38
	v_sub_f32_e32 v37, v40, v39
	v_add_f32_e32 v33, v34, v33
	v_sub_f32_e32 v34, v36, v37
	v_add_f32_e32 v33, v33, v34
	v_add_f32_e32 v33, v40, v33
	v_cndmask_b32_e32 v33, 0x7f800000, v33, vcc_lo
	v_cmp_gt_f32_e64 vcc_lo, 0x33800000, |v35|
	v_cndmask_b32_e32 v33, v33, v35, vcc_lo
	v_add_f32_e32 v33, v31, v33
.LBB511_231:
	s_or_b32 exec_lo, exec_lo, s2
	v_bfe_u32 v31, v33, 16, 1
	v_cmp_o_f32_e32 vcc_lo, v33, v33
	v_add3_u32 v31, v33, v31, 0x7fff
	v_cndmask_b32_sdwa v31, v32, v31, vcc_lo dst_sel:DWORD dst_unused:UNUSED_PAD src0_sel:DWORD src1_sel:WORD_1
	ds_write_b16 v30, v31 offset:2
.LBB511_232:
	s_or_b32 exec_lo, exec_lo, s16
	s_waitcnt lgkmcnt(0)
	s_barrier
	buffer_gl0_inv
	s_and_saveexec_b32 s2, s1
	s_cbranch_execz .LBB511_236
; %bb.233:
	v_add_nc_u32_e32 v7, -1, v0
	v_lshrrev_b32_e32 v27, 4, v7
	v_and_b32_e32 v27, 0xffffffe, v27
	v_lshl_add_u32 v7, v7, 1, v27
	ds_read_u16 v7, v7
	s_waitcnt lgkmcnt(0)
	v_lshlrev_b32_e32 v27, 16, v7
	v_max_f32_e32 v7, v27, v27
	v_cmp_u_f32_e32 vcc_lo, v27, v27
	v_min_f32_e32 v29, v7, v28
	v_max_f32_e32 v7, v7, v28
	v_cndmask_b32_e32 v28, v29, v27, vcc_lo
	v_cndmask_b32_e32 v7, v7, v27, vcc_lo
	v_cndmask_b32_e64 v28, v28, v26, s14
	v_cndmask_b32_e64 v7, v7, v26, s14
	v_cmp_class_f32_e64 s1, v28, 0x1f8
	v_cmp_neq_f32_e32 vcc_lo, v28, v7
	s_or_b32 s14, vcc_lo, s1
	s_and_saveexec_b32 s1, s14
	s_cbranch_execz .LBB511_235
; %bb.234:
	v_sub_f32_e32 v26, v28, v7
	s_mov_b32 s14, 0x3e9b6dac
	v_mul_f32_e32 v27, 0x3fb8aa3b, v26
	v_cmp_ngt_f32_e32 vcc_lo, 0xc2ce8ed0, v26
	v_fma_f32 v28, 0x3fb8aa3b, v26, -v27
	v_rndne_f32_e32 v29, v27
	v_fmamk_f32 v28, v26, 0x32a5705f, v28
	v_sub_f32_e32 v27, v27, v29
	v_add_f32_e32 v27, v27, v28
	v_cvt_i32_f32_e32 v28, v29
	v_exp_f32_e32 v27, v27
	v_ldexp_f32 v27, v27, v28
	v_cndmask_b32_e32 v27, 0, v27, vcc_lo
	v_cmp_nlt_f32_e32 vcc_lo, 0x42b17218, v26
	v_cndmask_b32_e32 v28, 0x7f800000, v27, vcc_lo
	v_add_f32_e32 v29, 1.0, v28
	v_cvt_f64_f32_e32 v[26:27], v29
	v_frexp_exp_i32_f64_e32 v26, v[26:27]
	v_frexp_mant_f32_e32 v27, v29
	v_cmp_gt_f32_e32 vcc_lo, 0x3f2aaaab, v27
	v_add_f32_e32 v27, -1.0, v29
	v_sub_f32_e32 v31, v27, v29
	v_sub_f32_e32 v27, v28, v27
	v_add_f32_e32 v31, 1.0, v31
	v_add_f32_e32 v27, v27, v31
	v_subrev_co_ci_u32_e64 v26, null, 0, v26, vcc_lo
	v_cmp_neq_f32_e32 vcc_lo, 0x7f800000, v28
	v_sub_nc_u32_e32 v30, 0, v26
	v_cvt_f32_i32_e32 v26, v26
	v_ldexp_f32 v29, v29, v30
	v_ldexp_f32 v27, v27, v30
	v_add_f32_e32 v32, 1.0, v29
	v_add_f32_e32 v30, -1.0, v29
	v_add_f32_e32 v31, -1.0, v32
	v_add_f32_e32 v33, 1.0, v30
	v_sub_f32_e32 v31, v29, v31
	v_sub_f32_e32 v29, v29, v33
	v_add_f32_e32 v31, v27, v31
	v_add_f32_e32 v27, v27, v29
	;; [unrolled: 1-line block ×4, first 2 shown]
	v_rcp_f32_e32 v29, v33
	v_sub_f32_e32 v32, v32, v33
	v_sub_f32_e32 v30, v30, v34
	v_add_f32_e32 v31, v31, v32
	v_add_f32_e32 v27, v27, v30
	v_mul_f32_e32 v35, v34, v29
	v_mul_f32_e32 v36, v33, v35
	v_fma_f32 v32, v35, v33, -v36
	v_fmac_f32_e32 v32, v35, v31
	v_add_f32_e32 v37, v36, v32
	v_sub_f32_e32 v38, v34, v37
	v_sub_f32_e32 v30, v37, v36
	;; [unrolled: 1-line block ×5, first 2 shown]
	v_add_f32_e32 v27, v27, v34
	v_add_f32_e32 v27, v30, v27
	;; [unrolled: 1-line block ×3, first 2 shown]
	v_mul_f32_e32 v32, v29, v30
	v_sub_f32_e32 v37, v38, v30
	v_mul_f32_e32 v34, v33, v32
	v_add_f32_e32 v27, v27, v37
	v_fma_f32 v33, v32, v33, -v34
	v_fmac_f32_e32 v33, v32, v31
	v_add_f32_e32 v31, v34, v33
	v_sub_f32_e32 v36, v30, v31
	v_sub_f32_e32 v34, v31, v34
	;; [unrolled: 1-line block ×5, first 2 shown]
	v_add_f32_e32 v27, v27, v30
	v_add_f32_e32 v30, v35, v32
	;; [unrolled: 1-line block ×3, first 2 shown]
	v_sub_f32_e32 v31, v30, v35
	v_add_f32_e32 v27, v36, v27
	v_sub_f32_e32 v31, v32, v31
	v_mul_f32_e32 v27, v29, v27
	v_add_f32_e32 v27, v31, v27
	v_add_f32_e32 v29, v30, v27
	v_mul_f32_e32 v31, v29, v29
	v_fmaak_f32 v32, s14, v31, 0x3ecc95a3
	v_mul_f32_e32 v33, v29, v31
	v_fmaak_f32 v31, v31, v32, 0x3f2aaada
	v_ldexp_f32 v32, v29, 1
	v_sub_f32_e32 v29, v29, v30
	v_mul_f32_e32 v31, v33, v31
	v_mul_f32_e32 v33, 0x3f317218, v26
	v_sub_f32_e32 v27, v27, v29
	v_add_f32_e32 v30, v32, v31
	v_ldexp_f32 v27, v27, 1
	v_sub_f32_e32 v29, v30, v32
	v_fma_f32 v32, 0x3f317218, v26, -v33
	v_sub_f32_e32 v29, v31, v29
	v_fmamk_f32 v26, v26, 0xb102e308, v32
	v_add_f32_e32 v27, v27, v29
	v_add_f32_e32 v29, v33, v26
	;; [unrolled: 1-line block ×3, first 2 shown]
	v_sub_f32_e32 v33, v29, v33
	v_add_f32_e32 v32, v29, v31
	v_sub_f32_e32 v30, v31, v30
	v_sub_f32_e32 v26, v26, v33
	v_sub_f32_e32 v34, v32, v29
	v_sub_f32_e32 v27, v27, v30
	v_sub_f32_e32 v35, v32, v34
	v_sub_f32_e32 v30, v31, v34
	v_add_f32_e32 v31, v26, v27
	v_sub_f32_e32 v29, v29, v35
	v_add_f32_e32 v29, v30, v29
	v_sub_f32_e32 v30, v31, v26
	;; [unrolled: 2-line block ×3, first 2 shown]
	v_sub_f32_e32 v27, v27, v30
	v_add_f32_e32 v33, v32, v29
	v_sub_f32_e32 v26, v26, v31
	v_sub_f32_e32 v30, v33, v32
	v_add_f32_e32 v26, v27, v26
	v_sub_f32_e32 v27, v29, v30
	v_add_f32_e32 v26, v26, v27
	v_add_f32_e32 v26, v33, v26
	v_cndmask_b32_e32 v26, 0x7f800000, v26, vcc_lo
	v_cmp_gt_f32_e64 vcc_lo, 0x33800000, |v28|
	v_cndmask_b32_e32 v26, v26, v28, vcc_lo
	v_add_f32_e32 v27, v7, v26
.LBB511_235:
	s_or_b32 exec_lo, exec_lo, s1
	v_bfe_u32 v7, v27, 16, 1
	v_cmp_o_f32_e32 vcc_lo, v27, v27
	v_mov_b32_e32 v26, 0x7fc0
	;;#ASMSTART
	;;#ASMEND
	v_add3_u32 v7, v27, v7, 0x7fff
	v_cndmask_b32_sdwa v7, v26, v7, vcc_lo dst_sel:DWORD dst_unused:UNUSED_PAD src0_sel:DWORD src1_sel:WORD_1
	v_lshlrev_b32_e32 v26, 16, v7
	v_max_f32_e32 v28, v26, v26
	v_min_f32_e32 v27, v28, v16
	v_max_f32_e32 v29, v28, v16
.LBB511_236:
	s_or_b32 exec_lo, exec_lo, s2
	v_cmp_u_f32_e32 vcc_lo, v26, v26
	v_cndmask_b32_e32 v16, v27, v26, vcc_lo
	v_cndmask_b32_e32 v27, v29, v26, vcc_lo
	v_cndmask_b32_e64 v16, v16, v1, s3
	v_cndmask_b32_e64 v1, v27, v1, s3
	v_cmp_class_f32_e64 s1, v16, 0x1f8
	v_cmp_neq_f32_e32 vcc_lo, v16, v1
	s_or_b32 s2, vcc_lo, s1
	s_and_saveexec_b32 s1, s2
	s_cbranch_execz .LBB511_238
; %bb.237:
	v_sub_f32_e32 v16, v16, v1
	s_mov_b32 s2, 0x3e9b6dac
	v_mul_f32_e32 v26, 0x3fb8aa3b, v16
	v_cmp_ngt_f32_e32 vcc_lo, 0xc2ce8ed0, v16
	v_fma_f32 v27, 0x3fb8aa3b, v16, -v26
	v_rndne_f32_e32 v28, v26
	v_fmamk_f32 v27, v16, 0x32a5705f, v27
	v_sub_f32_e32 v26, v26, v28
	v_add_f32_e32 v26, v26, v27
	v_cvt_i32_f32_e32 v27, v28
	v_exp_f32_e32 v26, v26
	v_ldexp_f32 v26, v26, v27
	v_cndmask_b32_e32 v26, 0, v26, vcc_lo
	v_cmp_nlt_f32_e32 vcc_lo, 0x42b17218, v16
	v_cndmask_b32_e32 v16, 0x7f800000, v26, vcc_lo
	v_add_f32_e32 v28, 1.0, v16
	v_cvt_f64_f32_e32 v[26:27], v28
	v_frexp_exp_i32_f64_e32 v26, v[26:27]
	v_frexp_mant_f32_e32 v27, v28
	v_cmp_gt_f32_e32 vcc_lo, 0x3f2aaaab, v27
	v_add_f32_e32 v27, -1.0, v28
	v_sub_f32_e32 v30, v27, v28
	v_sub_f32_e32 v27, v16, v27
	v_add_f32_e32 v30, 1.0, v30
	v_add_f32_e32 v27, v27, v30
	v_subrev_co_ci_u32_e64 v26, null, 0, v26, vcc_lo
	v_cmp_neq_f32_e32 vcc_lo, 0x7f800000, v16
	v_sub_nc_u32_e32 v29, 0, v26
	v_cvt_f32_i32_e32 v26, v26
	v_ldexp_f32 v28, v28, v29
	v_ldexp_f32 v27, v27, v29
	v_add_f32_e32 v31, 1.0, v28
	v_add_f32_e32 v29, -1.0, v28
	v_add_f32_e32 v30, -1.0, v31
	v_add_f32_e32 v32, 1.0, v29
	v_sub_f32_e32 v30, v28, v30
	v_sub_f32_e32 v28, v28, v32
	v_add_f32_e32 v30, v27, v30
	v_add_f32_e32 v27, v27, v28
	;; [unrolled: 1-line block ×4, first 2 shown]
	v_rcp_f32_e32 v28, v32
	v_sub_f32_e32 v31, v31, v32
	v_sub_f32_e32 v29, v29, v33
	v_add_f32_e32 v30, v30, v31
	v_add_f32_e32 v27, v27, v29
	v_mul_f32_e32 v34, v33, v28
	v_mul_f32_e32 v35, v32, v34
	v_fma_f32 v31, v34, v32, -v35
	v_fmac_f32_e32 v31, v34, v30
	v_add_f32_e32 v36, v35, v31
	v_sub_f32_e32 v37, v33, v36
	v_sub_f32_e32 v29, v36, v35
	;; [unrolled: 1-line block ×5, first 2 shown]
	v_add_f32_e32 v27, v27, v33
	v_add_f32_e32 v27, v29, v27
	;; [unrolled: 1-line block ×3, first 2 shown]
	v_mul_f32_e32 v31, v28, v29
	v_sub_f32_e32 v36, v37, v29
	v_mul_f32_e32 v33, v32, v31
	v_add_f32_e32 v27, v27, v36
	v_fma_f32 v32, v31, v32, -v33
	v_fmac_f32_e32 v32, v31, v30
	v_add_f32_e32 v30, v33, v32
	v_sub_f32_e32 v35, v29, v30
	v_sub_f32_e32 v33, v30, v33
	;; [unrolled: 1-line block ×5, first 2 shown]
	v_add_f32_e32 v27, v27, v29
	v_add_f32_e32 v29, v34, v31
	;; [unrolled: 1-line block ×3, first 2 shown]
	v_sub_f32_e32 v30, v29, v34
	v_add_f32_e32 v27, v35, v27
	v_sub_f32_e32 v30, v31, v30
	v_mul_f32_e32 v27, v28, v27
	v_add_f32_e32 v27, v30, v27
	v_add_f32_e32 v28, v29, v27
	v_mul_f32_e32 v30, v28, v28
	v_fmaak_f32 v31, s2, v30, 0x3ecc95a3
	v_mul_f32_e32 v32, v28, v30
	v_fmaak_f32 v30, v30, v31, 0x3f2aaada
	v_ldexp_f32 v31, v28, 1
	v_sub_f32_e32 v28, v28, v29
	v_mul_f32_e32 v30, v32, v30
	v_mul_f32_e32 v32, 0x3f317218, v26
	v_sub_f32_e32 v27, v27, v28
	v_add_f32_e32 v29, v31, v30
	v_ldexp_f32 v27, v27, 1
	v_sub_f32_e32 v28, v29, v31
	v_fma_f32 v31, 0x3f317218, v26, -v32
	v_sub_f32_e32 v28, v30, v28
	v_fmamk_f32 v26, v26, 0xb102e308, v31
	v_add_f32_e32 v27, v27, v28
	v_add_f32_e32 v28, v32, v26
	;; [unrolled: 1-line block ×3, first 2 shown]
	v_sub_f32_e32 v32, v28, v32
	v_add_f32_e32 v31, v28, v30
	v_sub_f32_e32 v29, v30, v29
	v_sub_f32_e32 v26, v26, v32
	;; [unrolled: 1-line block ×6, first 2 shown]
	v_add_f32_e32 v30, v26, v27
	v_sub_f32_e32 v28, v28, v34
	v_add_f32_e32 v28, v29, v28
	v_sub_f32_e32 v29, v30, v26
	;; [unrolled: 2-line block ×3, first 2 shown]
	v_sub_f32_e32 v27, v27, v29
	v_add_f32_e32 v32, v31, v28
	v_sub_f32_e32 v26, v26, v30
	v_sub_f32_e32 v29, v32, v31
	v_add_f32_e32 v26, v27, v26
	v_sub_f32_e32 v27, v28, v29
	v_add_f32_e32 v26, v26, v27
	v_add_f32_e32 v26, v32, v26
	v_cndmask_b32_e32 v26, 0x7f800000, v26, vcc_lo
	v_cmp_gt_f32_e64 vcc_lo, 0x33800000, |v16|
	v_cndmask_b32_e32 v16, v26, v16, vcc_lo
	v_add_f32_e32 v26, v1, v16
.LBB511_238:
	s_or_b32 exec_lo, exec_lo, s1
	v_bfe_u32 v16, v26, 16, 1
	v_cmp_o_f32_e32 vcc_lo, v26, v26
	v_mov_b32_e32 v1, 0x7fc0
	v_add3_u32 v16, v26, v16, 0x7fff
	v_cndmask_b32_sdwa v36, v1, v16, vcc_lo dst_sel:DWORD dst_unused:UNUSED_PAD src0_sel:DWORD src1_sel:WORD_1
	v_lshlrev_b32_e32 v16, 16, v36
	v_max_f32_e32 v26, v16, v16
	v_cmp_u_f32_e32 vcc_lo, v16, v16
	v_min_f32_e32 v27, v26, v10
	v_max_f32_e32 v10, v26, v10
	v_cndmask_b32_e32 v26, v27, v16, vcc_lo
	v_cndmask_b32_e32 v27, v10, v16, vcc_lo
	v_cndmask_b32_e64 v10, v26, v8, s4
	v_cndmask_b32_e64 v8, v27, v8, s4
	v_cmp_class_f32_e64 s1, v10, 0x1f8
	v_cmp_neq_f32_e32 vcc_lo, v10, v8
	s_or_b32 s2, vcc_lo, s1
	s_and_saveexec_b32 s1, s2
	s_cbranch_execz .LBB511_240
; %bb.239:
	v_sub_f32_e32 v10, v10, v8
	s_mov_b32 s2, 0x3e9b6dac
	v_mul_f32_e32 v16, 0x3fb8aa3b, v10
	v_cmp_ngt_f32_e32 vcc_lo, 0xc2ce8ed0, v10
	v_fma_f32 v26, 0x3fb8aa3b, v10, -v16
	v_rndne_f32_e32 v27, v16
	v_fmamk_f32 v26, v10, 0x32a5705f, v26
	v_sub_f32_e32 v16, v16, v27
	v_add_f32_e32 v16, v16, v26
	v_cvt_i32_f32_e32 v26, v27
	v_exp_f32_e32 v16, v16
	v_ldexp_f32 v16, v16, v26
	v_cndmask_b32_e32 v16, 0, v16, vcc_lo
	v_cmp_nlt_f32_e32 vcc_lo, 0x42b17218, v10
	v_cndmask_b32_e32 v10, 0x7f800000, v16, vcc_lo
	v_add_f32_e32 v16, 1.0, v10
	v_cvt_f64_f32_e32 v[26:27], v16
	v_frexp_exp_i32_f64_e32 v26, v[26:27]
	v_frexp_mant_f32_e32 v27, v16
	v_cmp_gt_f32_e32 vcc_lo, 0x3f2aaaab, v27
	v_add_f32_e32 v27, -1.0, v16
	v_sub_f32_e32 v29, v27, v16
	v_sub_f32_e32 v27, v10, v27
	v_add_f32_e32 v29, 1.0, v29
	v_add_f32_e32 v27, v27, v29
	v_subrev_co_ci_u32_e64 v26, null, 0, v26, vcc_lo
	v_cmp_neq_f32_e32 vcc_lo, 0x7f800000, v10
	v_sub_nc_u32_e32 v28, 0, v26
	v_cvt_f32_i32_e32 v26, v26
	v_ldexp_f32 v16, v16, v28
	v_ldexp_f32 v27, v27, v28
	v_add_f32_e32 v30, 1.0, v16
	v_add_f32_e32 v28, -1.0, v16
	v_add_f32_e32 v29, -1.0, v30
	v_add_f32_e32 v31, 1.0, v28
	v_sub_f32_e32 v29, v16, v29
	v_sub_f32_e32 v16, v16, v31
	v_add_f32_e32 v29, v27, v29
	v_add_f32_e32 v16, v27, v16
	v_add_f32_e32 v31, v30, v29
	v_add_f32_e32 v32, v28, v16
	v_rcp_f32_e32 v27, v31
	v_sub_f32_e32 v30, v30, v31
	v_sub_f32_e32 v28, v28, v32
	v_add_f32_e32 v29, v29, v30
	v_add_f32_e32 v16, v16, v28
	v_mul_f32_e32 v33, v32, v27
	v_mul_f32_e32 v34, v31, v33
	v_fma_f32 v30, v33, v31, -v34
	v_fmac_f32_e32 v30, v33, v29
	v_add_f32_e32 v35, v34, v30
	v_sub_f32_e32 v37, v32, v35
	v_sub_f32_e32 v28, v35, v34
	;; [unrolled: 1-line block ×5, first 2 shown]
	v_add_f32_e32 v16, v16, v32
	v_add_f32_e32 v16, v28, v16
	;; [unrolled: 1-line block ×3, first 2 shown]
	v_mul_f32_e32 v30, v27, v28
	v_sub_f32_e32 v35, v37, v28
	v_mul_f32_e32 v32, v31, v30
	v_add_f32_e32 v16, v16, v35
	v_fma_f32 v31, v30, v31, -v32
	v_fmac_f32_e32 v31, v30, v29
	v_add_f32_e32 v29, v32, v31
	v_sub_f32_e32 v34, v28, v29
	v_sub_f32_e32 v32, v29, v32
	;; [unrolled: 1-line block ×5, first 2 shown]
	v_add_f32_e32 v16, v16, v28
	v_add_f32_e32 v28, v33, v30
	;; [unrolled: 1-line block ×3, first 2 shown]
	v_sub_f32_e32 v29, v28, v33
	v_add_f32_e32 v16, v34, v16
	v_sub_f32_e32 v29, v30, v29
	v_mul_f32_e32 v16, v27, v16
	v_add_f32_e32 v16, v29, v16
	v_add_f32_e32 v27, v28, v16
	v_mul_f32_e32 v29, v27, v27
	v_fmaak_f32 v30, s2, v29, 0x3ecc95a3
	v_mul_f32_e32 v31, v27, v29
	v_fmaak_f32 v29, v29, v30, 0x3f2aaada
	v_ldexp_f32 v30, v27, 1
	v_sub_f32_e32 v27, v27, v28
	v_mul_f32_e32 v29, v31, v29
	v_mul_f32_e32 v31, 0x3f317218, v26
	v_sub_f32_e32 v16, v16, v27
	v_add_f32_e32 v28, v30, v29
	v_ldexp_f32 v16, v16, 1
	v_sub_f32_e32 v27, v28, v30
	v_fma_f32 v30, 0x3f317218, v26, -v31
	v_sub_f32_e32 v27, v29, v27
	v_fmamk_f32 v26, v26, 0xb102e308, v30
	v_add_f32_e32 v16, v16, v27
	v_add_f32_e32 v27, v31, v26
	;; [unrolled: 1-line block ×3, first 2 shown]
	v_sub_f32_e32 v31, v27, v31
	v_add_f32_e32 v30, v27, v29
	v_sub_f32_e32 v28, v29, v28
	v_sub_f32_e32 v26, v26, v31
	;; [unrolled: 1-line block ×6, first 2 shown]
	v_add_f32_e32 v29, v26, v16
	v_sub_f32_e32 v27, v27, v33
	v_add_f32_e32 v27, v28, v27
	v_sub_f32_e32 v28, v29, v26
	;; [unrolled: 2-line block ×3, first 2 shown]
	v_sub_f32_e32 v16, v16, v28
	v_add_f32_e32 v31, v30, v27
	v_sub_f32_e32 v26, v26, v29
	v_sub_f32_e32 v28, v31, v30
	v_add_f32_e32 v16, v16, v26
	v_sub_f32_e32 v26, v27, v28
	v_add_f32_e32 v16, v16, v26
	v_add_f32_e32 v16, v31, v16
	v_cndmask_b32_e32 v16, 0x7f800000, v16, vcc_lo
	v_cmp_gt_f32_e64 vcc_lo, 0x33800000, |v10|
	v_cndmask_b32_e32 v10, v16, v10, vcc_lo
	v_add_f32_e32 v16, v8, v10
.LBB511_240:
	s_or_b32 exec_lo, exec_lo, s1
	v_bfe_u32 v8, v16, 16, 1
	v_cmp_o_f32_e32 vcc_lo, v16, v16
	v_add3_u32 v8, v16, v8, 0x7fff
	v_cndmask_b32_sdwa v8, v1, v8, vcc_lo dst_sel:DWORD dst_unused:UNUSED_PAD src0_sel:DWORD src1_sel:WORD_1
	v_lshlrev_b32_e32 v10, 16, v8
	v_max_f32_e32 v1, v10, v10
	v_cmp_u_f32_e32 vcc_lo, v10, v10
	v_min_f32_e32 v16, v1, v11
	v_max_f32_e32 v1, v1, v11
	v_cndmask_b32_e32 v11, v16, v10, vcc_lo
	v_cndmask_b32_e32 v1, v1, v10, vcc_lo
	v_cndmask_b32_e64 v11, v11, v2, s5
	v_cndmask_b32_e64 v1, v1, v2, s5
	v_cmp_class_f32_e64 s1, v11, 0x1f8
	v_cmp_neq_f32_e32 vcc_lo, v11, v1
	s_or_b32 s2, vcc_lo, s1
	s_and_saveexec_b32 s1, s2
	s_cbranch_execz .LBB511_242
; %bb.241:
	v_sub_f32_e32 v2, v11, v1
	s_mov_b32 s2, 0x3e9b6dac
	v_mul_f32_e32 v10, 0x3fb8aa3b, v2
	v_cmp_ngt_f32_e32 vcc_lo, 0xc2ce8ed0, v2
	v_fma_f32 v11, 0x3fb8aa3b, v2, -v10
	v_rndne_f32_e32 v16, v10
	v_fmamk_f32 v11, v2, 0x32a5705f, v11
	v_sub_f32_e32 v10, v10, v16
	v_add_f32_e32 v10, v10, v11
	v_cvt_i32_f32_e32 v11, v16
	v_exp_f32_e32 v10, v10
	v_ldexp_f32 v10, v10, v11
	v_cndmask_b32_e32 v10, 0, v10, vcc_lo
	v_cmp_nlt_f32_e32 vcc_lo, 0x42b17218, v2
	v_cndmask_b32_e32 v2, 0x7f800000, v10, vcc_lo
	v_add_f32_e32 v16, 1.0, v2
	v_cvt_f64_f32_e32 v[10:11], v16
	v_frexp_exp_i32_f64_e32 v10, v[10:11]
	v_frexp_mant_f32_e32 v11, v16
	v_cmp_gt_f32_e32 vcc_lo, 0x3f2aaaab, v11
	v_add_f32_e32 v11, -1.0, v16
	v_sub_f32_e32 v27, v11, v16
	v_sub_f32_e32 v11, v2, v11
	v_add_f32_e32 v27, 1.0, v27
	v_add_f32_e32 v11, v11, v27
	v_subrev_co_ci_u32_e64 v10, null, 0, v10, vcc_lo
	v_cmp_neq_f32_e32 vcc_lo, 0x7f800000, v2
	v_sub_nc_u32_e32 v26, 0, v10
	v_cvt_f32_i32_e32 v10, v10
	v_ldexp_f32 v16, v16, v26
	v_ldexp_f32 v11, v11, v26
	v_add_f32_e32 v28, 1.0, v16
	v_add_f32_e32 v26, -1.0, v16
	v_add_f32_e32 v27, -1.0, v28
	v_add_f32_e32 v29, 1.0, v26
	v_sub_f32_e32 v27, v16, v27
	v_sub_f32_e32 v16, v16, v29
	v_add_f32_e32 v27, v11, v27
	v_add_f32_e32 v11, v11, v16
	;; [unrolled: 1-line block ×4, first 2 shown]
	v_rcp_f32_e32 v16, v29
	v_sub_f32_e32 v28, v28, v29
	v_sub_f32_e32 v26, v26, v30
	v_add_f32_e32 v27, v27, v28
	v_add_f32_e32 v11, v11, v26
	v_mul_f32_e32 v31, v30, v16
	v_mul_f32_e32 v32, v29, v31
	v_fma_f32 v28, v31, v29, -v32
	v_fmac_f32_e32 v28, v31, v27
	v_add_f32_e32 v33, v32, v28
	v_sub_f32_e32 v34, v30, v33
	v_sub_f32_e32 v26, v33, v32
	;; [unrolled: 1-line block ×5, first 2 shown]
	v_add_f32_e32 v11, v11, v30
	v_add_f32_e32 v11, v26, v11
	;; [unrolled: 1-line block ×3, first 2 shown]
	v_mul_f32_e32 v28, v16, v26
	v_sub_f32_e32 v33, v34, v26
	v_mul_f32_e32 v30, v29, v28
	v_add_f32_e32 v11, v11, v33
	v_fma_f32 v29, v28, v29, -v30
	v_fmac_f32_e32 v29, v28, v27
	v_add_f32_e32 v27, v30, v29
	v_sub_f32_e32 v32, v26, v27
	v_sub_f32_e32 v30, v27, v30
	;; [unrolled: 1-line block ×5, first 2 shown]
	v_add_f32_e32 v11, v11, v26
	v_add_f32_e32 v26, v31, v28
	;; [unrolled: 1-line block ×3, first 2 shown]
	v_sub_f32_e32 v27, v26, v31
	v_add_f32_e32 v11, v32, v11
	v_sub_f32_e32 v27, v28, v27
	v_mul_f32_e32 v11, v16, v11
	v_add_f32_e32 v11, v27, v11
	v_add_f32_e32 v16, v26, v11
	v_mul_f32_e32 v27, v16, v16
	v_fmaak_f32 v28, s2, v27, 0x3ecc95a3
	v_mul_f32_e32 v29, v16, v27
	v_fmaak_f32 v27, v27, v28, 0x3f2aaada
	v_ldexp_f32 v28, v16, 1
	v_sub_f32_e32 v16, v16, v26
	v_mul_f32_e32 v27, v29, v27
	v_mul_f32_e32 v29, 0x3f317218, v10
	v_sub_f32_e32 v11, v11, v16
	v_add_f32_e32 v26, v28, v27
	v_ldexp_f32 v11, v11, 1
	v_sub_f32_e32 v16, v26, v28
	v_fma_f32 v28, 0x3f317218, v10, -v29
	v_sub_f32_e32 v16, v27, v16
	v_fmamk_f32 v10, v10, 0xb102e308, v28
	v_add_f32_e32 v11, v11, v16
	v_add_f32_e32 v16, v29, v10
	;; [unrolled: 1-line block ×3, first 2 shown]
	v_sub_f32_e32 v29, v16, v29
	v_add_f32_e32 v28, v16, v27
	v_sub_f32_e32 v26, v27, v26
	v_sub_f32_e32 v10, v10, v29
	;; [unrolled: 1-line block ×6, first 2 shown]
	v_add_f32_e32 v27, v10, v11
	v_sub_f32_e32 v16, v16, v31
	v_add_f32_e32 v16, v26, v16
	v_sub_f32_e32 v26, v27, v10
	;; [unrolled: 2-line block ×3, first 2 shown]
	v_sub_f32_e32 v11, v11, v26
	v_add_f32_e32 v29, v28, v16
	v_sub_f32_e32 v10, v10, v27
	v_sub_f32_e32 v26, v29, v28
	v_add_f32_e32 v10, v11, v10
	v_sub_f32_e32 v11, v16, v26
	v_add_f32_e32 v10, v10, v11
	v_add_f32_e32 v10, v29, v10
	v_cndmask_b32_e32 v10, 0x7f800000, v10, vcc_lo
	v_cmp_gt_f32_e64 vcc_lo, 0x33800000, |v2|
	v_cndmask_b32_e32 v2, v10, v2, vcc_lo
	v_add_f32_e32 v10, v1, v2
.LBB511_242:
	s_or_b32 exec_lo, exec_lo, s1
	v_bfe_u32 v2, v10, 16, 1
	v_cmp_o_f32_e32 vcc_lo, v10, v10
	v_mov_b32_e32 v1, 0x7fc0
	v_add3_u32 v2, v10, v2, 0x7fff
	v_cndmask_b32_sdwa v10, v1, v2, vcc_lo dst_sel:DWORD dst_unused:UNUSED_PAD src0_sel:DWORD src1_sel:WORD_1
	v_lshlrev_b32_e32 v11, 16, v10
	v_max_f32_e32 v2, v11, v11
	v_cmp_u_f32_e32 vcc_lo, v11, v11
	v_min_f32_e32 v16, v2, v15
	v_max_f32_e32 v2, v2, v15
	v_cndmask_b32_e32 v15, v16, v11, vcc_lo
	v_cndmask_b32_e32 v2, v2, v11, vcc_lo
	v_cndmask_b32_e64 v15, v15, v9, s6
	v_cndmask_b32_e64 v2, v2, v9, s6
	v_cmp_class_f32_e64 s1, v15, 0x1f8
	v_cmp_neq_f32_e32 vcc_lo, v15, v2
	s_or_b32 s2, vcc_lo, s1
	s_and_saveexec_b32 s1, s2
	s_cbranch_execz .LBB511_244
; %bb.243:
	v_sub_f32_e32 v9, v15, v2
	s_mov_b32 s2, 0x3e9b6dac
	v_mul_f32_e32 v11, 0x3fb8aa3b, v9
	v_cmp_ngt_f32_e32 vcc_lo, 0xc2ce8ed0, v9
	v_fma_f32 v15, 0x3fb8aa3b, v9, -v11
	v_rndne_f32_e32 v16, v11
	v_fmamk_f32 v15, v9, 0x32a5705f, v15
	v_sub_f32_e32 v11, v11, v16
	v_add_f32_e32 v11, v11, v15
	v_cvt_i32_f32_e32 v15, v16
	v_exp_f32_e32 v11, v11
	v_ldexp_f32 v11, v11, v15
	v_cndmask_b32_e32 v11, 0, v11, vcc_lo
	v_cmp_nlt_f32_e32 vcc_lo, 0x42b17218, v9
	v_cndmask_b32_e32 v9, 0x7f800000, v11, vcc_lo
	v_add_f32_e32 v11, 1.0, v9
	v_cvt_f64_f32_e32 v[15:16], v11
	v_frexp_exp_i32_f64_e32 v15, v[15:16]
	v_frexp_mant_f32_e32 v16, v11
	v_cmp_gt_f32_e32 vcc_lo, 0x3f2aaaab, v16
	v_add_f32_e32 v16, -1.0, v11
	v_sub_f32_e32 v27, v16, v11
	v_sub_f32_e32 v16, v9, v16
	v_add_f32_e32 v27, 1.0, v27
	v_add_f32_e32 v16, v16, v27
	v_subrev_co_ci_u32_e64 v15, null, 0, v15, vcc_lo
	v_cmp_neq_f32_e32 vcc_lo, 0x7f800000, v9
	v_sub_nc_u32_e32 v26, 0, v15
	v_cvt_f32_i32_e32 v15, v15
	v_ldexp_f32 v11, v11, v26
	v_ldexp_f32 v16, v16, v26
	v_add_f32_e32 v28, 1.0, v11
	v_add_f32_e32 v26, -1.0, v11
	v_add_f32_e32 v27, -1.0, v28
	v_add_f32_e32 v29, 1.0, v26
	v_sub_f32_e32 v27, v11, v27
	v_sub_f32_e32 v11, v11, v29
	v_add_f32_e32 v27, v16, v27
	v_add_f32_e32 v11, v16, v11
	;; [unrolled: 1-line block ×4, first 2 shown]
	v_rcp_f32_e32 v16, v29
	v_sub_f32_e32 v28, v28, v29
	v_sub_f32_e32 v26, v26, v30
	v_add_f32_e32 v27, v27, v28
	v_add_f32_e32 v11, v11, v26
	v_mul_f32_e32 v31, v30, v16
	v_mul_f32_e32 v32, v29, v31
	v_fma_f32 v28, v31, v29, -v32
	v_fmac_f32_e32 v28, v31, v27
	v_add_f32_e32 v33, v32, v28
	v_sub_f32_e32 v34, v30, v33
	v_sub_f32_e32 v26, v33, v32
	;; [unrolled: 1-line block ×5, first 2 shown]
	v_add_f32_e32 v11, v11, v30
	v_add_f32_e32 v11, v26, v11
	;; [unrolled: 1-line block ×3, first 2 shown]
	v_mul_f32_e32 v28, v16, v26
	v_sub_f32_e32 v33, v34, v26
	v_mul_f32_e32 v30, v29, v28
	v_add_f32_e32 v11, v11, v33
	v_fma_f32 v29, v28, v29, -v30
	v_fmac_f32_e32 v29, v28, v27
	v_add_f32_e32 v27, v30, v29
	v_sub_f32_e32 v32, v26, v27
	v_sub_f32_e32 v30, v27, v30
	;; [unrolled: 1-line block ×5, first 2 shown]
	v_add_f32_e32 v11, v11, v26
	v_add_f32_e32 v26, v31, v28
	;; [unrolled: 1-line block ×3, first 2 shown]
	v_sub_f32_e32 v27, v26, v31
	v_add_f32_e32 v11, v32, v11
	v_sub_f32_e32 v27, v28, v27
	v_mul_f32_e32 v11, v16, v11
	v_add_f32_e32 v11, v27, v11
	v_add_f32_e32 v16, v26, v11
	v_mul_f32_e32 v27, v16, v16
	v_fmaak_f32 v28, s2, v27, 0x3ecc95a3
	v_mul_f32_e32 v29, v16, v27
	v_fmaak_f32 v27, v27, v28, 0x3f2aaada
	v_ldexp_f32 v28, v16, 1
	v_sub_f32_e32 v16, v16, v26
	v_mul_f32_e32 v27, v29, v27
	v_mul_f32_e32 v29, 0x3f317218, v15
	v_sub_f32_e32 v11, v11, v16
	v_add_f32_e32 v26, v28, v27
	v_ldexp_f32 v11, v11, 1
	v_sub_f32_e32 v16, v26, v28
	v_fma_f32 v28, 0x3f317218, v15, -v29
	v_sub_f32_e32 v16, v27, v16
	v_fmamk_f32 v15, v15, 0xb102e308, v28
	v_add_f32_e32 v11, v11, v16
	v_add_f32_e32 v16, v29, v15
	;; [unrolled: 1-line block ×3, first 2 shown]
	v_sub_f32_e32 v29, v16, v29
	v_add_f32_e32 v28, v16, v27
	v_sub_f32_e32 v26, v27, v26
	v_sub_f32_e32 v15, v15, v29
	;; [unrolled: 1-line block ×6, first 2 shown]
	v_add_f32_e32 v27, v15, v11
	v_sub_f32_e32 v16, v16, v31
	v_add_f32_e32 v16, v26, v16
	v_sub_f32_e32 v26, v27, v15
	;; [unrolled: 2-line block ×3, first 2 shown]
	v_sub_f32_e32 v11, v11, v26
	v_add_f32_e32 v29, v28, v16
	v_sub_f32_e32 v15, v15, v27
	v_sub_f32_e32 v26, v29, v28
	v_add_f32_e32 v11, v11, v15
	v_sub_f32_e32 v15, v16, v26
	v_add_f32_e32 v11, v11, v15
	v_add_f32_e32 v11, v29, v11
	v_cndmask_b32_e32 v11, 0x7f800000, v11, vcc_lo
	v_cmp_gt_f32_e64 vcc_lo, 0x33800000, |v9|
	v_cndmask_b32_e32 v9, v11, v9, vcc_lo
	v_add_f32_e32 v11, v2, v9
.LBB511_244:
	s_or_b32 exec_lo, exec_lo, s1
	v_bfe_u32 v2, v11, 16, 1
	v_cmp_o_f32_e32 vcc_lo, v11, v11
	v_add3_u32 v2, v11, v2, 0x7fff
	v_cndmask_b32_sdwa v9, v1, v2, vcc_lo dst_sel:DWORD dst_unused:UNUSED_PAD src0_sel:DWORD src1_sel:WORD_1
	v_lshlrev_b32_e32 v2, 16, v9
	v_max_f32_e32 v1, v2, v2
	v_cmp_u_f32_e32 vcc_lo, v2, v2
	v_min_f32_e32 v11, v1, v17
	v_max_f32_e32 v1, v1, v17
	v_cndmask_b32_e32 v11, v11, v2, vcc_lo
	v_cndmask_b32_e32 v1, v1, v2, vcc_lo
	v_cndmask_b32_e64 v11, v11, v3, s7
	v_cndmask_b32_e64 v1, v1, v3, s7
	v_cmp_class_f32_e64 s1, v11, 0x1f8
	v_cmp_neq_f32_e32 vcc_lo, v11, v1
	s_or_b32 s2, vcc_lo, s1
	s_and_saveexec_b32 s1, s2
	s_cbranch_execz .LBB511_246
; %bb.245:
	v_sub_f32_e32 v2, v11, v1
	s_mov_b32 s2, 0x3e9b6dac
	v_mul_f32_e32 v3, 0x3fb8aa3b, v2
	v_cmp_ngt_f32_e32 vcc_lo, 0xc2ce8ed0, v2
	v_fma_f32 v11, 0x3fb8aa3b, v2, -v3
	v_rndne_f32_e32 v15, v3
	v_fmamk_f32 v11, v2, 0x32a5705f, v11
	v_sub_f32_e32 v3, v3, v15
	v_add_f32_e32 v3, v3, v11
	v_cvt_i32_f32_e32 v11, v15
	v_exp_f32_e32 v3, v3
	v_ldexp_f32 v3, v3, v11
	v_cndmask_b32_e32 v3, 0, v3, vcc_lo
	v_cmp_nlt_f32_e32 vcc_lo, 0x42b17218, v2
	v_cndmask_b32_e32 v11, 0x7f800000, v3, vcc_lo
	v_add_f32_e32 v15, 1.0, v11
	v_cvt_f64_f32_e32 v[2:3], v15
	v_frexp_exp_i32_f64_e32 v2, v[2:3]
	v_frexp_mant_f32_e32 v3, v15
	v_cmp_gt_f32_e32 vcc_lo, 0x3f2aaaab, v3
	v_add_f32_e32 v3, -1.0, v15
	v_sub_f32_e32 v17, v3, v15
	v_sub_f32_e32 v3, v11, v3
	v_add_f32_e32 v17, 1.0, v17
	v_add_f32_e32 v3, v3, v17
	v_subrev_co_ci_u32_e64 v2, null, 0, v2, vcc_lo
	v_cmp_neq_f32_e32 vcc_lo, 0x7f800000, v11
	v_sub_nc_u32_e32 v16, 0, v2
	v_cvt_f32_i32_e32 v2, v2
	v_ldexp_f32 v15, v15, v16
	v_ldexp_f32 v3, v3, v16
	v_add_f32_e32 v26, 1.0, v15
	v_add_f32_e32 v16, -1.0, v15
	v_add_f32_e32 v17, -1.0, v26
	v_add_f32_e32 v27, 1.0, v16
	v_sub_f32_e32 v17, v15, v17
	v_sub_f32_e32 v15, v15, v27
	v_add_f32_e32 v17, v3, v17
	v_add_f32_e32 v3, v3, v15
	;; [unrolled: 1-line block ×4, first 2 shown]
	v_rcp_f32_e32 v15, v27
	v_sub_f32_e32 v26, v26, v27
	v_sub_f32_e32 v16, v16, v28
	v_add_f32_e32 v17, v17, v26
	v_add_f32_e32 v3, v3, v16
	v_mul_f32_e32 v29, v28, v15
	v_mul_f32_e32 v30, v27, v29
	v_fma_f32 v26, v29, v27, -v30
	v_fmac_f32_e32 v26, v29, v17
	v_add_f32_e32 v31, v30, v26
	v_sub_f32_e32 v32, v28, v31
	v_sub_f32_e32 v16, v31, v30
	;; [unrolled: 1-line block ×5, first 2 shown]
	v_add_f32_e32 v3, v3, v28
	v_add_f32_e32 v3, v16, v3
	;; [unrolled: 1-line block ×3, first 2 shown]
	v_mul_f32_e32 v26, v15, v16
	v_sub_f32_e32 v31, v32, v16
	v_mul_f32_e32 v28, v27, v26
	v_add_f32_e32 v3, v3, v31
	v_fma_f32 v27, v26, v27, -v28
	v_fmac_f32_e32 v27, v26, v17
	v_add_f32_e32 v17, v28, v27
	v_sub_f32_e32 v30, v16, v17
	v_sub_f32_e32 v28, v17, v28
	;; [unrolled: 1-line block ×5, first 2 shown]
	v_add_f32_e32 v3, v3, v16
	v_add_f32_e32 v16, v29, v26
	;; [unrolled: 1-line block ×3, first 2 shown]
	v_sub_f32_e32 v17, v16, v29
	v_add_f32_e32 v3, v30, v3
	v_sub_f32_e32 v17, v26, v17
	v_mul_f32_e32 v3, v15, v3
	v_add_f32_e32 v3, v17, v3
	v_add_f32_e32 v15, v16, v3
	v_mul_f32_e32 v17, v15, v15
	v_fmaak_f32 v26, s2, v17, 0x3ecc95a3
	v_mul_f32_e32 v27, v15, v17
	v_fmaak_f32 v17, v17, v26, 0x3f2aaada
	v_ldexp_f32 v26, v15, 1
	v_sub_f32_e32 v15, v15, v16
	v_mul_f32_e32 v17, v27, v17
	v_mul_f32_e32 v27, 0x3f317218, v2
	v_sub_f32_e32 v3, v3, v15
	v_add_f32_e32 v16, v26, v17
	v_ldexp_f32 v3, v3, 1
	v_sub_f32_e32 v15, v16, v26
	v_fma_f32 v26, 0x3f317218, v2, -v27
	v_sub_f32_e32 v15, v17, v15
	v_fmamk_f32 v2, v2, 0xb102e308, v26
	v_add_f32_e32 v3, v3, v15
	v_add_f32_e32 v15, v27, v2
	;; [unrolled: 1-line block ×3, first 2 shown]
	v_sub_f32_e32 v27, v15, v27
	v_add_f32_e32 v26, v15, v17
	v_sub_f32_e32 v16, v17, v16
	v_sub_f32_e32 v2, v2, v27
	;; [unrolled: 1-line block ×6, first 2 shown]
	v_add_f32_e32 v17, v2, v3
	v_sub_f32_e32 v15, v15, v29
	v_add_f32_e32 v15, v16, v15
	v_sub_f32_e32 v16, v17, v2
	;; [unrolled: 2-line block ×3, first 2 shown]
	v_sub_f32_e32 v3, v3, v16
	v_add_f32_e32 v27, v26, v15
	v_sub_f32_e32 v2, v2, v17
	v_sub_f32_e32 v16, v27, v26
	v_add_f32_e32 v2, v3, v2
	v_sub_f32_e32 v3, v15, v16
	v_add_f32_e32 v2, v2, v3
	v_add_f32_e32 v2, v27, v2
	v_cndmask_b32_e32 v2, 0x7f800000, v2, vcc_lo
	v_cmp_gt_f32_e64 vcc_lo, 0x33800000, |v11|
	v_cndmask_b32_e32 v2, v2, v11, vcc_lo
	v_add_f32_e32 v2, v1, v2
.LBB511_246:
	s_or_b32 exec_lo, exec_lo, s1
	v_bfe_u32 v3, v2, 16, 1
	v_cmp_o_f32_e32 vcc_lo, v2, v2
	v_mov_b32_e32 v1, 0x7fc0
	v_add3_u32 v2, v2, v3, 0x7fff
	v_cndmask_b32_sdwa v11, v1, v2, vcc_lo dst_sel:DWORD dst_unused:UNUSED_PAD src0_sel:DWORD src1_sel:WORD_1
	v_lshlrev_b32_e32 v3, 16, v11
	v_max_f32_e32 v2, v3, v3
	v_cmp_u_f32_e32 vcc_lo, v3, v3
	v_min_f32_e32 v15, v2, v19
	v_max_f32_e32 v2, v2, v19
	v_cndmask_b32_e32 v15, v15, v3, vcc_lo
	v_cndmask_b32_e32 v2, v2, v3, vcc_lo
	v_cndmask_b32_e64 v15, v15, v14, s8
	v_cndmask_b32_e64 v2, v2, v14, s8
	v_cmp_class_f32_e64 s1, v15, 0x1f8
	v_cmp_neq_f32_e32 vcc_lo, v15, v2
	s_or_b32 s2, vcc_lo, s1
	s_and_saveexec_b32 s1, s2
	s_cbranch_execz .LBB511_248
; %bb.247:
	v_sub_f32_e32 v3, v15, v2
	s_mov_b32 s2, 0x3e9b6dac
	v_mul_f32_e32 v14, 0x3fb8aa3b, v3
	v_cmp_ngt_f32_e32 vcc_lo, 0xc2ce8ed0, v3
	v_fma_f32 v15, 0x3fb8aa3b, v3, -v14
	v_rndne_f32_e32 v16, v14
	v_fmamk_f32 v15, v3, 0x32a5705f, v15
	v_sub_f32_e32 v14, v14, v16
	v_add_f32_e32 v14, v14, v15
	v_cvt_i32_f32_e32 v15, v16
	v_exp_f32_e32 v14, v14
	v_ldexp_f32 v14, v14, v15
	v_cndmask_b32_e32 v14, 0, v14, vcc_lo
	v_cmp_nlt_f32_e32 vcc_lo, 0x42b17218, v3
	v_cndmask_b32_e32 v3, 0x7f800000, v14, vcc_lo
	v_add_f32_e32 v16, 1.0, v3
	v_cvt_f64_f32_e32 v[14:15], v16
	v_frexp_exp_i32_f64_e32 v14, v[14:15]
	v_frexp_mant_f32_e32 v15, v16
	v_cmp_gt_f32_e32 vcc_lo, 0x3f2aaaab, v15
	v_add_f32_e32 v15, -1.0, v16
	v_sub_f32_e32 v19, v15, v16
	v_sub_f32_e32 v15, v3, v15
	v_add_f32_e32 v19, 1.0, v19
	v_add_f32_e32 v15, v15, v19
	v_subrev_co_ci_u32_e64 v14, null, 0, v14, vcc_lo
	v_cmp_neq_f32_e32 vcc_lo, 0x7f800000, v3
	v_sub_nc_u32_e32 v17, 0, v14
	v_cvt_f32_i32_e32 v14, v14
	v_ldexp_f32 v16, v16, v17
	v_ldexp_f32 v15, v15, v17
	v_add_f32_e32 v26, 1.0, v16
	v_add_f32_e32 v17, -1.0, v16
	v_add_f32_e32 v19, -1.0, v26
	v_add_f32_e32 v27, 1.0, v17
	v_sub_f32_e32 v19, v16, v19
	v_sub_f32_e32 v16, v16, v27
	v_add_f32_e32 v19, v15, v19
	v_add_f32_e32 v15, v15, v16
	;; [unrolled: 1-line block ×4, first 2 shown]
	v_rcp_f32_e32 v16, v27
	v_sub_f32_e32 v26, v26, v27
	v_sub_f32_e32 v17, v17, v28
	v_add_f32_e32 v19, v19, v26
	v_add_f32_e32 v15, v15, v17
	v_mul_f32_e32 v29, v28, v16
	v_mul_f32_e32 v30, v27, v29
	v_fma_f32 v26, v29, v27, -v30
	v_fmac_f32_e32 v26, v29, v19
	v_add_f32_e32 v31, v30, v26
	v_sub_f32_e32 v32, v28, v31
	v_sub_f32_e32 v17, v31, v30
	;; [unrolled: 1-line block ×5, first 2 shown]
	v_add_f32_e32 v15, v15, v28
	v_add_f32_e32 v15, v17, v15
	v_add_f32_e32 v17, v32, v15
	v_mul_f32_e32 v26, v16, v17
	v_sub_f32_e32 v31, v32, v17
	v_mul_f32_e32 v28, v27, v26
	v_add_f32_e32 v15, v15, v31
	v_fma_f32 v27, v26, v27, -v28
	v_fmac_f32_e32 v27, v26, v19
	v_add_f32_e32 v19, v28, v27
	v_sub_f32_e32 v30, v17, v19
	v_sub_f32_e32 v28, v19, v28
	;; [unrolled: 1-line block ×5, first 2 shown]
	v_add_f32_e32 v15, v15, v17
	v_add_f32_e32 v17, v29, v26
	;; [unrolled: 1-line block ×3, first 2 shown]
	v_sub_f32_e32 v19, v17, v29
	v_add_f32_e32 v15, v30, v15
	v_sub_f32_e32 v19, v26, v19
	v_mul_f32_e32 v15, v16, v15
	v_add_f32_e32 v15, v19, v15
	v_add_f32_e32 v16, v17, v15
	v_mul_f32_e32 v19, v16, v16
	v_fmaak_f32 v26, s2, v19, 0x3ecc95a3
	v_mul_f32_e32 v27, v16, v19
	v_fmaak_f32 v19, v19, v26, 0x3f2aaada
	v_ldexp_f32 v26, v16, 1
	v_sub_f32_e32 v16, v16, v17
	v_mul_f32_e32 v19, v27, v19
	v_mul_f32_e32 v27, 0x3f317218, v14
	v_sub_f32_e32 v15, v15, v16
	v_add_f32_e32 v17, v26, v19
	v_ldexp_f32 v15, v15, 1
	v_sub_f32_e32 v16, v17, v26
	v_fma_f32 v26, 0x3f317218, v14, -v27
	v_sub_f32_e32 v16, v19, v16
	v_fmamk_f32 v14, v14, 0xb102e308, v26
	v_add_f32_e32 v15, v15, v16
	v_add_f32_e32 v16, v27, v14
	;; [unrolled: 1-line block ×3, first 2 shown]
	v_sub_f32_e32 v27, v16, v27
	v_add_f32_e32 v26, v16, v19
	v_sub_f32_e32 v17, v19, v17
	v_sub_f32_e32 v14, v14, v27
	;; [unrolled: 1-line block ×6, first 2 shown]
	v_add_f32_e32 v19, v14, v15
	v_sub_f32_e32 v16, v16, v29
	v_add_f32_e32 v16, v17, v16
	v_sub_f32_e32 v17, v19, v14
	v_add_f32_e32 v16, v19, v16
	v_sub_f32_e32 v19, v19, v17
	v_sub_f32_e32 v15, v15, v17
	v_add_f32_e32 v27, v26, v16
	v_sub_f32_e32 v14, v14, v19
	v_sub_f32_e32 v17, v27, v26
	v_add_f32_e32 v14, v15, v14
	v_sub_f32_e32 v15, v16, v17
	v_add_f32_e32 v14, v14, v15
	v_add_f32_e32 v14, v27, v14
	v_cndmask_b32_e32 v14, 0x7f800000, v14, vcc_lo
	v_cmp_gt_f32_e64 vcc_lo, 0x33800000, |v3|
	v_cndmask_b32_e32 v3, v14, v3, vcc_lo
	v_add_f32_e32 v3, v2, v3
.LBB511_248:
	s_or_b32 exec_lo, exec_lo, s1
	v_bfe_u32 v2, v3, 16, 1
	v_cmp_o_f32_e32 vcc_lo, v3, v3
	v_add3_u32 v2, v3, v2, 0x7fff
	v_cndmask_b32_sdwa v14, v1, v2, vcc_lo dst_sel:DWORD dst_unused:UNUSED_PAD src0_sel:DWORD src1_sel:WORD_1
	v_lshlrev_b32_e32 v2, 16, v14
	v_max_f32_e32 v1, v2, v2
	v_cmp_u_f32_e32 vcc_lo, v2, v2
	v_min_f32_e32 v3, v1, v20
	v_max_f32_e32 v1, v1, v20
	v_cndmask_b32_e32 v3, v3, v2, vcc_lo
	v_cndmask_b32_e32 v1, v1, v2, vcc_lo
	v_cndmask_b32_e64 v3, v3, v4, s9
	v_cndmask_b32_e64 v1, v1, v4, s9
	v_cmp_class_f32_e64 s1, v3, 0x1f8
	v_cmp_neq_f32_e32 vcc_lo, v3, v1
	s_or_b32 s2, vcc_lo, s1
	s_and_saveexec_b32 s1, s2
	s_cbranch_execz .LBB511_250
; %bb.249:
	v_sub_f32_e32 v2, v3, v1
	s_mov_b32 s2, 0x3e9b6dac
	v_mul_f32_e32 v3, 0x3fb8aa3b, v2
	v_cmp_ngt_f32_e32 vcc_lo, 0xc2ce8ed0, v2
	v_fma_f32 v4, 0x3fb8aa3b, v2, -v3
	v_rndne_f32_e32 v15, v3
	v_fmamk_f32 v4, v2, 0x32a5705f, v4
	v_sub_f32_e32 v3, v3, v15
	v_add_f32_e32 v3, v3, v4
	v_cvt_i32_f32_e32 v4, v15
	v_exp_f32_e32 v3, v3
	v_ldexp_f32 v3, v3, v4
	v_cndmask_b32_e32 v3, 0, v3, vcc_lo
	v_cmp_nlt_f32_e32 vcc_lo, 0x42b17218, v2
	v_cndmask_b32_e32 v4, 0x7f800000, v3, vcc_lo
	v_add_f32_e32 v15, 1.0, v4
	v_cvt_f64_f32_e32 v[2:3], v15
	v_frexp_exp_i32_f64_e32 v2, v[2:3]
	v_frexp_mant_f32_e32 v3, v15
	v_cmp_gt_f32_e32 vcc_lo, 0x3f2aaaab, v3
	v_add_f32_e32 v3, -1.0, v15
	v_sub_f32_e32 v17, v3, v15
	v_sub_f32_e32 v3, v4, v3
	v_add_f32_e32 v17, 1.0, v17
	v_add_f32_e32 v3, v3, v17
	v_subrev_co_ci_u32_e64 v2, null, 0, v2, vcc_lo
	v_cmp_neq_f32_e32 vcc_lo, 0x7f800000, v4
	v_sub_nc_u32_e32 v16, 0, v2
	v_cvt_f32_i32_e32 v2, v2
	v_ldexp_f32 v15, v15, v16
	v_ldexp_f32 v3, v3, v16
	v_add_f32_e32 v19, 1.0, v15
	v_add_f32_e32 v16, -1.0, v15
	v_add_f32_e32 v17, -1.0, v19
	v_add_f32_e32 v20, 1.0, v16
	v_sub_f32_e32 v17, v15, v17
	v_sub_f32_e32 v15, v15, v20
	v_add_f32_e32 v17, v3, v17
	v_add_f32_e32 v3, v3, v15
	v_add_f32_e32 v20, v19, v17
	v_add_f32_e32 v26, v16, v3
	v_rcp_f32_e32 v15, v20
	v_sub_f32_e32 v19, v19, v20
	v_sub_f32_e32 v16, v16, v26
	v_add_f32_e32 v17, v17, v19
	v_add_f32_e32 v3, v3, v16
	v_mul_f32_e32 v27, v26, v15
	v_mul_f32_e32 v28, v20, v27
	v_fma_f32 v19, v27, v20, -v28
	v_fmac_f32_e32 v19, v27, v17
	v_add_f32_e32 v29, v28, v19
	v_sub_f32_e32 v30, v26, v29
	v_sub_f32_e32 v16, v29, v28
	;; [unrolled: 1-line block ×5, first 2 shown]
	v_add_f32_e32 v3, v3, v26
	v_add_f32_e32 v3, v16, v3
	;; [unrolled: 1-line block ×3, first 2 shown]
	v_mul_f32_e32 v19, v15, v16
	v_sub_f32_e32 v29, v30, v16
	v_mul_f32_e32 v26, v20, v19
	v_add_f32_e32 v3, v3, v29
	v_fma_f32 v20, v19, v20, -v26
	v_fmac_f32_e32 v20, v19, v17
	v_add_f32_e32 v17, v26, v20
	v_sub_f32_e32 v28, v16, v17
	v_sub_f32_e32 v26, v17, v26
	;; [unrolled: 1-line block ×5, first 2 shown]
	v_add_f32_e32 v3, v3, v16
	v_add_f32_e32 v16, v27, v19
	;; [unrolled: 1-line block ×3, first 2 shown]
	v_sub_f32_e32 v17, v16, v27
	v_add_f32_e32 v3, v28, v3
	v_sub_f32_e32 v17, v19, v17
	v_mul_f32_e32 v3, v15, v3
	v_add_f32_e32 v3, v17, v3
	v_add_f32_e32 v15, v16, v3
	v_mul_f32_e32 v17, v15, v15
	v_fmaak_f32 v19, s2, v17, 0x3ecc95a3
	v_mul_f32_e32 v20, v15, v17
	v_fmaak_f32 v17, v17, v19, 0x3f2aaada
	v_ldexp_f32 v19, v15, 1
	v_sub_f32_e32 v15, v15, v16
	v_mul_f32_e32 v17, v20, v17
	v_mul_f32_e32 v20, 0x3f317218, v2
	v_sub_f32_e32 v3, v3, v15
	v_add_f32_e32 v16, v19, v17
	v_ldexp_f32 v3, v3, 1
	v_sub_f32_e32 v15, v16, v19
	v_fma_f32 v19, 0x3f317218, v2, -v20
	v_sub_f32_e32 v15, v17, v15
	v_fmamk_f32 v2, v2, 0xb102e308, v19
	v_add_f32_e32 v3, v3, v15
	v_add_f32_e32 v15, v20, v2
	;; [unrolled: 1-line block ×3, first 2 shown]
	v_sub_f32_e32 v20, v15, v20
	v_add_f32_e32 v19, v15, v17
	v_sub_f32_e32 v16, v17, v16
	v_sub_f32_e32 v2, v2, v20
	;; [unrolled: 1-line block ×6, first 2 shown]
	v_add_f32_e32 v17, v2, v3
	v_sub_f32_e32 v15, v15, v27
	v_add_f32_e32 v15, v16, v15
	v_sub_f32_e32 v16, v17, v2
	v_add_f32_e32 v15, v17, v15
	v_sub_f32_e32 v17, v17, v16
	v_sub_f32_e32 v3, v3, v16
	v_add_f32_e32 v20, v19, v15
	v_sub_f32_e32 v2, v2, v17
	v_sub_f32_e32 v16, v20, v19
	v_add_f32_e32 v2, v3, v2
	v_sub_f32_e32 v3, v15, v16
	v_add_f32_e32 v2, v2, v3
	v_add_f32_e32 v2, v20, v2
	v_cndmask_b32_e32 v2, 0x7f800000, v2, vcc_lo
	v_cmp_gt_f32_e64 vcc_lo, 0x33800000, |v4|
	v_cndmask_b32_e32 v2, v2, v4, vcc_lo
	v_add_f32_e32 v2, v1, v2
.LBB511_250:
	s_or_b32 exec_lo, exec_lo, s1
	v_bfe_u32 v3, v2, 16, 1
	v_cmp_o_f32_e32 vcc_lo, v2, v2
	v_mov_b32_e32 v1, 0x7fc0
	v_add3_u32 v2, v2, v3, 0x7fff
	v_cndmask_b32_sdwa v15, v1, v2, vcc_lo dst_sel:DWORD dst_unused:UNUSED_PAD src0_sel:DWORD src1_sel:WORD_1
	v_lshlrev_b32_e32 v3, 16, v15
	v_max_f32_e32 v2, v3, v3
	v_cmp_u_f32_e32 vcc_lo, v3, v3
	v_min_f32_e32 v4, v2, v22
	v_max_f32_e32 v2, v2, v22
	v_cndmask_b32_e32 v4, v4, v3, vcc_lo
	v_cndmask_b32_e32 v2, v2, v3, vcc_lo
	v_cndmask_b32_e64 v4, v4, v18, s10
	v_cndmask_b32_e64 v2, v2, v18, s10
	v_cmp_class_f32_e64 s1, v4, 0x1f8
	v_cmp_neq_f32_e32 vcc_lo, v4, v2
	s_or_b32 s2, vcc_lo, s1
	s_and_saveexec_b32 s1, s2
	s_cbranch_execz .LBB511_252
; %bb.251:
	v_sub_f32_e32 v3, v4, v2
	s_mov_b32 s2, 0x3e9b6dac
	v_mul_f32_e32 v4, 0x3fb8aa3b, v3
	v_cmp_ngt_f32_e32 vcc_lo, 0xc2ce8ed0, v3
	v_fma_f32 v16, 0x3fb8aa3b, v3, -v4
	v_rndne_f32_e32 v17, v4
	v_fmamk_f32 v16, v3, 0x32a5705f, v16
	v_sub_f32_e32 v4, v4, v17
	v_add_f32_e32 v4, v4, v16
	v_cvt_i32_f32_e32 v16, v17
	v_exp_f32_e32 v4, v4
	v_ldexp_f32 v4, v4, v16
	v_cndmask_b32_e32 v4, 0, v4, vcc_lo
	v_cmp_nlt_f32_e32 vcc_lo, 0x42b17218, v3
	v_cndmask_b32_e32 v16, 0x7f800000, v4, vcc_lo
	v_add_f32_e32 v17, 1.0, v16
	v_cvt_f64_f32_e32 v[3:4], v17
	v_frexp_exp_i32_f64_e32 v3, v[3:4]
	v_frexp_mant_f32_e32 v4, v17
	v_cmp_gt_f32_e32 vcc_lo, 0x3f2aaaab, v4
	v_add_f32_e32 v4, -1.0, v17
	v_sub_f32_e32 v19, v4, v17
	v_sub_f32_e32 v4, v16, v4
	v_add_f32_e32 v19, 1.0, v19
	v_add_f32_e32 v4, v4, v19
	v_subrev_co_ci_u32_e64 v3, null, 0, v3, vcc_lo
	v_cmp_neq_f32_e32 vcc_lo, 0x7f800000, v16
	v_sub_nc_u32_e32 v18, 0, v3
	v_cvt_f32_i32_e32 v3, v3
	v_ldexp_f32 v17, v17, v18
	v_ldexp_f32 v4, v4, v18
	v_add_f32_e32 v20, 1.0, v17
	v_add_f32_e32 v18, -1.0, v17
	v_add_f32_e32 v19, -1.0, v20
	v_add_f32_e32 v22, 1.0, v18
	v_sub_f32_e32 v19, v17, v19
	v_sub_f32_e32 v17, v17, v22
	v_add_f32_e32 v19, v4, v19
	v_add_f32_e32 v4, v4, v17
	;; [unrolled: 1-line block ×4, first 2 shown]
	v_rcp_f32_e32 v17, v22
	v_sub_f32_e32 v20, v20, v22
	v_sub_f32_e32 v18, v18, v26
	v_add_f32_e32 v19, v19, v20
	v_add_f32_e32 v4, v4, v18
	v_mul_f32_e32 v27, v26, v17
	v_mul_f32_e32 v28, v22, v27
	v_fma_f32 v20, v27, v22, -v28
	v_fmac_f32_e32 v20, v27, v19
	v_add_f32_e32 v29, v28, v20
	v_sub_f32_e32 v30, v26, v29
	v_sub_f32_e32 v18, v29, v28
	;; [unrolled: 1-line block ×5, first 2 shown]
	v_add_f32_e32 v4, v4, v26
	v_add_f32_e32 v4, v18, v4
	;; [unrolled: 1-line block ×3, first 2 shown]
	v_mul_f32_e32 v20, v17, v18
	v_sub_f32_e32 v29, v30, v18
	v_mul_f32_e32 v26, v22, v20
	v_add_f32_e32 v4, v4, v29
	v_fma_f32 v22, v20, v22, -v26
	v_fmac_f32_e32 v22, v20, v19
	v_add_f32_e32 v19, v26, v22
	v_sub_f32_e32 v28, v18, v19
	v_sub_f32_e32 v26, v19, v26
	;; [unrolled: 1-line block ×5, first 2 shown]
	v_add_f32_e32 v4, v4, v18
	v_add_f32_e32 v18, v27, v20
	;; [unrolled: 1-line block ×3, first 2 shown]
	v_sub_f32_e32 v19, v18, v27
	v_add_f32_e32 v4, v28, v4
	v_sub_f32_e32 v19, v20, v19
	v_mul_f32_e32 v4, v17, v4
	v_add_f32_e32 v4, v19, v4
	v_add_f32_e32 v17, v18, v4
	v_mul_f32_e32 v19, v17, v17
	v_fmaak_f32 v20, s2, v19, 0x3ecc95a3
	v_mul_f32_e32 v22, v17, v19
	v_fmaak_f32 v19, v19, v20, 0x3f2aaada
	v_ldexp_f32 v20, v17, 1
	v_sub_f32_e32 v17, v17, v18
	v_mul_f32_e32 v19, v22, v19
	v_mul_f32_e32 v22, 0x3f317218, v3
	v_sub_f32_e32 v4, v4, v17
	v_add_f32_e32 v18, v20, v19
	v_ldexp_f32 v4, v4, 1
	v_sub_f32_e32 v17, v18, v20
	v_fma_f32 v20, 0x3f317218, v3, -v22
	v_sub_f32_e32 v17, v19, v17
	v_fmamk_f32 v3, v3, 0xb102e308, v20
	v_add_f32_e32 v4, v4, v17
	v_add_f32_e32 v17, v22, v3
	;; [unrolled: 1-line block ×3, first 2 shown]
	v_sub_f32_e32 v22, v17, v22
	v_add_f32_e32 v20, v17, v19
	v_sub_f32_e32 v18, v19, v18
	v_sub_f32_e32 v3, v3, v22
	;; [unrolled: 1-line block ×6, first 2 shown]
	v_add_f32_e32 v19, v3, v4
	v_sub_f32_e32 v17, v17, v27
	v_add_f32_e32 v17, v18, v17
	v_sub_f32_e32 v18, v19, v3
	;; [unrolled: 2-line block ×3, first 2 shown]
	v_sub_f32_e32 v4, v4, v18
	v_add_f32_e32 v22, v20, v17
	v_sub_f32_e32 v3, v3, v19
	v_sub_f32_e32 v18, v22, v20
	v_add_f32_e32 v3, v4, v3
	v_sub_f32_e32 v4, v17, v18
	v_add_f32_e32 v3, v3, v4
	v_add_f32_e32 v3, v22, v3
	v_cndmask_b32_e32 v3, 0x7f800000, v3, vcc_lo
	v_cmp_gt_f32_e64 vcc_lo, 0x33800000, |v16|
	v_cndmask_b32_e32 v3, v3, v16, vcc_lo
	v_add_f32_e32 v3, v2, v3
.LBB511_252:
	s_or_b32 exec_lo, exec_lo, s1
	v_bfe_u32 v2, v3, 16, 1
	v_cmp_o_f32_e32 vcc_lo, v3, v3
	v_add3_u32 v2, v3, v2, 0x7fff
	v_cndmask_b32_sdwa v16, v1, v2, vcc_lo dst_sel:DWORD dst_unused:UNUSED_PAD src0_sel:DWORD src1_sel:WORD_1
	v_lshlrev_b32_e32 v2, 16, v16
	v_max_f32_e32 v1, v2, v2
	v_cmp_u_f32_e32 vcc_lo, v2, v2
	v_min_f32_e32 v3, v1, v23
	v_max_f32_e32 v1, v1, v23
	v_cndmask_b32_e32 v3, v3, v2, vcc_lo
	v_cndmask_b32_e32 v1, v1, v2, vcc_lo
	v_cndmask_b32_e64 v3, v3, v5, s11
	v_cndmask_b32_e64 v1, v1, v5, s11
	v_cmp_class_f32_e64 s1, v3, 0x1f8
	v_cmp_neq_f32_e32 vcc_lo, v3, v1
	s_or_b32 s2, vcc_lo, s1
	s_and_saveexec_b32 s1, s2
	s_cbranch_execz .LBB511_254
; %bb.253:
	v_sub_f32_e32 v2, v3, v1
	s_mov_b32 s2, 0x3e9b6dac
	v_mul_f32_e32 v3, 0x3fb8aa3b, v2
	v_cmp_ngt_f32_e32 vcc_lo, 0xc2ce8ed0, v2
	v_fma_f32 v4, 0x3fb8aa3b, v2, -v3
	v_rndne_f32_e32 v5, v3
	v_fmamk_f32 v4, v2, 0x32a5705f, v4
	v_sub_f32_e32 v3, v3, v5
	v_add_f32_e32 v3, v3, v4
	v_cvt_i32_f32_e32 v4, v5
	v_exp_f32_e32 v3, v3
	v_ldexp_f32 v3, v3, v4
	v_cndmask_b32_e32 v3, 0, v3, vcc_lo
	v_cmp_nlt_f32_e32 vcc_lo, 0x42b17218, v2
	v_cndmask_b32_e32 v4, 0x7f800000, v3, vcc_lo
	v_add_f32_e32 v5, 1.0, v4
	v_cvt_f64_f32_e32 v[2:3], v5
	v_frexp_exp_i32_f64_e32 v2, v[2:3]
	v_frexp_mant_f32_e32 v3, v5
	v_cmp_gt_f32_e32 vcc_lo, 0x3f2aaaab, v3
	v_add_f32_e32 v3, -1.0, v5
	v_sub_f32_e32 v18, v3, v5
	v_sub_f32_e32 v3, v4, v3
	v_add_f32_e32 v18, 1.0, v18
	v_add_f32_e32 v3, v3, v18
	v_subrev_co_ci_u32_e64 v2, null, 0, v2, vcc_lo
	v_cmp_neq_f32_e32 vcc_lo, 0x7f800000, v4
	v_sub_nc_u32_e32 v17, 0, v2
	v_cvt_f32_i32_e32 v2, v2
	v_ldexp_f32 v5, v5, v17
	v_ldexp_f32 v3, v3, v17
	v_add_f32_e32 v19, 1.0, v5
	v_add_f32_e32 v17, -1.0, v5
	v_add_f32_e32 v18, -1.0, v19
	v_add_f32_e32 v20, 1.0, v17
	v_sub_f32_e32 v18, v5, v18
	v_sub_f32_e32 v5, v5, v20
	v_add_f32_e32 v18, v3, v18
	v_add_f32_e32 v3, v3, v5
	;; [unrolled: 1-line block ×4, first 2 shown]
	v_rcp_f32_e32 v5, v20
	v_sub_f32_e32 v19, v19, v20
	v_sub_f32_e32 v17, v17, v22
	v_add_f32_e32 v18, v18, v19
	v_add_f32_e32 v3, v3, v17
	v_mul_f32_e32 v23, v22, v5
	v_mul_f32_e32 v26, v20, v23
	v_fma_f32 v19, v23, v20, -v26
	v_fmac_f32_e32 v19, v23, v18
	v_add_f32_e32 v27, v26, v19
	v_sub_f32_e32 v28, v22, v27
	v_sub_f32_e32 v17, v27, v26
	;; [unrolled: 1-line block ×5, first 2 shown]
	v_add_f32_e32 v3, v3, v22
	v_add_f32_e32 v3, v17, v3
	;; [unrolled: 1-line block ×3, first 2 shown]
	v_mul_f32_e32 v19, v5, v17
	v_sub_f32_e32 v27, v28, v17
	v_mul_f32_e32 v22, v20, v19
	v_add_f32_e32 v3, v3, v27
	v_fma_f32 v20, v19, v20, -v22
	v_fmac_f32_e32 v20, v19, v18
	v_add_f32_e32 v18, v22, v20
	v_sub_f32_e32 v26, v17, v18
	v_sub_f32_e32 v22, v18, v22
	;; [unrolled: 1-line block ×5, first 2 shown]
	v_add_f32_e32 v3, v3, v17
	v_add_f32_e32 v17, v23, v19
	;; [unrolled: 1-line block ×3, first 2 shown]
	v_sub_f32_e32 v18, v17, v23
	v_add_f32_e32 v3, v26, v3
	v_sub_f32_e32 v18, v19, v18
	v_mul_f32_e32 v3, v5, v3
	v_add_f32_e32 v3, v18, v3
	v_add_f32_e32 v5, v17, v3
	v_mul_f32_e32 v18, v5, v5
	v_fmaak_f32 v19, s2, v18, 0x3ecc95a3
	v_mul_f32_e32 v20, v5, v18
	v_fmaak_f32 v18, v18, v19, 0x3f2aaada
	v_ldexp_f32 v19, v5, 1
	v_sub_f32_e32 v5, v5, v17
	v_mul_f32_e32 v18, v20, v18
	v_mul_f32_e32 v20, 0x3f317218, v2
	v_sub_f32_e32 v3, v3, v5
	v_add_f32_e32 v17, v19, v18
	v_ldexp_f32 v3, v3, 1
	v_sub_f32_e32 v5, v17, v19
	v_fma_f32 v19, 0x3f317218, v2, -v20
	v_sub_f32_e32 v5, v18, v5
	v_fmamk_f32 v2, v2, 0xb102e308, v19
	v_add_f32_e32 v3, v3, v5
	v_add_f32_e32 v5, v20, v2
	v_add_f32_e32 v18, v17, v3
	v_sub_f32_e32 v20, v5, v20
	v_add_f32_e32 v19, v5, v18
	v_sub_f32_e32 v17, v18, v17
	v_sub_f32_e32 v2, v2, v20
	;; [unrolled: 1-line block ×6, first 2 shown]
	v_add_f32_e32 v18, v2, v3
	v_sub_f32_e32 v5, v5, v23
	v_add_f32_e32 v5, v17, v5
	v_sub_f32_e32 v17, v18, v2
	;; [unrolled: 2-line block ×3, first 2 shown]
	v_sub_f32_e32 v3, v3, v17
	v_add_f32_e32 v20, v19, v5
	v_sub_f32_e32 v2, v2, v18
	v_sub_f32_e32 v17, v20, v19
	v_add_f32_e32 v2, v3, v2
	v_sub_f32_e32 v3, v5, v17
	v_add_f32_e32 v2, v2, v3
	v_add_f32_e32 v2, v20, v2
	v_cndmask_b32_e32 v2, 0x7f800000, v2, vcc_lo
	v_cmp_gt_f32_e64 vcc_lo, 0x33800000, |v4|
	v_cndmask_b32_e32 v2, v2, v4, vcc_lo
	v_add_f32_e32 v2, v1, v2
.LBB511_254:
	s_or_b32 exec_lo, exec_lo, s1
	v_bfe_u32 v3, v2, 16, 1
	v_cmp_o_f32_e32 vcc_lo, v2, v2
	v_mov_b32_e32 v1, 0x7fc0
	v_add3_u32 v2, v2, v3, 0x7fff
	v_cndmask_b32_sdwa v17, v1, v2, vcc_lo dst_sel:DWORD dst_unused:UNUSED_PAD src0_sel:DWORD src1_sel:WORD_1
	v_lshlrev_b32_e32 v3, 16, v17
	v_max_f32_e32 v2, v3, v3
	v_cmp_u_f32_e32 vcc_lo, v3, v3
	v_min_f32_e32 v4, v2, v24
	v_max_f32_e32 v2, v2, v24
	v_cndmask_b32_e32 v4, v4, v3, vcc_lo
	v_cndmask_b32_e32 v2, v2, v3, vcc_lo
	v_cndmask_b32_e64 v4, v4, v21, s12
	v_cndmask_b32_e64 v2, v2, v21, s12
	v_cmp_class_f32_e64 s1, v4, 0x1f8
	v_cmp_neq_f32_e32 vcc_lo, v4, v2
	s_or_b32 s2, vcc_lo, s1
	s_and_saveexec_b32 s1, s2
	s_cbranch_execz .LBB511_256
; %bb.255:
	v_sub_f32_e32 v3, v4, v2
	s_mov_b32 s2, 0x3e9b6dac
	v_mul_f32_e32 v4, 0x3fb8aa3b, v3
	v_cmp_ngt_f32_e32 vcc_lo, 0xc2ce8ed0, v3
	v_fma_f32 v5, 0x3fb8aa3b, v3, -v4
	v_rndne_f32_e32 v18, v4
	v_fmamk_f32 v5, v3, 0x32a5705f, v5
	v_sub_f32_e32 v4, v4, v18
	v_add_f32_e32 v4, v4, v5
	v_cvt_i32_f32_e32 v5, v18
	v_exp_f32_e32 v4, v4
	v_ldexp_f32 v4, v4, v5
	v_cndmask_b32_e32 v4, 0, v4, vcc_lo
	v_cmp_nlt_f32_e32 vcc_lo, 0x42b17218, v3
	v_cndmask_b32_e32 v5, 0x7f800000, v4, vcc_lo
	v_add_f32_e32 v18, 1.0, v5
	v_cvt_f64_f32_e32 v[3:4], v18
	v_frexp_exp_i32_f64_e32 v3, v[3:4]
	v_frexp_mant_f32_e32 v4, v18
	v_cmp_gt_f32_e32 vcc_lo, 0x3f2aaaab, v4
	v_add_f32_e32 v4, -1.0, v18
	v_sub_f32_e32 v20, v4, v18
	v_sub_f32_e32 v4, v5, v4
	v_add_f32_e32 v20, 1.0, v20
	v_add_f32_e32 v4, v4, v20
	v_subrev_co_ci_u32_e64 v3, null, 0, v3, vcc_lo
	v_cmp_neq_f32_e32 vcc_lo, 0x7f800000, v5
	v_sub_nc_u32_e32 v19, 0, v3
	v_cvt_f32_i32_e32 v3, v3
	v_ldexp_f32 v18, v18, v19
	v_ldexp_f32 v4, v4, v19
	v_add_f32_e32 v21, 1.0, v18
	v_add_f32_e32 v19, -1.0, v18
	v_add_f32_e32 v20, -1.0, v21
	v_add_f32_e32 v22, 1.0, v19
	v_sub_f32_e32 v20, v18, v20
	v_sub_f32_e32 v18, v18, v22
	v_add_f32_e32 v20, v4, v20
	v_add_f32_e32 v4, v4, v18
	;; [unrolled: 1-line block ×4, first 2 shown]
	v_rcp_f32_e32 v18, v22
	v_sub_f32_e32 v21, v21, v22
	v_sub_f32_e32 v19, v19, v23
	v_add_f32_e32 v20, v20, v21
	v_add_f32_e32 v4, v4, v19
	v_mul_f32_e32 v24, v23, v18
	v_mul_f32_e32 v26, v22, v24
	v_fma_f32 v21, v24, v22, -v26
	v_fmac_f32_e32 v21, v24, v20
	v_add_f32_e32 v27, v26, v21
	v_sub_f32_e32 v28, v23, v27
	v_sub_f32_e32 v19, v27, v26
	;; [unrolled: 1-line block ×5, first 2 shown]
	v_add_f32_e32 v4, v4, v23
	v_add_f32_e32 v4, v19, v4
	;; [unrolled: 1-line block ×3, first 2 shown]
	v_mul_f32_e32 v21, v18, v19
	v_sub_f32_e32 v27, v28, v19
	v_mul_f32_e32 v23, v22, v21
	v_add_f32_e32 v4, v4, v27
	v_fma_f32 v22, v21, v22, -v23
	v_fmac_f32_e32 v22, v21, v20
	v_add_f32_e32 v20, v23, v22
	v_sub_f32_e32 v26, v19, v20
	v_sub_f32_e32 v23, v20, v23
	;; [unrolled: 1-line block ×5, first 2 shown]
	v_add_f32_e32 v4, v4, v19
	v_add_f32_e32 v19, v24, v21
	;; [unrolled: 1-line block ×3, first 2 shown]
	v_sub_f32_e32 v20, v19, v24
	v_add_f32_e32 v4, v26, v4
	v_sub_f32_e32 v20, v21, v20
	v_mul_f32_e32 v4, v18, v4
	v_add_f32_e32 v4, v20, v4
	v_add_f32_e32 v18, v19, v4
	v_mul_f32_e32 v20, v18, v18
	v_fmaak_f32 v21, s2, v20, 0x3ecc95a3
	v_mul_f32_e32 v22, v18, v20
	v_fmaak_f32 v20, v20, v21, 0x3f2aaada
	v_ldexp_f32 v21, v18, 1
	v_sub_f32_e32 v18, v18, v19
	v_mul_f32_e32 v20, v22, v20
	v_mul_f32_e32 v22, 0x3f317218, v3
	v_sub_f32_e32 v4, v4, v18
	v_add_f32_e32 v19, v21, v20
	v_ldexp_f32 v4, v4, 1
	v_sub_f32_e32 v18, v19, v21
	v_fma_f32 v21, 0x3f317218, v3, -v22
	v_sub_f32_e32 v18, v20, v18
	v_fmamk_f32 v3, v3, 0xb102e308, v21
	v_add_f32_e32 v4, v4, v18
	v_add_f32_e32 v18, v22, v3
	;; [unrolled: 1-line block ×3, first 2 shown]
	v_sub_f32_e32 v22, v18, v22
	v_add_f32_e32 v21, v18, v20
	v_sub_f32_e32 v19, v20, v19
	v_sub_f32_e32 v3, v3, v22
	;; [unrolled: 1-line block ×6, first 2 shown]
	v_add_f32_e32 v20, v3, v4
	v_sub_f32_e32 v18, v18, v24
	v_add_f32_e32 v18, v19, v18
	v_sub_f32_e32 v19, v20, v3
	;; [unrolled: 2-line block ×3, first 2 shown]
	v_sub_f32_e32 v4, v4, v19
	v_add_f32_e32 v22, v21, v18
	v_sub_f32_e32 v3, v3, v20
	v_sub_f32_e32 v19, v22, v21
	v_add_f32_e32 v3, v4, v3
	v_sub_f32_e32 v4, v18, v19
	v_add_f32_e32 v3, v3, v4
	v_add_f32_e32 v3, v22, v3
	v_cndmask_b32_e32 v3, 0x7f800000, v3, vcc_lo
	v_cmp_gt_f32_e64 vcc_lo, 0x33800000, |v5|
	v_cndmask_b32_e32 v3, v3, v5, vcc_lo
	v_add_f32_e32 v3, v2, v3
.LBB511_256:
	s_or_b32 exec_lo, exec_lo, s1
	v_bfe_u32 v2, v3, 16, 1
	v_cmp_o_f32_e32 vcc_lo, v3, v3
	v_add3_u32 v2, v3, v2, 0x7fff
	v_cndmask_b32_sdwa v18, v1, v2, vcc_lo dst_sel:DWORD dst_unused:UNUSED_PAD src0_sel:DWORD src1_sel:WORD_1
	v_lshlrev_b32_e32 v2, 16, v18
	v_max_f32_e32 v1, v2, v2
	v_cmp_u_f32_e32 vcc_lo, v2, v2
	v_min_f32_e32 v3, v1, v25
	v_max_f32_e32 v1, v1, v25
	v_cndmask_b32_e32 v3, v3, v2, vcc_lo
	v_cndmask_b32_e32 v1, v1, v2, vcc_lo
	v_cndmask_b32_e64 v3, v3, v6, s13
	v_cndmask_b32_e64 v1, v1, v6, s13
	v_cmp_class_f32_e64 s1, v3, 0x1f8
	v_cmp_neq_f32_e32 vcc_lo, v3, v1
	s_or_b32 s2, vcc_lo, s1
	s_and_saveexec_b32 s1, s2
	s_cbranch_execz .LBB511_258
; %bb.257:
	v_sub_f32_e32 v2, v3, v1
	s_mov_b32 s2, 0x3e9b6dac
	v_mul_f32_e32 v3, 0x3fb8aa3b, v2
	v_cmp_ngt_f32_e32 vcc_lo, 0xc2ce8ed0, v2
	v_fma_f32 v4, 0x3fb8aa3b, v2, -v3
	v_rndne_f32_e32 v5, v3
	v_fmamk_f32 v4, v2, 0x32a5705f, v4
	v_sub_f32_e32 v3, v3, v5
	v_add_f32_e32 v3, v3, v4
	v_cvt_i32_f32_e32 v4, v5
	v_exp_f32_e32 v3, v3
	v_ldexp_f32 v3, v3, v4
	v_cndmask_b32_e32 v3, 0, v3, vcc_lo
	v_cmp_nlt_f32_e32 vcc_lo, 0x42b17218, v2
	v_cndmask_b32_e32 v4, 0x7f800000, v3, vcc_lo
	v_add_f32_e32 v5, 1.0, v4
	v_cvt_f64_f32_e32 v[2:3], v5
	v_frexp_exp_i32_f64_e32 v2, v[2:3]
	v_frexp_mant_f32_e32 v3, v5
	v_cmp_gt_f32_e32 vcc_lo, 0x3f2aaaab, v3
	v_add_f32_e32 v3, -1.0, v5
	v_sub_f32_e32 v19, v3, v5
	v_sub_f32_e32 v3, v4, v3
	v_add_f32_e32 v19, 1.0, v19
	v_add_f32_e32 v3, v3, v19
	v_subrev_co_ci_u32_e64 v2, null, 0, v2, vcc_lo
	v_cmp_neq_f32_e32 vcc_lo, 0x7f800000, v4
	v_sub_nc_u32_e32 v6, 0, v2
	v_cvt_f32_i32_e32 v2, v2
	v_ldexp_f32 v5, v5, v6
	v_ldexp_f32 v3, v3, v6
	v_add_f32_e32 v20, 1.0, v5
	v_add_f32_e32 v6, -1.0, v5
	v_add_f32_e32 v19, -1.0, v20
	v_add_f32_e32 v21, 1.0, v6
	v_sub_f32_e32 v19, v5, v19
	v_sub_f32_e32 v5, v5, v21
	v_add_f32_e32 v19, v3, v19
	v_add_f32_e32 v3, v3, v5
	;; [unrolled: 1-line block ×4, first 2 shown]
	v_rcp_f32_e32 v5, v21
	v_sub_f32_e32 v20, v20, v21
	v_sub_f32_e32 v6, v6, v22
	v_add_f32_e32 v19, v19, v20
	v_add_f32_e32 v3, v3, v6
	v_mul_f32_e32 v23, v22, v5
	v_mul_f32_e32 v24, v21, v23
	v_fma_f32 v20, v23, v21, -v24
	v_fmac_f32_e32 v20, v23, v19
	v_add_f32_e32 v25, v24, v20
	v_sub_f32_e32 v26, v22, v25
	v_sub_f32_e32 v6, v25, v24
	;; [unrolled: 1-line block ×5, first 2 shown]
	v_add_f32_e32 v3, v3, v22
	v_add_f32_e32 v3, v6, v3
	;; [unrolled: 1-line block ×3, first 2 shown]
	v_mul_f32_e32 v20, v5, v6
	v_sub_f32_e32 v25, v26, v6
	v_mul_f32_e32 v22, v21, v20
	v_add_f32_e32 v3, v3, v25
	v_fma_f32 v21, v20, v21, -v22
	v_fmac_f32_e32 v21, v20, v19
	v_add_f32_e32 v19, v22, v21
	v_sub_f32_e32 v24, v6, v19
	v_sub_f32_e32 v22, v19, v22
	;; [unrolled: 1-line block ×5, first 2 shown]
	v_add_f32_e32 v3, v3, v6
	v_add_f32_e32 v6, v23, v20
	v_add_f32_e32 v3, v19, v3
	v_sub_f32_e32 v19, v6, v23
	v_add_f32_e32 v3, v24, v3
	v_sub_f32_e32 v19, v20, v19
	v_mul_f32_e32 v3, v5, v3
	v_add_f32_e32 v3, v19, v3
	v_add_f32_e32 v5, v6, v3
	v_mul_f32_e32 v19, v5, v5
	v_fmaak_f32 v20, s2, v19, 0x3ecc95a3
	v_mul_f32_e32 v21, v5, v19
	v_fmaak_f32 v19, v19, v20, 0x3f2aaada
	v_ldexp_f32 v20, v5, 1
	v_sub_f32_e32 v5, v5, v6
	v_mul_f32_e32 v19, v21, v19
	v_mul_f32_e32 v21, 0x3f317218, v2
	v_sub_f32_e32 v3, v3, v5
	v_add_f32_e32 v6, v20, v19
	v_ldexp_f32 v3, v3, 1
	v_sub_f32_e32 v5, v6, v20
	v_fma_f32 v20, 0x3f317218, v2, -v21
	v_sub_f32_e32 v5, v19, v5
	v_fmamk_f32 v2, v2, 0xb102e308, v20
	v_add_f32_e32 v3, v3, v5
	v_add_f32_e32 v5, v21, v2
	;; [unrolled: 1-line block ×3, first 2 shown]
	v_sub_f32_e32 v21, v5, v21
	v_add_f32_e32 v20, v5, v19
	v_sub_f32_e32 v6, v19, v6
	v_sub_f32_e32 v2, v2, v21
	;; [unrolled: 1-line block ×6, first 2 shown]
	v_add_f32_e32 v19, v2, v3
	v_sub_f32_e32 v5, v5, v23
	v_add_f32_e32 v5, v6, v5
	v_sub_f32_e32 v6, v19, v2
	;; [unrolled: 2-line block ×3, first 2 shown]
	v_sub_f32_e32 v3, v3, v6
	v_add_f32_e32 v21, v20, v5
	v_sub_f32_e32 v2, v2, v19
	v_sub_f32_e32 v6, v21, v20
	v_add_f32_e32 v2, v3, v2
	v_sub_f32_e32 v3, v5, v6
	v_add_f32_e32 v2, v2, v3
	v_add_f32_e32 v2, v21, v2
	v_cndmask_b32_e32 v2, 0x7f800000, v2, vcc_lo
	v_cmp_gt_f32_e64 vcc_lo, 0x33800000, |v4|
	v_cndmask_b32_e32 v2, v2, v4, vcc_lo
	v_add_f32_e32 v2, v1, v2
.LBB511_258:
	s_or_b32 exec_lo, exec_lo, s1
	v_bfe_u32 v1, v2, 16, 1
	v_cmp_o_f32_e32 vcc_lo, v2, v2
	v_mov_b32_e32 v3, 0x7fc0
	s_mov_b32 s1, exec_lo
	v_add3_u32 v1, v2, v1, 0x7fff
	v_cndmask_b32_sdwa v19, v3, v1, vcc_lo dst_sel:DWORD dst_unused:UNUSED_PAD src0_sel:DWORD src1_sel:WORD_1
	v_cmpx_eq_u32_e32 63, v0
	s_cbranch_execz .LBB511_260
; %bb.259:
	v_mov_b32_e32 v1, 0x20000
	v_mov_b32_e32 v2, 0
	v_or_b32_sdwa v1, v19, v1 dst_sel:DWORD dst_unused:UNUSED_PAD src0_sel:WORD_0 src1_sel:DWORD
	global_store_dword v2, v1, s[18:19] offset:128
.LBB511_260:
	s_or_b32 exec_lo, exec_lo, s1
.LBB511_261:
	s_add_u32 s1, s40, s28
	v_perm_b32 v2, v15, v14, 0x5040100
	v_perm_b32 v1, v11, v9, 0x5040100
	;; [unrolled: 1-line block ×6, first 2 shown]
	s_addc_u32 s3, s41, s29
	s_add_u32 s2, s1, s30
	s_addc_u32 s3, s3, s31
	s_and_b32 vcc_lo, exec_lo, s0
	s_mov_b32 s0, -1
	s_waitcnt_vscnt null, 0x0
	s_barrier
	buffer_gl0_inv
	s_cbranch_vccz .LBB511_263
; %bb.262:
	ds_write2_b64 v13, v[5:6], v[1:2] offset1:1
	ds_write_b64 v13, v[3:4] offset:16
	s_waitcnt lgkmcnt(0)
	s_barrier
	buffer_gl0_inv
	ds_read_u16 v7, v12
	ds_read_u16 v8, v12 offset:128
	ds_read_u16 v9, v12 offset:256
	;; [unrolled: 1-line block ×11, first 2 shown]
	s_mov_b32 s0, 0
	s_waitcnt lgkmcnt(11)
	global_store_short v12, v7, s[2:3]
	s_waitcnt lgkmcnt(10)
	global_store_short v12, v8, s[2:3] offset:128
	s_waitcnt lgkmcnt(9)
	global_store_short v12, v9, s[2:3] offset:256
	s_waitcnt lgkmcnt(8)
	global_store_short v12, v10, s[2:3] offset:384
	s_waitcnt lgkmcnt(7)
	global_store_short v12, v11, s[2:3] offset:512
	s_waitcnt lgkmcnt(6)
	global_store_short v12, v14, s[2:3] offset:640
	s_waitcnt lgkmcnt(5)
	global_store_short v12, v15, s[2:3] offset:768
	s_waitcnt lgkmcnt(4)
	global_store_short v12, v16, s[2:3] offset:896
	s_waitcnt lgkmcnt(3)
	global_store_short v12, v17, s[2:3] offset:1024
	s_waitcnt lgkmcnt(2)
	global_store_short v12, v18, s[2:3] offset:1152
	s_waitcnt lgkmcnt(1)
	global_store_short v12, v19, s[2:3] offset:1280
	s_waitcnt lgkmcnt(0)
	global_store_short v12, v20, s[2:3] offset:1408
.LBB511_263:
	s_andn2_b32 vcc_lo, exec_lo, s0
	s_cbranch_vccnz .LBB511_331
; %bb.264:
	ds_write2_b64 v13, v[5:6], v[1:2] offset1:1
	ds_write_b64 v13, v[3:4] offset:16
	s_waitcnt lgkmcnt(0)
	s_waitcnt_vscnt null, 0x0
	s_barrier
	buffer_gl0_inv
	ds_read_u16 v5, v12
	ds_read_u16 v4, v12 offset:128
	ds_read_u16 v6, v12 offset:256
	;; [unrolled: 1-line block ×11, first 2 shown]
	v_add_co_u32 v2, s0, s2, v12
	v_mov_b32_e32 v1, 0
	v_add_co_ci_u32_e64 v3, null, s3, 0, s0
	s_mov_b32 s0, exec_lo
	v_cmpx_gt_u32_e64 s33, v0
	s_cbranch_execz .LBB511_266
; %bb.265:
	s_waitcnt lgkmcnt(11)
	global_store_short v[2:3], v5, off
.LBB511_266:
	s_or_b32 exec_lo, exec_lo, s0
	v_or_b32_e32 v12, 64, v0
	s_mov_b32 s0, exec_lo
	v_cmpx_gt_u32_e64 s33, v12
	s_cbranch_execz .LBB511_268
; %bb.267:
	s_waitcnt lgkmcnt(10)
	global_store_short v[2:3], v4, off offset:128
.LBB511_268:
	s_or_b32 exec_lo, exec_lo, s0
	v_or_b32_e32 v12, 0x80, v0
	s_mov_b32 s0, exec_lo
	v_cmpx_gt_u32_e64 s33, v12
	s_cbranch_execz .LBB511_270
; %bb.269:
	s_waitcnt lgkmcnt(9)
	global_store_short v[2:3], v6, off offset:256
.LBB511_270:
	;; [unrolled: 9-line block ×11, first 2 shown]
	s_or_b32 exec_lo, exec_lo, s0
	v_cmp_lt_u64_e64 s0, s[26:27], 2
	s_and_b32 vcc_lo, exec_lo, s0
	s_cbranch_vccnz .LBB511_331
; %bb.289:
	s_add_u32 s0, s33, -1
	s_addc_u32 s1, s34, -1
	s_mul_hi_u32 s5, s0, 0xaaaaaaab
	s_mul_i32 s4, s1, 0xaaaaaaab
	s_mul_hi_u32 s6, s1, 0xaaaaaaab
	s_mul_i32 s3, s0, 0xaaaaaaaa
	s_add_u32 s4, s4, s5
	s_mul_hi_u32 s2, s0, 0xaaaaaaaa
	s_addc_u32 s5, s6, 0
	s_add_u32 s3, s3, s4
	s_addc_u32 s2, s2, 0
	s_mul_i32 s4, s1, 0xaaaaaaaa
	s_add_u32 s2, s5, s2
	s_addc_u32 s3, 0, 0
	s_mul_hi_u32 s5, s1, 0xaaaaaaaa
	s_add_u32 s2, s4, s2
	s_addc_u32 s3, s5, s3
	s_lshr_b64 s[2:3], s[2:3], 3
	v_cmp_eq_u64_e32 vcc_lo, s[2:3], v[0:1]
	s_and_saveexec_b32 s2, vcc_lo
	s_cbranch_execz .LBB511_331
; %bb.290:
	v_mul_u32_u24_e32 v1, 12, v0
	v_mul_hi_u32_u24_e32 v2, 12, v0
	v_sub_co_u32 v0, vcc_lo, s0, v1
	v_sub_co_ci_u32_e64 v1, null, s1, v2, vcc_lo
	s_mov_b32 s0, exec_lo
	v_cmpx_lt_i64_e32 5, v[0:1]
	s_xor_b32 s0, exec_lo, s0
	s_cbranch_execz .LBB511_312
; %bb.291:
	s_mov_b32 s1, exec_lo
	v_cmpx_lt_i64_e32 8, v[0:1]
	s_xor_b32 s1, exec_lo, s1
	s_cbranch_execz .LBB511_301
; %bb.292:
	;; [unrolled: 5-line block ×4, first 2 shown]
	v_mov_b32_e32 v0, 0
                                        ; implicit-def: $vgpr14
	s_waitcnt lgkmcnt(0)
	global_store_short v0, v16, s[22:23]
.LBB511_295:
	s_andn2_saveexec_b32 s3, s3
	s_cbranch_execz .LBB511_297
; %bb.296:
	v_mov_b32_e32 v0, 0
	s_waitcnt lgkmcnt(1)
	global_store_short v0, v14, s[22:23]
.LBB511_297:
	s_or_b32 exec_lo, exec_lo, s3
                                        ; implicit-def: $vgpr15
.LBB511_298:
	s_andn2_saveexec_b32 s2, s2
	s_cbranch_execz .LBB511_300
; %bb.299:
	v_mov_b32_e32 v0, 0
	s_waitcnt lgkmcnt(2)
	global_store_short v0, v15, s[22:23]
.LBB511_300:
	s_or_b32 exec_lo, exec_lo, s2
                                        ; implicit-def: $vgpr11
                                        ; implicit-def: $vgpr0_vgpr1
                                        ; implicit-def: $vgpr9
                                        ; implicit-def: $vgpr13
.LBB511_301:
	s_andn2_saveexec_b32 s1, s1
	s_cbranch_execz .LBB511_311
; %bb.302:
	s_mov_b32 s2, exec_lo
	v_cmpx_lt_i64_e32 6, v[0:1]
	s_xor_b32 s2, exec_lo, s2
	s_cbranch_execz .LBB511_308
; %bb.303:
	s_mov_b32 s3, exec_lo
	v_cmpx_lt_i64_e32 7, v[0:1]
	s_xor_b32 s3, exec_lo, s3
	s_cbranch_execz .LBB511_305
; %bb.304:
	v_mov_b32_e32 v0, 0
                                        ; implicit-def: $vgpr9
	s_waitcnt lgkmcnt(3)
	global_store_short v0, v13, s[22:23]
.LBB511_305:
	s_andn2_saveexec_b32 s3, s3
	s_cbranch_execz .LBB511_307
; %bb.306:
	v_mov_b32_e32 v0, 0
	s_waitcnt lgkmcnt(4)
	global_store_short v0, v9, s[22:23]
.LBB511_307:
	s_or_b32 exec_lo, exec_lo, s3
                                        ; implicit-def: $vgpr11
.LBB511_308:
	s_andn2_saveexec_b32 s2, s2
	s_cbranch_execz .LBB511_310
; %bb.309:
	v_mov_b32_e32 v0, 0
	s_waitcnt lgkmcnt(5)
	global_store_short v0, v11, s[22:23]
.LBB511_310:
	s_or_b32 exec_lo, exec_lo, s2
.LBB511_311:
	s_or_b32 exec_lo, exec_lo, s1
                                        ; implicit-def: $vgpr0_vgpr1
                                        ; implicit-def: $vgpr8
                                        ; implicit-def: $vgpr6
                                        ; implicit-def: $vgpr4
                                        ; implicit-def: $vgpr5
                                        ; implicit-def: $vgpr7
                                        ; implicit-def: $vgpr10
.LBB511_312:
	s_andn2_saveexec_b32 s0, s0
	s_cbranch_execz .LBB511_331
; %bb.313:
	s_mov_b32 s0, exec_lo
	v_cmpx_lt_i64_e32 2, v[0:1]
	s_xor_b32 s0, exec_lo, s0
	s_cbranch_execz .LBB511_323
; %bb.314:
	s_mov_b32 s1, exec_lo
	v_cmpx_lt_i64_e32 3, v[0:1]
	s_xor_b32 s1, exec_lo, s1
	;; [unrolled: 5-line block ×3, first 2 shown]
	s_cbranch_execz .LBB511_317
; %bb.316:
	v_mov_b32_e32 v0, 0
                                        ; implicit-def: $vgpr7
	s_waitcnt lgkmcnt(6)
	global_store_short v0, v10, s[22:23]
.LBB511_317:
	s_andn2_saveexec_b32 s2, s2
	s_cbranch_execz .LBB511_319
; %bb.318:
	v_mov_b32_e32 v0, 0
	s_waitcnt lgkmcnt(7)
	global_store_short v0, v7, s[22:23]
.LBB511_319:
	s_or_b32 exec_lo, exec_lo, s2
                                        ; implicit-def: $vgpr8
.LBB511_320:
	s_andn2_saveexec_b32 s1, s1
	s_cbranch_execz .LBB511_322
; %bb.321:
	v_mov_b32_e32 v0, 0
	s_waitcnt lgkmcnt(8)
	global_store_short v0, v8, s[22:23]
.LBB511_322:
	s_or_b32 exec_lo, exec_lo, s1
                                        ; implicit-def: $vgpr0_vgpr1
                                        ; implicit-def: $vgpr6
                                        ; implicit-def: $vgpr4
                                        ; implicit-def: $vgpr5
.LBB511_323:
	s_andn2_saveexec_b32 s0, s0
	s_cbranch_execz .LBB511_331
; %bb.324:
	s_mov_b32 s0, exec_lo
	v_cmpx_lt_i64_e32 1, v[0:1]
	s_xor_b32 s0, exec_lo, s0
	s_cbranch_execz .LBB511_326
; %bb.325:
	v_mov_b32_e32 v0, 0
                                        ; implicit-def: $vgpr4
                                        ; implicit-def: $vgpr5
	s_waitcnt lgkmcnt(9)
	global_store_short v0, v6, s[22:23]
                                        ; implicit-def: $vgpr0_vgpr1
.LBB511_326:
	s_andn2_saveexec_b32 s0, s0
	s_cbranch_execz .LBB511_331
; %bb.327:
	s_mov_b32 s0, exec_lo
	v_cmpx_ne_u64_e32 1, v[0:1]
	s_xor_b32 s0, exec_lo, s0
	s_cbranch_execz .LBB511_329
; %bb.328:
	v_mov_b32_e32 v0, 0
                                        ; implicit-def: $vgpr4
	s_waitcnt lgkmcnt(11)
	global_store_short v0, v5, s[22:23]
.LBB511_329:
	s_andn2_saveexec_b32 s0, s0
	s_cbranch_execz .LBB511_331
; %bb.330:
	v_mov_b32_e32 v0, 0
	s_waitcnt lgkmcnt(10)
	global_store_short v0, v4, s[22:23]
.LBB511_331:
	s_endpgm
	.section	.rodata,"a",@progbits
	.p2align	6, 0x0
	.amdhsa_kernel _ZN7rocprim17ROCPRIM_400000_NS6detail17trampoline_kernelINS0_14default_configENS1_20scan_config_selectorIN3c108BFloat16EEEZZNS1_9scan_implILNS1_25lookback_scan_determinismE0ELb0ELb0ES3_PKS6_PS6_S6_ZZZN2at6native31launch_logcumsumexp_cuda_kernelERKNSD_10TensorBaseESH_lENKUlvE_clEvENKUlvE4_clEvEUlS6_S6_E_S6_EEDaPvRmT3_T4_T5_mT6_P12ihipStream_tbENKUlT_T0_E_clISt17integral_constantIbLb0EESX_IbLb1EEEEDaST_SU_EUlST_E_NS1_11comp_targetILNS1_3genE8ELNS1_11target_archE1030ELNS1_3gpuE2ELNS1_3repE0EEENS1_30default_config_static_selectorELNS0_4arch9wavefront6targetE0EEEvT1_
		.amdhsa_group_segment_fixed_size 1536
		.amdhsa_private_segment_fixed_size 0
		.amdhsa_kernarg_size 96
		.amdhsa_user_sgpr_count 6
		.amdhsa_user_sgpr_private_segment_buffer 1
		.amdhsa_user_sgpr_dispatch_ptr 0
		.amdhsa_user_sgpr_queue_ptr 0
		.amdhsa_user_sgpr_kernarg_segment_ptr 1
		.amdhsa_user_sgpr_dispatch_id 0
		.amdhsa_user_sgpr_flat_scratch_init 0
		.amdhsa_user_sgpr_private_segment_size 0
		.amdhsa_wavefront_size32 1
		.amdhsa_uses_dynamic_stack 0
		.amdhsa_system_sgpr_private_segment_wavefront_offset 0
		.amdhsa_system_sgpr_workgroup_id_x 1
		.amdhsa_system_sgpr_workgroup_id_y 0
		.amdhsa_system_sgpr_workgroup_id_z 0
		.amdhsa_system_sgpr_workgroup_info 0
		.amdhsa_system_vgpr_workitem_id 0
		.amdhsa_next_free_vgpr 67
		.amdhsa_next_free_sgpr 44
		.amdhsa_reserve_vcc 1
		.amdhsa_reserve_flat_scratch 0
		.amdhsa_float_round_mode_32 0
		.amdhsa_float_round_mode_16_64 0
		.amdhsa_float_denorm_mode_32 3
		.amdhsa_float_denorm_mode_16_64 3
		.amdhsa_dx10_clamp 1
		.amdhsa_ieee_mode 1
		.amdhsa_fp16_overflow 0
		.amdhsa_workgroup_processor_mode 1
		.amdhsa_memory_ordered 1
		.amdhsa_forward_progress 1
		.amdhsa_shared_vgpr_count 0
		.amdhsa_exception_fp_ieee_invalid_op 0
		.amdhsa_exception_fp_denorm_src 0
		.amdhsa_exception_fp_ieee_div_zero 0
		.amdhsa_exception_fp_ieee_overflow 0
		.amdhsa_exception_fp_ieee_underflow 0
		.amdhsa_exception_fp_ieee_inexact 0
		.amdhsa_exception_int_div_zero 0
	.end_amdhsa_kernel
	.section	.text._ZN7rocprim17ROCPRIM_400000_NS6detail17trampoline_kernelINS0_14default_configENS1_20scan_config_selectorIN3c108BFloat16EEEZZNS1_9scan_implILNS1_25lookback_scan_determinismE0ELb0ELb0ES3_PKS6_PS6_S6_ZZZN2at6native31launch_logcumsumexp_cuda_kernelERKNSD_10TensorBaseESH_lENKUlvE_clEvENKUlvE4_clEvEUlS6_S6_E_S6_EEDaPvRmT3_T4_T5_mT6_P12ihipStream_tbENKUlT_T0_E_clISt17integral_constantIbLb0EESX_IbLb1EEEEDaST_SU_EUlST_E_NS1_11comp_targetILNS1_3genE8ELNS1_11target_archE1030ELNS1_3gpuE2ELNS1_3repE0EEENS1_30default_config_static_selectorELNS0_4arch9wavefront6targetE0EEEvT1_,"axG",@progbits,_ZN7rocprim17ROCPRIM_400000_NS6detail17trampoline_kernelINS0_14default_configENS1_20scan_config_selectorIN3c108BFloat16EEEZZNS1_9scan_implILNS1_25lookback_scan_determinismE0ELb0ELb0ES3_PKS6_PS6_S6_ZZZN2at6native31launch_logcumsumexp_cuda_kernelERKNSD_10TensorBaseESH_lENKUlvE_clEvENKUlvE4_clEvEUlS6_S6_E_S6_EEDaPvRmT3_T4_T5_mT6_P12ihipStream_tbENKUlT_T0_E_clISt17integral_constantIbLb0EESX_IbLb1EEEEDaST_SU_EUlST_E_NS1_11comp_targetILNS1_3genE8ELNS1_11target_archE1030ELNS1_3gpuE2ELNS1_3repE0EEENS1_30default_config_static_selectorELNS0_4arch9wavefront6targetE0EEEvT1_,comdat
.Lfunc_end511:
	.size	_ZN7rocprim17ROCPRIM_400000_NS6detail17trampoline_kernelINS0_14default_configENS1_20scan_config_selectorIN3c108BFloat16EEEZZNS1_9scan_implILNS1_25lookback_scan_determinismE0ELb0ELb0ES3_PKS6_PS6_S6_ZZZN2at6native31launch_logcumsumexp_cuda_kernelERKNSD_10TensorBaseESH_lENKUlvE_clEvENKUlvE4_clEvEUlS6_S6_E_S6_EEDaPvRmT3_T4_T5_mT6_P12ihipStream_tbENKUlT_T0_E_clISt17integral_constantIbLb0EESX_IbLb1EEEEDaST_SU_EUlST_E_NS1_11comp_targetILNS1_3genE8ELNS1_11target_archE1030ELNS1_3gpuE2ELNS1_3repE0EEENS1_30default_config_static_selectorELNS0_4arch9wavefront6targetE0EEEvT1_, .Lfunc_end511-_ZN7rocprim17ROCPRIM_400000_NS6detail17trampoline_kernelINS0_14default_configENS1_20scan_config_selectorIN3c108BFloat16EEEZZNS1_9scan_implILNS1_25lookback_scan_determinismE0ELb0ELb0ES3_PKS6_PS6_S6_ZZZN2at6native31launch_logcumsumexp_cuda_kernelERKNSD_10TensorBaseESH_lENKUlvE_clEvENKUlvE4_clEvEUlS6_S6_E_S6_EEDaPvRmT3_T4_T5_mT6_P12ihipStream_tbENKUlT_T0_E_clISt17integral_constantIbLb0EESX_IbLb1EEEEDaST_SU_EUlST_E_NS1_11comp_targetILNS1_3genE8ELNS1_11target_archE1030ELNS1_3gpuE2ELNS1_3repE0EEENS1_30default_config_static_selectorELNS0_4arch9wavefront6targetE0EEEvT1_
                                        ; -- End function
	.set _ZN7rocprim17ROCPRIM_400000_NS6detail17trampoline_kernelINS0_14default_configENS1_20scan_config_selectorIN3c108BFloat16EEEZZNS1_9scan_implILNS1_25lookback_scan_determinismE0ELb0ELb0ES3_PKS6_PS6_S6_ZZZN2at6native31launch_logcumsumexp_cuda_kernelERKNSD_10TensorBaseESH_lENKUlvE_clEvENKUlvE4_clEvEUlS6_S6_E_S6_EEDaPvRmT3_T4_T5_mT6_P12ihipStream_tbENKUlT_T0_E_clISt17integral_constantIbLb0EESX_IbLb1EEEEDaST_SU_EUlST_E_NS1_11comp_targetILNS1_3genE8ELNS1_11target_archE1030ELNS1_3gpuE2ELNS1_3repE0EEENS1_30default_config_static_selectorELNS0_4arch9wavefront6targetE0EEEvT1_.num_vgpr, 67
	.set _ZN7rocprim17ROCPRIM_400000_NS6detail17trampoline_kernelINS0_14default_configENS1_20scan_config_selectorIN3c108BFloat16EEEZZNS1_9scan_implILNS1_25lookback_scan_determinismE0ELb0ELb0ES3_PKS6_PS6_S6_ZZZN2at6native31launch_logcumsumexp_cuda_kernelERKNSD_10TensorBaseESH_lENKUlvE_clEvENKUlvE4_clEvEUlS6_S6_E_S6_EEDaPvRmT3_T4_T5_mT6_P12ihipStream_tbENKUlT_T0_E_clISt17integral_constantIbLb0EESX_IbLb1EEEEDaST_SU_EUlST_E_NS1_11comp_targetILNS1_3genE8ELNS1_11target_archE1030ELNS1_3gpuE2ELNS1_3repE0EEENS1_30default_config_static_selectorELNS0_4arch9wavefront6targetE0EEEvT1_.num_agpr, 0
	.set _ZN7rocprim17ROCPRIM_400000_NS6detail17trampoline_kernelINS0_14default_configENS1_20scan_config_selectorIN3c108BFloat16EEEZZNS1_9scan_implILNS1_25lookback_scan_determinismE0ELb0ELb0ES3_PKS6_PS6_S6_ZZZN2at6native31launch_logcumsumexp_cuda_kernelERKNSD_10TensorBaseESH_lENKUlvE_clEvENKUlvE4_clEvEUlS6_S6_E_S6_EEDaPvRmT3_T4_T5_mT6_P12ihipStream_tbENKUlT_T0_E_clISt17integral_constantIbLb0EESX_IbLb1EEEEDaST_SU_EUlST_E_NS1_11comp_targetILNS1_3genE8ELNS1_11target_archE1030ELNS1_3gpuE2ELNS1_3repE0EEENS1_30default_config_static_selectorELNS0_4arch9wavefront6targetE0EEEvT1_.numbered_sgpr, 44
	.set _ZN7rocprim17ROCPRIM_400000_NS6detail17trampoline_kernelINS0_14default_configENS1_20scan_config_selectorIN3c108BFloat16EEEZZNS1_9scan_implILNS1_25lookback_scan_determinismE0ELb0ELb0ES3_PKS6_PS6_S6_ZZZN2at6native31launch_logcumsumexp_cuda_kernelERKNSD_10TensorBaseESH_lENKUlvE_clEvENKUlvE4_clEvEUlS6_S6_E_S6_EEDaPvRmT3_T4_T5_mT6_P12ihipStream_tbENKUlT_T0_E_clISt17integral_constantIbLb0EESX_IbLb1EEEEDaST_SU_EUlST_E_NS1_11comp_targetILNS1_3genE8ELNS1_11target_archE1030ELNS1_3gpuE2ELNS1_3repE0EEENS1_30default_config_static_selectorELNS0_4arch9wavefront6targetE0EEEvT1_.num_named_barrier, 0
	.set _ZN7rocprim17ROCPRIM_400000_NS6detail17trampoline_kernelINS0_14default_configENS1_20scan_config_selectorIN3c108BFloat16EEEZZNS1_9scan_implILNS1_25lookback_scan_determinismE0ELb0ELb0ES3_PKS6_PS6_S6_ZZZN2at6native31launch_logcumsumexp_cuda_kernelERKNSD_10TensorBaseESH_lENKUlvE_clEvENKUlvE4_clEvEUlS6_S6_E_S6_EEDaPvRmT3_T4_T5_mT6_P12ihipStream_tbENKUlT_T0_E_clISt17integral_constantIbLb0EESX_IbLb1EEEEDaST_SU_EUlST_E_NS1_11comp_targetILNS1_3genE8ELNS1_11target_archE1030ELNS1_3gpuE2ELNS1_3repE0EEENS1_30default_config_static_selectorELNS0_4arch9wavefront6targetE0EEEvT1_.private_seg_size, 0
	.set _ZN7rocprim17ROCPRIM_400000_NS6detail17trampoline_kernelINS0_14default_configENS1_20scan_config_selectorIN3c108BFloat16EEEZZNS1_9scan_implILNS1_25lookback_scan_determinismE0ELb0ELb0ES3_PKS6_PS6_S6_ZZZN2at6native31launch_logcumsumexp_cuda_kernelERKNSD_10TensorBaseESH_lENKUlvE_clEvENKUlvE4_clEvEUlS6_S6_E_S6_EEDaPvRmT3_T4_T5_mT6_P12ihipStream_tbENKUlT_T0_E_clISt17integral_constantIbLb0EESX_IbLb1EEEEDaST_SU_EUlST_E_NS1_11comp_targetILNS1_3genE8ELNS1_11target_archE1030ELNS1_3gpuE2ELNS1_3repE0EEENS1_30default_config_static_selectorELNS0_4arch9wavefront6targetE0EEEvT1_.uses_vcc, 1
	.set _ZN7rocprim17ROCPRIM_400000_NS6detail17trampoline_kernelINS0_14default_configENS1_20scan_config_selectorIN3c108BFloat16EEEZZNS1_9scan_implILNS1_25lookback_scan_determinismE0ELb0ELb0ES3_PKS6_PS6_S6_ZZZN2at6native31launch_logcumsumexp_cuda_kernelERKNSD_10TensorBaseESH_lENKUlvE_clEvENKUlvE4_clEvEUlS6_S6_E_S6_EEDaPvRmT3_T4_T5_mT6_P12ihipStream_tbENKUlT_T0_E_clISt17integral_constantIbLb0EESX_IbLb1EEEEDaST_SU_EUlST_E_NS1_11comp_targetILNS1_3genE8ELNS1_11target_archE1030ELNS1_3gpuE2ELNS1_3repE0EEENS1_30default_config_static_selectorELNS0_4arch9wavefront6targetE0EEEvT1_.uses_flat_scratch, 0
	.set _ZN7rocprim17ROCPRIM_400000_NS6detail17trampoline_kernelINS0_14default_configENS1_20scan_config_selectorIN3c108BFloat16EEEZZNS1_9scan_implILNS1_25lookback_scan_determinismE0ELb0ELb0ES3_PKS6_PS6_S6_ZZZN2at6native31launch_logcumsumexp_cuda_kernelERKNSD_10TensorBaseESH_lENKUlvE_clEvENKUlvE4_clEvEUlS6_S6_E_S6_EEDaPvRmT3_T4_T5_mT6_P12ihipStream_tbENKUlT_T0_E_clISt17integral_constantIbLb0EESX_IbLb1EEEEDaST_SU_EUlST_E_NS1_11comp_targetILNS1_3genE8ELNS1_11target_archE1030ELNS1_3gpuE2ELNS1_3repE0EEENS1_30default_config_static_selectorELNS0_4arch9wavefront6targetE0EEEvT1_.has_dyn_sized_stack, 0
	.set _ZN7rocprim17ROCPRIM_400000_NS6detail17trampoline_kernelINS0_14default_configENS1_20scan_config_selectorIN3c108BFloat16EEEZZNS1_9scan_implILNS1_25lookback_scan_determinismE0ELb0ELb0ES3_PKS6_PS6_S6_ZZZN2at6native31launch_logcumsumexp_cuda_kernelERKNSD_10TensorBaseESH_lENKUlvE_clEvENKUlvE4_clEvEUlS6_S6_E_S6_EEDaPvRmT3_T4_T5_mT6_P12ihipStream_tbENKUlT_T0_E_clISt17integral_constantIbLb0EESX_IbLb1EEEEDaST_SU_EUlST_E_NS1_11comp_targetILNS1_3genE8ELNS1_11target_archE1030ELNS1_3gpuE2ELNS1_3repE0EEENS1_30default_config_static_selectorELNS0_4arch9wavefront6targetE0EEEvT1_.has_recursion, 0
	.set _ZN7rocprim17ROCPRIM_400000_NS6detail17trampoline_kernelINS0_14default_configENS1_20scan_config_selectorIN3c108BFloat16EEEZZNS1_9scan_implILNS1_25lookback_scan_determinismE0ELb0ELb0ES3_PKS6_PS6_S6_ZZZN2at6native31launch_logcumsumexp_cuda_kernelERKNSD_10TensorBaseESH_lENKUlvE_clEvENKUlvE4_clEvEUlS6_S6_E_S6_EEDaPvRmT3_T4_T5_mT6_P12ihipStream_tbENKUlT_T0_E_clISt17integral_constantIbLb0EESX_IbLb1EEEEDaST_SU_EUlST_E_NS1_11comp_targetILNS1_3genE8ELNS1_11target_archE1030ELNS1_3gpuE2ELNS1_3repE0EEENS1_30default_config_static_selectorELNS0_4arch9wavefront6targetE0EEEvT1_.has_indirect_call, 0
	.section	.AMDGPU.csdata,"",@progbits
; Kernel info:
; codeLenInByte = 59948
; TotalNumSgprs: 46
; NumVgprs: 67
; ScratchSize: 0
; MemoryBound: 0
; FloatMode: 240
; IeeeMode: 1
; LDSByteSize: 1536 bytes/workgroup (compile time only)
; SGPRBlocks: 0
; VGPRBlocks: 8
; NumSGPRsForWavesPerEU: 46
; NumVGPRsForWavesPerEU: 67
; Occupancy: 12
; WaveLimiterHint : 1
; COMPUTE_PGM_RSRC2:SCRATCH_EN: 0
; COMPUTE_PGM_RSRC2:USER_SGPR: 6
; COMPUTE_PGM_RSRC2:TRAP_HANDLER: 0
; COMPUTE_PGM_RSRC2:TGID_X_EN: 1
; COMPUTE_PGM_RSRC2:TGID_Y_EN: 0
; COMPUTE_PGM_RSRC2:TGID_Z_EN: 0
; COMPUTE_PGM_RSRC2:TIDIG_COMP_CNT: 0
	.section	.text._ZN7rocprim17ROCPRIM_400000_NS6detail17trampoline_kernelINS0_14default_configENS1_20scan_config_selectorIN3c108BFloat16EEEZZNS1_9scan_implILNS1_25lookback_scan_determinismE0ELb0ELb0ES3_PKS6_PS6_S6_ZZZN2at6native31launch_logcumsumexp_cuda_kernelERKNSD_10TensorBaseESH_lENKUlvE_clEvENKUlvE4_clEvEUlS6_S6_E_S6_EEDaPvRmT3_T4_T5_mT6_P12ihipStream_tbENKUlT_T0_E_clISt17integral_constantIbLb0EESX_IbLb1EEEEDaST_SU_EUlST_E0_NS1_11comp_targetILNS1_3genE0ELNS1_11target_archE4294967295ELNS1_3gpuE0ELNS1_3repE0EEENS1_30default_config_static_selectorELNS0_4arch9wavefront6targetE0EEEvT1_,"axG",@progbits,_ZN7rocprim17ROCPRIM_400000_NS6detail17trampoline_kernelINS0_14default_configENS1_20scan_config_selectorIN3c108BFloat16EEEZZNS1_9scan_implILNS1_25lookback_scan_determinismE0ELb0ELb0ES3_PKS6_PS6_S6_ZZZN2at6native31launch_logcumsumexp_cuda_kernelERKNSD_10TensorBaseESH_lENKUlvE_clEvENKUlvE4_clEvEUlS6_S6_E_S6_EEDaPvRmT3_T4_T5_mT6_P12ihipStream_tbENKUlT_T0_E_clISt17integral_constantIbLb0EESX_IbLb1EEEEDaST_SU_EUlST_E0_NS1_11comp_targetILNS1_3genE0ELNS1_11target_archE4294967295ELNS1_3gpuE0ELNS1_3repE0EEENS1_30default_config_static_selectorELNS0_4arch9wavefront6targetE0EEEvT1_,comdat
	.globl	_ZN7rocprim17ROCPRIM_400000_NS6detail17trampoline_kernelINS0_14default_configENS1_20scan_config_selectorIN3c108BFloat16EEEZZNS1_9scan_implILNS1_25lookback_scan_determinismE0ELb0ELb0ES3_PKS6_PS6_S6_ZZZN2at6native31launch_logcumsumexp_cuda_kernelERKNSD_10TensorBaseESH_lENKUlvE_clEvENKUlvE4_clEvEUlS6_S6_E_S6_EEDaPvRmT3_T4_T5_mT6_P12ihipStream_tbENKUlT_T0_E_clISt17integral_constantIbLb0EESX_IbLb1EEEEDaST_SU_EUlST_E0_NS1_11comp_targetILNS1_3genE0ELNS1_11target_archE4294967295ELNS1_3gpuE0ELNS1_3repE0EEENS1_30default_config_static_selectorELNS0_4arch9wavefront6targetE0EEEvT1_ ; -- Begin function _ZN7rocprim17ROCPRIM_400000_NS6detail17trampoline_kernelINS0_14default_configENS1_20scan_config_selectorIN3c108BFloat16EEEZZNS1_9scan_implILNS1_25lookback_scan_determinismE0ELb0ELb0ES3_PKS6_PS6_S6_ZZZN2at6native31launch_logcumsumexp_cuda_kernelERKNSD_10TensorBaseESH_lENKUlvE_clEvENKUlvE4_clEvEUlS6_S6_E_S6_EEDaPvRmT3_T4_T5_mT6_P12ihipStream_tbENKUlT_T0_E_clISt17integral_constantIbLb0EESX_IbLb1EEEEDaST_SU_EUlST_E0_NS1_11comp_targetILNS1_3genE0ELNS1_11target_archE4294967295ELNS1_3gpuE0ELNS1_3repE0EEENS1_30default_config_static_selectorELNS0_4arch9wavefront6targetE0EEEvT1_
	.p2align	8
	.type	_ZN7rocprim17ROCPRIM_400000_NS6detail17trampoline_kernelINS0_14default_configENS1_20scan_config_selectorIN3c108BFloat16EEEZZNS1_9scan_implILNS1_25lookback_scan_determinismE0ELb0ELb0ES3_PKS6_PS6_S6_ZZZN2at6native31launch_logcumsumexp_cuda_kernelERKNSD_10TensorBaseESH_lENKUlvE_clEvENKUlvE4_clEvEUlS6_S6_E_S6_EEDaPvRmT3_T4_T5_mT6_P12ihipStream_tbENKUlT_T0_E_clISt17integral_constantIbLb0EESX_IbLb1EEEEDaST_SU_EUlST_E0_NS1_11comp_targetILNS1_3genE0ELNS1_11target_archE4294967295ELNS1_3gpuE0ELNS1_3repE0EEENS1_30default_config_static_selectorELNS0_4arch9wavefront6targetE0EEEvT1_,@function
_ZN7rocprim17ROCPRIM_400000_NS6detail17trampoline_kernelINS0_14default_configENS1_20scan_config_selectorIN3c108BFloat16EEEZZNS1_9scan_implILNS1_25lookback_scan_determinismE0ELb0ELb0ES3_PKS6_PS6_S6_ZZZN2at6native31launch_logcumsumexp_cuda_kernelERKNSD_10TensorBaseESH_lENKUlvE_clEvENKUlvE4_clEvEUlS6_S6_E_S6_EEDaPvRmT3_T4_T5_mT6_P12ihipStream_tbENKUlT_T0_E_clISt17integral_constantIbLb0EESX_IbLb1EEEEDaST_SU_EUlST_E0_NS1_11comp_targetILNS1_3genE0ELNS1_11target_archE4294967295ELNS1_3gpuE0ELNS1_3repE0EEENS1_30default_config_static_selectorELNS0_4arch9wavefront6targetE0EEEvT1_: ; @_ZN7rocprim17ROCPRIM_400000_NS6detail17trampoline_kernelINS0_14default_configENS1_20scan_config_selectorIN3c108BFloat16EEEZZNS1_9scan_implILNS1_25lookback_scan_determinismE0ELb0ELb0ES3_PKS6_PS6_S6_ZZZN2at6native31launch_logcumsumexp_cuda_kernelERKNSD_10TensorBaseESH_lENKUlvE_clEvENKUlvE4_clEvEUlS6_S6_E_S6_EEDaPvRmT3_T4_T5_mT6_P12ihipStream_tbENKUlT_T0_E_clISt17integral_constantIbLb0EESX_IbLb1EEEEDaST_SU_EUlST_E0_NS1_11comp_targetILNS1_3genE0ELNS1_11target_archE4294967295ELNS1_3gpuE0ELNS1_3repE0EEENS1_30default_config_static_selectorELNS0_4arch9wavefront6targetE0EEEvT1_
; %bb.0:
	.section	.rodata,"a",@progbits
	.p2align	6, 0x0
	.amdhsa_kernel _ZN7rocprim17ROCPRIM_400000_NS6detail17trampoline_kernelINS0_14default_configENS1_20scan_config_selectorIN3c108BFloat16EEEZZNS1_9scan_implILNS1_25lookback_scan_determinismE0ELb0ELb0ES3_PKS6_PS6_S6_ZZZN2at6native31launch_logcumsumexp_cuda_kernelERKNSD_10TensorBaseESH_lENKUlvE_clEvENKUlvE4_clEvEUlS6_S6_E_S6_EEDaPvRmT3_T4_T5_mT6_P12ihipStream_tbENKUlT_T0_E_clISt17integral_constantIbLb0EESX_IbLb1EEEEDaST_SU_EUlST_E0_NS1_11comp_targetILNS1_3genE0ELNS1_11target_archE4294967295ELNS1_3gpuE0ELNS1_3repE0EEENS1_30default_config_static_selectorELNS0_4arch9wavefront6targetE0EEEvT1_
		.amdhsa_group_segment_fixed_size 0
		.amdhsa_private_segment_fixed_size 0
		.amdhsa_kernarg_size 32
		.amdhsa_user_sgpr_count 6
		.amdhsa_user_sgpr_private_segment_buffer 1
		.amdhsa_user_sgpr_dispatch_ptr 0
		.amdhsa_user_sgpr_queue_ptr 0
		.amdhsa_user_sgpr_kernarg_segment_ptr 1
		.amdhsa_user_sgpr_dispatch_id 0
		.amdhsa_user_sgpr_flat_scratch_init 0
		.amdhsa_user_sgpr_private_segment_size 0
		.amdhsa_wavefront_size32 1
		.amdhsa_uses_dynamic_stack 0
		.amdhsa_system_sgpr_private_segment_wavefront_offset 0
		.amdhsa_system_sgpr_workgroup_id_x 1
		.amdhsa_system_sgpr_workgroup_id_y 0
		.amdhsa_system_sgpr_workgroup_id_z 0
		.amdhsa_system_sgpr_workgroup_info 0
		.amdhsa_system_vgpr_workitem_id 0
		.amdhsa_next_free_vgpr 1
		.amdhsa_next_free_sgpr 1
		.amdhsa_reserve_vcc 0
		.amdhsa_reserve_flat_scratch 0
		.amdhsa_float_round_mode_32 0
		.amdhsa_float_round_mode_16_64 0
		.amdhsa_float_denorm_mode_32 3
		.amdhsa_float_denorm_mode_16_64 3
		.amdhsa_dx10_clamp 1
		.amdhsa_ieee_mode 1
		.amdhsa_fp16_overflow 0
		.amdhsa_workgroup_processor_mode 1
		.amdhsa_memory_ordered 1
		.amdhsa_forward_progress 1
		.amdhsa_shared_vgpr_count 0
		.amdhsa_exception_fp_ieee_invalid_op 0
		.amdhsa_exception_fp_denorm_src 0
		.amdhsa_exception_fp_ieee_div_zero 0
		.amdhsa_exception_fp_ieee_overflow 0
		.amdhsa_exception_fp_ieee_underflow 0
		.amdhsa_exception_fp_ieee_inexact 0
		.amdhsa_exception_int_div_zero 0
	.end_amdhsa_kernel
	.section	.text._ZN7rocprim17ROCPRIM_400000_NS6detail17trampoline_kernelINS0_14default_configENS1_20scan_config_selectorIN3c108BFloat16EEEZZNS1_9scan_implILNS1_25lookback_scan_determinismE0ELb0ELb0ES3_PKS6_PS6_S6_ZZZN2at6native31launch_logcumsumexp_cuda_kernelERKNSD_10TensorBaseESH_lENKUlvE_clEvENKUlvE4_clEvEUlS6_S6_E_S6_EEDaPvRmT3_T4_T5_mT6_P12ihipStream_tbENKUlT_T0_E_clISt17integral_constantIbLb0EESX_IbLb1EEEEDaST_SU_EUlST_E0_NS1_11comp_targetILNS1_3genE0ELNS1_11target_archE4294967295ELNS1_3gpuE0ELNS1_3repE0EEENS1_30default_config_static_selectorELNS0_4arch9wavefront6targetE0EEEvT1_,"axG",@progbits,_ZN7rocprim17ROCPRIM_400000_NS6detail17trampoline_kernelINS0_14default_configENS1_20scan_config_selectorIN3c108BFloat16EEEZZNS1_9scan_implILNS1_25lookback_scan_determinismE0ELb0ELb0ES3_PKS6_PS6_S6_ZZZN2at6native31launch_logcumsumexp_cuda_kernelERKNSD_10TensorBaseESH_lENKUlvE_clEvENKUlvE4_clEvEUlS6_S6_E_S6_EEDaPvRmT3_T4_T5_mT6_P12ihipStream_tbENKUlT_T0_E_clISt17integral_constantIbLb0EESX_IbLb1EEEEDaST_SU_EUlST_E0_NS1_11comp_targetILNS1_3genE0ELNS1_11target_archE4294967295ELNS1_3gpuE0ELNS1_3repE0EEENS1_30default_config_static_selectorELNS0_4arch9wavefront6targetE0EEEvT1_,comdat
.Lfunc_end512:
	.size	_ZN7rocprim17ROCPRIM_400000_NS6detail17trampoline_kernelINS0_14default_configENS1_20scan_config_selectorIN3c108BFloat16EEEZZNS1_9scan_implILNS1_25lookback_scan_determinismE0ELb0ELb0ES3_PKS6_PS6_S6_ZZZN2at6native31launch_logcumsumexp_cuda_kernelERKNSD_10TensorBaseESH_lENKUlvE_clEvENKUlvE4_clEvEUlS6_S6_E_S6_EEDaPvRmT3_T4_T5_mT6_P12ihipStream_tbENKUlT_T0_E_clISt17integral_constantIbLb0EESX_IbLb1EEEEDaST_SU_EUlST_E0_NS1_11comp_targetILNS1_3genE0ELNS1_11target_archE4294967295ELNS1_3gpuE0ELNS1_3repE0EEENS1_30default_config_static_selectorELNS0_4arch9wavefront6targetE0EEEvT1_, .Lfunc_end512-_ZN7rocprim17ROCPRIM_400000_NS6detail17trampoline_kernelINS0_14default_configENS1_20scan_config_selectorIN3c108BFloat16EEEZZNS1_9scan_implILNS1_25lookback_scan_determinismE0ELb0ELb0ES3_PKS6_PS6_S6_ZZZN2at6native31launch_logcumsumexp_cuda_kernelERKNSD_10TensorBaseESH_lENKUlvE_clEvENKUlvE4_clEvEUlS6_S6_E_S6_EEDaPvRmT3_T4_T5_mT6_P12ihipStream_tbENKUlT_T0_E_clISt17integral_constantIbLb0EESX_IbLb1EEEEDaST_SU_EUlST_E0_NS1_11comp_targetILNS1_3genE0ELNS1_11target_archE4294967295ELNS1_3gpuE0ELNS1_3repE0EEENS1_30default_config_static_selectorELNS0_4arch9wavefront6targetE0EEEvT1_
                                        ; -- End function
	.set _ZN7rocprim17ROCPRIM_400000_NS6detail17trampoline_kernelINS0_14default_configENS1_20scan_config_selectorIN3c108BFloat16EEEZZNS1_9scan_implILNS1_25lookback_scan_determinismE0ELb0ELb0ES3_PKS6_PS6_S6_ZZZN2at6native31launch_logcumsumexp_cuda_kernelERKNSD_10TensorBaseESH_lENKUlvE_clEvENKUlvE4_clEvEUlS6_S6_E_S6_EEDaPvRmT3_T4_T5_mT6_P12ihipStream_tbENKUlT_T0_E_clISt17integral_constantIbLb0EESX_IbLb1EEEEDaST_SU_EUlST_E0_NS1_11comp_targetILNS1_3genE0ELNS1_11target_archE4294967295ELNS1_3gpuE0ELNS1_3repE0EEENS1_30default_config_static_selectorELNS0_4arch9wavefront6targetE0EEEvT1_.num_vgpr, 0
	.set _ZN7rocprim17ROCPRIM_400000_NS6detail17trampoline_kernelINS0_14default_configENS1_20scan_config_selectorIN3c108BFloat16EEEZZNS1_9scan_implILNS1_25lookback_scan_determinismE0ELb0ELb0ES3_PKS6_PS6_S6_ZZZN2at6native31launch_logcumsumexp_cuda_kernelERKNSD_10TensorBaseESH_lENKUlvE_clEvENKUlvE4_clEvEUlS6_S6_E_S6_EEDaPvRmT3_T4_T5_mT6_P12ihipStream_tbENKUlT_T0_E_clISt17integral_constantIbLb0EESX_IbLb1EEEEDaST_SU_EUlST_E0_NS1_11comp_targetILNS1_3genE0ELNS1_11target_archE4294967295ELNS1_3gpuE0ELNS1_3repE0EEENS1_30default_config_static_selectorELNS0_4arch9wavefront6targetE0EEEvT1_.num_agpr, 0
	.set _ZN7rocprim17ROCPRIM_400000_NS6detail17trampoline_kernelINS0_14default_configENS1_20scan_config_selectorIN3c108BFloat16EEEZZNS1_9scan_implILNS1_25lookback_scan_determinismE0ELb0ELb0ES3_PKS6_PS6_S6_ZZZN2at6native31launch_logcumsumexp_cuda_kernelERKNSD_10TensorBaseESH_lENKUlvE_clEvENKUlvE4_clEvEUlS6_S6_E_S6_EEDaPvRmT3_T4_T5_mT6_P12ihipStream_tbENKUlT_T0_E_clISt17integral_constantIbLb0EESX_IbLb1EEEEDaST_SU_EUlST_E0_NS1_11comp_targetILNS1_3genE0ELNS1_11target_archE4294967295ELNS1_3gpuE0ELNS1_3repE0EEENS1_30default_config_static_selectorELNS0_4arch9wavefront6targetE0EEEvT1_.numbered_sgpr, 0
	.set _ZN7rocprim17ROCPRIM_400000_NS6detail17trampoline_kernelINS0_14default_configENS1_20scan_config_selectorIN3c108BFloat16EEEZZNS1_9scan_implILNS1_25lookback_scan_determinismE0ELb0ELb0ES3_PKS6_PS6_S6_ZZZN2at6native31launch_logcumsumexp_cuda_kernelERKNSD_10TensorBaseESH_lENKUlvE_clEvENKUlvE4_clEvEUlS6_S6_E_S6_EEDaPvRmT3_T4_T5_mT6_P12ihipStream_tbENKUlT_T0_E_clISt17integral_constantIbLb0EESX_IbLb1EEEEDaST_SU_EUlST_E0_NS1_11comp_targetILNS1_3genE0ELNS1_11target_archE4294967295ELNS1_3gpuE0ELNS1_3repE0EEENS1_30default_config_static_selectorELNS0_4arch9wavefront6targetE0EEEvT1_.num_named_barrier, 0
	.set _ZN7rocprim17ROCPRIM_400000_NS6detail17trampoline_kernelINS0_14default_configENS1_20scan_config_selectorIN3c108BFloat16EEEZZNS1_9scan_implILNS1_25lookback_scan_determinismE0ELb0ELb0ES3_PKS6_PS6_S6_ZZZN2at6native31launch_logcumsumexp_cuda_kernelERKNSD_10TensorBaseESH_lENKUlvE_clEvENKUlvE4_clEvEUlS6_S6_E_S6_EEDaPvRmT3_T4_T5_mT6_P12ihipStream_tbENKUlT_T0_E_clISt17integral_constantIbLb0EESX_IbLb1EEEEDaST_SU_EUlST_E0_NS1_11comp_targetILNS1_3genE0ELNS1_11target_archE4294967295ELNS1_3gpuE0ELNS1_3repE0EEENS1_30default_config_static_selectorELNS0_4arch9wavefront6targetE0EEEvT1_.private_seg_size, 0
	.set _ZN7rocprim17ROCPRIM_400000_NS6detail17trampoline_kernelINS0_14default_configENS1_20scan_config_selectorIN3c108BFloat16EEEZZNS1_9scan_implILNS1_25lookback_scan_determinismE0ELb0ELb0ES3_PKS6_PS6_S6_ZZZN2at6native31launch_logcumsumexp_cuda_kernelERKNSD_10TensorBaseESH_lENKUlvE_clEvENKUlvE4_clEvEUlS6_S6_E_S6_EEDaPvRmT3_T4_T5_mT6_P12ihipStream_tbENKUlT_T0_E_clISt17integral_constantIbLb0EESX_IbLb1EEEEDaST_SU_EUlST_E0_NS1_11comp_targetILNS1_3genE0ELNS1_11target_archE4294967295ELNS1_3gpuE0ELNS1_3repE0EEENS1_30default_config_static_selectorELNS0_4arch9wavefront6targetE0EEEvT1_.uses_vcc, 0
	.set _ZN7rocprim17ROCPRIM_400000_NS6detail17trampoline_kernelINS0_14default_configENS1_20scan_config_selectorIN3c108BFloat16EEEZZNS1_9scan_implILNS1_25lookback_scan_determinismE0ELb0ELb0ES3_PKS6_PS6_S6_ZZZN2at6native31launch_logcumsumexp_cuda_kernelERKNSD_10TensorBaseESH_lENKUlvE_clEvENKUlvE4_clEvEUlS6_S6_E_S6_EEDaPvRmT3_T4_T5_mT6_P12ihipStream_tbENKUlT_T0_E_clISt17integral_constantIbLb0EESX_IbLb1EEEEDaST_SU_EUlST_E0_NS1_11comp_targetILNS1_3genE0ELNS1_11target_archE4294967295ELNS1_3gpuE0ELNS1_3repE0EEENS1_30default_config_static_selectorELNS0_4arch9wavefront6targetE0EEEvT1_.uses_flat_scratch, 0
	.set _ZN7rocprim17ROCPRIM_400000_NS6detail17trampoline_kernelINS0_14default_configENS1_20scan_config_selectorIN3c108BFloat16EEEZZNS1_9scan_implILNS1_25lookback_scan_determinismE0ELb0ELb0ES3_PKS6_PS6_S6_ZZZN2at6native31launch_logcumsumexp_cuda_kernelERKNSD_10TensorBaseESH_lENKUlvE_clEvENKUlvE4_clEvEUlS6_S6_E_S6_EEDaPvRmT3_T4_T5_mT6_P12ihipStream_tbENKUlT_T0_E_clISt17integral_constantIbLb0EESX_IbLb1EEEEDaST_SU_EUlST_E0_NS1_11comp_targetILNS1_3genE0ELNS1_11target_archE4294967295ELNS1_3gpuE0ELNS1_3repE0EEENS1_30default_config_static_selectorELNS0_4arch9wavefront6targetE0EEEvT1_.has_dyn_sized_stack, 0
	.set _ZN7rocprim17ROCPRIM_400000_NS6detail17trampoline_kernelINS0_14default_configENS1_20scan_config_selectorIN3c108BFloat16EEEZZNS1_9scan_implILNS1_25lookback_scan_determinismE0ELb0ELb0ES3_PKS6_PS6_S6_ZZZN2at6native31launch_logcumsumexp_cuda_kernelERKNSD_10TensorBaseESH_lENKUlvE_clEvENKUlvE4_clEvEUlS6_S6_E_S6_EEDaPvRmT3_T4_T5_mT6_P12ihipStream_tbENKUlT_T0_E_clISt17integral_constantIbLb0EESX_IbLb1EEEEDaST_SU_EUlST_E0_NS1_11comp_targetILNS1_3genE0ELNS1_11target_archE4294967295ELNS1_3gpuE0ELNS1_3repE0EEENS1_30default_config_static_selectorELNS0_4arch9wavefront6targetE0EEEvT1_.has_recursion, 0
	.set _ZN7rocprim17ROCPRIM_400000_NS6detail17trampoline_kernelINS0_14default_configENS1_20scan_config_selectorIN3c108BFloat16EEEZZNS1_9scan_implILNS1_25lookback_scan_determinismE0ELb0ELb0ES3_PKS6_PS6_S6_ZZZN2at6native31launch_logcumsumexp_cuda_kernelERKNSD_10TensorBaseESH_lENKUlvE_clEvENKUlvE4_clEvEUlS6_S6_E_S6_EEDaPvRmT3_T4_T5_mT6_P12ihipStream_tbENKUlT_T0_E_clISt17integral_constantIbLb0EESX_IbLb1EEEEDaST_SU_EUlST_E0_NS1_11comp_targetILNS1_3genE0ELNS1_11target_archE4294967295ELNS1_3gpuE0ELNS1_3repE0EEENS1_30default_config_static_selectorELNS0_4arch9wavefront6targetE0EEEvT1_.has_indirect_call, 0
	.section	.AMDGPU.csdata,"",@progbits
; Kernel info:
; codeLenInByte = 0
; TotalNumSgprs: 0
; NumVgprs: 0
; ScratchSize: 0
; MemoryBound: 0
; FloatMode: 240
; IeeeMode: 1
; LDSByteSize: 0 bytes/workgroup (compile time only)
; SGPRBlocks: 0
; VGPRBlocks: 0
; NumSGPRsForWavesPerEU: 1
; NumVGPRsForWavesPerEU: 1
; Occupancy: 16
; WaveLimiterHint : 0
; COMPUTE_PGM_RSRC2:SCRATCH_EN: 0
; COMPUTE_PGM_RSRC2:USER_SGPR: 6
; COMPUTE_PGM_RSRC2:TRAP_HANDLER: 0
; COMPUTE_PGM_RSRC2:TGID_X_EN: 1
; COMPUTE_PGM_RSRC2:TGID_Y_EN: 0
; COMPUTE_PGM_RSRC2:TGID_Z_EN: 0
; COMPUTE_PGM_RSRC2:TIDIG_COMP_CNT: 0
	.section	.text._ZN7rocprim17ROCPRIM_400000_NS6detail17trampoline_kernelINS0_14default_configENS1_20scan_config_selectorIN3c108BFloat16EEEZZNS1_9scan_implILNS1_25lookback_scan_determinismE0ELb0ELb0ES3_PKS6_PS6_S6_ZZZN2at6native31launch_logcumsumexp_cuda_kernelERKNSD_10TensorBaseESH_lENKUlvE_clEvENKUlvE4_clEvEUlS6_S6_E_S6_EEDaPvRmT3_T4_T5_mT6_P12ihipStream_tbENKUlT_T0_E_clISt17integral_constantIbLb0EESX_IbLb1EEEEDaST_SU_EUlST_E0_NS1_11comp_targetILNS1_3genE5ELNS1_11target_archE942ELNS1_3gpuE9ELNS1_3repE0EEENS1_30default_config_static_selectorELNS0_4arch9wavefront6targetE0EEEvT1_,"axG",@progbits,_ZN7rocprim17ROCPRIM_400000_NS6detail17trampoline_kernelINS0_14default_configENS1_20scan_config_selectorIN3c108BFloat16EEEZZNS1_9scan_implILNS1_25lookback_scan_determinismE0ELb0ELb0ES3_PKS6_PS6_S6_ZZZN2at6native31launch_logcumsumexp_cuda_kernelERKNSD_10TensorBaseESH_lENKUlvE_clEvENKUlvE4_clEvEUlS6_S6_E_S6_EEDaPvRmT3_T4_T5_mT6_P12ihipStream_tbENKUlT_T0_E_clISt17integral_constantIbLb0EESX_IbLb1EEEEDaST_SU_EUlST_E0_NS1_11comp_targetILNS1_3genE5ELNS1_11target_archE942ELNS1_3gpuE9ELNS1_3repE0EEENS1_30default_config_static_selectorELNS0_4arch9wavefront6targetE0EEEvT1_,comdat
	.globl	_ZN7rocprim17ROCPRIM_400000_NS6detail17trampoline_kernelINS0_14default_configENS1_20scan_config_selectorIN3c108BFloat16EEEZZNS1_9scan_implILNS1_25lookback_scan_determinismE0ELb0ELb0ES3_PKS6_PS6_S6_ZZZN2at6native31launch_logcumsumexp_cuda_kernelERKNSD_10TensorBaseESH_lENKUlvE_clEvENKUlvE4_clEvEUlS6_S6_E_S6_EEDaPvRmT3_T4_T5_mT6_P12ihipStream_tbENKUlT_T0_E_clISt17integral_constantIbLb0EESX_IbLb1EEEEDaST_SU_EUlST_E0_NS1_11comp_targetILNS1_3genE5ELNS1_11target_archE942ELNS1_3gpuE9ELNS1_3repE0EEENS1_30default_config_static_selectorELNS0_4arch9wavefront6targetE0EEEvT1_ ; -- Begin function _ZN7rocprim17ROCPRIM_400000_NS6detail17trampoline_kernelINS0_14default_configENS1_20scan_config_selectorIN3c108BFloat16EEEZZNS1_9scan_implILNS1_25lookback_scan_determinismE0ELb0ELb0ES3_PKS6_PS6_S6_ZZZN2at6native31launch_logcumsumexp_cuda_kernelERKNSD_10TensorBaseESH_lENKUlvE_clEvENKUlvE4_clEvEUlS6_S6_E_S6_EEDaPvRmT3_T4_T5_mT6_P12ihipStream_tbENKUlT_T0_E_clISt17integral_constantIbLb0EESX_IbLb1EEEEDaST_SU_EUlST_E0_NS1_11comp_targetILNS1_3genE5ELNS1_11target_archE942ELNS1_3gpuE9ELNS1_3repE0EEENS1_30default_config_static_selectorELNS0_4arch9wavefront6targetE0EEEvT1_
	.p2align	8
	.type	_ZN7rocprim17ROCPRIM_400000_NS6detail17trampoline_kernelINS0_14default_configENS1_20scan_config_selectorIN3c108BFloat16EEEZZNS1_9scan_implILNS1_25lookback_scan_determinismE0ELb0ELb0ES3_PKS6_PS6_S6_ZZZN2at6native31launch_logcumsumexp_cuda_kernelERKNSD_10TensorBaseESH_lENKUlvE_clEvENKUlvE4_clEvEUlS6_S6_E_S6_EEDaPvRmT3_T4_T5_mT6_P12ihipStream_tbENKUlT_T0_E_clISt17integral_constantIbLb0EESX_IbLb1EEEEDaST_SU_EUlST_E0_NS1_11comp_targetILNS1_3genE5ELNS1_11target_archE942ELNS1_3gpuE9ELNS1_3repE0EEENS1_30default_config_static_selectorELNS0_4arch9wavefront6targetE0EEEvT1_,@function
_ZN7rocprim17ROCPRIM_400000_NS6detail17trampoline_kernelINS0_14default_configENS1_20scan_config_selectorIN3c108BFloat16EEEZZNS1_9scan_implILNS1_25lookback_scan_determinismE0ELb0ELb0ES3_PKS6_PS6_S6_ZZZN2at6native31launch_logcumsumexp_cuda_kernelERKNSD_10TensorBaseESH_lENKUlvE_clEvENKUlvE4_clEvEUlS6_S6_E_S6_EEDaPvRmT3_T4_T5_mT6_P12ihipStream_tbENKUlT_T0_E_clISt17integral_constantIbLb0EESX_IbLb1EEEEDaST_SU_EUlST_E0_NS1_11comp_targetILNS1_3genE5ELNS1_11target_archE942ELNS1_3gpuE9ELNS1_3repE0EEENS1_30default_config_static_selectorELNS0_4arch9wavefront6targetE0EEEvT1_: ; @_ZN7rocprim17ROCPRIM_400000_NS6detail17trampoline_kernelINS0_14default_configENS1_20scan_config_selectorIN3c108BFloat16EEEZZNS1_9scan_implILNS1_25lookback_scan_determinismE0ELb0ELb0ES3_PKS6_PS6_S6_ZZZN2at6native31launch_logcumsumexp_cuda_kernelERKNSD_10TensorBaseESH_lENKUlvE_clEvENKUlvE4_clEvEUlS6_S6_E_S6_EEDaPvRmT3_T4_T5_mT6_P12ihipStream_tbENKUlT_T0_E_clISt17integral_constantIbLb0EESX_IbLb1EEEEDaST_SU_EUlST_E0_NS1_11comp_targetILNS1_3genE5ELNS1_11target_archE942ELNS1_3gpuE9ELNS1_3repE0EEENS1_30default_config_static_selectorELNS0_4arch9wavefront6targetE0EEEvT1_
; %bb.0:
	.section	.rodata,"a",@progbits
	.p2align	6, 0x0
	.amdhsa_kernel _ZN7rocprim17ROCPRIM_400000_NS6detail17trampoline_kernelINS0_14default_configENS1_20scan_config_selectorIN3c108BFloat16EEEZZNS1_9scan_implILNS1_25lookback_scan_determinismE0ELb0ELb0ES3_PKS6_PS6_S6_ZZZN2at6native31launch_logcumsumexp_cuda_kernelERKNSD_10TensorBaseESH_lENKUlvE_clEvENKUlvE4_clEvEUlS6_S6_E_S6_EEDaPvRmT3_T4_T5_mT6_P12ihipStream_tbENKUlT_T0_E_clISt17integral_constantIbLb0EESX_IbLb1EEEEDaST_SU_EUlST_E0_NS1_11comp_targetILNS1_3genE5ELNS1_11target_archE942ELNS1_3gpuE9ELNS1_3repE0EEENS1_30default_config_static_selectorELNS0_4arch9wavefront6targetE0EEEvT1_
		.amdhsa_group_segment_fixed_size 0
		.amdhsa_private_segment_fixed_size 0
		.amdhsa_kernarg_size 32
		.amdhsa_user_sgpr_count 6
		.amdhsa_user_sgpr_private_segment_buffer 1
		.amdhsa_user_sgpr_dispatch_ptr 0
		.amdhsa_user_sgpr_queue_ptr 0
		.amdhsa_user_sgpr_kernarg_segment_ptr 1
		.amdhsa_user_sgpr_dispatch_id 0
		.amdhsa_user_sgpr_flat_scratch_init 0
		.amdhsa_user_sgpr_private_segment_size 0
		.amdhsa_wavefront_size32 1
		.amdhsa_uses_dynamic_stack 0
		.amdhsa_system_sgpr_private_segment_wavefront_offset 0
		.amdhsa_system_sgpr_workgroup_id_x 1
		.amdhsa_system_sgpr_workgroup_id_y 0
		.amdhsa_system_sgpr_workgroup_id_z 0
		.amdhsa_system_sgpr_workgroup_info 0
		.amdhsa_system_vgpr_workitem_id 0
		.amdhsa_next_free_vgpr 1
		.amdhsa_next_free_sgpr 1
		.amdhsa_reserve_vcc 0
		.amdhsa_reserve_flat_scratch 0
		.amdhsa_float_round_mode_32 0
		.amdhsa_float_round_mode_16_64 0
		.amdhsa_float_denorm_mode_32 3
		.amdhsa_float_denorm_mode_16_64 3
		.amdhsa_dx10_clamp 1
		.amdhsa_ieee_mode 1
		.amdhsa_fp16_overflow 0
		.amdhsa_workgroup_processor_mode 1
		.amdhsa_memory_ordered 1
		.amdhsa_forward_progress 1
		.amdhsa_shared_vgpr_count 0
		.amdhsa_exception_fp_ieee_invalid_op 0
		.amdhsa_exception_fp_denorm_src 0
		.amdhsa_exception_fp_ieee_div_zero 0
		.amdhsa_exception_fp_ieee_overflow 0
		.amdhsa_exception_fp_ieee_underflow 0
		.amdhsa_exception_fp_ieee_inexact 0
		.amdhsa_exception_int_div_zero 0
	.end_amdhsa_kernel
	.section	.text._ZN7rocprim17ROCPRIM_400000_NS6detail17trampoline_kernelINS0_14default_configENS1_20scan_config_selectorIN3c108BFloat16EEEZZNS1_9scan_implILNS1_25lookback_scan_determinismE0ELb0ELb0ES3_PKS6_PS6_S6_ZZZN2at6native31launch_logcumsumexp_cuda_kernelERKNSD_10TensorBaseESH_lENKUlvE_clEvENKUlvE4_clEvEUlS6_S6_E_S6_EEDaPvRmT3_T4_T5_mT6_P12ihipStream_tbENKUlT_T0_E_clISt17integral_constantIbLb0EESX_IbLb1EEEEDaST_SU_EUlST_E0_NS1_11comp_targetILNS1_3genE5ELNS1_11target_archE942ELNS1_3gpuE9ELNS1_3repE0EEENS1_30default_config_static_selectorELNS0_4arch9wavefront6targetE0EEEvT1_,"axG",@progbits,_ZN7rocprim17ROCPRIM_400000_NS6detail17trampoline_kernelINS0_14default_configENS1_20scan_config_selectorIN3c108BFloat16EEEZZNS1_9scan_implILNS1_25lookback_scan_determinismE0ELb0ELb0ES3_PKS6_PS6_S6_ZZZN2at6native31launch_logcumsumexp_cuda_kernelERKNSD_10TensorBaseESH_lENKUlvE_clEvENKUlvE4_clEvEUlS6_S6_E_S6_EEDaPvRmT3_T4_T5_mT6_P12ihipStream_tbENKUlT_T0_E_clISt17integral_constantIbLb0EESX_IbLb1EEEEDaST_SU_EUlST_E0_NS1_11comp_targetILNS1_3genE5ELNS1_11target_archE942ELNS1_3gpuE9ELNS1_3repE0EEENS1_30default_config_static_selectorELNS0_4arch9wavefront6targetE0EEEvT1_,comdat
.Lfunc_end513:
	.size	_ZN7rocprim17ROCPRIM_400000_NS6detail17trampoline_kernelINS0_14default_configENS1_20scan_config_selectorIN3c108BFloat16EEEZZNS1_9scan_implILNS1_25lookback_scan_determinismE0ELb0ELb0ES3_PKS6_PS6_S6_ZZZN2at6native31launch_logcumsumexp_cuda_kernelERKNSD_10TensorBaseESH_lENKUlvE_clEvENKUlvE4_clEvEUlS6_S6_E_S6_EEDaPvRmT3_T4_T5_mT6_P12ihipStream_tbENKUlT_T0_E_clISt17integral_constantIbLb0EESX_IbLb1EEEEDaST_SU_EUlST_E0_NS1_11comp_targetILNS1_3genE5ELNS1_11target_archE942ELNS1_3gpuE9ELNS1_3repE0EEENS1_30default_config_static_selectorELNS0_4arch9wavefront6targetE0EEEvT1_, .Lfunc_end513-_ZN7rocprim17ROCPRIM_400000_NS6detail17trampoline_kernelINS0_14default_configENS1_20scan_config_selectorIN3c108BFloat16EEEZZNS1_9scan_implILNS1_25lookback_scan_determinismE0ELb0ELb0ES3_PKS6_PS6_S6_ZZZN2at6native31launch_logcumsumexp_cuda_kernelERKNSD_10TensorBaseESH_lENKUlvE_clEvENKUlvE4_clEvEUlS6_S6_E_S6_EEDaPvRmT3_T4_T5_mT6_P12ihipStream_tbENKUlT_T0_E_clISt17integral_constantIbLb0EESX_IbLb1EEEEDaST_SU_EUlST_E0_NS1_11comp_targetILNS1_3genE5ELNS1_11target_archE942ELNS1_3gpuE9ELNS1_3repE0EEENS1_30default_config_static_selectorELNS0_4arch9wavefront6targetE0EEEvT1_
                                        ; -- End function
	.set _ZN7rocprim17ROCPRIM_400000_NS6detail17trampoline_kernelINS0_14default_configENS1_20scan_config_selectorIN3c108BFloat16EEEZZNS1_9scan_implILNS1_25lookback_scan_determinismE0ELb0ELb0ES3_PKS6_PS6_S6_ZZZN2at6native31launch_logcumsumexp_cuda_kernelERKNSD_10TensorBaseESH_lENKUlvE_clEvENKUlvE4_clEvEUlS6_S6_E_S6_EEDaPvRmT3_T4_T5_mT6_P12ihipStream_tbENKUlT_T0_E_clISt17integral_constantIbLb0EESX_IbLb1EEEEDaST_SU_EUlST_E0_NS1_11comp_targetILNS1_3genE5ELNS1_11target_archE942ELNS1_3gpuE9ELNS1_3repE0EEENS1_30default_config_static_selectorELNS0_4arch9wavefront6targetE0EEEvT1_.num_vgpr, 0
	.set _ZN7rocprim17ROCPRIM_400000_NS6detail17trampoline_kernelINS0_14default_configENS1_20scan_config_selectorIN3c108BFloat16EEEZZNS1_9scan_implILNS1_25lookback_scan_determinismE0ELb0ELb0ES3_PKS6_PS6_S6_ZZZN2at6native31launch_logcumsumexp_cuda_kernelERKNSD_10TensorBaseESH_lENKUlvE_clEvENKUlvE4_clEvEUlS6_S6_E_S6_EEDaPvRmT3_T4_T5_mT6_P12ihipStream_tbENKUlT_T0_E_clISt17integral_constantIbLb0EESX_IbLb1EEEEDaST_SU_EUlST_E0_NS1_11comp_targetILNS1_3genE5ELNS1_11target_archE942ELNS1_3gpuE9ELNS1_3repE0EEENS1_30default_config_static_selectorELNS0_4arch9wavefront6targetE0EEEvT1_.num_agpr, 0
	.set _ZN7rocprim17ROCPRIM_400000_NS6detail17trampoline_kernelINS0_14default_configENS1_20scan_config_selectorIN3c108BFloat16EEEZZNS1_9scan_implILNS1_25lookback_scan_determinismE0ELb0ELb0ES3_PKS6_PS6_S6_ZZZN2at6native31launch_logcumsumexp_cuda_kernelERKNSD_10TensorBaseESH_lENKUlvE_clEvENKUlvE4_clEvEUlS6_S6_E_S6_EEDaPvRmT3_T4_T5_mT6_P12ihipStream_tbENKUlT_T0_E_clISt17integral_constantIbLb0EESX_IbLb1EEEEDaST_SU_EUlST_E0_NS1_11comp_targetILNS1_3genE5ELNS1_11target_archE942ELNS1_3gpuE9ELNS1_3repE0EEENS1_30default_config_static_selectorELNS0_4arch9wavefront6targetE0EEEvT1_.numbered_sgpr, 0
	.set _ZN7rocprim17ROCPRIM_400000_NS6detail17trampoline_kernelINS0_14default_configENS1_20scan_config_selectorIN3c108BFloat16EEEZZNS1_9scan_implILNS1_25lookback_scan_determinismE0ELb0ELb0ES3_PKS6_PS6_S6_ZZZN2at6native31launch_logcumsumexp_cuda_kernelERKNSD_10TensorBaseESH_lENKUlvE_clEvENKUlvE4_clEvEUlS6_S6_E_S6_EEDaPvRmT3_T4_T5_mT6_P12ihipStream_tbENKUlT_T0_E_clISt17integral_constantIbLb0EESX_IbLb1EEEEDaST_SU_EUlST_E0_NS1_11comp_targetILNS1_3genE5ELNS1_11target_archE942ELNS1_3gpuE9ELNS1_3repE0EEENS1_30default_config_static_selectorELNS0_4arch9wavefront6targetE0EEEvT1_.num_named_barrier, 0
	.set _ZN7rocprim17ROCPRIM_400000_NS6detail17trampoline_kernelINS0_14default_configENS1_20scan_config_selectorIN3c108BFloat16EEEZZNS1_9scan_implILNS1_25lookback_scan_determinismE0ELb0ELb0ES3_PKS6_PS6_S6_ZZZN2at6native31launch_logcumsumexp_cuda_kernelERKNSD_10TensorBaseESH_lENKUlvE_clEvENKUlvE4_clEvEUlS6_S6_E_S6_EEDaPvRmT3_T4_T5_mT6_P12ihipStream_tbENKUlT_T0_E_clISt17integral_constantIbLb0EESX_IbLb1EEEEDaST_SU_EUlST_E0_NS1_11comp_targetILNS1_3genE5ELNS1_11target_archE942ELNS1_3gpuE9ELNS1_3repE0EEENS1_30default_config_static_selectorELNS0_4arch9wavefront6targetE0EEEvT1_.private_seg_size, 0
	.set _ZN7rocprim17ROCPRIM_400000_NS6detail17trampoline_kernelINS0_14default_configENS1_20scan_config_selectorIN3c108BFloat16EEEZZNS1_9scan_implILNS1_25lookback_scan_determinismE0ELb0ELb0ES3_PKS6_PS6_S6_ZZZN2at6native31launch_logcumsumexp_cuda_kernelERKNSD_10TensorBaseESH_lENKUlvE_clEvENKUlvE4_clEvEUlS6_S6_E_S6_EEDaPvRmT3_T4_T5_mT6_P12ihipStream_tbENKUlT_T0_E_clISt17integral_constantIbLb0EESX_IbLb1EEEEDaST_SU_EUlST_E0_NS1_11comp_targetILNS1_3genE5ELNS1_11target_archE942ELNS1_3gpuE9ELNS1_3repE0EEENS1_30default_config_static_selectorELNS0_4arch9wavefront6targetE0EEEvT1_.uses_vcc, 0
	.set _ZN7rocprim17ROCPRIM_400000_NS6detail17trampoline_kernelINS0_14default_configENS1_20scan_config_selectorIN3c108BFloat16EEEZZNS1_9scan_implILNS1_25lookback_scan_determinismE0ELb0ELb0ES3_PKS6_PS6_S6_ZZZN2at6native31launch_logcumsumexp_cuda_kernelERKNSD_10TensorBaseESH_lENKUlvE_clEvENKUlvE4_clEvEUlS6_S6_E_S6_EEDaPvRmT3_T4_T5_mT6_P12ihipStream_tbENKUlT_T0_E_clISt17integral_constantIbLb0EESX_IbLb1EEEEDaST_SU_EUlST_E0_NS1_11comp_targetILNS1_3genE5ELNS1_11target_archE942ELNS1_3gpuE9ELNS1_3repE0EEENS1_30default_config_static_selectorELNS0_4arch9wavefront6targetE0EEEvT1_.uses_flat_scratch, 0
	.set _ZN7rocprim17ROCPRIM_400000_NS6detail17trampoline_kernelINS0_14default_configENS1_20scan_config_selectorIN3c108BFloat16EEEZZNS1_9scan_implILNS1_25lookback_scan_determinismE0ELb0ELb0ES3_PKS6_PS6_S6_ZZZN2at6native31launch_logcumsumexp_cuda_kernelERKNSD_10TensorBaseESH_lENKUlvE_clEvENKUlvE4_clEvEUlS6_S6_E_S6_EEDaPvRmT3_T4_T5_mT6_P12ihipStream_tbENKUlT_T0_E_clISt17integral_constantIbLb0EESX_IbLb1EEEEDaST_SU_EUlST_E0_NS1_11comp_targetILNS1_3genE5ELNS1_11target_archE942ELNS1_3gpuE9ELNS1_3repE0EEENS1_30default_config_static_selectorELNS0_4arch9wavefront6targetE0EEEvT1_.has_dyn_sized_stack, 0
	.set _ZN7rocprim17ROCPRIM_400000_NS6detail17trampoline_kernelINS0_14default_configENS1_20scan_config_selectorIN3c108BFloat16EEEZZNS1_9scan_implILNS1_25lookback_scan_determinismE0ELb0ELb0ES3_PKS6_PS6_S6_ZZZN2at6native31launch_logcumsumexp_cuda_kernelERKNSD_10TensorBaseESH_lENKUlvE_clEvENKUlvE4_clEvEUlS6_S6_E_S6_EEDaPvRmT3_T4_T5_mT6_P12ihipStream_tbENKUlT_T0_E_clISt17integral_constantIbLb0EESX_IbLb1EEEEDaST_SU_EUlST_E0_NS1_11comp_targetILNS1_3genE5ELNS1_11target_archE942ELNS1_3gpuE9ELNS1_3repE0EEENS1_30default_config_static_selectorELNS0_4arch9wavefront6targetE0EEEvT1_.has_recursion, 0
	.set _ZN7rocprim17ROCPRIM_400000_NS6detail17trampoline_kernelINS0_14default_configENS1_20scan_config_selectorIN3c108BFloat16EEEZZNS1_9scan_implILNS1_25lookback_scan_determinismE0ELb0ELb0ES3_PKS6_PS6_S6_ZZZN2at6native31launch_logcumsumexp_cuda_kernelERKNSD_10TensorBaseESH_lENKUlvE_clEvENKUlvE4_clEvEUlS6_S6_E_S6_EEDaPvRmT3_T4_T5_mT6_P12ihipStream_tbENKUlT_T0_E_clISt17integral_constantIbLb0EESX_IbLb1EEEEDaST_SU_EUlST_E0_NS1_11comp_targetILNS1_3genE5ELNS1_11target_archE942ELNS1_3gpuE9ELNS1_3repE0EEENS1_30default_config_static_selectorELNS0_4arch9wavefront6targetE0EEEvT1_.has_indirect_call, 0
	.section	.AMDGPU.csdata,"",@progbits
; Kernel info:
; codeLenInByte = 0
; TotalNumSgprs: 0
; NumVgprs: 0
; ScratchSize: 0
; MemoryBound: 0
; FloatMode: 240
; IeeeMode: 1
; LDSByteSize: 0 bytes/workgroup (compile time only)
; SGPRBlocks: 0
; VGPRBlocks: 0
; NumSGPRsForWavesPerEU: 1
; NumVGPRsForWavesPerEU: 1
; Occupancy: 16
; WaveLimiterHint : 0
; COMPUTE_PGM_RSRC2:SCRATCH_EN: 0
; COMPUTE_PGM_RSRC2:USER_SGPR: 6
; COMPUTE_PGM_RSRC2:TRAP_HANDLER: 0
; COMPUTE_PGM_RSRC2:TGID_X_EN: 1
; COMPUTE_PGM_RSRC2:TGID_Y_EN: 0
; COMPUTE_PGM_RSRC2:TGID_Z_EN: 0
; COMPUTE_PGM_RSRC2:TIDIG_COMP_CNT: 0
	.section	.text._ZN7rocprim17ROCPRIM_400000_NS6detail17trampoline_kernelINS0_14default_configENS1_20scan_config_selectorIN3c108BFloat16EEEZZNS1_9scan_implILNS1_25lookback_scan_determinismE0ELb0ELb0ES3_PKS6_PS6_S6_ZZZN2at6native31launch_logcumsumexp_cuda_kernelERKNSD_10TensorBaseESH_lENKUlvE_clEvENKUlvE4_clEvEUlS6_S6_E_S6_EEDaPvRmT3_T4_T5_mT6_P12ihipStream_tbENKUlT_T0_E_clISt17integral_constantIbLb0EESX_IbLb1EEEEDaST_SU_EUlST_E0_NS1_11comp_targetILNS1_3genE4ELNS1_11target_archE910ELNS1_3gpuE8ELNS1_3repE0EEENS1_30default_config_static_selectorELNS0_4arch9wavefront6targetE0EEEvT1_,"axG",@progbits,_ZN7rocprim17ROCPRIM_400000_NS6detail17trampoline_kernelINS0_14default_configENS1_20scan_config_selectorIN3c108BFloat16EEEZZNS1_9scan_implILNS1_25lookback_scan_determinismE0ELb0ELb0ES3_PKS6_PS6_S6_ZZZN2at6native31launch_logcumsumexp_cuda_kernelERKNSD_10TensorBaseESH_lENKUlvE_clEvENKUlvE4_clEvEUlS6_S6_E_S6_EEDaPvRmT3_T4_T5_mT6_P12ihipStream_tbENKUlT_T0_E_clISt17integral_constantIbLb0EESX_IbLb1EEEEDaST_SU_EUlST_E0_NS1_11comp_targetILNS1_3genE4ELNS1_11target_archE910ELNS1_3gpuE8ELNS1_3repE0EEENS1_30default_config_static_selectorELNS0_4arch9wavefront6targetE0EEEvT1_,comdat
	.globl	_ZN7rocprim17ROCPRIM_400000_NS6detail17trampoline_kernelINS0_14default_configENS1_20scan_config_selectorIN3c108BFloat16EEEZZNS1_9scan_implILNS1_25lookback_scan_determinismE0ELb0ELb0ES3_PKS6_PS6_S6_ZZZN2at6native31launch_logcumsumexp_cuda_kernelERKNSD_10TensorBaseESH_lENKUlvE_clEvENKUlvE4_clEvEUlS6_S6_E_S6_EEDaPvRmT3_T4_T5_mT6_P12ihipStream_tbENKUlT_T0_E_clISt17integral_constantIbLb0EESX_IbLb1EEEEDaST_SU_EUlST_E0_NS1_11comp_targetILNS1_3genE4ELNS1_11target_archE910ELNS1_3gpuE8ELNS1_3repE0EEENS1_30default_config_static_selectorELNS0_4arch9wavefront6targetE0EEEvT1_ ; -- Begin function _ZN7rocprim17ROCPRIM_400000_NS6detail17trampoline_kernelINS0_14default_configENS1_20scan_config_selectorIN3c108BFloat16EEEZZNS1_9scan_implILNS1_25lookback_scan_determinismE0ELb0ELb0ES3_PKS6_PS6_S6_ZZZN2at6native31launch_logcumsumexp_cuda_kernelERKNSD_10TensorBaseESH_lENKUlvE_clEvENKUlvE4_clEvEUlS6_S6_E_S6_EEDaPvRmT3_T4_T5_mT6_P12ihipStream_tbENKUlT_T0_E_clISt17integral_constantIbLb0EESX_IbLb1EEEEDaST_SU_EUlST_E0_NS1_11comp_targetILNS1_3genE4ELNS1_11target_archE910ELNS1_3gpuE8ELNS1_3repE0EEENS1_30default_config_static_selectorELNS0_4arch9wavefront6targetE0EEEvT1_
	.p2align	8
	.type	_ZN7rocprim17ROCPRIM_400000_NS6detail17trampoline_kernelINS0_14default_configENS1_20scan_config_selectorIN3c108BFloat16EEEZZNS1_9scan_implILNS1_25lookback_scan_determinismE0ELb0ELb0ES3_PKS6_PS6_S6_ZZZN2at6native31launch_logcumsumexp_cuda_kernelERKNSD_10TensorBaseESH_lENKUlvE_clEvENKUlvE4_clEvEUlS6_S6_E_S6_EEDaPvRmT3_T4_T5_mT6_P12ihipStream_tbENKUlT_T0_E_clISt17integral_constantIbLb0EESX_IbLb1EEEEDaST_SU_EUlST_E0_NS1_11comp_targetILNS1_3genE4ELNS1_11target_archE910ELNS1_3gpuE8ELNS1_3repE0EEENS1_30default_config_static_selectorELNS0_4arch9wavefront6targetE0EEEvT1_,@function
_ZN7rocprim17ROCPRIM_400000_NS6detail17trampoline_kernelINS0_14default_configENS1_20scan_config_selectorIN3c108BFloat16EEEZZNS1_9scan_implILNS1_25lookback_scan_determinismE0ELb0ELb0ES3_PKS6_PS6_S6_ZZZN2at6native31launch_logcumsumexp_cuda_kernelERKNSD_10TensorBaseESH_lENKUlvE_clEvENKUlvE4_clEvEUlS6_S6_E_S6_EEDaPvRmT3_T4_T5_mT6_P12ihipStream_tbENKUlT_T0_E_clISt17integral_constantIbLb0EESX_IbLb1EEEEDaST_SU_EUlST_E0_NS1_11comp_targetILNS1_3genE4ELNS1_11target_archE910ELNS1_3gpuE8ELNS1_3repE0EEENS1_30default_config_static_selectorELNS0_4arch9wavefront6targetE0EEEvT1_: ; @_ZN7rocprim17ROCPRIM_400000_NS6detail17trampoline_kernelINS0_14default_configENS1_20scan_config_selectorIN3c108BFloat16EEEZZNS1_9scan_implILNS1_25lookback_scan_determinismE0ELb0ELb0ES3_PKS6_PS6_S6_ZZZN2at6native31launch_logcumsumexp_cuda_kernelERKNSD_10TensorBaseESH_lENKUlvE_clEvENKUlvE4_clEvEUlS6_S6_E_S6_EEDaPvRmT3_T4_T5_mT6_P12ihipStream_tbENKUlT_T0_E_clISt17integral_constantIbLb0EESX_IbLb1EEEEDaST_SU_EUlST_E0_NS1_11comp_targetILNS1_3genE4ELNS1_11target_archE910ELNS1_3gpuE8ELNS1_3repE0EEENS1_30default_config_static_selectorELNS0_4arch9wavefront6targetE0EEEvT1_
; %bb.0:
	.section	.rodata,"a",@progbits
	.p2align	6, 0x0
	.amdhsa_kernel _ZN7rocprim17ROCPRIM_400000_NS6detail17trampoline_kernelINS0_14default_configENS1_20scan_config_selectorIN3c108BFloat16EEEZZNS1_9scan_implILNS1_25lookback_scan_determinismE0ELb0ELb0ES3_PKS6_PS6_S6_ZZZN2at6native31launch_logcumsumexp_cuda_kernelERKNSD_10TensorBaseESH_lENKUlvE_clEvENKUlvE4_clEvEUlS6_S6_E_S6_EEDaPvRmT3_T4_T5_mT6_P12ihipStream_tbENKUlT_T0_E_clISt17integral_constantIbLb0EESX_IbLb1EEEEDaST_SU_EUlST_E0_NS1_11comp_targetILNS1_3genE4ELNS1_11target_archE910ELNS1_3gpuE8ELNS1_3repE0EEENS1_30default_config_static_selectorELNS0_4arch9wavefront6targetE0EEEvT1_
		.amdhsa_group_segment_fixed_size 0
		.amdhsa_private_segment_fixed_size 0
		.amdhsa_kernarg_size 32
		.amdhsa_user_sgpr_count 6
		.amdhsa_user_sgpr_private_segment_buffer 1
		.amdhsa_user_sgpr_dispatch_ptr 0
		.amdhsa_user_sgpr_queue_ptr 0
		.amdhsa_user_sgpr_kernarg_segment_ptr 1
		.amdhsa_user_sgpr_dispatch_id 0
		.amdhsa_user_sgpr_flat_scratch_init 0
		.amdhsa_user_sgpr_private_segment_size 0
		.amdhsa_wavefront_size32 1
		.amdhsa_uses_dynamic_stack 0
		.amdhsa_system_sgpr_private_segment_wavefront_offset 0
		.amdhsa_system_sgpr_workgroup_id_x 1
		.amdhsa_system_sgpr_workgroup_id_y 0
		.amdhsa_system_sgpr_workgroup_id_z 0
		.amdhsa_system_sgpr_workgroup_info 0
		.amdhsa_system_vgpr_workitem_id 0
		.amdhsa_next_free_vgpr 1
		.amdhsa_next_free_sgpr 1
		.amdhsa_reserve_vcc 0
		.amdhsa_reserve_flat_scratch 0
		.amdhsa_float_round_mode_32 0
		.amdhsa_float_round_mode_16_64 0
		.amdhsa_float_denorm_mode_32 3
		.amdhsa_float_denorm_mode_16_64 3
		.amdhsa_dx10_clamp 1
		.amdhsa_ieee_mode 1
		.amdhsa_fp16_overflow 0
		.amdhsa_workgroup_processor_mode 1
		.amdhsa_memory_ordered 1
		.amdhsa_forward_progress 1
		.amdhsa_shared_vgpr_count 0
		.amdhsa_exception_fp_ieee_invalid_op 0
		.amdhsa_exception_fp_denorm_src 0
		.amdhsa_exception_fp_ieee_div_zero 0
		.amdhsa_exception_fp_ieee_overflow 0
		.amdhsa_exception_fp_ieee_underflow 0
		.amdhsa_exception_fp_ieee_inexact 0
		.amdhsa_exception_int_div_zero 0
	.end_amdhsa_kernel
	.section	.text._ZN7rocprim17ROCPRIM_400000_NS6detail17trampoline_kernelINS0_14default_configENS1_20scan_config_selectorIN3c108BFloat16EEEZZNS1_9scan_implILNS1_25lookback_scan_determinismE0ELb0ELb0ES3_PKS6_PS6_S6_ZZZN2at6native31launch_logcumsumexp_cuda_kernelERKNSD_10TensorBaseESH_lENKUlvE_clEvENKUlvE4_clEvEUlS6_S6_E_S6_EEDaPvRmT3_T4_T5_mT6_P12ihipStream_tbENKUlT_T0_E_clISt17integral_constantIbLb0EESX_IbLb1EEEEDaST_SU_EUlST_E0_NS1_11comp_targetILNS1_3genE4ELNS1_11target_archE910ELNS1_3gpuE8ELNS1_3repE0EEENS1_30default_config_static_selectorELNS0_4arch9wavefront6targetE0EEEvT1_,"axG",@progbits,_ZN7rocprim17ROCPRIM_400000_NS6detail17trampoline_kernelINS0_14default_configENS1_20scan_config_selectorIN3c108BFloat16EEEZZNS1_9scan_implILNS1_25lookback_scan_determinismE0ELb0ELb0ES3_PKS6_PS6_S6_ZZZN2at6native31launch_logcumsumexp_cuda_kernelERKNSD_10TensorBaseESH_lENKUlvE_clEvENKUlvE4_clEvEUlS6_S6_E_S6_EEDaPvRmT3_T4_T5_mT6_P12ihipStream_tbENKUlT_T0_E_clISt17integral_constantIbLb0EESX_IbLb1EEEEDaST_SU_EUlST_E0_NS1_11comp_targetILNS1_3genE4ELNS1_11target_archE910ELNS1_3gpuE8ELNS1_3repE0EEENS1_30default_config_static_selectorELNS0_4arch9wavefront6targetE0EEEvT1_,comdat
.Lfunc_end514:
	.size	_ZN7rocprim17ROCPRIM_400000_NS6detail17trampoline_kernelINS0_14default_configENS1_20scan_config_selectorIN3c108BFloat16EEEZZNS1_9scan_implILNS1_25lookback_scan_determinismE0ELb0ELb0ES3_PKS6_PS6_S6_ZZZN2at6native31launch_logcumsumexp_cuda_kernelERKNSD_10TensorBaseESH_lENKUlvE_clEvENKUlvE4_clEvEUlS6_S6_E_S6_EEDaPvRmT3_T4_T5_mT6_P12ihipStream_tbENKUlT_T0_E_clISt17integral_constantIbLb0EESX_IbLb1EEEEDaST_SU_EUlST_E0_NS1_11comp_targetILNS1_3genE4ELNS1_11target_archE910ELNS1_3gpuE8ELNS1_3repE0EEENS1_30default_config_static_selectorELNS0_4arch9wavefront6targetE0EEEvT1_, .Lfunc_end514-_ZN7rocprim17ROCPRIM_400000_NS6detail17trampoline_kernelINS0_14default_configENS1_20scan_config_selectorIN3c108BFloat16EEEZZNS1_9scan_implILNS1_25lookback_scan_determinismE0ELb0ELb0ES3_PKS6_PS6_S6_ZZZN2at6native31launch_logcumsumexp_cuda_kernelERKNSD_10TensorBaseESH_lENKUlvE_clEvENKUlvE4_clEvEUlS6_S6_E_S6_EEDaPvRmT3_T4_T5_mT6_P12ihipStream_tbENKUlT_T0_E_clISt17integral_constantIbLb0EESX_IbLb1EEEEDaST_SU_EUlST_E0_NS1_11comp_targetILNS1_3genE4ELNS1_11target_archE910ELNS1_3gpuE8ELNS1_3repE0EEENS1_30default_config_static_selectorELNS0_4arch9wavefront6targetE0EEEvT1_
                                        ; -- End function
	.set _ZN7rocprim17ROCPRIM_400000_NS6detail17trampoline_kernelINS0_14default_configENS1_20scan_config_selectorIN3c108BFloat16EEEZZNS1_9scan_implILNS1_25lookback_scan_determinismE0ELb0ELb0ES3_PKS6_PS6_S6_ZZZN2at6native31launch_logcumsumexp_cuda_kernelERKNSD_10TensorBaseESH_lENKUlvE_clEvENKUlvE4_clEvEUlS6_S6_E_S6_EEDaPvRmT3_T4_T5_mT6_P12ihipStream_tbENKUlT_T0_E_clISt17integral_constantIbLb0EESX_IbLb1EEEEDaST_SU_EUlST_E0_NS1_11comp_targetILNS1_3genE4ELNS1_11target_archE910ELNS1_3gpuE8ELNS1_3repE0EEENS1_30default_config_static_selectorELNS0_4arch9wavefront6targetE0EEEvT1_.num_vgpr, 0
	.set _ZN7rocprim17ROCPRIM_400000_NS6detail17trampoline_kernelINS0_14default_configENS1_20scan_config_selectorIN3c108BFloat16EEEZZNS1_9scan_implILNS1_25lookback_scan_determinismE0ELb0ELb0ES3_PKS6_PS6_S6_ZZZN2at6native31launch_logcumsumexp_cuda_kernelERKNSD_10TensorBaseESH_lENKUlvE_clEvENKUlvE4_clEvEUlS6_S6_E_S6_EEDaPvRmT3_T4_T5_mT6_P12ihipStream_tbENKUlT_T0_E_clISt17integral_constantIbLb0EESX_IbLb1EEEEDaST_SU_EUlST_E0_NS1_11comp_targetILNS1_3genE4ELNS1_11target_archE910ELNS1_3gpuE8ELNS1_3repE0EEENS1_30default_config_static_selectorELNS0_4arch9wavefront6targetE0EEEvT1_.num_agpr, 0
	.set _ZN7rocprim17ROCPRIM_400000_NS6detail17trampoline_kernelINS0_14default_configENS1_20scan_config_selectorIN3c108BFloat16EEEZZNS1_9scan_implILNS1_25lookback_scan_determinismE0ELb0ELb0ES3_PKS6_PS6_S6_ZZZN2at6native31launch_logcumsumexp_cuda_kernelERKNSD_10TensorBaseESH_lENKUlvE_clEvENKUlvE4_clEvEUlS6_S6_E_S6_EEDaPvRmT3_T4_T5_mT6_P12ihipStream_tbENKUlT_T0_E_clISt17integral_constantIbLb0EESX_IbLb1EEEEDaST_SU_EUlST_E0_NS1_11comp_targetILNS1_3genE4ELNS1_11target_archE910ELNS1_3gpuE8ELNS1_3repE0EEENS1_30default_config_static_selectorELNS0_4arch9wavefront6targetE0EEEvT1_.numbered_sgpr, 0
	.set _ZN7rocprim17ROCPRIM_400000_NS6detail17trampoline_kernelINS0_14default_configENS1_20scan_config_selectorIN3c108BFloat16EEEZZNS1_9scan_implILNS1_25lookback_scan_determinismE0ELb0ELb0ES3_PKS6_PS6_S6_ZZZN2at6native31launch_logcumsumexp_cuda_kernelERKNSD_10TensorBaseESH_lENKUlvE_clEvENKUlvE4_clEvEUlS6_S6_E_S6_EEDaPvRmT3_T4_T5_mT6_P12ihipStream_tbENKUlT_T0_E_clISt17integral_constantIbLb0EESX_IbLb1EEEEDaST_SU_EUlST_E0_NS1_11comp_targetILNS1_3genE4ELNS1_11target_archE910ELNS1_3gpuE8ELNS1_3repE0EEENS1_30default_config_static_selectorELNS0_4arch9wavefront6targetE0EEEvT1_.num_named_barrier, 0
	.set _ZN7rocprim17ROCPRIM_400000_NS6detail17trampoline_kernelINS0_14default_configENS1_20scan_config_selectorIN3c108BFloat16EEEZZNS1_9scan_implILNS1_25lookback_scan_determinismE0ELb0ELb0ES3_PKS6_PS6_S6_ZZZN2at6native31launch_logcumsumexp_cuda_kernelERKNSD_10TensorBaseESH_lENKUlvE_clEvENKUlvE4_clEvEUlS6_S6_E_S6_EEDaPvRmT3_T4_T5_mT6_P12ihipStream_tbENKUlT_T0_E_clISt17integral_constantIbLb0EESX_IbLb1EEEEDaST_SU_EUlST_E0_NS1_11comp_targetILNS1_3genE4ELNS1_11target_archE910ELNS1_3gpuE8ELNS1_3repE0EEENS1_30default_config_static_selectorELNS0_4arch9wavefront6targetE0EEEvT1_.private_seg_size, 0
	.set _ZN7rocprim17ROCPRIM_400000_NS6detail17trampoline_kernelINS0_14default_configENS1_20scan_config_selectorIN3c108BFloat16EEEZZNS1_9scan_implILNS1_25lookback_scan_determinismE0ELb0ELb0ES3_PKS6_PS6_S6_ZZZN2at6native31launch_logcumsumexp_cuda_kernelERKNSD_10TensorBaseESH_lENKUlvE_clEvENKUlvE4_clEvEUlS6_S6_E_S6_EEDaPvRmT3_T4_T5_mT6_P12ihipStream_tbENKUlT_T0_E_clISt17integral_constantIbLb0EESX_IbLb1EEEEDaST_SU_EUlST_E0_NS1_11comp_targetILNS1_3genE4ELNS1_11target_archE910ELNS1_3gpuE8ELNS1_3repE0EEENS1_30default_config_static_selectorELNS0_4arch9wavefront6targetE0EEEvT1_.uses_vcc, 0
	.set _ZN7rocprim17ROCPRIM_400000_NS6detail17trampoline_kernelINS0_14default_configENS1_20scan_config_selectorIN3c108BFloat16EEEZZNS1_9scan_implILNS1_25lookback_scan_determinismE0ELb0ELb0ES3_PKS6_PS6_S6_ZZZN2at6native31launch_logcumsumexp_cuda_kernelERKNSD_10TensorBaseESH_lENKUlvE_clEvENKUlvE4_clEvEUlS6_S6_E_S6_EEDaPvRmT3_T4_T5_mT6_P12ihipStream_tbENKUlT_T0_E_clISt17integral_constantIbLb0EESX_IbLb1EEEEDaST_SU_EUlST_E0_NS1_11comp_targetILNS1_3genE4ELNS1_11target_archE910ELNS1_3gpuE8ELNS1_3repE0EEENS1_30default_config_static_selectorELNS0_4arch9wavefront6targetE0EEEvT1_.uses_flat_scratch, 0
	.set _ZN7rocprim17ROCPRIM_400000_NS6detail17trampoline_kernelINS0_14default_configENS1_20scan_config_selectorIN3c108BFloat16EEEZZNS1_9scan_implILNS1_25lookback_scan_determinismE0ELb0ELb0ES3_PKS6_PS6_S6_ZZZN2at6native31launch_logcumsumexp_cuda_kernelERKNSD_10TensorBaseESH_lENKUlvE_clEvENKUlvE4_clEvEUlS6_S6_E_S6_EEDaPvRmT3_T4_T5_mT6_P12ihipStream_tbENKUlT_T0_E_clISt17integral_constantIbLb0EESX_IbLb1EEEEDaST_SU_EUlST_E0_NS1_11comp_targetILNS1_3genE4ELNS1_11target_archE910ELNS1_3gpuE8ELNS1_3repE0EEENS1_30default_config_static_selectorELNS0_4arch9wavefront6targetE0EEEvT1_.has_dyn_sized_stack, 0
	.set _ZN7rocprim17ROCPRIM_400000_NS6detail17trampoline_kernelINS0_14default_configENS1_20scan_config_selectorIN3c108BFloat16EEEZZNS1_9scan_implILNS1_25lookback_scan_determinismE0ELb0ELb0ES3_PKS6_PS6_S6_ZZZN2at6native31launch_logcumsumexp_cuda_kernelERKNSD_10TensorBaseESH_lENKUlvE_clEvENKUlvE4_clEvEUlS6_S6_E_S6_EEDaPvRmT3_T4_T5_mT6_P12ihipStream_tbENKUlT_T0_E_clISt17integral_constantIbLb0EESX_IbLb1EEEEDaST_SU_EUlST_E0_NS1_11comp_targetILNS1_3genE4ELNS1_11target_archE910ELNS1_3gpuE8ELNS1_3repE0EEENS1_30default_config_static_selectorELNS0_4arch9wavefront6targetE0EEEvT1_.has_recursion, 0
	.set _ZN7rocprim17ROCPRIM_400000_NS6detail17trampoline_kernelINS0_14default_configENS1_20scan_config_selectorIN3c108BFloat16EEEZZNS1_9scan_implILNS1_25lookback_scan_determinismE0ELb0ELb0ES3_PKS6_PS6_S6_ZZZN2at6native31launch_logcumsumexp_cuda_kernelERKNSD_10TensorBaseESH_lENKUlvE_clEvENKUlvE4_clEvEUlS6_S6_E_S6_EEDaPvRmT3_T4_T5_mT6_P12ihipStream_tbENKUlT_T0_E_clISt17integral_constantIbLb0EESX_IbLb1EEEEDaST_SU_EUlST_E0_NS1_11comp_targetILNS1_3genE4ELNS1_11target_archE910ELNS1_3gpuE8ELNS1_3repE0EEENS1_30default_config_static_selectorELNS0_4arch9wavefront6targetE0EEEvT1_.has_indirect_call, 0
	.section	.AMDGPU.csdata,"",@progbits
; Kernel info:
; codeLenInByte = 0
; TotalNumSgprs: 0
; NumVgprs: 0
; ScratchSize: 0
; MemoryBound: 0
; FloatMode: 240
; IeeeMode: 1
; LDSByteSize: 0 bytes/workgroup (compile time only)
; SGPRBlocks: 0
; VGPRBlocks: 0
; NumSGPRsForWavesPerEU: 1
; NumVGPRsForWavesPerEU: 1
; Occupancy: 16
; WaveLimiterHint : 0
; COMPUTE_PGM_RSRC2:SCRATCH_EN: 0
; COMPUTE_PGM_RSRC2:USER_SGPR: 6
; COMPUTE_PGM_RSRC2:TRAP_HANDLER: 0
; COMPUTE_PGM_RSRC2:TGID_X_EN: 1
; COMPUTE_PGM_RSRC2:TGID_Y_EN: 0
; COMPUTE_PGM_RSRC2:TGID_Z_EN: 0
; COMPUTE_PGM_RSRC2:TIDIG_COMP_CNT: 0
	.section	.text._ZN7rocprim17ROCPRIM_400000_NS6detail17trampoline_kernelINS0_14default_configENS1_20scan_config_selectorIN3c108BFloat16EEEZZNS1_9scan_implILNS1_25lookback_scan_determinismE0ELb0ELb0ES3_PKS6_PS6_S6_ZZZN2at6native31launch_logcumsumexp_cuda_kernelERKNSD_10TensorBaseESH_lENKUlvE_clEvENKUlvE4_clEvEUlS6_S6_E_S6_EEDaPvRmT3_T4_T5_mT6_P12ihipStream_tbENKUlT_T0_E_clISt17integral_constantIbLb0EESX_IbLb1EEEEDaST_SU_EUlST_E0_NS1_11comp_targetILNS1_3genE3ELNS1_11target_archE908ELNS1_3gpuE7ELNS1_3repE0EEENS1_30default_config_static_selectorELNS0_4arch9wavefront6targetE0EEEvT1_,"axG",@progbits,_ZN7rocprim17ROCPRIM_400000_NS6detail17trampoline_kernelINS0_14default_configENS1_20scan_config_selectorIN3c108BFloat16EEEZZNS1_9scan_implILNS1_25lookback_scan_determinismE0ELb0ELb0ES3_PKS6_PS6_S6_ZZZN2at6native31launch_logcumsumexp_cuda_kernelERKNSD_10TensorBaseESH_lENKUlvE_clEvENKUlvE4_clEvEUlS6_S6_E_S6_EEDaPvRmT3_T4_T5_mT6_P12ihipStream_tbENKUlT_T0_E_clISt17integral_constantIbLb0EESX_IbLb1EEEEDaST_SU_EUlST_E0_NS1_11comp_targetILNS1_3genE3ELNS1_11target_archE908ELNS1_3gpuE7ELNS1_3repE0EEENS1_30default_config_static_selectorELNS0_4arch9wavefront6targetE0EEEvT1_,comdat
	.globl	_ZN7rocprim17ROCPRIM_400000_NS6detail17trampoline_kernelINS0_14default_configENS1_20scan_config_selectorIN3c108BFloat16EEEZZNS1_9scan_implILNS1_25lookback_scan_determinismE0ELb0ELb0ES3_PKS6_PS6_S6_ZZZN2at6native31launch_logcumsumexp_cuda_kernelERKNSD_10TensorBaseESH_lENKUlvE_clEvENKUlvE4_clEvEUlS6_S6_E_S6_EEDaPvRmT3_T4_T5_mT6_P12ihipStream_tbENKUlT_T0_E_clISt17integral_constantIbLb0EESX_IbLb1EEEEDaST_SU_EUlST_E0_NS1_11comp_targetILNS1_3genE3ELNS1_11target_archE908ELNS1_3gpuE7ELNS1_3repE0EEENS1_30default_config_static_selectorELNS0_4arch9wavefront6targetE0EEEvT1_ ; -- Begin function _ZN7rocprim17ROCPRIM_400000_NS6detail17trampoline_kernelINS0_14default_configENS1_20scan_config_selectorIN3c108BFloat16EEEZZNS1_9scan_implILNS1_25lookback_scan_determinismE0ELb0ELb0ES3_PKS6_PS6_S6_ZZZN2at6native31launch_logcumsumexp_cuda_kernelERKNSD_10TensorBaseESH_lENKUlvE_clEvENKUlvE4_clEvEUlS6_S6_E_S6_EEDaPvRmT3_T4_T5_mT6_P12ihipStream_tbENKUlT_T0_E_clISt17integral_constantIbLb0EESX_IbLb1EEEEDaST_SU_EUlST_E0_NS1_11comp_targetILNS1_3genE3ELNS1_11target_archE908ELNS1_3gpuE7ELNS1_3repE0EEENS1_30default_config_static_selectorELNS0_4arch9wavefront6targetE0EEEvT1_
	.p2align	8
	.type	_ZN7rocprim17ROCPRIM_400000_NS6detail17trampoline_kernelINS0_14default_configENS1_20scan_config_selectorIN3c108BFloat16EEEZZNS1_9scan_implILNS1_25lookback_scan_determinismE0ELb0ELb0ES3_PKS6_PS6_S6_ZZZN2at6native31launch_logcumsumexp_cuda_kernelERKNSD_10TensorBaseESH_lENKUlvE_clEvENKUlvE4_clEvEUlS6_S6_E_S6_EEDaPvRmT3_T4_T5_mT6_P12ihipStream_tbENKUlT_T0_E_clISt17integral_constantIbLb0EESX_IbLb1EEEEDaST_SU_EUlST_E0_NS1_11comp_targetILNS1_3genE3ELNS1_11target_archE908ELNS1_3gpuE7ELNS1_3repE0EEENS1_30default_config_static_selectorELNS0_4arch9wavefront6targetE0EEEvT1_,@function
_ZN7rocprim17ROCPRIM_400000_NS6detail17trampoline_kernelINS0_14default_configENS1_20scan_config_selectorIN3c108BFloat16EEEZZNS1_9scan_implILNS1_25lookback_scan_determinismE0ELb0ELb0ES3_PKS6_PS6_S6_ZZZN2at6native31launch_logcumsumexp_cuda_kernelERKNSD_10TensorBaseESH_lENKUlvE_clEvENKUlvE4_clEvEUlS6_S6_E_S6_EEDaPvRmT3_T4_T5_mT6_P12ihipStream_tbENKUlT_T0_E_clISt17integral_constantIbLb0EESX_IbLb1EEEEDaST_SU_EUlST_E0_NS1_11comp_targetILNS1_3genE3ELNS1_11target_archE908ELNS1_3gpuE7ELNS1_3repE0EEENS1_30default_config_static_selectorELNS0_4arch9wavefront6targetE0EEEvT1_: ; @_ZN7rocprim17ROCPRIM_400000_NS6detail17trampoline_kernelINS0_14default_configENS1_20scan_config_selectorIN3c108BFloat16EEEZZNS1_9scan_implILNS1_25lookback_scan_determinismE0ELb0ELb0ES3_PKS6_PS6_S6_ZZZN2at6native31launch_logcumsumexp_cuda_kernelERKNSD_10TensorBaseESH_lENKUlvE_clEvENKUlvE4_clEvEUlS6_S6_E_S6_EEDaPvRmT3_T4_T5_mT6_P12ihipStream_tbENKUlT_T0_E_clISt17integral_constantIbLb0EESX_IbLb1EEEEDaST_SU_EUlST_E0_NS1_11comp_targetILNS1_3genE3ELNS1_11target_archE908ELNS1_3gpuE7ELNS1_3repE0EEENS1_30default_config_static_selectorELNS0_4arch9wavefront6targetE0EEEvT1_
; %bb.0:
	.section	.rodata,"a",@progbits
	.p2align	6, 0x0
	.amdhsa_kernel _ZN7rocprim17ROCPRIM_400000_NS6detail17trampoline_kernelINS0_14default_configENS1_20scan_config_selectorIN3c108BFloat16EEEZZNS1_9scan_implILNS1_25lookback_scan_determinismE0ELb0ELb0ES3_PKS6_PS6_S6_ZZZN2at6native31launch_logcumsumexp_cuda_kernelERKNSD_10TensorBaseESH_lENKUlvE_clEvENKUlvE4_clEvEUlS6_S6_E_S6_EEDaPvRmT3_T4_T5_mT6_P12ihipStream_tbENKUlT_T0_E_clISt17integral_constantIbLb0EESX_IbLb1EEEEDaST_SU_EUlST_E0_NS1_11comp_targetILNS1_3genE3ELNS1_11target_archE908ELNS1_3gpuE7ELNS1_3repE0EEENS1_30default_config_static_selectorELNS0_4arch9wavefront6targetE0EEEvT1_
		.amdhsa_group_segment_fixed_size 0
		.amdhsa_private_segment_fixed_size 0
		.amdhsa_kernarg_size 32
		.amdhsa_user_sgpr_count 6
		.amdhsa_user_sgpr_private_segment_buffer 1
		.amdhsa_user_sgpr_dispatch_ptr 0
		.amdhsa_user_sgpr_queue_ptr 0
		.amdhsa_user_sgpr_kernarg_segment_ptr 1
		.amdhsa_user_sgpr_dispatch_id 0
		.amdhsa_user_sgpr_flat_scratch_init 0
		.amdhsa_user_sgpr_private_segment_size 0
		.amdhsa_wavefront_size32 1
		.amdhsa_uses_dynamic_stack 0
		.amdhsa_system_sgpr_private_segment_wavefront_offset 0
		.amdhsa_system_sgpr_workgroup_id_x 1
		.amdhsa_system_sgpr_workgroup_id_y 0
		.amdhsa_system_sgpr_workgroup_id_z 0
		.amdhsa_system_sgpr_workgroup_info 0
		.amdhsa_system_vgpr_workitem_id 0
		.amdhsa_next_free_vgpr 1
		.amdhsa_next_free_sgpr 1
		.amdhsa_reserve_vcc 0
		.amdhsa_reserve_flat_scratch 0
		.amdhsa_float_round_mode_32 0
		.amdhsa_float_round_mode_16_64 0
		.amdhsa_float_denorm_mode_32 3
		.amdhsa_float_denorm_mode_16_64 3
		.amdhsa_dx10_clamp 1
		.amdhsa_ieee_mode 1
		.amdhsa_fp16_overflow 0
		.amdhsa_workgroup_processor_mode 1
		.amdhsa_memory_ordered 1
		.amdhsa_forward_progress 1
		.amdhsa_shared_vgpr_count 0
		.amdhsa_exception_fp_ieee_invalid_op 0
		.amdhsa_exception_fp_denorm_src 0
		.amdhsa_exception_fp_ieee_div_zero 0
		.amdhsa_exception_fp_ieee_overflow 0
		.amdhsa_exception_fp_ieee_underflow 0
		.amdhsa_exception_fp_ieee_inexact 0
		.amdhsa_exception_int_div_zero 0
	.end_amdhsa_kernel
	.section	.text._ZN7rocprim17ROCPRIM_400000_NS6detail17trampoline_kernelINS0_14default_configENS1_20scan_config_selectorIN3c108BFloat16EEEZZNS1_9scan_implILNS1_25lookback_scan_determinismE0ELb0ELb0ES3_PKS6_PS6_S6_ZZZN2at6native31launch_logcumsumexp_cuda_kernelERKNSD_10TensorBaseESH_lENKUlvE_clEvENKUlvE4_clEvEUlS6_S6_E_S6_EEDaPvRmT3_T4_T5_mT6_P12ihipStream_tbENKUlT_T0_E_clISt17integral_constantIbLb0EESX_IbLb1EEEEDaST_SU_EUlST_E0_NS1_11comp_targetILNS1_3genE3ELNS1_11target_archE908ELNS1_3gpuE7ELNS1_3repE0EEENS1_30default_config_static_selectorELNS0_4arch9wavefront6targetE0EEEvT1_,"axG",@progbits,_ZN7rocprim17ROCPRIM_400000_NS6detail17trampoline_kernelINS0_14default_configENS1_20scan_config_selectorIN3c108BFloat16EEEZZNS1_9scan_implILNS1_25lookback_scan_determinismE0ELb0ELb0ES3_PKS6_PS6_S6_ZZZN2at6native31launch_logcumsumexp_cuda_kernelERKNSD_10TensorBaseESH_lENKUlvE_clEvENKUlvE4_clEvEUlS6_S6_E_S6_EEDaPvRmT3_T4_T5_mT6_P12ihipStream_tbENKUlT_T0_E_clISt17integral_constantIbLb0EESX_IbLb1EEEEDaST_SU_EUlST_E0_NS1_11comp_targetILNS1_3genE3ELNS1_11target_archE908ELNS1_3gpuE7ELNS1_3repE0EEENS1_30default_config_static_selectorELNS0_4arch9wavefront6targetE0EEEvT1_,comdat
.Lfunc_end515:
	.size	_ZN7rocprim17ROCPRIM_400000_NS6detail17trampoline_kernelINS0_14default_configENS1_20scan_config_selectorIN3c108BFloat16EEEZZNS1_9scan_implILNS1_25lookback_scan_determinismE0ELb0ELb0ES3_PKS6_PS6_S6_ZZZN2at6native31launch_logcumsumexp_cuda_kernelERKNSD_10TensorBaseESH_lENKUlvE_clEvENKUlvE4_clEvEUlS6_S6_E_S6_EEDaPvRmT3_T4_T5_mT6_P12ihipStream_tbENKUlT_T0_E_clISt17integral_constantIbLb0EESX_IbLb1EEEEDaST_SU_EUlST_E0_NS1_11comp_targetILNS1_3genE3ELNS1_11target_archE908ELNS1_3gpuE7ELNS1_3repE0EEENS1_30default_config_static_selectorELNS0_4arch9wavefront6targetE0EEEvT1_, .Lfunc_end515-_ZN7rocprim17ROCPRIM_400000_NS6detail17trampoline_kernelINS0_14default_configENS1_20scan_config_selectorIN3c108BFloat16EEEZZNS1_9scan_implILNS1_25lookback_scan_determinismE0ELb0ELb0ES3_PKS6_PS6_S6_ZZZN2at6native31launch_logcumsumexp_cuda_kernelERKNSD_10TensorBaseESH_lENKUlvE_clEvENKUlvE4_clEvEUlS6_S6_E_S6_EEDaPvRmT3_T4_T5_mT6_P12ihipStream_tbENKUlT_T0_E_clISt17integral_constantIbLb0EESX_IbLb1EEEEDaST_SU_EUlST_E0_NS1_11comp_targetILNS1_3genE3ELNS1_11target_archE908ELNS1_3gpuE7ELNS1_3repE0EEENS1_30default_config_static_selectorELNS0_4arch9wavefront6targetE0EEEvT1_
                                        ; -- End function
	.set _ZN7rocprim17ROCPRIM_400000_NS6detail17trampoline_kernelINS0_14default_configENS1_20scan_config_selectorIN3c108BFloat16EEEZZNS1_9scan_implILNS1_25lookback_scan_determinismE0ELb0ELb0ES3_PKS6_PS6_S6_ZZZN2at6native31launch_logcumsumexp_cuda_kernelERKNSD_10TensorBaseESH_lENKUlvE_clEvENKUlvE4_clEvEUlS6_S6_E_S6_EEDaPvRmT3_T4_T5_mT6_P12ihipStream_tbENKUlT_T0_E_clISt17integral_constantIbLb0EESX_IbLb1EEEEDaST_SU_EUlST_E0_NS1_11comp_targetILNS1_3genE3ELNS1_11target_archE908ELNS1_3gpuE7ELNS1_3repE0EEENS1_30default_config_static_selectorELNS0_4arch9wavefront6targetE0EEEvT1_.num_vgpr, 0
	.set _ZN7rocprim17ROCPRIM_400000_NS6detail17trampoline_kernelINS0_14default_configENS1_20scan_config_selectorIN3c108BFloat16EEEZZNS1_9scan_implILNS1_25lookback_scan_determinismE0ELb0ELb0ES3_PKS6_PS6_S6_ZZZN2at6native31launch_logcumsumexp_cuda_kernelERKNSD_10TensorBaseESH_lENKUlvE_clEvENKUlvE4_clEvEUlS6_S6_E_S6_EEDaPvRmT3_T4_T5_mT6_P12ihipStream_tbENKUlT_T0_E_clISt17integral_constantIbLb0EESX_IbLb1EEEEDaST_SU_EUlST_E0_NS1_11comp_targetILNS1_3genE3ELNS1_11target_archE908ELNS1_3gpuE7ELNS1_3repE0EEENS1_30default_config_static_selectorELNS0_4arch9wavefront6targetE0EEEvT1_.num_agpr, 0
	.set _ZN7rocprim17ROCPRIM_400000_NS6detail17trampoline_kernelINS0_14default_configENS1_20scan_config_selectorIN3c108BFloat16EEEZZNS1_9scan_implILNS1_25lookback_scan_determinismE0ELb0ELb0ES3_PKS6_PS6_S6_ZZZN2at6native31launch_logcumsumexp_cuda_kernelERKNSD_10TensorBaseESH_lENKUlvE_clEvENKUlvE4_clEvEUlS6_S6_E_S6_EEDaPvRmT3_T4_T5_mT6_P12ihipStream_tbENKUlT_T0_E_clISt17integral_constantIbLb0EESX_IbLb1EEEEDaST_SU_EUlST_E0_NS1_11comp_targetILNS1_3genE3ELNS1_11target_archE908ELNS1_3gpuE7ELNS1_3repE0EEENS1_30default_config_static_selectorELNS0_4arch9wavefront6targetE0EEEvT1_.numbered_sgpr, 0
	.set _ZN7rocprim17ROCPRIM_400000_NS6detail17trampoline_kernelINS0_14default_configENS1_20scan_config_selectorIN3c108BFloat16EEEZZNS1_9scan_implILNS1_25lookback_scan_determinismE0ELb0ELb0ES3_PKS6_PS6_S6_ZZZN2at6native31launch_logcumsumexp_cuda_kernelERKNSD_10TensorBaseESH_lENKUlvE_clEvENKUlvE4_clEvEUlS6_S6_E_S6_EEDaPvRmT3_T4_T5_mT6_P12ihipStream_tbENKUlT_T0_E_clISt17integral_constantIbLb0EESX_IbLb1EEEEDaST_SU_EUlST_E0_NS1_11comp_targetILNS1_3genE3ELNS1_11target_archE908ELNS1_3gpuE7ELNS1_3repE0EEENS1_30default_config_static_selectorELNS0_4arch9wavefront6targetE0EEEvT1_.num_named_barrier, 0
	.set _ZN7rocprim17ROCPRIM_400000_NS6detail17trampoline_kernelINS0_14default_configENS1_20scan_config_selectorIN3c108BFloat16EEEZZNS1_9scan_implILNS1_25lookback_scan_determinismE0ELb0ELb0ES3_PKS6_PS6_S6_ZZZN2at6native31launch_logcumsumexp_cuda_kernelERKNSD_10TensorBaseESH_lENKUlvE_clEvENKUlvE4_clEvEUlS6_S6_E_S6_EEDaPvRmT3_T4_T5_mT6_P12ihipStream_tbENKUlT_T0_E_clISt17integral_constantIbLb0EESX_IbLb1EEEEDaST_SU_EUlST_E0_NS1_11comp_targetILNS1_3genE3ELNS1_11target_archE908ELNS1_3gpuE7ELNS1_3repE0EEENS1_30default_config_static_selectorELNS0_4arch9wavefront6targetE0EEEvT1_.private_seg_size, 0
	.set _ZN7rocprim17ROCPRIM_400000_NS6detail17trampoline_kernelINS0_14default_configENS1_20scan_config_selectorIN3c108BFloat16EEEZZNS1_9scan_implILNS1_25lookback_scan_determinismE0ELb0ELb0ES3_PKS6_PS6_S6_ZZZN2at6native31launch_logcumsumexp_cuda_kernelERKNSD_10TensorBaseESH_lENKUlvE_clEvENKUlvE4_clEvEUlS6_S6_E_S6_EEDaPvRmT3_T4_T5_mT6_P12ihipStream_tbENKUlT_T0_E_clISt17integral_constantIbLb0EESX_IbLb1EEEEDaST_SU_EUlST_E0_NS1_11comp_targetILNS1_3genE3ELNS1_11target_archE908ELNS1_3gpuE7ELNS1_3repE0EEENS1_30default_config_static_selectorELNS0_4arch9wavefront6targetE0EEEvT1_.uses_vcc, 0
	.set _ZN7rocprim17ROCPRIM_400000_NS6detail17trampoline_kernelINS0_14default_configENS1_20scan_config_selectorIN3c108BFloat16EEEZZNS1_9scan_implILNS1_25lookback_scan_determinismE0ELb0ELb0ES3_PKS6_PS6_S6_ZZZN2at6native31launch_logcumsumexp_cuda_kernelERKNSD_10TensorBaseESH_lENKUlvE_clEvENKUlvE4_clEvEUlS6_S6_E_S6_EEDaPvRmT3_T4_T5_mT6_P12ihipStream_tbENKUlT_T0_E_clISt17integral_constantIbLb0EESX_IbLb1EEEEDaST_SU_EUlST_E0_NS1_11comp_targetILNS1_3genE3ELNS1_11target_archE908ELNS1_3gpuE7ELNS1_3repE0EEENS1_30default_config_static_selectorELNS0_4arch9wavefront6targetE0EEEvT1_.uses_flat_scratch, 0
	.set _ZN7rocprim17ROCPRIM_400000_NS6detail17trampoline_kernelINS0_14default_configENS1_20scan_config_selectorIN3c108BFloat16EEEZZNS1_9scan_implILNS1_25lookback_scan_determinismE0ELb0ELb0ES3_PKS6_PS6_S6_ZZZN2at6native31launch_logcumsumexp_cuda_kernelERKNSD_10TensorBaseESH_lENKUlvE_clEvENKUlvE4_clEvEUlS6_S6_E_S6_EEDaPvRmT3_T4_T5_mT6_P12ihipStream_tbENKUlT_T0_E_clISt17integral_constantIbLb0EESX_IbLb1EEEEDaST_SU_EUlST_E0_NS1_11comp_targetILNS1_3genE3ELNS1_11target_archE908ELNS1_3gpuE7ELNS1_3repE0EEENS1_30default_config_static_selectorELNS0_4arch9wavefront6targetE0EEEvT1_.has_dyn_sized_stack, 0
	.set _ZN7rocprim17ROCPRIM_400000_NS6detail17trampoline_kernelINS0_14default_configENS1_20scan_config_selectorIN3c108BFloat16EEEZZNS1_9scan_implILNS1_25lookback_scan_determinismE0ELb0ELb0ES3_PKS6_PS6_S6_ZZZN2at6native31launch_logcumsumexp_cuda_kernelERKNSD_10TensorBaseESH_lENKUlvE_clEvENKUlvE4_clEvEUlS6_S6_E_S6_EEDaPvRmT3_T4_T5_mT6_P12ihipStream_tbENKUlT_T0_E_clISt17integral_constantIbLb0EESX_IbLb1EEEEDaST_SU_EUlST_E0_NS1_11comp_targetILNS1_3genE3ELNS1_11target_archE908ELNS1_3gpuE7ELNS1_3repE0EEENS1_30default_config_static_selectorELNS0_4arch9wavefront6targetE0EEEvT1_.has_recursion, 0
	.set _ZN7rocprim17ROCPRIM_400000_NS6detail17trampoline_kernelINS0_14default_configENS1_20scan_config_selectorIN3c108BFloat16EEEZZNS1_9scan_implILNS1_25lookback_scan_determinismE0ELb0ELb0ES3_PKS6_PS6_S6_ZZZN2at6native31launch_logcumsumexp_cuda_kernelERKNSD_10TensorBaseESH_lENKUlvE_clEvENKUlvE4_clEvEUlS6_S6_E_S6_EEDaPvRmT3_T4_T5_mT6_P12ihipStream_tbENKUlT_T0_E_clISt17integral_constantIbLb0EESX_IbLb1EEEEDaST_SU_EUlST_E0_NS1_11comp_targetILNS1_3genE3ELNS1_11target_archE908ELNS1_3gpuE7ELNS1_3repE0EEENS1_30default_config_static_selectorELNS0_4arch9wavefront6targetE0EEEvT1_.has_indirect_call, 0
	.section	.AMDGPU.csdata,"",@progbits
; Kernel info:
; codeLenInByte = 0
; TotalNumSgprs: 0
; NumVgprs: 0
; ScratchSize: 0
; MemoryBound: 0
; FloatMode: 240
; IeeeMode: 1
; LDSByteSize: 0 bytes/workgroup (compile time only)
; SGPRBlocks: 0
; VGPRBlocks: 0
; NumSGPRsForWavesPerEU: 1
; NumVGPRsForWavesPerEU: 1
; Occupancy: 16
; WaveLimiterHint : 0
; COMPUTE_PGM_RSRC2:SCRATCH_EN: 0
; COMPUTE_PGM_RSRC2:USER_SGPR: 6
; COMPUTE_PGM_RSRC2:TRAP_HANDLER: 0
; COMPUTE_PGM_RSRC2:TGID_X_EN: 1
; COMPUTE_PGM_RSRC2:TGID_Y_EN: 0
; COMPUTE_PGM_RSRC2:TGID_Z_EN: 0
; COMPUTE_PGM_RSRC2:TIDIG_COMP_CNT: 0
	.section	.text._ZN7rocprim17ROCPRIM_400000_NS6detail17trampoline_kernelINS0_14default_configENS1_20scan_config_selectorIN3c108BFloat16EEEZZNS1_9scan_implILNS1_25lookback_scan_determinismE0ELb0ELb0ES3_PKS6_PS6_S6_ZZZN2at6native31launch_logcumsumexp_cuda_kernelERKNSD_10TensorBaseESH_lENKUlvE_clEvENKUlvE4_clEvEUlS6_S6_E_S6_EEDaPvRmT3_T4_T5_mT6_P12ihipStream_tbENKUlT_T0_E_clISt17integral_constantIbLb0EESX_IbLb1EEEEDaST_SU_EUlST_E0_NS1_11comp_targetILNS1_3genE2ELNS1_11target_archE906ELNS1_3gpuE6ELNS1_3repE0EEENS1_30default_config_static_selectorELNS0_4arch9wavefront6targetE0EEEvT1_,"axG",@progbits,_ZN7rocprim17ROCPRIM_400000_NS6detail17trampoline_kernelINS0_14default_configENS1_20scan_config_selectorIN3c108BFloat16EEEZZNS1_9scan_implILNS1_25lookback_scan_determinismE0ELb0ELb0ES3_PKS6_PS6_S6_ZZZN2at6native31launch_logcumsumexp_cuda_kernelERKNSD_10TensorBaseESH_lENKUlvE_clEvENKUlvE4_clEvEUlS6_S6_E_S6_EEDaPvRmT3_T4_T5_mT6_P12ihipStream_tbENKUlT_T0_E_clISt17integral_constantIbLb0EESX_IbLb1EEEEDaST_SU_EUlST_E0_NS1_11comp_targetILNS1_3genE2ELNS1_11target_archE906ELNS1_3gpuE6ELNS1_3repE0EEENS1_30default_config_static_selectorELNS0_4arch9wavefront6targetE0EEEvT1_,comdat
	.globl	_ZN7rocprim17ROCPRIM_400000_NS6detail17trampoline_kernelINS0_14default_configENS1_20scan_config_selectorIN3c108BFloat16EEEZZNS1_9scan_implILNS1_25lookback_scan_determinismE0ELb0ELb0ES3_PKS6_PS6_S6_ZZZN2at6native31launch_logcumsumexp_cuda_kernelERKNSD_10TensorBaseESH_lENKUlvE_clEvENKUlvE4_clEvEUlS6_S6_E_S6_EEDaPvRmT3_T4_T5_mT6_P12ihipStream_tbENKUlT_T0_E_clISt17integral_constantIbLb0EESX_IbLb1EEEEDaST_SU_EUlST_E0_NS1_11comp_targetILNS1_3genE2ELNS1_11target_archE906ELNS1_3gpuE6ELNS1_3repE0EEENS1_30default_config_static_selectorELNS0_4arch9wavefront6targetE0EEEvT1_ ; -- Begin function _ZN7rocprim17ROCPRIM_400000_NS6detail17trampoline_kernelINS0_14default_configENS1_20scan_config_selectorIN3c108BFloat16EEEZZNS1_9scan_implILNS1_25lookback_scan_determinismE0ELb0ELb0ES3_PKS6_PS6_S6_ZZZN2at6native31launch_logcumsumexp_cuda_kernelERKNSD_10TensorBaseESH_lENKUlvE_clEvENKUlvE4_clEvEUlS6_S6_E_S6_EEDaPvRmT3_T4_T5_mT6_P12ihipStream_tbENKUlT_T0_E_clISt17integral_constantIbLb0EESX_IbLb1EEEEDaST_SU_EUlST_E0_NS1_11comp_targetILNS1_3genE2ELNS1_11target_archE906ELNS1_3gpuE6ELNS1_3repE0EEENS1_30default_config_static_selectorELNS0_4arch9wavefront6targetE0EEEvT1_
	.p2align	8
	.type	_ZN7rocprim17ROCPRIM_400000_NS6detail17trampoline_kernelINS0_14default_configENS1_20scan_config_selectorIN3c108BFloat16EEEZZNS1_9scan_implILNS1_25lookback_scan_determinismE0ELb0ELb0ES3_PKS6_PS6_S6_ZZZN2at6native31launch_logcumsumexp_cuda_kernelERKNSD_10TensorBaseESH_lENKUlvE_clEvENKUlvE4_clEvEUlS6_S6_E_S6_EEDaPvRmT3_T4_T5_mT6_P12ihipStream_tbENKUlT_T0_E_clISt17integral_constantIbLb0EESX_IbLb1EEEEDaST_SU_EUlST_E0_NS1_11comp_targetILNS1_3genE2ELNS1_11target_archE906ELNS1_3gpuE6ELNS1_3repE0EEENS1_30default_config_static_selectorELNS0_4arch9wavefront6targetE0EEEvT1_,@function
_ZN7rocprim17ROCPRIM_400000_NS6detail17trampoline_kernelINS0_14default_configENS1_20scan_config_selectorIN3c108BFloat16EEEZZNS1_9scan_implILNS1_25lookback_scan_determinismE0ELb0ELb0ES3_PKS6_PS6_S6_ZZZN2at6native31launch_logcumsumexp_cuda_kernelERKNSD_10TensorBaseESH_lENKUlvE_clEvENKUlvE4_clEvEUlS6_S6_E_S6_EEDaPvRmT3_T4_T5_mT6_P12ihipStream_tbENKUlT_T0_E_clISt17integral_constantIbLb0EESX_IbLb1EEEEDaST_SU_EUlST_E0_NS1_11comp_targetILNS1_3genE2ELNS1_11target_archE906ELNS1_3gpuE6ELNS1_3repE0EEENS1_30default_config_static_selectorELNS0_4arch9wavefront6targetE0EEEvT1_: ; @_ZN7rocprim17ROCPRIM_400000_NS6detail17trampoline_kernelINS0_14default_configENS1_20scan_config_selectorIN3c108BFloat16EEEZZNS1_9scan_implILNS1_25lookback_scan_determinismE0ELb0ELb0ES3_PKS6_PS6_S6_ZZZN2at6native31launch_logcumsumexp_cuda_kernelERKNSD_10TensorBaseESH_lENKUlvE_clEvENKUlvE4_clEvEUlS6_S6_E_S6_EEDaPvRmT3_T4_T5_mT6_P12ihipStream_tbENKUlT_T0_E_clISt17integral_constantIbLb0EESX_IbLb1EEEEDaST_SU_EUlST_E0_NS1_11comp_targetILNS1_3genE2ELNS1_11target_archE906ELNS1_3gpuE6ELNS1_3repE0EEENS1_30default_config_static_selectorELNS0_4arch9wavefront6targetE0EEEvT1_
; %bb.0:
	.section	.rodata,"a",@progbits
	.p2align	6, 0x0
	.amdhsa_kernel _ZN7rocprim17ROCPRIM_400000_NS6detail17trampoline_kernelINS0_14default_configENS1_20scan_config_selectorIN3c108BFloat16EEEZZNS1_9scan_implILNS1_25lookback_scan_determinismE0ELb0ELb0ES3_PKS6_PS6_S6_ZZZN2at6native31launch_logcumsumexp_cuda_kernelERKNSD_10TensorBaseESH_lENKUlvE_clEvENKUlvE4_clEvEUlS6_S6_E_S6_EEDaPvRmT3_T4_T5_mT6_P12ihipStream_tbENKUlT_T0_E_clISt17integral_constantIbLb0EESX_IbLb1EEEEDaST_SU_EUlST_E0_NS1_11comp_targetILNS1_3genE2ELNS1_11target_archE906ELNS1_3gpuE6ELNS1_3repE0EEENS1_30default_config_static_selectorELNS0_4arch9wavefront6targetE0EEEvT1_
		.amdhsa_group_segment_fixed_size 0
		.amdhsa_private_segment_fixed_size 0
		.amdhsa_kernarg_size 32
		.amdhsa_user_sgpr_count 6
		.amdhsa_user_sgpr_private_segment_buffer 1
		.amdhsa_user_sgpr_dispatch_ptr 0
		.amdhsa_user_sgpr_queue_ptr 0
		.amdhsa_user_sgpr_kernarg_segment_ptr 1
		.amdhsa_user_sgpr_dispatch_id 0
		.amdhsa_user_sgpr_flat_scratch_init 0
		.amdhsa_user_sgpr_private_segment_size 0
		.amdhsa_wavefront_size32 1
		.amdhsa_uses_dynamic_stack 0
		.amdhsa_system_sgpr_private_segment_wavefront_offset 0
		.amdhsa_system_sgpr_workgroup_id_x 1
		.amdhsa_system_sgpr_workgroup_id_y 0
		.amdhsa_system_sgpr_workgroup_id_z 0
		.amdhsa_system_sgpr_workgroup_info 0
		.amdhsa_system_vgpr_workitem_id 0
		.amdhsa_next_free_vgpr 1
		.amdhsa_next_free_sgpr 1
		.amdhsa_reserve_vcc 0
		.amdhsa_reserve_flat_scratch 0
		.amdhsa_float_round_mode_32 0
		.amdhsa_float_round_mode_16_64 0
		.amdhsa_float_denorm_mode_32 3
		.amdhsa_float_denorm_mode_16_64 3
		.amdhsa_dx10_clamp 1
		.amdhsa_ieee_mode 1
		.amdhsa_fp16_overflow 0
		.amdhsa_workgroup_processor_mode 1
		.amdhsa_memory_ordered 1
		.amdhsa_forward_progress 1
		.amdhsa_shared_vgpr_count 0
		.amdhsa_exception_fp_ieee_invalid_op 0
		.amdhsa_exception_fp_denorm_src 0
		.amdhsa_exception_fp_ieee_div_zero 0
		.amdhsa_exception_fp_ieee_overflow 0
		.amdhsa_exception_fp_ieee_underflow 0
		.amdhsa_exception_fp_ieee_inexact 0
		.amdhsa_exception_int_div_zero 0
	.end_amdhsa_kernel
	.section	.text._ZN7rocprim17ROCPRIM_400000_NS6detail17trampoline_kernelINS0_14default_configENS1_20scan_config_selectorIN3c108BFloat16EEEZZNS1_9scan_implILNS1_25lookback_scan_determinismE0ELb0ELb0ES3_PKS6_PS6_S6_ZZZN2at6native31launch_logcumsumexp_cuda_kernelERKNSD_10TensorBaseESH_lENKUlvE_clEvENKUlvE4_clEvEUlS6_S6_E_S6_EEDaPvRmT3_T4_T5_mT6_P12ihipStream_tbENKUlT_T0_E_clISt17integral_constantIbLb0EESX_IbLb1EEEEDaST_SU_EUlST_E0_NS1_11comp_targetILNS1_3genE2ELNS1_11target_archE906ELNS1_3gpuE6ELNS1_3repE0EEENS1_30default_config_static_selectorELNS0_4arch9wavefront6targetE0EEEvT1_,"axG",@progbits,_ZN7rocprim17ROCPRIM_400000_NS6detail17trampoline_kernelINS0_14default_configENS1_20scan_config_selectorIN3c108BFloat16EEEZZNS1_9scan_implILNS1_25lookback_scan_determinismE0ELb0ELb0ES3_PKS6_PS6_S6_ZZZN2at6native31launch_logcumsumexp_cuda_kernelERKNSD_10TensorBaseESH_lENKUlvE_clEvENKUlvE4_clEvEUlS6_S6_E_S6_EEDaPvRmT3_T4_T5_mT6_P12ihipStream_tbENKUlT_T0_E_clISt17integral_constantIbLb0EESX_IbLb1EEEEDaST_SU_EUlST_E0_NS1_11comp_targetILNS1_3genE2ELNS1_11target_archE906ELNS1_3gpuE6ELNS1_3repE0EEENS1_30default_config_static_selectorELNS0_4arch9wavefront6targetE0EEEvT1_,comdat
.Lfunc_end516:
	.size	_ZN7rocprim17ROCPRIM_400000_NS6detail17trampoline_kernelINS0_14default_configENS1_20scan_config_selectorIN3c108BFloat16EEEZZNS1_9scan_implILNS1_25lookback_scan_determinismE0ELb0ELb0ES3_PKS6_PS6_S6_ZZZN2at6native31launch_logcumsumexp_cuda_kernelERKNSD_10TensorBaseESH_lENKUlvE_clEvENKUlvE4_clEvEUlS6_S6_E_S6_EEDaPvRmT3_T4_T5_mT6_P12ihipStream_tbENKUlT_T0_E_clISt17integral_constantIbLb0EESX_IbLb1EEEEDaST_SU_EUlST_E0_NS1_11comp_targetILNS1_3genE2ELNS1_11target_archE906ELNS1_3gpuE6ELNS1_3repE0EEENS1_30default_config_static_selectorELNS0_4arch9wavefront6targetE0EEEvT1_, .Lfunc_end516-_ZN7rocprim17ROCPRIM_400000_NS6detail17trampoline_kernelINS0_14default_configENS1_20scan_config_selectorIN3c108BFloat16EEEZZNS1_9scan_implILNS1_25lookback_scan_determinismE0ELb0ELb0ES3_PKS6_PS6_S6_ZZZN2at6native31launch_logcumsumexp_cuda_kernelERKNSD_10TensorBaseESH_lENKUlvE_clEvENKUlvE4_clEvEUlS6_S6_E_S6_EEDaPvRmT3_T4_T5_mT6_P12ihipStream_tbENKUlT_T0_E_clISt17integral_constantIbLb0EESX_IbLb1EEEEDaST_SU_EUlST_E0_NS1_11comp_targetILNS1_3genE2ELNS1_11target_archE906ELNS1_3gpuE6ELNS1_3repE0EEENS1_30default_config_static_selectorELNS0_4arch9wavefront6targetE0EEEvT1_
                                        ; -- End function
	.set _ZN7rocprim17ROCPRIM_400000_NS6detail17trampoline_kernelINS0_14default_configENS1_20scan_config_selectorIN3c108BFloat16EEEZZNS1_9scan_implILNS1_25lookback_scan_determinismE0ELb0ELb0ES3_PKS6_PS6_S6_ZZZN2at6native31launch_logcumsumexp_cuda_kernelERKNSD_10TensorBaseESH_lENKUlvE_clEvENKUlvE4_clEvEUlS6_S6_E_S6_EEDaPvRmT3_T4_T5_mT6_P12ihipStream_tbENKUlT_T0_E_clISt17integral_constantIbLb0EESX_IbLb1EEEEDaST_SU_EUlST_E0_NS1_11comp_targetILNS1_3genE2ELNS1_11target_archE906ELNS1_3gpuE6ELNS1_3repE0EEENS1_30default_config_static_selectorELNS0_4arch9wavefront6targetE0EEEvT1_.num_vgpr, 0
	.set _ZN7rocprim17ROCPRIM_400000_NS6detail17trampoline_kernelINS0_14default_configENS1_20scan_config_selectorIN3c108BFloat16EEEZZNS1_9scan_implILNS1_25lookback_scan_determinismE0ELb0ELb0ES3_PKS6_PS6_S6_ZZZN2at6native31launch_logcumsumexp_cuda_kernelERKNSD_10TensorBaseESH_lENKUlvE_clEvENKUlvE4_clEvEUlS6_S6_E_S6_EEDaPvRmT3_T4_T5_mT6_P12ihipStream_tbENKUlT_T0_E_clISt17integral_constantIbLb0EESX_IbLb1EEEEDaST_SU_EUlST_E0_NS1_11comp_targetILNS1_3genE2ELNS1_11target_archE906ELNS1_3gpuE6ELNS1_3repE0EEENS1_30default_config_static_selectorELNS0_4arch9wavefront6targetE0EEEvT1_.num_agpr, 0
	.set _ZN7rocprim17ROCPRIM_400000_NS6detail17trampoline_kernelINS0_14default_configENS1_20scan_config_selectorIN3c108BFloat16EEEZZNS1_9scan_implILNS1_25lookback_scan_determinismE0ELb0ELb0ES3_PKS6_PS6_S6_ZZZN2at6native31launch_logcumsumexp_cuda_kernelERKNSD_10TensorBaseESH_lENKUlvE_clEvENKUlvE4_clEvEUlS6_S6_E_S6_EEDaPvRmT3_T4_T5_mT6_P12ihipStream_tbENKUlT_T0_E_clISt17integral_constantIbLb0EESX_IbLb1EEEEDaST_SU_EUlST_E0_NS1_11comp_targetILNS1_3genE2ELNS1_11target_archE906ELNS1_3gpuE6ELNS1_3repE0EEENS1_30default_config_static_selectorELNS0_4arch9wavefront6targetE0EEEvT1_.numbered_sgpr, 0
	.set _ZN7rocprim17ROCPRIM_400000_NS6detail17trampoline_kernelINS0_14default_configENS1_20scan_config_selectorIN3c108BFloat16EEEZZNS1_9scan_implILNS1_25lookback_scan_determinismE0ELb0ELb0ES3_PKS6_PS6_S6_ZZZN2at6native31launch_logcumsumexp_cuda_kernelERKNSD_10TensorBaseESH_lENKUlvE_clEvENKUlvE4_clEvEUlS6_S6_E_S6_EEDaPvRmT3_T4_T5_mT6_P12ihipStream_tbENKUlT_T0_E_clISt17integral_constantIbLb0EESX_IbLb1EEEEDaST_SU_EUlST_E0_NS1_11comp_targetILNS1_3genE2ELNS1_11target_archE906ELNS1_3gpuE6ELNS1_3repE0EEENS1_30default_config_static_selectorELNS0_4arch9wavefront6targetE0EEEvT1_.num_named_barrier, 0
	.set _ZN7rocprim17ROCPRIM_400000_NS6detail17trampoline_kernelINS0_14default_configENS1_20scan_config_selectorIN3c108BFloat16EEEZZNS1_9scan_implILNS1_25lookback_scan_determinismE0ELb0ELb0ES3_PKS6_PS6_S6_ZZZN2at6native31launch_logcumsumexp_cuda_kernelERKNSD_10TensorBaseESH_lENKUlvE_clEvENKUlvE4_clEvEUlS6_S6_E_S6_EEDaPvRmT3_T4_T5_mT6_P12ihipStream_tbENKUlT_T0_E_clISt17integral_constantIbLb0EESX_IbLb1EEEEDaST_SU_EUlST_E0_NS1_11comp_targetILNS1_3genE2ELNS1_11target_archE906ELNS1_3gpuE6ELNS1_3repE0EEENS1_30default_config_static_selectorELNS0_4arch9wavefront6targetE0EEEvT1_.private_seg_size, 0
	.set _ZN7rocprim17ROCPRIM_400000_NS6detail17trampoline_kernelINS0_14default_configENS1_20scan_config_selectorIN3c108BFloat16EEEZZNS1_9scan_implILNS1_25lookback_scan_determinismE0ELb0ELb0ES3_PKS6_PS6_S6_ZZZN2at6native31launch_logcumsumexp_cuda_kernelERKNSD_10TensorBaseESH_lENKUlvE_clEvENKUlvE4_clEvEUlS6_S6_E_S6_EEDaPvRmT3_T4_T5_mT6_P12ihipStream_tbENKUlT_T0_E_clISt17integral_constantIbLb0EESX_IbLb1EEEEDaST_SU_EUlST_E0_NS1_11comp_targetILNS1_3genE2ELNS1_11target_archE906ELNS1_3gpuE6ELNS1_3repE0EEENS1_30default_config_static_selectorELNS0_4arch9wavefront6targetE0EEEvT1_.uses_vcc, 0
	.set _ZN7rocprim17ROCPRIM_400000_NS6detail17trampoline_kernelINS0_14default_configENS1_20scan_config_selectorIN3c108BFloat16EEEZZNS1_9scan_implILNS1_25lookback_scan_determinismE0ELb0ELb0ES3_PKS6_PS6_S6_ZZZN2at6native31launch_logcumsumexp_cuda_kernelERKNSD_10TensorBaseESH_lENKUlvE_clEvENKUlvE4_clEvEUlS6_S6_E_S6_EEDaPvRmT3_T4_T5_mT6_P12ihipStream_tbENKUlT_T0_E_clISt17integral_constantIbLb0EESX_IbLb1EEEEDaST_SU_EUlST_E0_NS1_11comp_targetILNS1_3genE2ELNS1_11target_archE906ELNS1_3gpuE6ELNS1_3repE0EEENS1_30default_config_static_selectorELNS0_4arch9wavefront6targetE0EEEvT1_.uses_flat_scratch, 0
	.set _ZN7rocprim17ROCPRIM_400000_NS6detail17trampoline_kernelINS0_14default_configENS1_20scan_config_selectorIN3c108BFloat16EEEZZNS1_9scan_implILNS1_25lookback_scan_determinismE0ELb0ELb0ES3_PKS6_PS6_S6_ZZZN2at6native31launch_logcumsumexp_cuda_kernelERKNSD_10TensorBaseESH_lENKUlvE_clEvENKUlvE4_clEvEUlS6_S6_E_S6_EEDaPvRmT3_T4_T5_mT6_P12ihipStream_tbENKUlT_T0_E_clISt17integral_constantIbLb0EESX_IbLb1EEEEDaST_SU_EUlST_E0_NS1_11comp_targetILNS1_3genE2ELNS1_11target_archE906ELNS1_3gpuE6ELNS1_3repE0EEENS1_30default_config_static_selectorELNS0_4arch9wavefront6targetE0EEEvT1_.has_dyn_sized_stack, 0
	.set _ZN7rocprim17ROCPRIM_400000_NS6detail17trampoline_kernelINS0_14default_configENS1_20scan_config_selectorIN3c108BFloat16EEEZZNS1_9scan_implILNS1_25lookback_scan_determinismE0ELb0ELb0ES3_PKS6_PS6_S6_ZZZN2at6native31launch_logcumsumexp_cuda_kernelERKNSD_10TensorBaseESH_lENKUlvE_clEvENKUlvE4_clEvEUlS6_S6_E_S6_EEDaPvRmT3_T4_T5_mT6_P12ihipStream_tbENKUlT_T0_E_clISt17integral_constantIbLb0EESX_IbLb1EEEEDaST_SU_EUlST_E0_NS1_11comp_targetILNS1_3genE2ELNS1_11target_archE906ELNS1_3gpuE6ELNS1_3repE0EEENS1_30default_config_static_selectorELNS0_4arch9wavefront6targetE0EEEvT1_.has_recursion, 0
	.set _ZN7rocprim17ROCPRIM_400000_NS6detail17trampoline_kernelINS0_14default_configENS1_20scan_config_selectorIN3c108BFloat16EEEZZNS1_9scan_implILNS1_25lookback_scan_determinismE0ELb0ELb0ES3_PKS6_PS6_S6_ZZZN2at6native31launch_logcumsumexp_cuda_kernelERKNSD_10TensorBaseESH_lENKUlvE_clEvENKUlvE4_clEvEUlS6_S6_E_S6_EEDaPvRmT3_T4_T5_mT6_P12ihipStream_tbENKUlT_T0_E_clISt17integral_constantIbLb0EESX_IbLb1EEEEDaST_SU_EUlST_E0_NS1_11comp_targetILNS1_3genE2ELNS1_11target_archE906ELNS1_3gpuE6ELNS1_3repE0EEENS1_30default_config_static_selectorELNS0_4arch9wavefront6targetE0EEEvT1_.has_indirect_call, 0
	.section	.AMDGPU.csdata,"",@progbits
; Kernel info:
; codeLenInByte = 0
; TotalNumSgprs: 0
; NumVgprs: 0
; ScratchSize: 0
; MemoryBound: 0
; FloatMode: 240
; IeeeMode: 1
; LDSByteSize: 0 bytes/workgroup (compile time only)
; SGPRBlocks: 0
; VGPRBlocks: 0
; NumSGPRsForWavesPerEU: 1
; NumVGPRsForWavesPerEU: 1
; Occupancy: 16
; WaveLimiterHint : 0
; COMPUTE_PGM_RSRC2:SCRATCH_EN: 0
; COMPUTE_PGM_RSRC2:USER_SGPR: 6
; COMPUTE_PGM_RSRC2:TRAP_HANDLER: 0
; COMPUTE_PGM_RSRC2:TGID_X_EN: 1
; COMPUTE_PGM_RSRC2:TGID_Y_EN: 0
; COMPUTE_PGM_RSRC2:TGID_Z_EN: 0
; COMPUTE_PGM_RSRC2:TIDIG_COMP_CNT: 0
	.section	.text._ZN7rocprim17ROCPRIM_400000_NS6detail17trampoline_kernelINS0_14default_configENS1_20scan_config_selectorIN3c108BFloat16EEEZZNS1_9scan_implILNS1_25lookback_scan_determinismE0ELb0ELb0ES3_PKS6_PS6_S6_ZZZN2at6native31launch_logcumsumexp_cuda_kernelERKNSD_10TensorBaseESH_lENKUlvE_clEvENKUlvE4_clEvEUlS6_S6_E_S6_EEDaPvRmT3_T4_T5_mT6_P12ihipStream_tbENKUlT_T0_E_clISt17integral_constantIbLb0EESX_IbLb1EEEEDaST_SU_EUlST_E0_NS1_11comp_targetILNS1_3genE10ELNS1_11target_archE1201ELNS1_3gpuE5ELNS1_3repE0EEENS1_30default_config_static_selectorELNS0_4arch9wavefront6targetE0EEEvT1_,"axG",@progbits,_ZN7rocprim17ROCPRIM_400000_NS6detail17trampoline_kernelINS0_14default_configENS1_20scan_config_selectorIN3c108BFloat16EEEZZNS1_9scan_implILNS1_25lookback_scan_determinismE0ELb0ELb0ES3_PKS6_PS6_S6_ZZZN2at6native31launch_logcumsumexp_cuda_kernelERKNSD_10TensorBaseESH_lENKUlvE_clEvENKUlvE4_clEvEUlS6_S6_E_S6_EEDaPvRmT3_T4_T5_mT6_P12ihipStream_tbENKUlT_T0_E_clISt17integral_constantIbLb0EESX_IbLb1EEEEDaST_SU_EUlST_E0_NS1_11comp_targetILNS1_3genE10ELNS1_11target_archE1201ELNS1_3gpuE5ELNS1_3repE0EEENS1_30default_config_static_selectorELNS0_4arch9wavefront6targetE0EEEvT1_,comdat
	.globl	_ZN7rocprim17ROCPRIM_400000_NS6detail17trampoline_kernelINS0_14default_configENS1_20scan_config_selectorIN3c108BFloat16EEEZZNS1_9scan_implILNS1_25lookback_scan_determinismE0ELb0ELb0ES3_PKS6_PS6_S6_ZZZN2at6native31launch_logcumsumexp_cuda_kernelERKNSD_10TensorBaseESH_lENKUlvE_clEvENKUlvE4_clEvEUlS6_S6_E_S6_EEDaPvRmT3_T4_T5_mT6_P12ihipStream_tbENKUlT_T0_E_clISt17integral_constantIbLb0EESX_IbLb1EEEEDaST_SU_EUlST_E0_NS1_11comp_targetILNS1_3genE10ELNS1_11target_archE1201ELNS1_3gpuE5ELNS1_3repE0EEENS1_30default_config_static_selectorELNS0_4arch9wavefront6targetE0EEEvT1_ ; -- Begin function _ZN7rocprim17ROCPRIM_400000_NS6detail17trampoline_kernelINS0_14default_configENS1_20scan_config_selectorIN3c108BFloat16EEEZZNS1_9scan_implILNS1_25lookback_scan_determinismE0ELb0ELb0ES3_PKS6_PS6_S6_ZZZN2at6native31launch_logcumsumexp_cuda_kernelERKNSD_10TensorBaseESH_lENKUlvE_clEvENKUlvE4_clEvEUlS6_S6_E_S6_EEDaPvRmT3_T4_T5_mT6_P12ihipStream_tbENKUlT_T0_E_clISt17integral_constantIbLb0EESX_IbLb1EEEEDaST_SU_EUlST_E0_NS1_11comp_targetILNS1_3genE10ELNS1_11target_archE1201ELNS1_3gpuE5ELNS1_3repE0EEENS1_30default_config_static_selectorELNS0_4arch9wavefront6targetE0EEEvT1_
	.p2align	8
	.type	_ZN7rocprim17ROCPRIM_400000_NS6detail17trampoline_kernelINS0_14default_configENS1_20scan_config_selectorIN3c108BFloat16EEEZZNS1_9scan_implILNS1_25lookback_scan_determinismE0ELb0ELb0ES3_PKS6_PS6_S6_ZZZN2at6native31launch_logcumsumexp_cuda_kernelERKNSD_10TensorBaseESH_lENKUlvE_clEvENKUlvE4_clEvEUlS6_S6_E_S6_EEDaPvRmT3_T4_T5_mT6_P12ihipStream_tbENKUlT_T0_E_clISt17integral_constantIbLb0EESX_IbLb1EEEEDaST_SU_EUlST_E0_NS1_11comp_targetILNS1_3genE10ELNS1_11target_archE1201ELNS1_3gpuE5ELNS1_3repE0EEENS1_30default_config_static_selectorELNS0_4arch9wavefront6targetE0EEEvT1_,@function
_ZN7rocprim17ROCPRIM_400000_NS6detail17trampoline_kernelINS0_14default_configENS1_20scan_config_selectorIN3c108BFloat16EEEZZNS1_9scan_implILNS1_25lookback_scan_determinismE0ELb0ELb0ES3_PKS6_PS6_S6_ZZZN2at6native31launch_logcumsumexp_cuda_kernelERKNSD_10TensorBaseESH_lENKUlvE_clEvENKUlvE4_clEvEUlS6_S6_E_S6_EEDaPvRmT3_T4_T5_mT6_P12ihipStream_tbENKUlT_T0_E_clISt17integral_constantIbLb0EESX_IbLb1EEEEDaST_SU_EUlST_E0_NS1_11comp_targetILNS1_3genE10ELNS1_11target_archE1201ELNS1_3gpuE5ELNS1_3repE0EEENS1_30default_config_static_selectorELNS0_4arch9wavefront6targetE0EEEvT1_: ; @_ZN7rocprim17ROCPRIM_400000_NS6detail17trampoline_kernelINS0_14default_configENS1_20scan_config_selectorIN3c108BFloat16EEEZZNS1_9scan_implILNS1_25lookback_scan_determinismE0ELb0ELb0ES3_PKS6_PS6_S6_ZZZN2at6native31launch_logcumsumexp_cuda_kernelERKNSD_10TensorBaseESH_lENKUlvE_clEvENKUlvE4_clEvEUlS6_S6_E_S6_EEDaPvRmT3_T4_T5_mT6_P12ihipStream_tbENKUlT_T0_E_clISt17integral_constantIbLb0EESX_IbLb1EEEEDaST_SU_EUlST_E0_NS1_11comp_targetILNS1_3genE10ELNS1_11target_archE1201ELNS1_3gpuE5ELNS1_3repE0EEENS1_30default_config_static_selectorELNS0_4arch9wavefront6targetE0EEEvT1_
; %bb.0:
	.section	.rodata,"a",@progbits
	.p2align	6, 0x0
	.amdhsa_kernel _ZN7rocprim17ROCPRIM_400000_NS6detail17trampoline_kernelINS0_14default_configENS1_20scan_config_selectorIN3c108BFloat16EEEZZNS1_9scan_implILNS1_25lookback_scan_determinismE0ELb0ELb0ES3_PKS6_PS6_S6_ZZZN2at6native31launch_logcumsumexp_cuda_kernelERKNSD_10TensorBaseESH_lENKUlvE_clEvENKUlvE4_clEvEUlS6_S6_E_S6_EEDaPvRmT3_T4_T5_mT6_P12ihipStream_tbENKUlT_T0_E_clISt17integral_constantIbLb0EESX_IbLb1EEEEDaST_SU_EUlST_E0_NS1_11comp_targetILNS1_3genE10ELNS1_11target_archE1201ELNS1_3gpuE5ELNS1_3repE0EEENS1_30default_config_static_selectorELNS0_4arch9wavefront6targetE0EEEvT1_
		.amdhsa_group_segment_fixed_size 0
		.amdhsa_private_segment_fixed_size 0
		.amdhsa_kernarg_size 32
		.amdhsa_user_sgpr_count 6
		.amdhsa_user_sgpr_private_segment_buffer 1
		.amdhsa_user_sgpr_dispatch_ptr 0
		.amdhsa_user_sgpr_queue_ptr 0
		.amdhsa_user_sgpr_kernarg_segment_ptr 1
		.amdhsa_user_sgpr_dispatch_id 0
		.amdhsa_user_sgpr_flat_scratch_init 0
		.amdhsa_user_sgpr_private_segment_size 0
		.amdhsa_wavefront_size32 1
		.amdhsa_uses_dynamic_stack 0
		.amdhsa_system_sgpr_private_segment_wavefront_offset 0
		.amdhsa_system_sgpr_workgroup_id_x 1
		.amdhsa_system_sgpr_workgroup_id_y 0
		.amdhsa_system_sgpr_workgroup_id_z 0
		.amdhsa_system_sgpr_workgroup_info 0
		.amdhsa_system_vgpr_workitem_id 0
		.amdhsa_next_free_vgpr 1
		.amdhsa_next_free_sgpr 1
		.amdhsa_reserve_vcc 0
		.amdhsa_reserve_flat_scratch 0
		.amdhsa_float_round_mode_32 0
		.amdhsa_float_round_mode_16_64 0
		.amdhsa_float_denorm_mode_32 3
		.amdhsa_float_denorm_mode_16_64 3
		.amdhsa_dx10_clamp 1
		.amdhsa_ieee_mode 1
		.amdhsa_fp16_overflow 0
		.amdhsa_workgroup_processor_mode 1
		.amdhsa_memory_ordered 1
		.amdhsa_forward_progress 1
		.amdhsa_shared_vgpr_count 0
		.amdhsa_exception_fp_ieee_invalid_op 0
		.amdhsa_exception_fp_denorm_src 0
		.amdhsa_exception_fp_ieee_div_zero 0
		.amdhsa_exception_fp_ieee_overflow 0
		.amdhsa_exception_fp_ieee_underflow 0
		.amdhsa_exception_fp_ieee_inexact 0
		.amdhsa_exception_int_div_zero 0
	.end_amdhsa_kernel
	.section	.text._ZN7rocprim17ROCPRIM_400000_NS6detail17trampoline_kernelINS0_14default_configENS1_20scan_config_selectorIN3c108BFloat16EEEZZNS1_9scan_implILNS1_25lookback_scan_determinismE0ELb0ELb0ES3_PKS6_PS6_S6_ZZZN2at6native31launch_logcumsumexp_cuda_kernelERKNSD_10TensorBaseESH_lENKUlvE_clEvENKUlvE4_clEvEUlS6_S6_E_S6_EEDaPvRmT3_T4_T5_mT6_P12ihipStream_tbENKUlT_T0_E_clISt17integral_constantIbLb0EESX_IbLb1EEEEDaST_SU_EUlST_E0_NS1_11comp_targetILNS1_3genE10ELNS1_11target_archE1201ELNS1_3gpuE5ELNS1_3repE0EEENS1_30default_config_static_selectorELNS0_4arch9wavefront6targetE0EEEvT1_,"axG",@progbits,_ZN7rocprim17ROCPRIM_400000_NS6detail17trampoline_kernelINS0_14default_configENS1_20scan_config_selectorIN3c108BFloat16EEEZZNS1_9scan_implILNS1_25lookback_scan_determinismE0ELb0ELb0ES3_PKS6_PS6_S6_ZZZN2at6native31launch_logcumsumexp_cuda_kernelERKNSD_10TensorBaseESH_lENKUlvE_clEvENKUlvE4_clEvEUlS6_S6_E_S6_EEDaPvRmT3_T4_T5_mT6_P12ihipStream_tbENKUlT_T0_E_clISt17integral_constantIbLb0EESX_IbLb1EEEEDaST_SU_EUlST_E0_NS1_11comp_targetILNS1_3genE10ELNS1_11target_archE1201ELNS1_3gpuE5ELNS1_3repE0EEENS1_30default_config_static_selectorELNS0_4arch9wavefront6targetE0EEEvT1_,comdat
.Lfunc_end517:
	.size	_ZN7rocprim17ROCPRIM_400000_NS6detail17trampoline_kernelINS0_14default_configENS1_20scan_config_selectorIN3c108BFloat16EEEZZNS1_9scan_implILNS1_25lookback_scan_determinismE0ELb0ELb0ES3_PKS6_PS6_S6_ZZZN2at6native31launch_logcumsumexp_cuda_kernelERKNSD_10TensorBaseESH_lENKUlvE_clEvENKUlvE4_clEvEUlS6_S6_E_S6_EEDaPvRmT3_T4_T5_mT6_P12ihipStream_tbENKUlT_T0_E_clISt17integral_constantIbLb0EESX_IbLb1EEEEDaST_SU_EUlST_E0_NS1_11comp_targetILNS1_3genE10ELNS1_11target_archE1201ELNS1_3gpuE5ELNS1_3repE0EEENS1_30default_config_static_selectorELNS0_4arch9wavefront6targetE0EEEvT1_, .Lfunc_end517-_ZN7rocprim17ROCPRIM_400000_NS6detail17trampoline_kernelINS0_14default_configENS1_20scan_config_selectorIN3c108BFloat16EEEZZNS1_9scan_implILNS1_25lookback_scan_determinismE0ELb0ELb0ES3_PKS6_PS6_S6_ZZZN2at6native31launch_logcumsumexp_cuda_kernelERKNSD_10TensorBaseESH_lENKUlvE_clEvENKUlvE4_clEvEUlS6_S6_E_S6_EEDaPvRmT3_T4_T5_mT6_P12ihipStream_tbENKUlT_T0_E_clISt17integral_constantIbLb0EESX_IbLb1EEEEDaST_SU_EUlST_E0_NS1_11comp_targetILNS1_3genE10ELNS1_11target_archE1201ELNS1_3gpuE5ELNS1_3repE0EEENS1_30default_config_static_selectorELNS0_4arch9wavefront6targetE0EEEvT1_
                                        ; -- End function
	.set _ZN7rocprim17ROCPRIM_400000_NS6detail17trampoline_kernelINS0_14default_configENS1_20scan_config_selectorIN3c108BFloat16EEEZZNS1_9scan_implILNS1_25lookback_scan_determinismE0ELb0ELb0ES3_PKS6_PS6_S6_ZZZN2at6native31launch_logcumsumexp_cuda_kernelERKNSD_10TensorBaseESH_lENKUlvE_clEvENKUlvE4_clEvEUlS6_S6_E_S6_EEDaPvRmT3_T4_T5_mT6_P12ihipStream_tbENKUlT_T0_E_clISt17integral_constantIbLb0EESX_IbLb1EEEEDaST_SU_EUlST_E0_NS1_11comp_targetILNS1_3genE10ELNS1_11target_archE1201ELNS1_3gpuE5ELNS1_3repE0EEENS1_30default_config_static_selectorELNS0_4arch9wavefront6targetE0EEEvT1_.num_vgpr, 0
	.set _ZN7rocprim17ROCPRIM_400000_NS6detail17trampoline_kernelINS0_14default_configENS1_20scan_config_selectorIN3c108BFloat16EEEZZNS1_9scan_implILNS1_25lookback_scan_determinismE0ELb0ELb0ES3_PKS6_PS6_S6_ZZZN2at6native31launch_logcumsumexp_cuda_kernelERKNSD_10TensorBaseESH_lENKUlvE_clEvENKUlvE4_clEvEUlS6_S6_E_S6_EEDaPvRmT3_T4_T5_mT6_P12ihipStream_tbENKUlT_T0_E_clISt17integral_constantIbLb0EESX_IbLb1EEEEDaST_SU_EUlST_E0_NS1_11comp_targetILNS1_3genE10ELNS1_11target_archE1201ELNS1_3gpuE5ELNS1_3repE0EEENS1_30default_config_static_selectorELNS0_4arch9wavefront6targetE0EEEvT1_.num_agpr, 0
	.set _ZN7rocprim17ROCPRIM_400000_NS6detail17trampoline_kernelINS0_14default_configENS1_20scan_config_selectorIN3c108BFloat16EEEZZNS1_9scan_implILNS1_25lookback_scan_determinismE0ELb0ELb0ES3_PKS6_PS6_S6_ZZZN2at6native31launch_logcumsumexp_cuda_kernelERKNSD_10TensorBaseESH_lENKUlvE_clEvENKUlvE4_clEvEUlS6_S6_E_S6_EEDaPvRmT3_T4_T5_mT6_P12ihipStream_tbENKUlT_T0_E_clISt17integral_constantIbLb0EESX_IbLb1EEEEDaST_SU_EUlST_E0_NS1_11comp_targetILNS1_3genE10ELNS1_11target_archE1201ELNS1_3gpuE5ELNS1_3repE0EEENS1_30default_config_static_selectorELNS0_4arch9wavefront6targetE0EEEvT1_.numbered_sgpr, 0
	.set _ZN7rocprim17ROCPRIM_400000_NS6detail17trampoline_kernelINS0_14default_configENS1_20scan_config_selectorIN3c108BFloat16EEEZZNS1_9scan_implILNS1_25lookback_scan_determinismE0ELb0ELb0ES3_PKS6_PS6_S6_ZZZN2at6native31launch_logcumsumexp_cuda_kernelERKNSD_10TensorBaseESH_lENKUlvE_clEvENKUlvE4_clEvEUlS6_S6_E_S6_EEDaPvRmT3_T4_T5_mT6_P12ihipStream_tbENKUlT_T0_E_clISt17integral_constantIbLb0EESX_IbLb1EEEEDaST_SU_EUlST_E0_NS1_11comp_targetILNS1_3genE10ELNS1_11target_archE1201ELNS1_3gpuE5ELNS1_3repE0EEENS1_30default_config_static_selectorELNS0_4arch9wavefront6targetE0EEEvT1_.num_named_barrier, 0
	.set _ZN7rocprim17ROCPRIM_400000_NS6detail17trampoline_kernelINS0_14default_configENS1_20scan_config_selectorIN3c108BFloat16EEEZZNS1_9scan_implILNS1_25lookback_scan_determinismE0ELb0ELb0ES3_PKS6_PS6_S6_ZZZN2at6native31launch_logcumsumexp_cuda_kernelERKNSD_10TensorBaseESH_lENKUlvE_clEvENKUlvE4_clEvEUlS6_S6_E_S6_EEDaPvRmT3_T4_T5_mT6_P12ihipStream_tbENKUlT_T0_E_clISt17integral_constantIbLb0EESX_IbLb1EEEEDaST_SU_EUlST_E0_NS1_11comp_targetILNS1_3genE10ELNS1_11target_archE1201ELNS1_3gpuE5ELNS1_3repE0EEENS1_30default_config_static_selectorELNS0_4arch9wavefront6targetE0EEEvT1_.private_seg_size, 0
	.set _ZN7rocprim17ROCPRIM_400000_NS6detail17trampoline_kernelINS0_14default_configENS1_20scan_config_selectorIN3c108BFloat16EEEZZNS1_9scan_implILNS1_25lookback_scan_determinismE0ELb0ELb0ES3_PKS6_PS6_S6_ZZZN2at6native31launch_logcumsumexp_cuda_kernelERKNSD_10TensorBaseESH_lENKUlvE_clEvENKUlvE4_clEvEUlS6_S6_E_S6_EEDaPvRmT3_T4_T5_mT6_P12ihipStream_tbENKUlT_T0_E_clISt17integral_constantIbLb0EESX_IbLb1EEEEDaST_SU_EUlST_E0_NS1_11comp_targetILNS1_3genE10ELNS1_11target_archE1201ELNS1_3gpuE5ELNS1_3repE0EEENS1_30default_config_static_selectorELNS0_4arch9wavefront6targetE0EEEvT1_.uses_vcc, 0
	.set _ZN7rocprim17ROCPRIM_400000_NS6detail17trampoline_kernelINS0_14default_configENS1_20scan_config_selectorIN3c108BFloat16EEEZZNS1_9scan_implILNS1_25lookback_scan_determinismE0ELb0ELb0ES3_PKS6_PS6_S6_ZZZN2at6native31launch_logcumsumexp_cuda_kernelERKNSD_10TensorBaseESH_lENKUlvE_clEvENKUlvE4_clEvEUlS6_S6_E_S6_EEDaPvRmT3_T4_T5_mT6_P12ihipStream_tbENKUlT_T0_E_clISt17integral_constantIbLb0EESX_IbLb1EEEEDaST_SU_EUlST_E0_NS1_11comp_targetILNS1_3genE10ELNS1_11target_archE1201ELNS1_3gpuE5ELNS1_3repE0EEENS1_30default_config_static_selectorELNS0_4arch9wavefront6targetE0EEEvT1_.uses_flat_scratch, 0
	.set _ZN7rocprim17ROCPRIM_400000_NS6detail17trampoline_kernelINS0_14default_configENS1_20scan_config_selectorIN3c108BFloat16EEEZZNS1_9scan_implILNS1_25lookback_scan_determinismE0ELb0ELb0ES3_PKS6_PS6_S6_ZZZN2at6native31launch_logcumsumexp_cuda_kernelERKNSD_10TensorBaseESH_lENKUlvE_clEvENKUlvE4_clEvEUlS6_S6_E_S6_EEDaPvRmT3_T4_T5_mT6_P12ihipStream_tbENKUlT_T0_E_clISt17integral_constantIbLb0EESX_IbLb1EEEEDaST_SU_EUlST_E0_NS1_11comp_targetILNS1_3genE10ELNS1_11target_archE1201ELNS1_3gpuE5ELNS1_3repE0EEENS1_30default_config_static_selectorELNS0_4arch9wavefront6targetE0EEEvT1_.has_dyn_sized_stack, 0
	.set _ZN7rocprim17ROCPRIM_400000_NS6detail17trampoline_kernelINS0_14default_configENS1_20scan_config_selectorIN3c108BFloat16EEEZZNS1_9scan_implILNS1_25lookback_scan_determinismE0ELb0ELb0ES3_PKS6_PS6_S6_ZZZN2at6native31launch_logcumsumexp_cuda_kernelERKNSD_10TensorBaseESH_lENKUlvE_clEvENKUlvE4_clEvEUlS6_S6_E_S6_EEDaPvRmT3_T4_T5_mT6_P12ihipStream_tbENKUlT_T0_E_clISt17integral_constantIbLb0EESX_IbLb1EEEEDaST_SU_EUlST_E0_NS1_11comp_targetILNS1_3genE10ELNS1_11target_archE1201ELNS1_3gpuE5ELNS1_3repE0EEENS1_30default_config_static_selectorELNS0_4arch9wavefront6targetE0EEEvT1_.has_recursion, 0
	.set _ZN7rocprim17ROCPRIM_400000_NS6detail17trampoline_kernelINS0_14default_configENS1_20scan_config_selectorIN3c108BFloat16EEEZZNS1_9scan_implILNS1_25lookback_scan_determinismE0ELb0ELb0ES3_PKS6_PS6_S6_ZZZN2at6native31launch_logcumsumexp_cuda_kernelERKNSD_10TensorBaseESH_lENKUlvE_clEvENKUlvE4_clEvEUlS6_S6_E_S6_EEDaPvRmT3_T4_T5_mT6_P12ihipStream_tbENKUlT_T0_E_clISt17integral_constantIbLb0EESX_IbLb1EEEEDaST_SU_EUlST_E0_NS1_11comp_targetILNS1_3genE10ELNS1_11target_archE1201ELNS1_3gpuE5ELNS1_3repE0EEENS1_30default_config_static_selectorELNS0_4arch9wavefront6targetE0EEEvT1_.has_indirect_call, 0
	.section	.AMDGPU.csdata,"",@progbits
; Kernel info:
; codeLenInByte = 0
; TotalNumSgprs: 0
; NumVgprs: 0
; ScratchSize: 0
; MemoryBound: 0
; FloatMode: 240
; IeeeMode: 1
; LDSByteSize: 0 bytes/workgroup (compile time only)
; SGPRBlocks: 0
; VGPRBlocks: 0
; NumSGPRsForWavesPerEU: 1
; NumVGPRsForWavesPerEU: 1
; Occupancy: 16
; WaveLimiterHint : 0
; COMPUTE_PGM_RSRC2:SCRATCH_EN: 0
; COMPUTE_PGM_RSRC2:USER_SGPR: 6
; COMPUTE_PGM_RSRC2:TRAP_HANDLER: 0
; COMPUTE_PGM_RSRC2:TGID_X_EN: 1
; COMPUTE_PGM_RSRC2:TGID_Y_EN: 0
; COMPUTE_PGM_RSRC2:TGID_Z_EN: 0
; COMPUTE_PGM_RSRC2:TIDIG_COMP_CNT: 0
	.section	.text._ZN7rocprim17ROCPRIM_400000_NS6detail17trampoline_kernelINS0_14default_configENS1_20scan_config_selectorIN3c108BFloat16EEEZZNS1_9scan_implILNS1_25lookback_scan_determinismE0ELb0ELb0ES3_PKS6_PS6_S6_ZZZN2at6native31launch_logcumsumexp_cuda_kernelERKNSD_10TensorBaseESH_lENKUlvE_clEvENKUlvE4_clEvEUlS6_S6_E_S6_EEDaPvRmT3_T4_T5_mT6_P12ihipStream_tbENKUlT_T0_E_clISt17integral_constantIbLb0EESX_IbLb1EEEEDaST_SU_EUlST_E0_NS1_11comp_targetILNS1_3genE10ELNS1_11target_archE1200ELNS1_3gpuE4ELNS1_3repE0EEENS1_30default_config_static_selectorELNS0_4arch9wavefront6targetE0EEEvT1_,"axG",@progbits,_ZN7rocprim17ROCPRIM_400000_NS6detail17trampoline_kernelINS0_14default_configENS1_20scan_config_selectorIN3c108BFloat16EEEZZNS1_9scan_implILNS1_25lookback_scan_determinismE0ELb0ELb0ES3_PKS6_PS6_S6_ZZZN2at6native31launch_logcumsumexp_cuda_kernelERKNSD_10TensorBaseESH_lENKUlvE_clEvENKUlvE4_clEvEUlS6_S6_E_S6_EEDaPvRmT3_T4_T5_mT6_P12ihipStream_tbENKUlT_T0_E_clISt17integral_constantIbLb0EESX_IbLb1EEEEDaST_SU_EUlST_E0_NS1_11comp_targetILNS1_3genE10ELNS1_11target_archE1200ELNS1_3gpuE4ELNS1_3repE0EEENS1_30default_config_static_selectorELNS0_4arch9wavefront6targetE0EEEvT1_,comdat
	.globl	_ZN7rocprim17ROCPRIM_400000_NS6detail17trampoline_kernelINS0_14default_configENS1_20scan_config_selectorIN3c108BFloat16EEEZZNS1_9scan_implILNS1_25lookback_scan_determinismE0ELb0ELb0ES3_PKS6_PS6_S6_ZZZN2at6native31launch_logcumsumexp_cuda_kernelERKNSD_10TensorBaseESH_lENKUlvE_clEvENKUlvE4_clEvEUlS6_S6_E_S6_EEDaPvRmT3_T4_T5_mT6_P12ihipStream_tbENKUlT_T0_E_clISt17integral_constantIbLb0EESX_IbLb1EEEEDaST_SU_EUlST_E0_NS1_11comp_targetILNS1_3genE10ELNS1_11target_archE1200ELNS1_3gpuE4ELNS1_3repE0EEENS1_30default_config_static_selectorELNS0_4arch9wavefront6targetE0EEEvT1_ ; -- Begin function _ZN7rocprim17ROCPRIM_400000_NS6detail17trampoline_kernelINS0_14default_configENS1_20scan_config_selectorIN3c108BFloat16EEEZZNS1_9scan_implILNS1_25lookback_scan_determinismE0ELb0ELb0ES3_PKS6_PS6_S6_ZZZN2at6native31launch_logcumsumexp_cuda_kernelERKNSD_10TensorBaseESH_lENKUlvE_clEvENKUlvE4_clEvEUlS6_S6_E_S6_EEDaPvRmT3_T4_T5_mT6_P12ihipStream_tbENKUlT_T0_E_clISt17integral_constantIbLb0EESX_IbLb1EEEEDaST_SU_EUlST_E0_NS1_11comp_targetILNS1_3genE10ELNS1_11target_archE1200ELNS1_3gpuE4ELNS1_3repE0EEENS1_30default_config_static_selectorELNS0_4arch9wavefront6targetE0EEEvT1_
	.p2align	8
	.type	_ZN7rocprim17ROCPRIM_400000_NS6detail17trampoline_kernelINS0_14default_configENS1_20scan_config_selectorIN3c108BFloat16EEEZZNS1_9scan_implILNS1_25lookback_scan_determinismE0ELb0ELb0ES3_PKS6_PS6_S6_ZZZN2at6native31launch_logcumsumexp_cuda_kernelERKNSD_10TensorBaseESH_lENKUlvE_clEvENKUlvE4_clEvEUlS6_S6_E_S6_EEDaPvRmT3_T4_T5_mT6_P12ihipStream_tbENKUlT_T0_E_clISt17integral_constantIbLb0EESX_IbLb1EEEEDaST_SU_EUlST_E0_NS1_11comp_targetILNS1_3genE10ELNS1_11target_archE1200ELNS1_3gpuE4ELNS1_3repE0EEENS1_30default_config_static_selectorELNS0_4arch9wavefront6targetE0EEEvT1_,@function
_ZN7rocprim17ROCPRIM_400000_NS6detail17trampoline_kernelINS0_14default_configENS1_20scan_config_selectorIN3c108BFloat16EEEZZNS1_9scan_implILNS1_25lookback_scan_determinismE0ELb0ELb0ES3_PKS6_PS6_S6_ZZZN2at6native31launch_logcumsumexp_cuda_kernelERKNSD_10TensorBaseESH_lENKUlvE_clEvENKUlvE4_clEvEUlS6_S6_E_S6_EEDaPvRmT3_T4_T5_mT6_P12ihipStream_tbENKUlT_T0_E_clISt17integral_constantIbLb0EESX_IbLb1EEEEDaST_SU_EUlST_E0_NS1_11comp_targetILNS1_3genE10ELNS1_11target_archE1200ELNS1_3gpuE4ELNS1_3repE0EEENS1_30default_config_static_selectorELNS0_4arch9wavefront6targetE0EEEvT1_: ; @_ZN7rocprim17ROCPRIM_400000_NS6detail17trampoline_kernelINS0_14default_configENS1_20scan_config_selectorIN3c108BFloat16EEEZZNS1_9scan_implILNS1_25lookback_scan_determinismE0ELb0ELb0ES3_PKS6_PS6_S6_ZZZN2at6native31launch_logcumsumexp_cuda_kernelERKNSD_10TensorBaseESH_lENKUlvE_clEvENKUlvE4_clEvEUlS6_S6_E_S6_EEDaPvRmT3_T4_T5_mT6_P12ihipStream_tbENKUlT_T0_E_clISt17integral_constantIbLb0EESX_IbLb1EEEEDaST_SU_EUlST_E0_NS1_11comp_targetILNS1_3genE10ELNS1_11target_archE1200ELNS1_3gpuE4ELNS1_3repE0EEENS1_30default_config_static_selectorELNS0_4arch9wavefront6targetE0EEEvT1_
; %bb.0:
	.section	.rodata,"a",@progbits
	.p2align	6, 0x0
	.amdhsa_kernel _ZN7rocprim17ROCPRIM_400000_NS6detail17trampoline_kernelINS0_14default_configENS1_20scan_config_selectorIN3c108BFloat16EEEZZNS1_9scan_implILNS1_25lookback_scan_determinismE0ELb0ELb0ES3_PKS6_PS6_S6_ZZZN2at6native31launch_logcumsumexp_cuda_kernelERKNSD_10TensorBaseESH_lENKUlvE_clEvENKUlvE4_clEvEUlS6_S6_E_S6_EEDaPvRmT3_T4_T5_mT6_P12ihipStream_tbENKUlT_T0_E_clISt17integral_constantIbLb0EESX_IbLb1EEEEDaST_SU_EUlST_E0_NS1_11comp_targetILNS1_3genE10ELNS1_11target_archE1200ELNS1_3gpuE4ELNS1_3repE0EEENS1_30default_config_static_selectorELNS0_4arch9wavefront6targetE0EEEvT1_
		.amdhsa_group_segment_fixed_size 0
		.amdhsa_private_segment_fixed_size 0
		.amdhsa_kernarg_size 32
		.amdhsa_user_sgpr_count 6
		.amdhsa_user_sgpr_private_segment_buffer 1
		.amdhsa_user_sgpr_dispatch_ptr 0
		.amdhsa_user_sgpr_queue_ptr 0
		.amdhsa_user_sgpr_kernarg_segment_ptr 1
		.amdhsa_user_sgpr_dispatch_id 0
		.amdhsa_user_sgpr_flat_scratch_init 0
		.amdhsa_user_sgpr_private_segment_size 0
		.amdhsa_wavefront_size32 1
		.amdhsa_uses_dynamic_stack 0
		.amdhsa_system_sgpr_private_segment_wavefront_offset 0
		.amdhsa_system_sgpr_workgroup_id_x 1
		.amdhsa_system_sgpr_workgroup_id_y 0
		.amdhsa_system_sgpr_workgroup_id_z 0
		.amdhsa_system_sgpr_workgroup_info 0
		.amdhsa_system_vgpr_workitem_id 0
		.amdhsa_next_free_vgpr 1
		.amdhsa_next_free_sgpr 1
		.amdhsa_reserve_vcc 0
		.amdhsa_reserve_flat_scratch 0
		.amdhsa_float_round_mode_32 0
		.amdhsa_float_round_mode_16_64 0
		.amdhsa_float_denorm_mode_32 3
		.amdhsa_float_denorm_mode_16_64 3
		.amdhsa_dx10_clamp 1
		.amdhsa_ieee_mode 1
		.amdhsa_fp16_overflow 0
		.amdhsa_workgroup_processor_mode 1
		.amdhsa_memory_ordered 1
		.amdhsa_forward_progress 1
		.amdhsa_shared_vgpr_count 0
		.amdhsa_exception_fp_ieee_invalid_op 0
		.amdhsa_exception_fp_denorm_src 0
		.amdhsa_exception_fp_ieee_div_zero 0
		.amdhsa_exception_fp_ieee_overflow 0
		.amdhsa_exception_fp_ieee_underflow 0
		.amdhsa_exception_fp_ieee_inexact 0
		.amdhsa_exception_int_div_zero 0
	.end_amdhsa_kernel
	.section	.text._ZN7rocprim17ROCPRIM_400000_NS6detail17trampoline_kernelINS0_14default_configENS1_20scan_config_selectorIN3c108BFloat16EEEZZNS1_9scan_implILNS1_25lookback_scan_determinismE0ELb0ELb0ES3_PKS6_PS6_S6_ZZZN2at6native31launch_logcumsumexp_cuda_kernelERKNSD_10TensorBaseESH_lENKUlvE_clEvENKUlvE4_clEvEUlS6_S6_E_S6_EEDaPvRmT3_T4_T5_mT6_P12ihipStream_tbENKUlT_T0_E_clISt17integral_constantIbLb0EESX_IbLb1EEEEDaST_SU_EUlST_E0_NS1_11comp_targetILNS1_3genE10ELNS1_11target_archE1200ELNS1_3gpuE4ELNS1_3repE0EEENS1_30default_config_static_selectorELNS0_4arch9wavefront6targetE0EEEvT1_,"axG",@progbits,_ZN7rocprim17ROCPRIM_400000_NS6detail17trampoline_kernelINS0_14default_configENS1_20scan_config_selectorIN3c108BFloat16EEEZZNS1_9scan_implILNS1_25lookback_scan_determinismE0ELb0ELb0ES3_PKS6_PS6_S6_ZZZN2at6native31launch_logcumsumexp_cuda_kernelERKNSD_10TensorBaseESH_lENKUlvE_clEvENKUlvE4_clEvEUlS6_S6_E_S6_EEDaPvRmT3_T4_T5_mT6_P12ihipStream_tbENKUlT_T0_E_clISt17integral_constantIbLb0EESX_IbLb1EEEEDaST_SU_EUlST_E0_NS1_11comp_targetILNS1_3genE10ELNS1_11target_archE1200ELNS1_3gpuE4ELNS1_3repE0EEENS1_30default_config_static_selectorELNS0_4arch9wavefront6targetE0EEEvT1_,comdat
.Lfunc_end518:
	.size	_ZN7rocprim17ROCPRIM_400000_NS6detail17trampoline_kernelINS0_14default_configENS1_20scan_config_selectorIN3c108BFloat16EEEZZNS1_9scan_implILNS1_25lookback_scan_determinismE0ELb0ELb0ES3_PKS6_PS6_S6_ZZZN2at6native31launch_logcumsumexp_cuda_kernelERKNSD_10TensorBaseESH_lENKUlvE_clEvENKUlvE4_clEvEUlS6_S6_E_S6_EEDaPvRmT3_T4_T5_mT6_P12ihipStream_tbENKUlT_T0_E_clISt17integral_constantIbLb0EESX_IbLb1EEEEDaST_SU_EUlST_E0_NS1_11comp_targetILNS1_3genE10ELNS1_11target_archE1200ELNS1_3gpuE4ELNS1_3repE0EEENS1_30default_config_static_selectorELNS0_4arch9wavefront6targetE0EEEvT1_, .Lfunc_end518-_ZN7rocprim17ROCPRIM_400000_NS6detail17trampoline_kernelINS0_14default_configENS1_20scan_config_selectorIN3c108BFloat16EEEZZNS1_9scan_implILNS1_25lookback_scan_determinismE0ELb0ELb0ES3_PKS6_PS6_S6_ZZZN2at6native31launch_logcumsumexp_cuda_kernelERKNSD_10TensorBaseESH_lENKUlvE_clEvENKUlvE4_clEvEUlS6_S6_E_S6_EEDaPvRmT3_T4_T5_mT6_P12ihipStream_tbENKUlT_T0_E_clISt17integral_constantIbLb0EESX_IbLb1EEEEDaST_SU_EUlST_E0_NS1_11comp_targetILNS1_3genE10ELNS1_11target_archE1200ELNS1_3gpuE4ELNS1_3repE0EEENS1_30default_config_static_selectorELNS0_4arch9wavefront6targetE0EEEvT1_
                                        ; -- End function
	.set _ZN7rocprim17ROCPRIM_400000_NS6detail17trampoline_kernelINS0_14default_configENS1_20scan_config_selectorIN3c108BFloat16EEEZZNS1_9scan_implILNS1_25lookback_scan_determinismE0ELb0ELb0ES3_PKS6_PS6_S6_ZZZN2at6native31launch_logcumsumexp_cuda_kernelERKNSD_10TensorBaseESH_lENKUlvE_clEvENKUlvE4_clEvEUlS6_S6_E_S6_EEDaPvRmT3_T4_T5_mT6_P12ihipStream_tbENKUlT_T0_E_clISt17integral_constantIbLb0EESX_IbLb1EEEEDaST_SU_EUlST_E0_NS1_11comp_targetILNS1_3genE10ELNS1_11target_archE1200ELNS1_3gpuE4ELNS1_3repE0EEENS1_30default_config_static_selectorELNS0_4arch9wavefront6targetE0EEEvT1_.num_vgpr, 0
	.set _ZN7rocprim17ROCPRIM_400000_NS6detail17trampoline_kernelINS0_14default_configENS1_20scan_config_selectorIN3c108BFloat16EEEZZNS1_9scan_implILNS1_25lookback_scan_determinismE0ELb0ELb0ES3_PKS6_PS6_S6_ZZZN2at6native31launch_logcumsumexp_cuda_kernelERKNSD_10TensorBaseESH_lENKUlvE_clEvENKUlvE4_clEvEUlS6_S6_E_S6_EEDaPvRmT3_T4_T5_mT6_P12ihipStream_tbENKUlT_T0_E_clISt17integral_constantIbLb0EESX_IbLb1EEEEDaST_SU_EUlST_E0_NS1_11comp_targetILNS1_3genE10ELNS1_11target_archE1200ELNS1_3gpuE4ELNS1_3repE0EEENS1_30default_config_static_selectorELNS0_4arch9wavefront6targetE0EEEvT1_.num_agpr, 0
	.set _ZN7rocprim17ROCPRIM_400000_NS6detail17trampoline_kernelINS0_14default_configENS1_20scan_config_selectorIN3c108BFloat16EEEZZNS1_9scan_implILNS1_25lookback_scan_determinismE0ELb0ELb0ES3_PKS6_PS6_S6_ZZZN2at6native31launch_logcumsumexp_cuda_kernelERKNSD_10TensorBaseESH_lENKUlvE_clEvENKUlvE4_clEvEUlS6_S6_E_S6_EEDaPvRmT3_T4_T5_mT6_P12ihipStream_tbENKUlT_T0_E_clISt17integral_constantIbLb0EESX_IbLb1EEEEDaST_SU_EUlST_E0_NS1_11comp_targetILNS1_3genE10ELNS1_11target_archE1200ELNS1_3gpuE4ELNS1_3repE0EEENS1_30default_config_static_selectorELNS0_4arch9wavefront6targetE0EEEvT1_.numbered_sgpr, 0
	.set _ZN7rocprim17ROCPRIM_400000_NS6detail17trampoline_kernelINS0_14default_configENS1_20scan_config_selectorIN3c108BFloat16EEEZZNS1_9scan_implILNS1_25lookback_scan_determinismE0ELb0ELb0ES3_PKS6_PS6_S6_ZZZN2at6native31launch_logcumsumexp_cuda_kernelERKNSD_10TensorBaseESH_lENKUlvE_clEvENKUlvE4_clEvEUlS6_S6_E_S6_EEDaPvRmT3_T4_T5_mT6_P12ihipStream_tbENKUlT_T0_E_clISt17integral_constantIbLb0EESX_IbLb1EEEEDaST_SU_EUlST_E0_NS1_11comp_targetILNS1_3genE10ELNS1_11target_archE1200ELNS1_3gpuE4ELNS1_3repE0EEENS1_30default_config_static_selectorELNS0_4arch9wavefront6targetE0EEEvT1_.num_named_barrier, 0
	.set _ZN7rocprim17ROCPRIM_400000_NS6detail17trampoline_kernelINS0_14default_configENS1_20scan_config_selectorIN3c108BFloat16EEEZZNS1_9scan_implILNS1_25lookback_scan_determinismE0ELb0ELb0ES3_PKS6_PS6_S6_ZZZN2at6native31launch_logcumsumexp_cuda_kernelERKNSD_10TensorBaseESH_lENKUlvE_clEvENKUlvE4_clEvEUlS6_S6_E_S6_EEDaPvRmT3_T4_T5_mT6_P12ihipStream_tbENKUlT_T0_E_clISt17integral_constantIbLb0EESX_IbLb1EEEEDaST_SU_EUlST_E0_NS1_11comp_targetILNS1_3genE10ELNS1_11target_archE1200ELNS1_3gpuE4ELNS1_3repE0EEENS1_30default_config_static_selectorELNS0_4arch9wavefront6targetE0EEEvT1_.private_seg_size, 0
	.set _ZN7rocprim17ROCPRIM_400000_NS6detail17trampoline_kernelINS0_14default_configENS1_20scan_config_selectorIN3c108BFloat16EEEZZNS1_9scan_implILNS1_25lookback_scan_determinismE0ELb0ELb0ES3_PKS6_PS6_S6_ZZZN2at6native31launch_logcumsumexp_cuda_kernelERKNSD_10TensorBaseESH_lENKUlvE_clEvENKUlvE4_clEvEUlS6_S6_E_S6_EEDaPvRmT3_T4_T5_mT6_P12ihipStream_tbENKUlT_T0_E_clISt17integral_constantIbLb0EESX_IbLb1EEEEDaST_SU_EUlST_E0_NS1_11comp_targetILNS1_3genE10ELNS1_11target_archE1200ELNS1_3gpuE4ELNS1_3repE0EEENS1_30default_config_static_selectorELNS0_4arch9wavefront6targetE0EEEvT1_.uses_vcc, 0
	.set _ZN7rocprim17ROCPRIM_400000_NS6detail17trampoline_kernelINS0_14default_configENS1_20scan_config_selectorIN3c108BFloat16EEEZZNS1_9scan_implILNS1_25lookback_scan_determinismE0ELb0ELb0ES3_PKS6_PS6_S6_ZZZN2at6native31launch_logcumsumexp_cuda_kernelERKNSD_10TensorBaseESH_lENKUlvE_clEvENKUlvE4_clEvEUlS6_S6_E_S6_EEDaPvRmT3_T4_T5_mT6_P12ihipStream_tbENKUlT_T0_E_clISt17integral_constantIbLb0EESX_IbLb1EEEEDaST_SU_EUlST_E0_NS1_11comp_targetILNS1_3genE10ELNS1_11target_archE1200ELNS1_3gpuE4ELNS1_3repE0EEENS1_30default_config_static_selectorELNS0_4arch9wavefront6targetE0EEEvT1_.uses_flat_scratch, 0
	.set _ZN7rocprim17ROCPRIM_400000_NS6detail17trampoline_kernelINS0_14default_configENS1_20scan_config_selectorIN3c108BFloat16EEEZZNS1_9scan_implILNS1_25lookback_scan_determinismE0ELb0ELb0ES3_PKS6_PS6_S6_ZZZN2at6native31launch_logcumsumexp_cuda_kernelERKNSD_10TensorBaseESH_lENKUlvE_clEvENKUlvE4_clEvEUlS6_S6_E_S6_EEDaPvRmT3_T4_T5_mT6_P12ihipStream_tbENKUlT_T0_E_clISt17integral_constantIbLb0EESX_IbLb1EEEEDaST_SU_EUlST_E0_NS1_11comp_targetILNS1_3genE10ELNS1_11target_archE1200ELNS1_3gpuE4ELNS1_3repE0EEENS1_30default_config_static_selectorELNS0_4arch9wavefront6targetE0EEEvT1_.has_dyn_sized_stack, 0
	.set _ZN7rocprim17ROCPRIM_400000_NS6detail17trampoline_kernelINS0_14default_configENS1_20scan_config_selectorIN3c108BFloat16EEEZZNS1_9scan_implILNS1_25lookback_scan_determinismE0ELb0ELb0ES3_PKS6_PS6_S6_ZZZN2at6native31launch_logcumsumexp_cuda_kernelERKNSD_10TensorBaseESH_lENKUlvE_clEvENKUlvE4_clEvEUlS6_S6_E_S6_EEDaPvRmT3_T4_T5_mT6_P12ihipStream_tbENKUlT_T0_E_clISt17integral_constantIbLb0EESX_IbLb1EEEEDaST_SU_EUlST_E0_NS1_11comp_targetILNS1_3genE10ELNS1_11target_archE1200ELNS1_3gpuE4ELNS1_3repE0EEENS1_30default_config_static_selectorELNS0_4arch9wavefront6targetE0EEEvT1_.has_recursion, 0
	.set _ZN7rocprim17ROCPRIM_400000_NS6detail17trampoline_kernelINS0_14default_configENS1_20scan_config_selectorIN3c108BFloat16EEEZZNS1_9scan_implILNS1_25lookback_scan_determinismE0ELb0ELb0ES3_PKS6_PS6_S6_ZZZN2at6native31launch_logcumsumexp_cuda_kernelERKNSD_10TensorBaseESH_lENKUlvE_clEvENKUlvE4_clEvEUlS6_S6_E_S6_EEDaPvRmT3_T4_T5_mT6_P12ihipStream_tbENKUlT_T0_E_clISt17integral_constantIbLb0EESX_IbLb1EEEEDaST_SU_EUlST_E0_NS1_11comp_targetILNS1_3genE10ELNS1_11target_archE1200ELNS1_3gpuE4ELNS1_3repE0EEENS1_30default_config_static_selectorELNS0_4arch9wavefront6targetE0EEEvT1_.has_indirect_call, 0
	.section	.AMDGPU.csdata,"",@progbits
; Kernel info:
; codeLenInByte = 0
; TotalNumSgprs: 0
; NumVgprs: 0
; ScratchSize: 0
; MemoryBound: 0
; FloatMode: 240
; IeeeMode: 1
; LDSByteSize: 0 bytes/workgroup (compile time only)
; SGPRBlocks: 0
; VGPRBlocks: 0
; NumSGPRsForWavesPerEU: 1
; NumVGPRsForWavesPerEU: 1
; Occupancy: 16
; WaveLimiterHint : 0
; COMPUTE_PGM_RSRC2:SCRATCH_EN: 0
; COMPUTE_PGM_RSRC2:USER_SGPR: 6
; COMPUTE_PGM_RSRC2:TRAP_HANDLER: 0
; COMPUTE_PGM_RSRC2:TGID_X_EN: 1
; COMPUTE_PGM_RSRC2:TGID_Y_EN: 0
; COMPUTE_PGM_RSRC2:TGID_Z_EN: 0
; COMPUTE_PGM_RSRC2:TIDIG_COMP_CNT: 0
	.section	.text._ZN7rocprim17ROCPRIM_400000_NS6detail17trampoline_kernelINS0_14default_configENS1_20scan_config_selectorIN3c108BFloat16EEEZZNS1_9scan_implILNS1_25lookback_scan_determinismE0ELb0ELb0ES3_PKS6_PS6_S6_ZZZN2at6native31launch_logcumsumexp_cuda_kernelERKNSD_10TensorBaseESH_lENKUlvE_clEvENKUlvE4_clEvEUlS6_S6_E_S6_EEDaPvRmT3_T4_T5_mT6_P12ihipStream_tbENKUlT_T0_E_clISt17integral_constantIbLb0EESX_IbLb1EEEEDaST_SU_EUlST_E0_NS1_11comp_targetILNS1_3genE9ELNS1_11target_archE1100ELNS1_3gpuE3ELNS1_3repE0EEENS1_30default_config_static_selectorELNS0_4arch9wavefront6targetE0EEEvT1_,"axG",@progbits,_ZN7rocprim17ROCPRIM_400000_NS6detail17trampoline_kernelINS0_14default_configENS1_20scan_config_selectorIN3c108BFloat16EEEZZNS1_9scan_implILNS1_25lookback_scan_determinismE0ELb0ELb0ES3_PKS6_PS6_S6_ZZZN2at6native31launch_logcumsumexp_cuda_kernelERKNSD_10TensorBaseESH_lENKUlvE_clEvENKUlvE4_clEvEUlS6_S6_E_S6_EEDaPvRmT3_T4_T5_mT6_P12ihipStream_tbENKUlT_T0_E_clISt17integral_constantIbLb0EESX_IbLb1EEEEDaST_SU_EUlST_E0_NS1_11comp_targetILNS1_3genE9ELNS1_11target_archE1100ELNS1_3gpuE3ELNS1_3repE0EEENS1_30default_config_static_selectorELNS0_4arch9wavefront6targetE0EEEvT1_,comdat
	.globl	_ZN7rocprim17ROCPRIM_400000_NS6detail17trampoline_kernelINS0_14default_configENS1_20scan_config_selectorIN3c108BFloat16EEEZZNS1_9scan_implILNS1_25lookback_scan_determinismE0ELb0ELb0ES3_PKS6_PS6_S6_ZZZN2at6native31launch_logcumsumexp_cuda_kernelERKNSD_10TensorBaseESH_lENKUlvE_clEvENKUlvE4_clEvEUlS6_S6_E_S6_EEDaPvRmT3_T4_T5_mT6_P12ihipStream_tbENKUlT_T0_E_clISt17integral_constantIbLb0EESX_IbLb1EEEEDaST_SU_EUlST_E0_NS1_11comp_targetILNS1_3genE9ELNS1_11target_archE1100ELNS1_3gpuE3ELNS1_3repE0EEENS1_30default_config_static_selectorELNS0_4arch9wavefront6targetE0EEEvT1_ ; -- Begin function _ZN7rocprim17ROCPRIM_400000_NS6detail17trampoline_kernelINS0_14default_configENS1_20scan_config_selectorIN3c108BFloat16EEEZZNS1_9scan_implILNS1_25lookback_scan_determinismE0ELb0ELb0ES3_PKS6_PS6_S6_ZZZN2at6native31launch_logcumsumexp_cuda_kernelERKNSD_10TensorBaseESH_lENKUlvE_clEvENKUlvE4_clEvEUlS6_S6_E_S6_EEDaPvRmT3_T4_T5_mT6_P12ihipStream_tbENKUlT_T0_E_clISt17integral_constantIbLb0EESX_IbLb1EEEEDaST_SU_EUlST_E0_NS1_11comp_targetILNS1_3genE9ELNS1_11target_archE1100ELNS1_3gpuE3ELNS1_3repE0EEENS1_30default_config_static_selectorELNS0_4arch9wavefront6targetE0EEEvT1_
	.p2align	8
	.type	_ZN7rocprim17ROCPRIM_400000_NS6detail17trampoline_kernelINS0_14default_configENS1_20scan_config_selectorIN3c108BFloat16EEEZZNS1_9scan_implILNS1_25lookback_scan_determinismE0ELb0ELb0ES3_PKS6_PS6_S6_ZZZN2at6native31launch_logcumsumexp_cuda_kernelERKNSD_10TensorBaseESH_lENKUlvE_clEvENKUlvE4_clEvEUlS6_S6_E_S6_EEDaPvRmT3_T4_T5_mT6_P12ihipStream_tbENKUlT_T0_E_clISt17integral_constantIbLb0EESX_IbLb1EEEEDaST_SU_EUlST_E0_NS1_11comp_targetILNS1_3genE9ELNS1_11target_archE1100ELNS1_3gpuE3ELNS1_3repE0EEENS1_30default_config_static_selectorELNS0_4arch9wavefront6targetE0EEEvT1_,@function
_ZN7rocprim17ROCPRIM_400000_NS6detail17trampoline_kernelINS0_14default_configENS1_20scan_config_selectorIN3c108BFloat16EEEZZNS1_9scan_implILNS1_25lookback_scan_determinismE0ELb0ELb0ES3_PKS6_PS6_S6_ZZZN2at6native31launch_logcumsumexp_cuda_kernelERKNSD_10TensorBaseESH_lENKUlvE_clEvENKUlvE4_clEvEUlS6_S6_E_S6_EEDaPvRmT3_T4_T5_mT6_P12ihipStream_tbENKUlT_T0_E_clISt17integral_constantIbLb0EESX_IbLb1EEEEDaST_SU_EUlST_E0_NS1_11comp_targetILNS1_3genE9ELNS1_11target_archE1100ELNS1_3gpuE3ELNS1_3repE0EEENS1_30default_config_static_selectorELNS0_4arch9wavefront6targetE0EEEvT1_: ; @_ZN7rocprim17ROCPRIM_400000_NS6detail17trampoline_kernelINS0_14default_configENS1_20scan_config_selectorIN3c108BFloat16EEEZZNS1_9scan_implILNS1_25lookback_scan_determinismE0ELb0ELb0ES3_PKS6_PS6_S6_ZZZN2at6native31launch_logcumsumexp_cuda_kernelERKNSD_10TensorBaseESH_lENKUlvE_clEvENKUlvE4_clEvEUlS6_S6_E_S6_EEDaPvRmT3_T4_T5_mT6_P12ihipStream_tbENKUlT_T0_E_clISt17integral_constantIbLb0EESX_IbLb1EEEEDaST_SU_EUlST_E0_NS1_11comp_targetILNS1_3genE9ELNS1_11target_archE1100ELNS1_3gpuE3ELNS1_3repE0EEENS1_30default_config_static_selectorELNS0_4arch9wavefront6targetE0EEEvT1_
; %bb.0:
	.section	.rodata,"a",@progbits
	.p2align	6, 0x0
	.amdhsa_kernel _ZN7rocprim17ROCPRIM_400000_NS6detail17trampoline_kernelINS0_14default_configENS1_20scan_config_selectorIN3c108BFloat16EEEZZNS1_9scan_implILNS1_25lookback_scan_determinismE0ELb0ELb0ES3_PKS6_PS6_S6_ZZZN2at6native31launch_logcumsumexp_cuda_kernelERKNSD_10TensorBaseESH_lENKUlvE_clEvENKUlvE4_clEvEUlS6_S6_E_S6_EEDaPvRmT3_T4_T5_mT6_P12ihipStream_tbENKUlT_T0_E_clISt17integral_constantIbLb0EESX_IbLb1EEEEDaST_SU_EUlST_E0_NS1_11comp_targetILNS1_3genE9ELNS1_11target_archE1100ELNS1_3gpuE3ELNS1_3repE0EEENS1_30default_config_static_selectorELNS0_4arch9wavefront6targetE0EEEvT1_
		.amdhsa_group_segment_fixed_size 0
		.amdhsa_private_segment_fixed_size 0
		.amdhsa_kernarg_size 32
		.amdhsa_user_sgpr_count 6
		.amdhsa_user_sgpr_private_segment_buffer 1
		.amdhsa_user_sgpr_dispatch_ptr 0
		.amdhsa_user_sgpr_queue_ptr 0
		.amdhsa_user_sgpr_kernarg_segment_ptr 1
		.amdhsa_user_sgpr_dispatch_id 0
		.amdhsa_user_sgpr_flat_scratch_init 0
		.amdhsa_user_sgpr_private_segment_size 0
		.amdhsa_wavefront_size32 1
		.amdhsa_uses_dynamic_stack 0
		.amdhsa_system_sgpr_private_segment_wavefront_offset 0
		.amdhsa_system_sgpr_workgroup_id_x 1
		.amdhsa_system_sgpr_workgroup_id_y 0
		.amdhsa_system_sgpr_workgroup_id_z 0
		.amdhsa_system_sgpr_workgroup_info 0
		.amdhsa_system_vgpr_workitem_id 0
		.amdhsa_next_free_vgpr 1
		.amdhsa_next_free_sgpr 1
		.amdhsa_reserve_vcc 0
		.amdhsa_reserve_flat_scratch 0
		.amdhsa_float_round_mode_32 0
		.amdhsa_float_round_mode_16_64 0
		.amdhsa_float_denorm_mode_32 3
		.amdhsa_float_denorm_mode_16_64 3
		.amdhsa_dx10_clamp 1
		.amdhsa_ieee_mode 1
		.amdhsa_fp16_overflow 0
		.amdhsa_workgroup_processor_mode 1
		.amdhsa_memory_ordered 1
		.amdhsa_forward_progress 1
		.amdhsa_shared_vgpr_count 0
		.amdhsa_exception_fp_ieee_invalid_op 0
		.amdhsa_exception_fp_denorm_src 0
		.amdhsa_exception_fp_ieee_div_zero 0
		.amdhsa_exception_fp_ieee_overflow 0
		.amdhsa_exception_fp_ieee_underflow 0
		.amdhsa_exception_fp_ieee_inexact 0
		.amdhsa_exception_int_div_zero 0
	.end_amdhsa_kernel
	.section	.text._ZN7rocprim17ROCPRIM_400000_NS6detail17trampoline_kernelINS0_14default_configENS1_20scan_config_selectorIN3c108BFloat16EEEZZNS1_9scan_implILNS1_25lookback_scan_determinismE0ELb0ELb0ES3_PKS6_PS6_S6_ZZZN2at6native31launch_logcumsumexp_cuda_kernelERKNSD_10TensorBaseESH_lENKUlvE_clEvENKUlvE4_clEvEUlS6_S6_E_S6_EEDaPvRmT3_T4_T5_mT6_P12ihipStream_tbENKUlT_T0_E_clISt17integral_constantIbLb0EESX_IbLb1EEEEDaST_SU_EUlST_E0_NS1_11comp_targetILNS1_3genE9ELNS1_11target_archE1100ELNS1_3gpuE3ELNS1_3repE0EEENS1_30default_config_static_selectorELNS0_4arch9wavefront6targetE0EEEvT1_,"axG",@progbits,_ZN7rocprim17ROCPRIM_400000_NS6detail17trampoline_kernelINS0_14default_configENS1_20scan_config_selectorIN3c108BFloat16EEEZZNS1_9scan_implILNS1_25lookback_scan_determinismE0ELb0ELb0ES3_PKS6_PS6_S6_ZZZN2at6native31launch_logcumsumexp_cuda_kernelERKNSD_10TensorBaseESH_lENKUlvE_clEvENKUlvE4_clEvEUlS6_S6_E_S6_EEDaPvRmT3_T4_T5_mT6_P12ihipStream_tbENKUlT_T0_E_clISt17integral_constantIbLb0EESX_IbLb1EEEEDaST_SU_EUlST_E0_NS1_11comp_targetILNS1_3genE9ELNS1_11target_archE1100ELNS1_3gpuE3ELNS1_3repE0EEENS1_30default_config_static_selectorELNS0_4arch9wavefront6targetE0EEEvT1_,comdat
.Lfunc_end519:
	.size	_ZN7rocprim17ROCPRIM_400000_NS6detail17trampoline_kernelINS0_14default_configENS1_20scan_config_selectorIN3c108BFloat16EEEZZNS1_9scan_implILNS1_25lookback_scan_determinismE0ELb0ELb0ES3_PKS6_PS6_S6_ZZZN2at6native31launch_logcumsumexp_cuda_kernelERKNSD_10TensorBaseESH_lENKUlvE_clEvENKUlvE4_clEvEUlS6_S6_E_S6_EEDaPvRmT3_T4_T5_mT6_P12ihipStream_tbENKUlT_T0_E_clISt17integral_constantIbLb0EESX_IbLb1EEEEDaST_SU_EUlST_E0_NS1_11comp_targetILNS1_3genE9ELNS1_11target_archE1100ELNS1_3gpuE3ELNS1_3repE0EEENS1_30default_config_static_selectorELNS0_4arch9wavefront6targetE0EEEvT1_, .Lfunc_end519-_ZN7rocprim17ROCPRIM_400000_NS6detail17trampoline_kernelINS0_14default_configENS1_20scan_config_selectorIN3c108BFloat16EEEZZNS1_9scan_implILNS1_25lookback_scan_determinismE0ELb0ELb0ES3_PKS6_PS6_S6_ZZZN2at6native31launch_logcumsumexp_cuda_kernelERKNSD_10TensorBaseESH_lENKUlvE_clEvENKUlvE4_clEvEUlS6_S6_E_S6_EEDaPvRmT3_T4_T5_mT6_P12ihipStream_tbENKUlT_T0_E_clISt17integral_constantIbLb0EESX_IbLb1EEEEDaST_SU_EUlST_E0_NS1_11comp_targetILNS1_3genE9ELNS1_11target_archE1100ELNS1_3gpuE3ELNS1_3repE0EEENS1_30default_config_static_selectorELNS0_4arch9wavefront6targetE0EEEvT1_
                                        ; -- End function
	.set _ZN7rocprim17ROCPRIM_400000_NS6detail17trampoline_kernelINS0_14default_configENS1_20scan_config_selectorIN3c108BFloat16EEEZZNS1_9scan_implILNS1_25lookback_scan_determinismE0ELb0ELb0ES3_PKS6_PS6_S6_ZZZN2at6native31launch_logcumsumexp_cuda_kernelERKNSD_10TensorBaseESH_lENKUlvE_clEvENKUlvE4_clEvEUlS6_S6_E_S6_EEDaPvRmT3_T4_T5_mT6_P12ihipStream_tbENKUlT_T0_E_clISt17integral_constantIbLb0EESX_IbLb1EEEEDaST_SU_EUlST_E0_NS1_11comp_targetILNS1_3genE9ELNS1_11target_archE1100ELNS1_3gpuE3ELNS1_3repE0EEENS1_30default_config_static_selectorELNS0_4arch9wavefront6targetE0EEEvT1_.num_vgpr, 0
	.set _ZN7rocprim17ROCPRIM_400000_NS6detail17trampoline_kernelINS0_14default_configENS1_20scan_config_selectorIN3c108BFloat16EEEZZNS1_9scan_implILNS1_25lookback_scan_determinismE0ELb0ELb0ES3_PKS6_PS6_S6_ZZZN2at6native31launch_logcumsumexp_cuda_kernelERKNSD_10TensorBaseESH_lENKUlvE_clEvENKUlvE4_clEvEUlS6_S6_E_S6_EEDaPvRmT3_T4_T5_mT6_P12ihipStream_tbENKUlT_T0_E_clISt17integral_constantIbLb0EESX_IbLb1EEEEDaST_SU_EUlST_E0_NS1_11comp_targetILNS1_3genE9ELNS1_11target_archE1100ELNS1_3gpuE3ELNS1_3repE0EEENS1_30default_config_static_selectorELNS0_4arch9wavefront6targetE0EEEvT1_.num_agpr, 0
	.set _ZN7rocprim17ROCPRIM_400000_NS6detail17trampoline_kernelINS0_14default_configENS1_20scan_config_selectorIN3c108BFloat16EEEZZNS1_9scan_implILNS1_25lookback_scan_determinismE0ELb0ELb0ES3_PKS6_PS6_S6_ZZZN2at6native31launch_logcumsumexp_cuda_kernelERKNSD_10TensorBaseESH_lENKUlvE_clEvENKUlvE4_clEvEUlS6_S6_E_S6_EEDaPvRmT3_T4_T5_mT6_P12ihipStream_tbENKUlT_T0_E_clISt17integral_constantIbLb0EESX_IbLb1EEEEDaST_SU_EUlST_E0_NS1_11comp_targetILNS1_3genE9ELNS1_11target_archE1100ELNS1_3gpuE3ELNS1_3repE0EEENS1_30default_config_static_selectorELNS0_4arch9wavefront6targetE0EEEvT1_.numbered_sgpr, 0
	.set _ZN7rocprim17ROCPRIM_400000_NS6detail17trampoline_kernelINS0_14default_configENS1_20scan_config_selectorIN3c108BFloat16EEEZZNS1_9scan_implILNS1_25lookback_scan_determinismE0ELb0ELb0ES3_PKS6_PS6_S6_ZZZN2at6native31launch_logcumsumexp_cuda_kernelERKNSD_10TensorBaseESH_lENKUlvE_clEvENKUlvE4_clEvEUlS6_S6_E_S6_EEDaPvRmT3_T4_T5_mT6_P12ihipStream_tbENKUlT_T0_E_clISt17integral_constantIbLb0EESX_IbLb1EEEEDaST_SU_EUlST_E0_NS1_11comp_targetILNS1_3genE9ELNS1_11target_archE1100ELNS1_3gpuE3ELNS1_3repE0EEENS1_30default_config_static_selectorELNS0_4arch9wavefront6targetE0EEEvT1_.num_named_barrier, 0
	.set _ZN7rocprim17ROCPRIM_400000_NS6detail17trampoline_kernelINS0_14default_configENS1_20scan_config_selectorIN3c108BFloat16EEEZZNS1_9scan_implILNS1_25lookback_scan_determinismE0ELb0ELb0ES3_PKS6_PS6_S6_ZZZN2at6native31launch_logcumsumexp_cuda_kernelERKNSD_10TensorBaseESH_lENKUlvE_clEvENKUlvE4_clEvEUlS6_S6_E_S6_EEDaPvRmT3_T4_T5_mT6_P12ihipStream_tbENKUlT_T0_E_clISt17integral_constantIbLb0EESX_IbLb1EEEEDaST_SU_EUlST_E0_NS1_11comp_targetILNS1_3genE9ELNS1_11target_archE1100ELNS1_3gpuE3ELNS1_3repE0EEENS1_30default_config_static_selectorELNS0_4arch9wavefront6targetE0EEEvT1_.private_seg_size, 0
	.set _ZN7rocprim17ROCPRIM_400000_NS6detail17trampoline_kernelINS0_14default_configENS1_20scan_config_selectorIN3c108BFloat16EEEZZNS1_9scan_implILNS1_25lookback_scan_determinismE0ELb0ELb0ES3_PKS6_PS6_S6_ZZZN2at6native31launch_logcumsumexp_cuda_kernelERKNSD_10TensorBaseESH_lENKUlvE_clEvENKUlvE4_clEvEUlS6_S6_E_S6_EEDaPvRmT3_T4_T5_mT6_P12ihipStream_tbENKUlT_T0_E_clISt17integral_constantIbLb0EESX_IbLb1EEEEDaST_SU_EUlST_E0_NS1_11comp_targetILNS1_3genE9ELNS1_11target_archE1100ELNS1_3gpuE3ELNS1_3repE0EEENS1_30default_config_static_selectorELNS0_4arch9wavefront6targetE0EEEvT1_.uses_vcc, 0
	.set _ZN7rocprim17ROCPRIM_400000_NS6detail17trampoline_kernelINS0_14default_configENS1_20scan_config_selectorIN3c108BFloat16EEEZZNS1_9scan_implILNS1_25lookback_scan_determinismE0ELb0ELb0ES3_PKS6_PS6_S6_ZZZN2at6native31launch_logcumsumexp_cuda_kernelERKNSD_10TensorBaseESH_lENKUlvE_clEvENKUlvE4_clEvEUlS6_S6_E_S6_EEDaPvRmT3_T4_T5_mT6_P12ihipStream_tbENKUlT_T0_E_clISt17integral_constantIbLb0EESX_IbLb1EEEEDaST_SU_EUlST_E0_NS1_11comp_targetILNS1_3genE9ELNS1_11target_archE1100ELNS1_3gpuE3ELNS1_3repE0EEENS1_30default_config_static_selectorELNS0_4arch9wavefront6targetE0EEEvT1_.uses_flat_scratch, 0
	.set _ZN7rocprim17ROCPRIM_400000_NS6detail17trampoline_kernelINS0_14default_configENS1_20scan_config_selectorIN3c108BFloat16EEEZZNS1_9scan_implILNS1_25lookback_scan_determinismE0ELb0ELb0ES3_PKS6_PS6_S6_ZZZN2at6native31launch_logcumsumexp_cuda_kernelERKNSD_10TensorBaseESH_lENKUlvE_clEvENKUlvE4_clEvEUlS6_S6_E_S6_EEDaPvRmT3_T4_T5_mT6_P12ihipStream_tbENKUlT_T0_E_clISt17integral_constantIbLb0EESX_IbLb1EEEEDaST_SU_EUlST_E0_NS1_11comp_targetILNS1_3genE9ELNS1_11target_archE1100ELNS1_3gpuE3ELNS1_3repE0EEENS1_30default_config_static_selectorELNS0_4arch9wavefront6targetE0EEEvT1_.has_dyn_sized_stack, 0
	.set _ZN7rocprim17ROCPRIM_400000_NS6detail17trampoline_kernelINS0_14default_configENS1_20scan_config_selectorIN3c108BFloat16EEEZZNS1_9scan_implILNS1_25lookback_scan_determinismE0ELb0ELb0ES3_PKS6_PS6_S6_ZZZN2at6native31launch_logcumsumexp_cuda_kernelERKNSD_10TensorBaseESH_lENKUlvE_clEvENKUlvE4_clEvEUlS6_S6_E_S6_EEDaPvRmT3_T4_T5_mT6_P12ihipStream_tbENKUlT_T0_E_clISt17integral_constantIbLb0EESX_IbLb1EEEEDaST_SU_EUlST_E0_NS1_11comp_targetILNS1_3genE9ELNS1_11target_archE1100ELNS1_3gpuE3ELNS1_3repE0EEENS1_30default_config_static_selectorELNS0_4arch9wavefront6targetE0EEEvT1_.has_recursion, 0
	.set _ZN7rocprim17ROCPRIM_400000_NS6detail17trampoline_kernelINS0_14default_configENS1_20scan_config_selectorIN3c108BFloat16EEEZZNS1_9scan_implILNS1_25lookback_scan_determinismE0ELb0ELb0ES3_PKS6_PS6_S6_ZZZN2at6native31launch_logcumsumexp_cuda_kernelERKNSD_10TensorBaseESH_lENKUlvE_clEvENKUlvE4_clEvEUlS6_S6_E_S6_EEDaPvRmT3_T4_T5_mT6_P12ihipStream_tbENKUlT_T0_E_clISt17integral_constantIbLb0EESX_IbLb1EEEEDaST_SU_EUlST_E0_NS1_11comp_targetILNS1_3genE9ELNS1_11target_archE1100ELNS1_3gpuE3ELNS1_3repE0EEENS1_30default_config_static_selectorELNS0_4arch9wavefront6targetE0EEEvT1_.has_indirect_call, 0
	.section	.AMDGPU.csdata,"",@progbits
; Kernel info:
; codeLenInByte = 0
; TotalNumSgprs: 0
; NumVgprs: 0
; ScratchSize: 0
; MemoryBound: 0
; FloatMode: 240
; IeeeMode: 1
; LDSByteSize: 0 bytes/workgroup (compile time only)
; SGPRBlocks: 0
; VGPRBlocks: 0
; NumSGPRsForWavesPerEU: 1
; NumVGPRsForWavesPerEU: 1
; Occupancy: 16
; WaveLimiterHint : 0
; COMPUTE_PGM_RSRC2:SCRATCH_EN: 0
; COMPUTE_PGM_RSRC2:USER_SGPR: 6
; COMPUTE_PGM_RSRC2:TRAP_HANDLER: 0
; COMPUTE_PGM_RSRC2:TGID_X_EN: 1
; COMPUTE_PGM_RSRC2:TGID_Y_EN: 0
; COMPUTE_PGM_RSRC2:TGID_Z_EN: 0
; COMPUTE_PGM_RSRC2:TIDIG_COMP_CNT: 0
	.section	.text._ZN7rocprim17ROCPRIM_400000_NS6detail17trampoline_kernelINS0_14default_configENS1_20scan_config_selectorIN3c108BFloat16EEEZZNS1_9scan_implILNS1_25lookback_scan_determinismE0ELb0ELb0ES3_PKS6_PS6_S6_ZZZN2at6native31launch_logcumsumexp_cuda_kernelERKNSD_10TensorBaseESH_lENKUlvE_clEvENKUlvE4_clEvEUlS6_S6_E_S6_EEDaPvRmT3_T4_T5_mT6_P12ihipStream_tbENKUlT_T0_E_clISt17integral_constantIbLb0EESX_IbLb1EEEEDaST_SU_EUlST_E0_NS1_11comp_targetILNS1_3genE8ELNS1_11target_archE1030ELNS1_3gpuE2ELNS1_3repE0EEENS1_30default_config_static_selectorELNS0_4arch9wavefront6targetE0EEEvT1_,"axG",@progbits,_ZN7rocprim17ROCPRIM_400000_NS6detail17trampoline_kernelINS0_14default_configENS1_20scan_config_selectorIN3c108BFloat16EEEZZNS1_9scan_implILNS1_25lookback_scan_determinismE0ELb0ELb0ES3_PKS6_PS6_S6_ZZZN2at6native31launch_logcumsumexp_cuda_kernelERKNSD_10TensorBaseESH_lENKUlvE_clEvENKUlvE4_clEvEUlS6_S6_E_S6_EEDaPvRmT3_T4_T5_mT6_P12ihipStream_tbENKUlT_T0_E_clISt17integral_constantIbLb0EESX_IbLb1EEEEDaST_SU_EUlST_E0_NS1_11comp_targetILNS1_3genE8ELNS1_11target_archE1030ELNS1_3gpuE2ELNS1_3repE0EEENS1_30default_config_static_selectorELNS0_4arch9wavefront6targetE0EEEvT1_,comdat
	.globl	_ZN7rocprim17ROCPRIM_400000_NS6detail17trampoline_kernelINS0_14default_configENS1_20scan_config_selectorIN3c108BFloat16EEEZZNS1_9scan_implILNS1_25lookback_scan_determinismE0ELb0ELb0ES3_PKS6_PS6_S6_ZZZN2at6native31launch_logcumsumexp_cuda_kernelERKNSD_10TensorBaseESH_lENKUlvE_clEvENKUlvE4_clEvEUlS6_S6_E_S6_EEDaPvRmT3_T4_T5_mT6_P12ihipStream_tbENKUlT_T0_E_clISt17integral_constantIbLb0EESX_IbLb1EEEEDaST_SU_EUlST_E0_NS1_11comp_targetILNS1_3genE8ELNS1_11target_archE1030ELNS1_3gpuE2ELNS1_3repE0EEENS1_30default_config_static_selectorELNS0_4arch9wavefront6targetE0EEEvT1_ ; -- Begin function _ZN7rocprim17ROCPRIM_400000_NS6detail17trampoline_kernelINS0_14default_configENS1_20scan_config_selectorIN3c108BFloat16EEEZZNS1_9scan_implILNS1_25lookback_scan_determinismE0ELb0ELb0ES3_PKS6_PS6_S6_ZZZN2at6native31launch_logcumsumexp_cuda_kernelERKNSD_10TensorBaseESH_lENKUlvE_clEvENKUlvE4_clEvEUlS6_S6_E_S6_EEDaPvRmT3_T4_T5_mT6_P12ihipStream_tbENKUlT_T0_E_clISt17integral_constantIbLb0EESX_IbLb1EEEEDaST_SU_EUlST_E0_NS1_11comp_targetILNS1_3genE8ELNS1_11target_archE1030ELNS1_3gpuE2ELNS1_3repE0EEENS1_30default_config_static_selectorELNS0_4arch9wavefront6targetE0EEEvT1_
	.p2align	8
	.type	_ZN7rocprim17ROCPRIM_400000_NS6detail17trampoline_kernelINS0_14default_configENS1_20scan_config_selectorIN3c108BFloat16EEEZZNS1_9scan_implILNS1_25lookback_scan_determinismE0ELb0ELb0ES3_PKS6_PS6_S6_ZZZN2at6native31launch_logcumsumexp_cuda_kernelERKNSD_10TensorBaseESH_lENKUlvE_clEvENKUlvE4_clEvEUlS6_S6_E_S6_EEDaPvRmT3_T4_T5_mT6_P12ihipStream_tbENKUlT_T0_E_clISt17integral_constantIbLb0EESX_IbLb1EEEEDaST_SU_EUlST_E0_NS1_11comp_targetILNS1_3genE8ELNS1_11target_archE1030ELNS1_3gpuE2ELNS1_3repE0EEENS1_30default_config_static_selectorELNS0_4arch9wavefront6targetE0EEEvT1_,@function
_ZN7rocprim17ROCPRIM_400000_NS6detail17trampoline_kernelINS0_14default_configENS1_20scan_config_selectorIN3c108BFloat16EEEZZNS1_9scan_implILNS1_25lookback_scan_determinismE0ELb0ELb0ES3_PKS6_PS6_S6_ZZZN2at6native31launch_logcumsumexp_cuda_kernelERKNSD_10TensorBaseESH_lENKUlvE_clEvENKUlvE4_clEvEUlS6_S6_E_S6_EEDaPvRmT3_T4_T5_mT6_P12ihipStream_tbENKUlT_T0_E_clISt17integral_constantIbLb0EESX_IbLb1EEEEDaST_SU_EUlST_E0_NS1_11comp_targetILNS1_3genE8ELNS1_11target_archE1030ELNS1_3gpuE2ELNS1_3repE0EEENS1_30default_config_static_selectorELNS0_4arch9wavefront6targetE0EEEvT1_: ; @_ZN7rocprim17ROCPRIM_400000_NS6detail17trampoline_kernelINS0_14default_configENS1_20scan_config_selectorIN3c108BFloat16EEEZZNS1_9scan_implILNS1_25lookback_scan_determinismE0ELb0ELb0ES3_PKS6_PS6_S6_ZZZN2at6native31launch_logcumsumexp_cuda_kernelERKNSD_10TensorBaseESH_lENKUlvE_clEvENKUlvE4_clEvEUlS6_S6_E_S6_EEDaPvRmT3_T4_T5_mT6_P12ihipStream_tbENKUlT_T0_E_clISt17integral_constantIbLb0EESX_IbLb1EEEEDaST_SU_EUlST_E0_NS1_11comp_targetILNS1_3genE8ELNS1_11target_archE1030ELNS1_3gpuE2ELNS1_3repE0EEENS1_30default_config_static_selectorELNS0_4arch9wavefront6targetE0EEEvT1_
; %bb.0:
	s_load_dwordx4 s[16:19], s[4:5], 0x0
	v_mov_b32_e32 v1, 0
	v_lshlrev_b32_e32 v7, 1, v0
	s_waitcnt lgkmcnt(0)
	global_load_ushort v1, v1, s[16:17]
	v_cmp_gt_u32_e64 s0, s18, v0
	s_waitcnt vmcnt(0)
	v_mov_b32_e32 v2, v1
	s_and_saveexec_b32 s1, s0
	s_cbranch_execz .LBB520_2
; %bb.1:
	global_load_ushort v2, v7, s[16:17]
.LBB520_2:
	s_or_b32 exec_lo, exec_lo, s1
	v_or_b32_e32 v3, 64, v0
	v_cmp_gt_u32_e64 s1, s18, v3
	v_mov_b32_e32 v3, v1
	s_and_saveexec_b32 s2, s1
	s_cbranch_execz .LBB520_4
; %bb.3:
	global_load_ushort v3, v7, s[16:17] offset:128
.LBB520_4:
	s_or_b32 exec_lo, exec_lo, s2
	v_or_b32_e32 v4, 0x80, v0
	v_cmp_gt_u32_e64 s2, s18, v4
	v_mov_b32_e32 v4, v1
	s_and_saveexec_b32 s3, s2
	s_cbranch_execz .LBB520_6
; %bb.5:
	global_load_ushort v4, v7, s[16:17] offset:256
.LBB520_6:
	;; [unrolled: 9-line block ×10, first 2 shown]
	s_or_b32 exec_lo, exec_lo, s13
	v_or_b32_e32 v14, 0x2c0, v0
	s_mov_b32 s14, exec_lo
	v_cmp_gt_u32_e64 s13, s18, v14
	v_cmpx_le_u32_e64 s18, v14
	s_xor_b32 s14, exec_lo, s14
	s_andn2_saveexec_b32 s14, s14
	s_cbranch_execz .LBB520_24
; %bb.23:
	v_lshlrev_b32_e32 v1, 1, v0
	global_load_ushort v1, v1, s[16:17] offset:1408
.LBB520_24:
	s_or_b32 exec_lo, exec_lo, s14
	s_waitcnt vmcnt(0)
	ds_write_b16 v7, v2
	ds_write_b16 v7, v3 offset:128
	ds_write_b16 v7, v4 offset:256
	;; [unrolled: 1-line block ×10, first 2 shown]
	v_mad_u32_u24 v5, v0, 22, v7
	ds_write_b16 v7, v1 offset:1408
	s_waitcnt lgkmcnt(0)
	s_barrier
	buffer_gl0_inv
	ds_read2_b64 v[1:4], v5 offset1:1
	ds_read_b64 v[5:6], v5 offset:16
	s_waitcnt lgkmcnt(0)
	s_barrier
	buffer_gl0_inv
	v_and_b32_e32 v8, 0xffff0000, v1
	v_lshlrev_b32_e32 v25, 16, v1
	v_max_f32_e32 v14, v8, v8
	v_max_f32_e32 v28, v25, v25
	v_cmp_u_f32_e64 s25, v25, v25
	v_cmp_u_f32_e64 s14, v8, v8
	v_min_f32_e32 v26, v28, v14
	v_max_f32_e32 v27, v28, v14
	v_cndmask_b32_e64 v9, v26, v25, s25
	v_cndmask_b32_e64 v10, v27, v25, s25
	;; [unrolled: 1-line block ×4, first 2 shown]
	v_mov_b32_e32 v10, v25
	v_cmp_class_f32_e64 s15, v11, 0x1f8
	v_cmp_neq_f32_e32 vcc_lo, v11, v9
	s_or_b32 s16, vcc_lo, s15
	s_and_saveexec_b32 s15, s16
	s_cbranch_execz .LBB520_26
; %bb.25:
	v_sub_f32_e32 v10, v11, v9
	s_mov_b32 s16, 0x3e9b6dac
	v_mul_f32_e32 v11, 0x3fb8aa3b, v10
	v_cmp_ngt_f32_e32 vcc_lo, 0xc2ce8ed0, v10
	v_fma_f32 v12, 0x3fb8aa3b, v10, -v11
	v_rndne_f32_e32 v13, v11
	v_fmamk_f32 v12, v10, 0x32a5705f, v12
	v_sub_f32_e32 v11, v11, v13
	v_add_f32_e32 v11, v11, v12
	v_cvt_i32_f32_e32 v12, v13
	v_exp_f32_e32 v11, v11
	v_ldexp_f32 v11, v11, v12
	v_cndmask_b32_e32 v11, 0, v11, vcc_lo
	v_cmp_nlt_f32_e32 vcc_lo, 0x42b17218, v10
	v_cndmask_b32_e32 v12, 0x7f800000, v11, vcc_lo
	v_add_f32_e32 v13, 1.0, v12
	v_cvt_f64_f32_e32 v[10:11], v13
	v_frexp_exp_i32_f64_e32 v10, v[10:11]
	v_frexp_mant_f32_e32 v11, v13
	v_cmp_gt_f32_e32 vcc_lo, 0x3f2aaaab, v11
	v_add_f32_e32 v11, -1.0, v13
	v_sub_f32_e32 v16, v11, v13
	v_sub_f32_e32 v11, v12, v11
	v_add_f32_e32 v16, 1.0, v16
	v_add_f32_e32 v11, v11, v16
	v_subrev_co_ci_u32_e64 v10, null, 0, v10, vcc_lo
	v_cmp_neq_f32_e32 vcc_lo, 0x7f800000, v12
	v_sub_nc_u32_e32 v15, 0, v10
	v_cvt_f32_i32_e32 v10, v10
	v_ldexp_f32 v13, v13, v15
	v_ldexp_f32 v11, v11, v15
	v_add_f32_e32 v17, 1.0, v13
	v_add_f32_e32 v15, -1.0, v13
	v_add_f32_e32 v16, -1.0, v17
	v_add_f32_e32 v18, 1.0, v15
	v_sub_f32_e32 v16, v13, v16
	v_sub_f32_e32 v13, v13, v18
	v_add_f32_e32 v16, v11, v16
	v_add_f32_e32 v11, v11, v13
	;; [unrolled: 1-line block ×4, first 2 shown]
	v_rcp_f32_e32 v13, v18
	v_sub_f32_e32 v17, v17, v18
	v_sub_f32_e32 v15, v15, v19
	v_add_f32_e32 v16, v16, v17
	v_add_f32_e32 v11, v11, v15
	v_mul_f32_e32 v20, v19, v13
	v_mul_f32_e32 v21, v18, v20
	v_fma_f32 v17, v20, v18, -v21
	v_fmac_f32_e32 v17, v20, v16
	v_add_f32_e32 v22, v21, v17
	v_sub_f32_e32 v23, v19, v22
	v_sub_f32_e32 v15, v22, v21
	;; [unrolled: 1-line block ×5, first 2 shown]
	v_add_f32_e32 v11, v11, v19
	v_add_f32_e32 v11, v15, v11
	;; [unrolled: 1-line block ×3, first 2 shown]
	v_mul_f32_e32 v17, v13, v15
	v_sub_f32_e32 v22, v23, v15
	v_mul_f32_e32 v19, v18, v17
	v_add_f32_e32 v11, v11, v22
	v_fma_f32 v18, v17, v18, -v19
	v_fmac_f32_e32 v18, v17, v16
	v_add_f32_e32 v16, v19, v18
	v_sub_f32_e32 v21, v15, v16
	v_sub_f32_e32 v19, v16, v19
	;; [unrolled: 1-line block ×5, first 2 shown]
	v_add_f32_e32 v11, v11, v15
	v_add_f32_e32 v15, v20, v17
	;; [unrolled: 1-line block ×3, first 2 shown]
	v_sub_f32_e32 v16, v15, v20
	v_add_f32_e32 v11, v21, v11
	v_sub_f32_e32 v16, v17, v16
	v_mul_f32_e32 v11, v13, v11
	v_add_f32_e32 v11, v16, v11
	v_add_f32_e32 v13, v15, v11
	v_mul_f32_e32 v16, v13, v13
	v_fmaak_f32 v17, s16, v16, 0x3ecc95a3
	v_mul_f32_e32 v18, v13, v16
	v_fmaak_f32 v16, v16, v17, 0x3f2aaada
	v_ldexp_f32 v17, v13, 1
	v_sub_f32_e32 v13, v13, v15
	v_mul_f32_e32 v16, v18, v16
	v_mul_f32_e32 v18, 0x3f317218, v10
	v_sub_f32_e32 v11, v11, v13
	v_add_f32_e32 v15, v17, v16
	v_ldexp_f32 v11, v11, 1
	v_sub_f32_e32 v13, v15, v17
	v_fma_f32 v17, 0x3f317218, v10, -v18
	v_sub_f32_e32 v13, v16, v13
	v_fmamk_f32 v10, v10, 0xb102e308, v17
	v_add_f32_e32 v11, v11, v13
	v_add_f32_e32 v13, v18, v10
	;; [unrolled: 1-line block ×3, first 2 shown]
	v_sub_f32_e32 v18, v13, v18
	v_add_f32_e32 v17, v13, v16
	v_sub_f32_e32 v15, v16, v15
	v_sub_f32_e32 v10, v10, v18
	;; [unrolled: 1-line block ×6, first 2 shown]
	v_add_f32_e32 v16, v10, v11
	v_sub_f32_e32 v13, v13, v20
	v_add_f32_e32 v13, v15, v13
	v_sub_f32_e32 v15, v16, v10
	;; [unrolled: 2-line block ×3, first 2 shown]
	v_sub_f32_e32 v11, v11, v15
	v_add_f32_e32 v18, v17, v13
	v_sub_f32_e32 v10, v10, v16
	v_sub_f32_e32 v15, v18, v17
	v_add_f32_e32 v10, v11, v10
	v_sub_f32_e32 v11, v13, v15
	v_add_f32_e32 v10, v10, v11
	v_add_f32_e32 v10, v18, v10
	v_cndmask_b32_e32 v10, 0x7f800000, v10, vcc_lo
	v_cmp_gt_f32_e64 vcc_lo, 0x33800000, |v12|
	v_cndmask_b32_e32 v10, v10, v12, vcc_lo
	v_add_f32_e32 v10, v9, v10
.LBB520_26:
	s_or_b32 exec_lo, exec_lo, s15
	v_bfe_u32 v9, v10, 16, 1
	v_cmp_o_f32_e32 vcc_lo, v10, v10
	v_add3_u32 v9, v10, v9, 0x7fff
	v_and_b32_e32 v11, 0xffff0000, v9
	v_lshlrev_b32_e32 v9, 16, v2
	v_cndmask_b32_e32 v12, 0x7fc00000, v11, vcc_lo
	v_max_f32_e32 v11, v9, v9
	v_cmp_u_f32_e64 s15, v9, v9
	v_max_f32_e32 v10, v12, v12
	v_cmp_u_f32_e32 vcc_lo, v12, v12
	v_min_f32_e32 v13, v10, v11
	v_max_f32_e32 v10, v10, v11
	v_cndmask_b32_e32 v13, v13, v12, vcc_lo
	v_cndmask_b32_e32 v10, v10, v12, vcc_lo
	v_cndmask_b32_e64 v13, v13, v9, s15
	v_cndmask_b32_e64 v10, v10, v9, s15
	v_cmp_class_f32_e64 s16, v13, 0x1f8
	v_cmp_neq_f32_e32 vcc_lo, v13, v10
	s_or_b32 s17, vcc_lo, s16
	s_and_saveexec_b32 s16, s17
	s_cbranch_execz .LBB520_28
; %bb.27:
	v_sub_f32_e32 v12, v13, v10
	s_mov_b32 s17, 0x3e9b6dac
	v_mul_f32_e32 v13, 0x3fb8aa3b, v12
	v_cmp_ngt_f32_e32 vcc_lo, 0xc2ce8ed0, v12
	v_fma_f32 v15, 0x3fb8aa3b, v12, -v13
	v_rndne_f32_e32 v16, v13
	v_fmamk_f32 v15, v12, 0x32a5705f, v15
	v_sub_f32_e32 v13, v13, v16
	v_add_f32_e32 v13, v13, v15
	v_cvt_i32_f32_e32 v15, v16
	v_exp_f32_e32 v13, v13
	v_ldexp_f32 v13, v13, v15
	v_cndmask_b32_e32 v13, 0, v13, vcc_lo
	v_cmp_nlt_f32_e32 vcc_lo, 0x42b17218, v12
	v_cndmask_b32_e32 v15, 0x7f800000, v13, vcc_lo
	v_add_f32_e32 v16, 1.0, v15
	v_cvt_f64_f32_e32 v[12:13], v16
	v_frexp_exp_i32_f64_e32 v12, v[12:13]
	v_frexp_mant_f32_e32 v13, v16
	v_cmp_gt_f32_e32 vcc_lo, 0x3f2aaaab, v13
	v_add_f32_e32 v13, -1.0, v16
	v_sub_f32_e32 v18, v13, v16
	v_sub_f32_e32 v13, v15, v13
	v_add_f32_e32 v18, 1.0, v18
	v_add_f32_e32 v13, v13, v18
	v_subrev_co_ci_u32_e64 v12, null, 0, v12, vcc_lo
	v_cmp_neq_f32_e32 vcc_lo, 0x7f800000, v15
	v_sub_nc_u32_e32 v17, 0, v12
	v_cvt_f32_i32_e32 v12, v12
	v_ldexp_f32 v16, v16, v17
	v_ldexp_f32 v13, v13, v17
	v_add_f32_e32 v19, 1.0, v16
	v_add_f32_e32 v17, -1.0, v16
	v_add_f32_e32 v18, -1.0, v19
	v_add_f32_e32 v20, 1.0, v17
	v_sub_f32_e32 v18, v16, v18
	v_sub_f32_e32 v16, v16, v20
	v_add_f32_e32 v18, v13, v18
	v_add_f32_e32 v13, v13, v16
	;; [unrolled: 1-line block ×4, first 2 shown]
	v_rcp_f32_e32 v16, v20
	v_sub_f32_e32 v19, v19, v20
	v_sub_f32_e32 v17, v17, v21
	v_add_f32_e32 v18, v18, v19
	v_add_f32_e32 v13, v13, v17
	v_mul_f32_e32 v22, v21, v16
	v_mul_f32_e32 v23, v20, v22
	v_fma_f32 v19, v22, v20, -v23
	v_fmac_f32_e32 v19, v22, v18
	v_add_f32_e32 v24, v23, v19
	v_sub_f32_e32 v29, v21, v24
	v_sub_f32_e32 v17, v24, v23
	;; [unrolled: 1-line block ×5, first 2 shown]
	v_add_f32_e32 v13, v13, v21
	v_add_f32_e32 v13, v17, v13
	v_add_f32_e32 v17, v29, v13
	v_mul_f32_e32 v19, v16, v17
	v_sub_f32_e32 v24, v29, v17
	v_mul_f32_e32 v21, v20, v19
	v_add_f32_e32 v13, v13, v24
	v_fma_f32 v20, v19, v20, -v21
	v_fmac_f32_e32 v20, v19, v18
	v_add_f32_e32 v18, v21, v20
	v_sub_f32_e32 v23, v17, v18
	v_sub_f32_e32 v21, v18, v21
	;; [unrolled: 1-line block ×5, first 2 shown]
	v_add_f32_e32 v13, v13, v17
	v_add_f32_e32 v17, v22, v19
	v_add_f32_e32 v13, v18, v13
	v_sub_f32_e32 v18, v17, v22
	v_add_f32_e32 v13, v23, v13
	v_sub_f32_e32 v18, v19, v18
	v_mul_f32_e32 v13, v16, v13
	v_add_f32_e32 v13, v18, v13
	v_add_f32_e32 v16, v17, v13
	v_mul_f32_e32 v18, v16, v16
	v_fmaak_f32 v19, s17, v18, 0x3ecc95a3
	v_mul_f32_e32 v20, v16, v18
	v_fmaak_f32 v18, v18, v19, 0x3f2aaada
	v_ldexp_f32 v19, v16, 1
	v_sub_f32_e32 v16, v16, v17
	v_mul_f32_e32 v18, v20, v18
	v_mul_f32_e32 v20, 0x3f317218, v12
	v_sub_f32_e32 v13, v13, v16
	v_add_f32_e32 v17, v19, v18
	v_ldexp_f32 v13, v13, 1
	v_sub_f32_e32 v16, v17, v19
	v_fma_f32 v19, 0x3f317218, v12, -v20
	v_sub_f32_e32 v16, v18, v16
	v_fmamk_f32 v12, v12, 0xb102e308, v19
	v_add_f32_e32 v13, v13, v16
	v_add_f32_e32 v16, v20, v12
	v_add_f32_e32 v18, v17, v13
	v_sub_f32_e32 v20, v16, v20
	v_add_f32_e32 v19, v16, v18
	v_sub_f32_e32 v17, v18, v17
	v_sub_f32_e32 v12, v12, v20
	;; [unrolled: 1-line block ×6, first 2 shown]
	v_add_f32_e32 v18, v12, v13
	v_sub_f32_e32 v16, v16, v22
	v_add_f32_e32 v16, v17, v16
	v_sub_f32_e32 v17, v18, v12
	;; [unrolled: 2-line block ×3, first 2 shown]
	v_sub_f32_e32 v13, v13, v17
	v_add_f32_e32 v20, v19, v16
	v_sub_f32_e32 v12, v12, v18
	v_sub_f32_e32 v17, v20, v19
	v_add_f32_e32 v12, v13, v12
	v_sub_f32_e32 v13, v16, v17
	v_add_f32_e32 v12, v12, v13
	v_add_f32_e32 v12, v20, v12
	v_cndmask_b32_e32 v12, 0x7f800000, v12, vcc_lo
	v_cmp_gt_f32_e64 vcc_lo, 0x33800000, |v15|
	v_cndmask_b32_e32 v12, v12, v15, vcc_lo
	v_add_f32_e32 v12, v10, v12
.LBB520_28:
	s_or_b32 exec_lo, exec_lo, s16
	v_bfe_u32 v10, v12, 16, 1
	v_cmp_o_f32_e32 vcc_lo, v12, v12
	v_and_b32_e32 v2, 0xffff0000, v2
	v_add3_u32 v10, v12, v10, 0x7fff
	v_max_f32_e32 v13, v2, v2
	v_cmp_u_f32_e64 s16, v2, v2
	v_and_b32_e32 v10, 0xffff0000, v10
	v_cndmask_b32_e32 v12, 0x7fc00000, v10, vcc_lo
	v_max_f32_e32 v10, v12, v12
	v_cmp_u_f32_e32 vcc_lo, v12, v12
	v_min_f32_e32 v15, v10, v13
	v_max_f32_e32 v10, v10, v13
	v_cndmask_b32_e32 v15, v15, v12, vcc_lo
	v_cndmask_b32_e32 v10, v10, v12, vcc_lo
	v_cndmask_b32_e64 v15, v15, v2, s16
	v_cndmask_b32_e64 v10, v10, v2, s16
	v_cmp_class_f32_e64 s17, v15, 0x1f8
	v_cmp_neq_f32_e32 vcc_lo, v15, v10
	s_or_b32 s18, vcc_lo, s17
	s_and_saveexec_b32 s17, s18
	s_cbranch_execz .LBB520_30
; %bb.29:
	v_sub_f32_e32 v12, v15, v10
	s_mov_b32 s18, 0x3e9b6dac
	v_mul_f32_e32 v15, 0x3fb8aa3b, v12
	v_cmp_ngt_f32_e32 vcc_lo, 0xc2ce8ed0, v12
	v_fma_f32 v16, 0x3fb8aa3b, v12, -v15
	v_rndne_f32_e32 v17, v15
	v_fmamk_f32 v16, v12, 0x32a5705f, v16
	v_sub_f32_e32 v15, v15, v17
	v_add_f32_e32 v15, v15, v16
	v_cvt_i32_f32_e32 v16, v17
	v_exp_f32_e32 v15, v15
	v_ldexp_f32 v15, v15, v16
	v_cndmask_b32_e32 v15, 0, v15, vcc_lo
	v_cmp_nlt_f32_e32 vcc_lo, 0x42b17218, v12
	v_cndmask_b32_e32 v12, 0x7f800000, v15, vcc_lo
	v_add_f32_e32 v17, 1.0, v12
	v_cvt_f64_f32_e32 v[15:16], v17
	v_frexp_exp_i32_f64_e32 v15, v[15:16]
	v_frexp_mant_f32_e32 v16, v17
	v_cmp_gt_f32_e32 vcc_lo, 0x3f2aaaab, v16
	v_add_f32_e32 v16, -1.0, v17
	v_sub_f32_e32 v19, v16, v17
	v_sub_f32_e32 v16, v12, v16
	v_add_f32_e32 v19, 1.0, v19
	v_add_f32_e32 v16, v16, v19
	v_subrev_co_ci_u32_e64 v15, null, 0, v15, vcc_lo
	v_cmp_neq_f32_e32 vcc_lo, 0x7f800000, v12
	v_sub_nc_u32_e32 v18, 0, v15
	v_cvt_f32_i32_e32 v15, v15
	v_ldexp_f32 v17, v17, v18
	v_ldexp_f32 v16, v16, v18
	v_add_f32_e32 v20, 1.0, v17
	v_add_f32_e32 v18, -1.0, v17
	v_add_f32_e32 v19, -1.0, v20
	v_add_f32_e32 v21, 1.0, v18
	v_sub_f32_e32 v19, v17, v19
	v_sub_f32_e32 v17, v17, v21
	v_add_f32_e32 v19, v16, v19
	v_add_f32_e32 v16, v16, v17
	;; [unrolled: 1-line block ×4, first 2 shown]
	v_rcp_f32_e32 v17, v21
	v_sub_f32_e32 v20, v20, v21
	v_sub_f32_e32 v18, v18, v22
	v_add_f32_e32 v19, v19, v20
	v_add_f32_e32 v16, v16, v18
	v_mul_f32_e32 v23, v22, v17
	v_mul_f32_e32 v24, v21, v23
	v_fma_f32 v20, v23, v21, -v24
	v_fmac_f32_e32 v20, v23, v19
	v_add_f32_e32 v29, v24, v20
	v_sub_f32_e32 v30, v22, v29
	v_sub_f32_e32 v18, v29, v24
	;; [unrolled: 1-line block ×5, first 2 shown]
	v_add_f32_e32 v16, v16, v22
	v_add_f32_e32 v16, v18, v16
	v_add_f32_e32 v18, v30, v16
	v_mul_f32_e32 v20, v17, v18
	v_sub_f32_e32 v29, v30, v18
	v_mul_f32_e32 v22, v21, v20
	v_add_f32_e32 v16, v16, v29
	v_fma_f32 v21, v20, v21, -v22
	v_fmac_f32_e32 v21, v20, v19
	v_add_f32_e32 v19, v22, v21
	v_sub_f32_e32 v24, v18, v19
	v_sub_f32_e32 v22, v19, v22
	;; [unrolled: 1-line block ×5, first 2 shown]
	v_add_f32_e32 v16, v16, v18
	v_add_f32_e32 v18, v23, v20
	;; [unrolled: 1-line block ×3, first 2 shown]
	v_sub_f32_e32 v19, v18, v23
	v_add_f32_e32 v16, v24, v16
	v_sub_f32_e32 v19, v20, v19
	v_mul_f32_e32 v16, v17, v16
	v_add_f32_e32 v16, v19, v16
	v_add_f32_e32 v17, v18, v16
	v_mul_f32_e32 v19, v17, v17
	v_fmaak_f32 v20, s18, v19, 0x3ecc95a3
	v_mul_f32_e32 v21, v17, v19
	v_fmaak_f32 v19, v19, v20, 0x3f2aaada
	v_ldexp_f32 v20, v17, 1
	v_sub_f32_e32 v17, v17, v18
	v_mul_f32_e32 v19, v21, v19
	v_mul_f32_e32 v21, 0x3f317218, v15
	v_sub_f32_e32 v16, v16, v17
	v_add_f32_e32 v18, v20, v19
	v_ldexp_f32 v16, v16, 1
	v_sub_f32_e32 v17, v18, v20
	v_fma_f32 v20, 0x3f317218, v15, -v21
	v_sub_f32_e32 v17, v19, v17
	v_fmamk_f32 v15, v15, 0xb102e308, v20
	v_add_f32_e32 v16, v16, v17
	v_add_f32_e32 v17, v21, v15
	;; [unrolled: 1-line block ×3, first 2 shown]
	v_sub_f32_e32 v21, v17, v21
	v_add_f32_e32 v20, v17, v19
	v_sub_f32_e32 v18, v19, v18
	v_sub_f32_e32 v15, v15, v21
	v_sub_f32_e32 v22, v20, v17
	v_sub_f32_e32 v16, v16, v18
	v_sub_f32_e32 v23, v20, v22
	v_sub_f32_e32 v18, v19, v22
	v_add_f32_e32 v19, v15, v16
	v_sub_f32_e32 v17, v17, v23
	v_add_f32_e32 v17, v18, v17
	v_sub_f32_e32 v18, v19, v15
	;; [unrolled: 2-line block ×3, first 2 shown]
	v_sub_f32_e32 v16, v16, v18
	v_add_f32_e32 v21, v20, v17
	v_sub_f32_e32 v15, v15, v19
	v_sub_f32_e32 v18, v21, v20
	v_add_f32_e32 v15, v16, v15
	v_sub_f32_e32 v16, v17, v18
	v_add_f32_e32 v15, v15, v16
	v_add_f32_e32 v15, v21, v15
	v_cndmask_b32_e32 v15, 0x7f800000, v15, vcc_lo
	v_cmp_gt_f32_e64 vcc_lo, 0x33800000, |v12|
	v_cndmask_b32_e32 v12, v15, v12, vcc_lo
	v_add_f32_e32 v12, v10, v12
.LBB520_30:
	s_or_b32 exec_lo, exec_lo, s17
	v_bfe_u32 v10, v12, 16, 1
	v_cmp_o_f32_e32 vcc_lo, v12, v12
	v_add3_u32 v10, v12, v10, 0x7fff
	v_and_b32_e32 v15, 0xffff0000, v10
	v_lshlrev_b32_e32 v10, 16, v3
	v_cndmask_b32_e32 v16, 0x7fc00000, v15, vcc_lo
	v_max_f32_e32 v15, v10, v10
	v_cmp_u_f32_e64 s17, v10, v10
	v_max_f32_e32 v12, v16, v16
	v_cmp_u_f32_e32 vcc_lo, v16, v16
	v_min_f32_e32 v17, v12, v15
	v_max_f32_e32 v12, v12, v15
	v_cndmask_b32_e32 v17, v17, v16, vcc_lo
	v_cndmask_b32_e32 v12, v12, v16, vcc_lo
	v_cndmask_b32_e64 v17, v17, v10, s17
	v_cndmask_b32_e64 v12, v12, v10, s17
	v_cmp_class_f32_e64 s18, v17, 0x1f8
	v_cmp_neq_f32_e32 vcc_lo, v17, v12
	s_or_b32 s19, vcc_lo, s18
	s_and_saveexec_b32 s18, s19
	s_cbranch_execz .LBB520_32
; %bb.31:
	v_sub_f32_e32 v16, v17, v12
	s_mov_b32 s19, 0x3e9b6dac
	v_mul_f32_e32 v17, 0x3fb8aa3b, v16
	v_cmp_ngt_f32_e32 vcc_lo, 0xc2ce8ed0, v16
	v_fma_f32 v18, 0x3fb8aa3b, v16, -v17
	v_rndne_f32_e32 v19, v17
	v_fmamk_f32 v18, v16, 0x32a5705f, v18
	v_sub_f32_e32 v17, v17, v19
	v_add_f32_e32 v17, v17, v18
	v_cvt_i32_f32_e32 v18, v19
	v_exp_f32_e32 v17, v17
	v_ldexp_f32 v17, v17, v18
	v_cndmask_b32_e32 v17, 0, v17, vcc_lo
	v_cmp_nlt_f32_e32 vcc_lo, 0x42b17218, v16
	v_cndmask_b32_e32 v18, 0x7f800000, v17, vcc_lo
	v_add_f32_e32 v19, 1.0, v18
	v_cvt_f64_f32_e32 v[16:17], v19
	v_frexp_exp_i32_f64_e32 v16, v[16:17]
	v_frexp_mant_f32_e32 v17, v19
	v_cmp_gt_f32_e32 vcc_lo, 0x3f2aaaab, v17
	v_add_f32_e32 v17, -1.0, v19
	v_sub_f32_e32 v21, v17, v19
	v_sub_f32_e32 v17, v18, v17
	v_add_f32_e32 v21, 1.0, v21
	v_add_f32_e32 v17, v17, v21
	v_subrev_co_ci_u32_e64 v16, null, 0, v16, vcc_lo
	v_cmp_neq_f32_e32 vcc_lo, 0x7f800000, v18
	v_sub_nc_u32_e32 v20, 0, v16
	v_cvt_f32_i32_e32 v16, v16
	v_ldexp_f32 v19, v19, v20
	v_ldexp_f32 v17, v17, v20
	v_add_f32_e32 v22, 1.0, v19
	v_add_f32_e32 v20, -1.0, v19
	v_add_f32_e32 v21, -1.0, v22
	v_add_f32_e32 v23, 1.0, v20
	v_sub_f32_e32 v21, v19, v21
	v_sub_f32_e32 v19, v19, v23
	v_add_f32_e32 v21, v17, v21
	v_add_f32_e32 v17, v17, v19
	;; [unrolled: 1-line block ×4, first 2 shown]
	v_rcp_f32_e32 v19, v23
	v_sub_f32_e32 v22, v22, v23
	v_sub_f32_e32 v20, v20, v24
	v_add_f32_e32 v21, v21, v22
	v_add_f32_e32 v17, v17, v20
	v_mul_f32_e32 v29, v24, v19
	v_mul_f32_e32 v30, v23, v29
	v_fma_f32 v22, v29, v23, -v30
	v_fmac_f32_e32 v22, v29, v21
	v_add_f32_e32 v31, v30, v22
	v_sub_f32_e32 v32, v24, v31
	v_sub_f32_e32 v20, v31, v30
	;; [unrolled: 1-line block ×5, first 2 shown]
	v_add_f32_e32 v17, v17, v24
	v_add_f32_e32 v17, v20, v17
	;; [unrolled: 1-line block ×3, first 2 shown]
	v_mul_f32_e32 v22, v19, v20
	v_sub_f32_e32 v31, v32, v20
	v_mul_f32_e32 v24, v23, v22
	v_add_f32_e32 v17, v17, v31
	v_fma_f32 v23, v22, v23, -v24
	v_fmac_f32_e32 v23, v22, v21
	v_add_f32_e32 v21, v24, v23
	v_sub_f32_e32 v30, v20, v21
	v_sub_f32_e32 v24, v21, v24
	;; [unrolled: 1-line block ×5, first 2 shown]
	v_add_f32_e32 v17, v17, v20
	v_add_f32_e32 v20, v29, v22
	;; [unrolled: 1-line block ×3, first 2 shown]
	v_sub_f32_e32 v21, v20, v29
	v_add_f32_e32 v17, v30, v17
	v_sub_f32_e32 v21, v22, v21
	v_mul_f32_e32 v17, v19, v17
	v_add_f32_e32 v17, v21, v17
	v_add_f32_e32 v19, v20, v17
	v_mul_f32_e32 v21, v19, v19
	v_fmaak_f32 v22, s19, v21, 0x3ecc95a3
	v_mul_f32_e32 v23, v19, v21
	v_fmaak_f32 v21, v21, v22, 0x3f2aaada
	v_ldexp_f32 v22, v19, 1
	v_sub_f32_e32 v19, v19, v20
	v_mul_f32_e32 v21, v23, v21
	v_mul_f32_e32 v23, 0x3f317218, v16
	v_sub_f32_e32 v17, v17, v19
	v_add_f32_e32 v20, v22, v21
	v_ldexp_f32 v17, v17, 1
	v_sub_f32_e32 v19, v20, v22
	v_fma_f32 v22, 0x3f317218, v16, -v23
	v_sub_f32_e32 v19, v21, v19
	v_fmamk_f32 v16, v16, 0xb102e308, v22
	v_add_f32_e32 v17, v17, v19
	v_add_f32_e32 v19, v23, v16
	;; [unrolled: 1-line block ×3, first 2 shown]
	v_sub_f32_e32 v23, v19, v23
	v_add_f32_e32 v22, v19, v21
	v_sub_f32_e32 v20, v21, v20
	v_sub_f32_e32 v16, v16, v23
	;; [unrolled: 1-line block ×6, first 2 shown]
	v_add_f32_e32 v21, v16, v17
	v_sub_f32_e32 v19, v19, v29
	v_add_f32_e32 v19, v20, v19
	v_sub_f32_e32 v20, v21, v16
	v_add_f32_e32 v19, v21, v19
	v_sub_f32_e32 v21, v21, v20
	v_sub_f32_e32 v17, v17, v20
	v_add_f32_e32 v23, v22, v19
	v_sub_f32_e32 v16, v16, v21
	v_sub_f32_e32 v20, v23, v22
	v_add_f32_e32 v16, v17, v16
	v_sub_f32_e32 v17, v19, v20
	v_add_f32_e32 v16, v16, v17
	v_add_f32_e32 v16, v23, v16
	v_cndmask_b32_e32 v16, 0x7f800000, v16, vcc_lo
	v_cmp_gt_f32_e64 vcc_lo, 0x33800000, |v18|
	v_cndmask_b32_e32 v16, v16, v18, vcc_lo
	v_add_f32_e32 v16, v12, v16
.LBB520_32:
	s_or_b32 exec_lo, exec_lo, s18
	v_bfe_u32 v12, v16, 16, 1
	v_cmp_o_f32_e32 vcc_lo, v16, v16
	v_and_b32_e32 v3, 0xffff0000, v3
	v_add3_u32 v12, v16, v12, 0x7fff
	v_max_f32_e32 v17, v3, v3
	v_cmp_u_f32_e64 s18, v3, v3
	v_and_b32_e32 v12, 0xffff0000, v12
	v_cndmask_b32_e32 v16, 0x7fc00000, v12, vcc_lo
	v_max_f32_e32 v12, v16, v16
	v_cmp_u_f32_e32 vcc_lo, v16, v16
	v_min_f32_e32 v18, v12, v17
	v_max_f32_e32 v12, v12, v17
	v_cndmask_b32_e32 v18, v18, v16, vcc_lo
	v_cndmask_b32_e32 v12, v12, v16, vcc_lo
	v_cndmask_b32_e64 v18, v18, v3, s18
	v_cndmask_b32_e64 v12, v12, v3, s18
	v_cmp_class_f32_e64 s19, v18, 0x1f8
	v_cmp_neq_f32_e32 vcc_lo, v18, v12
	s_or_b32 s20, vcc_lo, s19
	s_and_saveexec_b32 s19, s20
	s_cbranch_execz .LBB520_34
; %bb.33:
	v_sub_f32_e32 v16, v18, v12
	s_mov_b32 s20, 0x3e9b6dac
	v_mul_f32_e32 v18, 0x3fb8aa3b, v16
	v_cmp_ngt_f32_e32 vcc_lo, 0xc2ce8ed0, v16
	v_fma_f32 v19, 0x3fb8aa3b, v16, -v18
	v_rndne_f32_e32 v20, v18
	v_fmamk_f32 v19, v16, 0x32a5705f, v19
	v_sub_f32_e32 v18, v18, v20
	v_add_f32_e32 v18, v18, v19
	v_cvt_i32_f32_e32 v19, v20
	v_exp_f32_e32 v18, v18
	v_ldexp_f32 v18, v18, v19
	v_cndmask_b32_e32 v18, 0, v18, vcc_lo
	v_cmp_nlt_f32_e32 vcc_lo, 0x42b17218, v16
	v_cndmask_b32_e32 v16, 0x7f800000, v18, vcc_lo
	v_add_f32_e32 v20, 1.0, v16
	v_cvt_f64_f32_e32 v[18:19], v20
	v_frexp_exp_i32_f64_e32 v18, v[18:19]
	v_frexp_mant_f32_e32 v19, v20
	v_cmp_gt_f32_e32 vcc_lo, 0x3f2aaaab, v19
	v_add_f32_e32 v19, -1.0, v20
	v_sub_f32_e32 v22, v19, v20
	v_sub_f32_e32 v19, v16, v19
	v_add_f32_e32 v22, 1.0, v22
	v_add_f32_e32 v19, v19, v22
	v_subrev_co_ci_u32_e64 v18, null, 0, v18, vcc_lo
	v_cmp_neq_f32_e32 vcc_lo, 0x7f800000, v16
	v_sub_nc_u32_e32 v21, 0, v18
	v_cvt_f32_i32_e32 v18, v18
	v_ldexp_f32 v20, v20, v21
	v_ldexp_f32 v19, v19, v21
	v_add_f32_e32 v23, 1.0, v20
	v_add_f32_e32 v21, -1.0, v20
	v_add_f32_e32 v22, -1.0, v23
	v_add_f32_e32 v24, 1.0, v21
	v_sub_f32_e32 v22, v20, v22
	v_sub_f32_e32 v20, v20, v24
	v_add_f32_e32 v22, v19, v22
	v_add_f32_e32 v19, v19, v20
	;; [unrolled: 1-line block ×4, first 2 shown]
	v_rcp_f32_e32 v20, v24
	v_sub_f32_e32 v23, v23, v24
	v_sub_f32_e32 v21, v21, v29
	v_add_f32_e32 v22, v22, v23
	v_add_f32_e32 v19, v19, v21
	v_mul_f32_e32 v30, v29, v20
	v_mul_f32_e32 v31, v24, v30
	v_fma_f32 v23, v30, v24, -v31
	v_fmac_f32_e32 v23, v30, v22
	v_add_f32_e32 v32, v31, v23
	v_sub_f32_e32 v33, v29, v32
	v_sub_f32_e32 v21, v32, v31
	;; [unrolled: 1-line block ×5, first 2 shown]
	v_add_f32_e32 v19, v19, v29
	v_add_f32_e32 v19, v21, v19
	;; [unrolled: 1-line block ×3, first 2 shown]
	v_mul_f32_e32 v23, v20, v21
	v_sub_f32_e32 v32, v33, v21
	v_mul_f32_e32 v29, v24, v23
	v_add_f32_e32 v19, v19, v32
	v_fma_f32 v24, v23, v24, -v29
	v_fmac_f32_e32 v24, v23, v22
	v_add_f32_e32 v22, v29, v24
	v_sub_f32_e32 v31, v21, v22
	v_sub_f32_e32 v29, v22, v29
	;; [unrolled: 1-line block ×5, first 2 shown]
	v_add_f32_e32 v19, v19, v21
	v_add_f32_e32 v21, v30, v23
	;; [unrolled: 1-line block ×3, first 2 shown]
	v_sub_f32_e32 v22, v21, v30
	v_add_f32_e32 v19, v31, v19
	v_sub_f32_e32 v22, v23, v22
	v_mul_f32_e32 v19, v20, v19
	v_add_f32_e32 v19, v22, v19
	v_add_f32_e32 v20, v21, v19
	v_mul_f32_e32 v22, v20, v20
	v_fmaak_f32 v23, s20, v22, 0x3ecc95a3
	v_mul_f32_e32 v24, v20, v22
	v_fmaak_f32 v22, v22, v23, 0x3f2aaada
	v_ldexp_f32 v23, v20, 1
	v_sub_f32_e32 v20, v20, v21
	v_mul_f32_e32 v22, v24, v22
	v_mul_f32_e32 v24, 0x3f317218, v18
	v_sub_f32_e32 v19, v19, v20
	v_add_f32_e32 v21, v23, v22
	v_ldexp_f32 v19, v19, 1
	v_sub_f32_e32 v20, v21, v23
	v_fma_f32 v23, 0x3f317218, v18, -v24
	v_sub_f32_e32 v20, v22, v20
	v_fmamk_f32 v18, v18, 0xb102e308, v23
	v_add_f32_e32 v19, v19, v20
	v_add_f32_e32 v20, v24, v18
	v_add_f32_e32 v22, v21, v19
	v_sub_f32_e32 v24, v20, v24
	v_add_f32_e32 v23, v20, v22
	v_sub_f32_e32 v21, v22, v21
	v_sub_f32_e32 v18, v18, v24
	;; [unrolled: 1-line block ×6, first 2 shown]
	v_add_f32_e32 v22, v18, v19
	v_sub_f32_e32 v20, v20, v30
	v_add_f32_e32 v20, v21, v20
	v_sub_f32_e32 v21, v22, v18
	v_add_f32_e32 v20, v22, v20
	v_sub_f32_e32 v22, v22, v21
	v_sub_f32_e32 v19, v19, v21
	v_add_f32_e32 v24, v23, v20
	v_sub_f32_e32 v18, v18, v22
	v_sub_f32_e32 v21, v24, v23
	v_add_f32_e32 v18, v19, v18
	v_sub_f32_e32 v19, v20, v21
	v_add_f32_e32 v18, v18, v19
	v_add_f32_e32 v18, v24, v18
	v_cndmask_b32_e32 v18, 0x7f800000, v18, vcc_lo
	v_cmp_gt_f32_e64 vcc_lo, 0x33800000, |v16|
	v_cndmask_b32_e32 v16, v18, v16, vcc_lo
	v_add_f32_e32 v16, v12, v16
.LBB520_34:
	s_or_b32 exec_lo, exec_lo, s19
	v_bfe_u32 v12, v16, 16, 1
	v_cmp_o_f32_e32 vcc_lo, v16, v16
	v_add3_u32 v12, v16, v12, 0x7fff
	v_and_b32_e32 v18, 0xffff0000, v12
	v_lshlrev_b32_e32 v12, 16, v4
	v_cndmask_b32_e32 v19, 0x7fc00000, v18, vcc_lo
	v_max_f32_e32 v18, v12, v12
	v_cmp_u_f32_e64 s19, v12, v12
	v_max_f32_e32 v16, v19, v19
	v_cmp_u_f32_e32 vcc_lo, v19, v19
	v_min_f32_e32 v20, v16, v18
	v_max_f32_e32 v16, v16, v18
	v_cndmask_b32_e32 v20, v20, v19, vcc_lo
	v_cndmask_b32_e32 v16, v16, v19, vcc_lo
	v_cndmask_b32_e64 v20, v20, v12, s19
	v_cndmask_b32_e64 v16, v16, v12, s19
	v_cmp_class_f32_e64 s20, v20, 0x1f8
	v_cmp_neq_f32_e32 vcc_lo, v20, v16
	s_or_b32 s21, vcc_lo, s20
	s_and_saveexec_b32 s20, s21
	s_cbranch_execz .LBB520_36
; %bb.35:
	v_sub_f32_e32 v19, v20, v16
	s_mov_b32 s21, 0x3e9b6dac
	v_mul_f32_e32 v20, 0x3fb8aa3b, v19
	v_cmp_ngt_f32_e32 vcc_lo, 0xc2ce8ed0, v19
	v_fma_f32 v21, 0x3fb8aa3b, v19, -v20
	v_rndne_f32_e32 v22, v20
	v_fmamk_f32 v21, v19, 0x32a5705f, v21
	v_sub_f32_e32 v20, v20, v22
	v_add_f32_e32 v20, v20, v21
	v_cvt_i32_f32_e32 v21, v22
	v_exp_f32_e32 v20, v20
	v_ldexp_f32 v20, v20, v21
	v_cndmask_b32_e32 v20, 0, v20, vcc_lo
	v_cmp_nlt_f32_e32 vcc_lo, 0x42b17218, v19
	v_cndmask_b32_e32 v21, 0x7f800000, v20, vcc_lo
	v_add_f32_e32 v22, 1.0, v21
	v_cvt_f64_f32_e32 v[19:20], v22
	v_frexp_exp_i32_f64_e32 v19, v[19:20]
	v_frexp_mant_f32_e32 v20, v22
	v_cmp_gt_f32_e32 vcc_lo, 0x3f2aaaab, v20
	v_add_f32_e32 v20, -1.0, v22
	v_sub_f32_e32 v24, v20, v22
	v_sub_f32_e32 v20, v21, v20
	v_add_f32_e32 v24, 1.0, v24
	v_add_f32_e32 v20, v20, v24
	v_subrev_co_ci_u32_e64 v19, null, 0, v19, vcc_lo
	v_cmp_neq_f32_e32 vcc_lo, 0x7f800000, v21
	v_sub_nc_u32_e32 v23, 0, v19
	v_cvt_f32_i32_e32 v19, v19
	v_ldexp_f32 v22, v22, v23
	v_ldexp_f32 v20, v20, v23
	v_add_f32_e32 v29, 1.0, v22
	v_add_f32_e32 v23, -1.0, v22
	v_add_f32_e32 v24, -1.0, v29
	v_add_f32_e32 v30, 1.0, v23
	v_sub_f32_e32 v24, v22, v24
	v_sub_f32_e32 v22, v22, v30
	v_add_f32_e32 v24, v20, v24
	v_add_f32_e32 v20, v20, v22
	;; [unrolled: 1-line block ×4, first 2 shown]
	v_rcp_f32_e32 v22, v30
	v_sub_f32_e32 v29, v29, v30
	v_sub_f32_e32 v23, v23, v31
	v_add_f32_e32 v24, v24, v29
	v_add_f32_e32 v20, v20, v23
	v_mul_f32_e32 v32, v31, v22
	v_mul_f32_e32 v33, v30, v32
	v_fma_f32 v29, v32, v30, -v33
	v_fmac_f32_e32 v29, v32, v24
	v_add_f32_e32 v34, v33, v29
	v_sub_f32_e32 v35, v31, v34
	v_sub_f32_e32 v23, v34, v33
	;; [unrolled: 1-line block ×5, first 2 shown]
	v_add_f32_e32 v20, v20, v31
	v_add_f32_e32 v20, v23, v20
	;; [unrolled: 1-line block ×3, first 2 shown]
	v_mul_f32_e32 v29, v22, v23
	v_sub_f32_e32 v34, v35, v23
	v_mul_f32_e32 v31, v30, v29
	v_add_f32_e32 v20, v20, v34
	v_fma_f32 v30, v29, v30, -v31
	v_fmac_f32_e32 v30, v29, v24
	v_add_f32_e32 v24, v31, v30
	v_sub_f32_e32 v33, v23, v24
	v_sub_f32_e32 v31, v24, v31
	;; [unrolled: 1-line block ×5, first 2 shown]
	v_add_f32_e32 v20, v20, v23
	v_add_f32_e32 v23, v32, v29
	;; [unrolled: 1-line block ×3, first 2 shown]
	v_sub_f32_e32 v24, v23, v32
	v_add_f32_e32 v20, v33, v20
	v_sub_f32_e32 v24, v29, v24
	v_mul_f32_e32 v20, v22, v20
	v_add_f32_e32 v20, v24, v20
	v_add_f32_e32 v22, v23, v20
	v_mul_f32_e32 v24, v22, v22
	v_fmaak_f32 v29, s21, v24, 0x3ecc95a3
	v_mul_f32_e32 v30, v22, v24
	v_fmaak_f32 v24, v24, v29, 0x3f2aaada
	v_ldexp_f32 v29, v22, 1
	v_sub_f32_e32 v22, v22, v23
	v_mul_f32_e32 v24, v30, v24
	v_mul_f32_e32 v30, 0x3f317218, v19
	v_sub_f32_e32 v20, v20, v22
	v_add_f32_e32 v23, v29, v24
	v_ldexp_f32 v20, v20, 1
	v_sub_f32_e32 v22, v23, v29
	v_fma_f32 v29, 0x3f317218, v19, -v30
	v_sub_f32_e32 v22, v24, v22
	v_fmamk_f32 v19, v19, 0xb102e308, v29
	v_add_f32_e32 v20, v20, v22
	v_add_f32_e32 v22, v30, v19
	;; [unrolled: 1-line block ×3, first 2 shown]
	v_sub_f32_e32 v30, v22, v30
	v_add_f32_e32 v29, v22, v24
	v_sub_f32_e32 v23, v24, v23
	v_sub_f32_e32 v19, v19, v30
	;; [unrolled: 1-line block ×6, first 2 shown]
	v_add_f32_e32 v24, v19, v20
	v_sub_f32_e32 v22, v22, v32
	v_add_f32_e32 v22, v23, v22
	v_sub_f32_e32 v23, v24, v19
	v_add_f32_e32 v22, v24, v22
	v_sub_f32_e32 v24, v24, v23
	v_sub_f32_e32 v20, v20, v23
	v_add_f32_e32 v30, v29, v22
	v_sub_f32_e32 v19, v19, v24
	v_sub_f32_e32 v23, v30, v29
	v_add_f32_e32 v19, v20, v19
	v_sub_f32_e32 v20, v22, v23
	v_add_f32_e32 v19, v19, v20
	v_add_f32_e32 v19, v30, v19
	v_cndmask_b32_e32 v19, 0x7f800000, v19, vcc_lo
	v_cmp_gt_f32_e64 vcc_lo, 0x33800000, |v21|
	v_cndmask_b32_e32 v19, v19, v21, vcc_lo
	v_add_f32_e32 v19, v16, v19
.LBB520_36:
	s_or_b32 exec_lo, exec_lo, s20
	v_bfe_u32 v16, v19, 16, 1
	v_cmp_o_f32_e32 vcc_lo, v19, v19
	v_and_b32_e32 v4, 0xffff0000, v4
	v_add3_u32 v16, v19, v16, 0x7fff
	v_max_f32_e32 v20, v4, v4
	v_cmp_u_f32_e64 s20, v4, v4
	v_and_b32_e32 v16, 0xffff0000, v16
	v_cndmask_b32_e32 v19, 0x7fc00000, v16, vcc_lo
	v_max_f32_e32 v16, v19, v19
	v_cmp_u_f32_e32 vcc_lo, v19, v19
	v_min_f32_e32 v21, v16, v20
	v_max_f32_e32 v16, v16, v20
	v_cndmask_b32_e32 v21, v21, v19, vcc_lo
	v_cndmask_b32_e32 v16, v16, v19, vcc_lo
	v_cndmask_b32_e64 v21, v21, v4, s20
	v_cndmask_b32_e64 v16, v16, v4, s20
	v_cmp_class_f32_e64 s21, v21, 0x1f8
	v_cmp_neq_f32_e32 vcc_lo, v21, v16
	s_or_b32 s22, vcc_lo, s21
	s_and_saveexec_b32 s21, s22
	s_cbranch_execz .LBB520_38
; %bb.37:
	v_sub_f32_e32 v19, v21, v16
	s_mov_b32 s22, 0x3e9b6dac
	v_mul_f32_e32 v21, 0x3fb8aa3b, v19
	v_cmp_ngt_f32_e32 vcc_lo, 0xc2ce8ed0, v19
	v_fma_f32 v22, 0x3fb8aa3b, v19, -v21
	v_rndne_f32_e32 v23, v21
	v_fmamk_f32 v22, v19, 0x32a5705f, v22
	v_sub_f32_e32 v21, v21, v23
	v_add_f32_e32 v21, v21, v22
	v_cvt_i32_f32_e32 v22, v23
	v_exp_f32_e32 v21, v21
	v_ldexp_f32 v21, v21, v22
	v_cndmask_b32_e32 v21, 0, v21, vcc_lo
	v_cmp_nlt_f32_e32 vcc_lo, 0x42b17218, v19
	v_cndmask_b32_e32 v19, 0x7f800000, v21, vcc_lo
	v_add_f32_e32 v23, 1.0, v19
	v_cvt_f64_f32_e32 v[21:22], v23
	v_frexp_exp_i32_f64_e32 v21, v[21:22]
	v_frexp_mant_f32_e32 v22, v23
	v_cmp_gt_f32_e32 vcc_lo, 0x3f2aaaab, v22
	v_add_f32_e32 v22, -1.0, v23
	v_sub_f32_e32 v29, v22, v23
	v_sub_f32_e32 v22, v19, v22
	v_add_f32_e32 v29, 1.0, v29
	v_add_f32_e32 v22, v22, v29
	v_subrev_co_ci_u32_e64 v21, null, 0, v21, vcc_lo
	v_cmp_neq_f32_e32 vcc_lo, 0x7f800000, v19
	v_sub_nc_u32_e32 v24, 0, v21
	v_cvt_f32_i32_e32 v21, v21
	v_ldexp_f32 v23, v23, v24
	v_ldexp_f32 v22, v22, v24
	v_add_f32_e32 v30, 1.0, v23
	v_add_f32_e32 v24, -1.0, v23
	v_add_f32_e32 v29, -1.0, v30
	v_add_f32_e32 v31, 1.0, v24
	v_sub_f32_e32 v29, v23, v29
	v_sub_f32_e32 v23, v23, v31
	v_add_f32_e32 v29, v22, v29
	v_add_f32_e32 v22, v22, v23
	v_add_f32_e32 v31, v30, v29
	v_add_f32_e32 v32, v24, v22
	v_rcp_f32_e32 v23, v31
	v_sub_f32_e32 v30, v30, v31
	v_sub_f32_e32 v24, v24, v32
	v_add_f32_e32 v29, v29, v30
	v_add_f32_e32 v22, v22, v24
	v_mul_f32_e32 v33, v32, v23
	v_mul_f32_e32 v34, v31, v33
	v_fma_f32 v30, v33, v31, -v34
	v_fmac_f32_e32 v30, v33, v29
	v_add_f32_e32 v35, v34, v30
	v_sub_f32_e32 v36, v32, v35
	v_sub_f32_e32 v24, v35, v34
	;; [unrolled: 1-line block ×5, first 2 shown]
	v_add_f32_e32 v22, v22, v32
	v_add_f32_e32 v22, v24, v22
	;; [unrolled: 1-line block ×3, first 2 shown]
	v_mul_f32_e32 v30, v23, v24
	v_sub_f32_e32 v35, v36, v24
	v_mul_f32_e32 v32, v31, v30
	v_add_f32_e32 v22, v22, v35
	v_fma_f32 v31, v30, v31, -v32
	v_fmac_f32_e32 v31, v30, v29
	v_add_f32_e32 v29, v32, v31
	v_sub_f32_e32 v34, v24, v29
	v_sub_f32_e32 v32, v29, v32
	;; [unrolled: 1-line block ×5, first 2 shown]
	v_add_f32_e32 v22, v22, v24
	v_add_f32_e32 v24, v33, v30
	;; [unrolled: 1-line block ×3, first 2 shown]
	v_sub_f32_e32 v29, v24, v33
	v_add_f32_e32 v22, v34, v22
	v_sub_f32_e32 v29, v30, v29
	v_mul_f32_e32 v22, v23, v22
	v_add_f32_e32 v22, v29, v22
	v_add_f32_e32 v23, v24, v22
	v_mul_f32_e32 v29, v23, v23
	v_fmaak_f32 v30, s22, v29, 0x3ecc95a3
	v_mul_f32_e32 v31, v23, v29
	v_fmaak_f32 v29, v29, v30, 0x3f2aaada
	v_ldexp_f32 v30, v23, 1
	v_sub_f32_e32 v23, v23, v24
	v_mul_f32_e32 v29, v31, v29
	v_mul_f32_e32 v31, 0x3f317218, v21
	v_sub_f32_e32 v22, v22, v23
	v_add_f32_e32 v24, v30, v29
	v_ldexp_f32 v22, v22, 1
	v_sub_f32_e32 v23, v24, v30
	v_fma_f32 v30, 0x3f317218, v21, -v31
	v_sub_f32_e32 v23, v29, v23
	v_fmamk_f32 v21, v21, 0xb102e308, v30
	v_add_f32_e32 v22, v22, v23
	v_add_f32_e32 v23, v31, v21
	;; [unrolled: 1-line block ×3, first 2 shown]
	v_sub_f32_e32 v31, v23, v31
	v_add_f32_e32 v30, v23, v29
	v_sub_f32_e32 v24, v29, v24
	v_sub_f32_e32 v21, v21, v31
	;; [unrolled: 1-line block ×6, first 2 shown]
	v_add_f32_e32 v29, v21, v22
	v_sub_f32_e32 v23, v23, v33
	v_add_f32_e32 v23, v24, v23
	v_sub_f32_e32 v24, v29, v21
	v_add_f32_e32 v23, v29, v23
	v_sub_f32_e32 v29, v29, v24
	v_sub_f32_e32 v22, v22, v24
	v_add_f32_e32 v31, v30, v23
	v_sub_f32_e32 v21, v21, v29
	v_sub_f32_e32 v24, v31, v30
	v_add_f32_e32 v21, v22, v21
	v_sub_f32_e32 v22, v23, v24
	v_add_f32_e32 v21, v21, v22
	v_add_f32_e32 v21, v31, v21
	v_cndmask_b32_e32 v21, 0x7f800000, v21, vcc_lo
	v_cmp_gt_f32_e64 vcc_lo, 0x33800000, |v19|
	v_cndmask_b32_e32 v19, v21, v19, vcc_lo
	v_add_f32_e32 v19, v16, v19
.LBB520_38:
	s_or_b32 exec_lo, exec_lo, s21
	v_bfe_u32 v16, v19, 16, 1
	v_cmp_o_f32_e32 vcc_lo, v19, v19
	v_add3_u32 v16, v19, v16, 0x7fff
	v_and_b32_e32 v21, 0xffff0000, v16
	v_lshlrev_b32_e32 v16, 16, v5
	v_cndmask_b32_e32 v22, 0x7fc00000, v21, vcc_lo
	v_max_f32_e32 v21, v16, v16
	v_cmp_u_f32_e64 s21, v16, v16
	v_max_f32_e32 v19, v22, v22
	v_cmp_u_f32_e32 vcc_lo, v22, v22
	v_min_f32_e32 v23, v19, v21
	v_max_f32_e32 v19, v19, v21
	v_cndmask_b32_e32 v23, v23, v22, vcc_lo
	v_cndmask_b32_e32 v19, v19, v22, vcc_lo
	v_cndmask_b32_e64 v23, v23, v16, s21
	v_cndmask_b32_e64 v19, v19, v16, s21
	v_cmp_class_f32_e64 s22, v23, 0x1f8
	v_cmp_neq_f32_e32 vcc_lo, v23, v19
	s_or_b32 s23, vcc_lo, s22
	s_and_saveexec_b32 s22, s23
	s_cbranch_execz .LBB520_40
; %bb.39:
	v_sub_f32_e32 v22, v23, v19
	s_mov_b32 s23, 0x3e9b6dac
	v_mul_f32_e32 v23, 0x3fb8aa3b, v22
	v_cmp_ngt_f32_e32 vcc_lo, 0xc2ce8ed0, v22
	v_fma_f32 v24, 0x3fb8aa3b, v22, -v23
	v_rndne_f32_e32 v29, v23
	v_fmamk_f32 v24, v22, 0x32a5705f, v24
	v_sub_f32_e32 v23, v23, v29
	v_add_f32_e32 v23, v23, v24
	v_cvt_i32_f32_e32 v24, v29
	v_exp_f32_e32 v23, v23
	v_ldexp_f32 v23, v23, v24
	v_cndmask_b32_e32 v23, 0, v23, vcc_lo
	v_cmp_nlt_f32_e32 vcc_lo, 0x42b17218, v22
	v_cndmask_b32_e32 v24, 0x7f800000, v23, vcc_lo
	v_add_f32_e32 v29, 1.0, v24
	v_cvt_f64_f32_e32 v[22:23], v29
	v_frexp_exp_i32_f64_e32 v22, v[22:23]
	v_frexp_mant_f32_e32 v23, v29
	v_cmp_gt_f32_e32 vcc_lo, 0x3f2aaaab, v23
	v_add_f32_e32 v23, -1.0, v29
	v_sub_f32_e32 v31, v23, v29
	v_sub_f32_e32 v23, v24, v23
	v_add_f32_e32 v31, 1.0, v31
	v_add_f32_e32 v23, v23, v31
	v_subrev_co_ci_u32_e64 v22, null, 0, v22, vcc_lo
	v_cmp_neq_f32_e32 vcc_lo, 0x7f800000, v24
	v_sub_nc_u32_e32 v30, 0, v22
	v_cvt_f32_i32_e32 v22, v22
	v_ldexp_f32 v29, v29, v30
	v_ldexp_f32 v23, v23, v30
	v_add_f32_e32 v32, 1.0, v29
	v_add_f32_e32 v30, -1.0, v29
	v_add_f32_e32 v31, -1.0, v32
	v_add_f32_e32 v33, 1.0, v30
	v_sub_f32_e32 v31, v29, v31
	v_sub_f32_e32 v29, v29, v33
	v_add_f32_e32 v31, v23, v31
	v_add_f32_e32 v23, v23, v29
	;; [unrolled: 1-line block ×4, first 2 shown]
	v_rcp_f32_e32 v29, v33
	v_sub_f32_e32 v32, v32, v33
	v_sub_f32_e32 v30, v30, v34
	v_add_f32_e32 v31, v31, v32
	v_add_f32_e32 v23, v23, v30
	v_mul_f32_e32 v35, v34, v29
	v_mul_f32_e32 v36, v33, v35
	v_fma_f32 v32, v35, v33, -v36
	v_fmac_f32_e32 v32, v35, v31
	v_add_f32_e32 v37, v36, v32
	v_sub_f32_e32 v38, v34, v37
	v_sub_f32_e32 v30, v37, v36
	;; [unrolled: 1-line block ×5, first 2 shown]
	v_add_f32_e32 v23, v23, v34
	v_add_f32_e32 v23, v30, v23
	;; [unrolled: 1-line block ×3, first 2 shown]
	v_mul_f32_e32 v32, v29, v30
	v_sub_f32_e32 v37, v38, v30
	v_mul_f32_e32 v34, v33, v32
	v_add_f32_e32 v23, v23, v37
	v_fma_f32 v33, v32, v33, -v34
	v_fmac_f32_e32 v33, v32, v31
	v_add_f32_e32 v31, v34, v33
	v_sub_f32_e32 v36, v30, v31
	v_sub_f32_e32 v34, v31, v34
	;; [unrolled: 1-line block ×5, first 2 shown]
	v_add_f32_e32 v23, v23, v30
	v_add_f32_e32 v30, v35, v32
	;; [unrolled: 1-line block ×3, first 2 shown]
	v_sub_f32_e32 v31, v30, v35
	v_add_f32_e32 v23, v36, v23
	v_sub_f32_e32 v31, v32, v31
	v_mul_f32_e32 v23, v29, v23
	v_add_f32_e32 v23, v31, v23
	v_add_f32_e32 v29, v30, v23
	v_mul_f32_e32 v31, v29, v29
	v_fmaak_f32 v32, s23, v31, 0x3ecc95a3
	v_mul_f32_e32 v33, v29, v31
	v_fmaak_f32 v31, v31, v32, 0x3f2aaada
	v_ldexp_f32 v32, v29, 1
	v_sub_f32_e32 v29, v29, v30
	v_mul_f32_e32 v31, v33, v31
	v_mul_f32_e32 v33, 0x3f317218, v22
	v_sub_f32_e32 v23, v23, v29
	v_add_f32_e32 v30, v32, v31
	v_ldexp_f32 v23, v23, 1
	v_sub_f32_e32 v29, v30, v32
	v_fma_f32 v32, 0x3f317218, v22, -v33
	v_sub_f32_e32 v29, v31, v29
	v_fmamk_f32 v22, v22, 0xb102e308, v32
	v_add_f32_e32 v23, v23, v29
	v_add_f32_e32 v29, v33, v22
	;; [unrolled: 1-line block ×3, first 2 shown]
	v_sub_f32_e32 v33, v29, v33
	v_add_f32_e32 v32, v29, v31
	v_sub_f32_e32 v30, v31, v30
	v_sub_f32_e32 v22, v22, v33
	;; [unrolled: 1-line block ×6, first 2 shown]
	v_add_f32_e32 v31, v22, v23
	v_sub_f32_e32 v29, v29, v35
	v_add_f32_e32 v29, v30, v29
	v_sub_f32_e32 v30, v31, v22
	;; [unrolled: 2-line block ×3, first 2 shown]
	v_sub_f32_e32 v23, v23, v30
	v_add_f32_e32 v33, v32, v29
	v_sub_f32_e32 v22, v22, v31
	v_sub_f32_e32 v30, v33, v32
	v_add_f32_e32 v22, v23, v22
	v_sub_f32_e32 v23, v29, v30
	v_add_f32_e32 v22, v22, v23
	v_add_f32_e32 v22, v33, v22
	v_cndmask_b32_e32 v22, 0x7f800000, v22, vcc_lo
	v_cmp_gt_f32_e64 vcc_lo, 0x33800000, |v24|
	v_cndmask_b32_e32 v22, v22, v24, vcc_lo
	v_add_f32_e32 v22, v19, v22
.LBB520_40:
	s_or_b32 exec_lo, exec_lo, s22
	v_bfe_u32 v19, v22, 16, 1
	v_cmp_o_f32_e32 vcc_lo, v22, v22
	v_and_b32_e32 v5, 0xffff0000, v5
	v_add3_u32 v19, v22, v19, 0x7fff
	v_max_f32_e32 v22, v5, v5
	v_cmp_u_f32_e64 s22, v5, v5
	v_and_b32_e32 v19, 0xffff0000, v19
	v_cndmask_b32_e32 v23, 0x7fc00000, v19, vcc_lo
	v_max_f32_e32 v19, v23, v23
	v_cmp_u_f32_e32 vcc_lo, v23, v23
	v_min_f32_e32 v24, v19, v22
	v_max_f32_e32 v19, v19, v22
	v_cndmask_b32_e32 v24, v24, v23, vcc_lo
	v_cndmask_b32_e32 v19, v19, v23, vcc_lo
	v_cndmask_b32_e64 v24, v24, v5, s22
	v_cndmask_b32_e64 v19, v19, v5, s22
	v_cmp_class_f32_e64 s23, v24, 0x1f8
	v_cmp_neq_f32_e32 vcc_lo, v24, v19
	s_or_b32 s24, vcc_lo, s23
	s_and_saveexec_b32 s23, s24
	s_cbranch_execz .LBB520_42
; %bb.41:
	v_sub_f32_e32 v23, v24, v19
	s_mov_b32 s24, 0x3e9b6dac
	v_mul_f32_e32 v24, 0x3fb8aa3b, v23
	v_cmp_ngt_f32_e32 vcc_lo, 0xc2ce8ed0, v23
	v_fma_f32 v29, 0x3fb8aa3b, v23, -v24
	v_rndne_f32_e32 v30, v24
	v_fmamk_f32 v29, v23, 0x32a5705f, v29
	v_sub_f32_e32 v24, v24, v30
	v_add_f32_e32 v24, v24, v29
	v_cvt_i32_f32_e32 v29, v30
	v_exp_f32_e32 v24, v24
	v_ldexp_f32 v24, v24, v29
	v_cndmask_b32_e32 v24, 0, v24, vcc_lo
	v_cmp_nlt_f32_e32 vcc_lo, 0x42b17218, v23
	v_cndmask_b32_e32 v29, 0x7f800000, v24, vcc_lo
	v_add_f32_e32 v30, 1.0, v29
	v_cvt_f64_f32_e32 v[23:24], v30
	v_frexp_exp_i32_f64_e32 v23, v[23:24]
	v_frexp_mant_f32_e32 v24, v30
	v_cmp_gt_f32_e32 vcc_lo, 0x3f2aaaab, v24
	v_add_f32_e32 v24, -1.0, v30
	v_sub_f32_e32 v32, v24, v30
	v_sub_f32_e32 v24, v29, v24
	v_add_f32_e32 v32, 1.0, v32
	v_add_f32_e32 v24, v24, v32
	v_subrev_co_ci_u32_e64 v23, null, 0, v23, vcc_lo
	v_cmp_neq_f32_e32 vcc_lo, 0x7f800000, v29
	v_sub_nc_u32_e32 v31, 0, v23
	v_cvt_f32_i32_e32 v23, v23
	v_ldexp_f32 v30, v30, v31
	v_ldexp_f32 v24, v24, v31
	v_add_f32_e32 v33, 1.0, v30
	v_add_f32_e32 v31, -1.0, v30
	v_add_f32_e32 v32, -1.0, v33
	v_add_f32_e32 v34, 1.0, v31
	v_sub_f32_e32 v32, v30, v32
	v_sub_f32_e32 v30, v30, v34
	v_add_f32_e32 v32, v24, v32
	v_add_f32_e32 v24, v24, v30
	;; [unrolled: 1-line block ×4, first 2 shown]
	v_rcp_f32_e32 v30, v34
	v_sub_f32_e32 v33, v33, v34
	v_sub_f32_e32 v31, v31, v35
	v_add_f32_e32 v32, v32, v33
	v_add_f32_e32 v24, v24, v31
	v_mul_f32_e32 v36, v35, v30
	v_mul_f32_e32 v37, v34, v36
	v_fma_f32 v33, v36, v34, -v37
	v_fmac_f32_e32 v33, v36, v32
	v_add_f32_e32 v38, v37, v33
	v_sub_f32_e32 v39, v35, v38
	v_sub_f32_e32 v31, v38, v37
	;; [unrolled: 1-line block ×5, first 2 shown]
	v_add_f32_e32 v24, v24, v35
	v_add_f32_e32 v24, v31, v24
	;; [unrolled: 1-line block ×3, first 2 shown]
	v_mul_f32_e32 v33, v30, v31
	v_sub_f32_e32 v38, v39, v31
	v_mul_f32_e32 v35, v34, v33
	v_add_f32_e32 v24, v24, v38
	v_fma_f32 v34, v33, v34, -v35
	v_fmac_f32_e32 v34, v33, v32
	v_add_f32_e32 v32, v35, v34
	v_sub_f32_e32 v37, v31, v32
	v_sub_f32_e32 v35, v32, v35
	;; [unrolled: 1-line block ×5, first 2 shown]
	v_add_f32_e32 v24, v24, v31
	v_add_f32_e32 v31, v36, v33
	;; [unrolled: 1-line block ×3, first 2 shown]
	v_sub_f32_e32 v32, v31, v36
	v_add_f32_e32 v24, v37, v24
	v_sub_f32_e32 v32, v33, v32
	v_mul_f32_e32 v24, v30, v24
	v_add_f32_e32 v24, v32, v24
	v_add_f32_e32 v30, v31, v24
	v_mul_f32_e32 v32, v30, v30
	v_fmaak_f32 v33, s24, v32, 0x3ecc95a3
	v_mul_f32_e32 v34, v30, v32
	v_fmaak_f32 v32, v32, v33, 0x3f2aaada
	v_ldexp_f32 v33, v30, 1
	v_sub_f32_e32 v30, v30, v31
	v_mul_f32_e32 v32, v34, v32
	v_mul_f32_e32 v34, 0x3f317218, v23
	v_sub_f32_e32 v24, v24, v30
	v_add_f32_e32 v31, v33, v32
	v_ldexp_f32 v24, v24, 1
	v_sub_f32_e32 v30, v31, v33
	v_fma_f32 v33, 0x3f317218, v23, -v34
	v_sub_f32_e32 v30, v32, v30
	v_fmamk_f32 v23, v23, 0xb102e308, v33
	v_add_f32_e32 v24, v24, v30
	v_add_f32_e32 v30, v34, v23
	;; [unrolled: 1-line block ×3, first 2 shown]
	v_sub_f32_e32 v34, v30, v34
	v_add_f32_e32 v33, v30, v32
	v_sub_f32_e32 v31, v32, v31
	v_sub_f32_e32 v23, v23, v34
	;; [unrolled: 1-line block ×6, first 2 shown]
	v_add_f32_e32 v32, v23, v24
	v_sub_f32_e32 v30, v30, v36
	v_add_f32_e32 v30, v31, v30
	v_sub_f32_e32 v31, v32, v23
	;; [unrolled: 2-line block ×3, first 2 shown]
	v_sub_f32_e32 v24, v24, v31
	v_add_f32_e32 v34, v33, v30
	v_sub_f32_e32 v23, v23, v32
	v_sub_f32_e32 v31, v34, v33
	v_add_f32_e32 v23, v24, v23
	v_sub_f32_e32 v24, v30, v31
	v_add_f32_e32 v23, v23, v24
	v_add_f32_e32 v23, v34, v23
	v_cndmask_b32_e32 v23, 0x7f800000, v23, vcc_lo
	v_cmp_gt_f32_e64 vcc_lo, 0x33800000, |v29|
	v_cndmask_b32_e32 v23, v23, v29, vcc_lo
	v_add_f32_e32 v23, v19, v23
.LBB520_42:
	s_or_b32 exec_lo, exec_lo, s23
	v_bfe_u32 v19, v23, 16, 1
	v_cmp_o_f32_e32 vcc_lo, v23, v23
	v_add3_u32 v19, v23, v19, 0x7fff
	v_and_b32_e32 v24, 0xffff0000, v19
	v_lshlrev_b32_e32 v19, 16, v6
	v_cndmask_b32_e32 v29, 0x7fc00000, v24, vcc_lo
	v_max_f32_e32 v23, v19, v19
	v_cmp_u_f32_e64 s23, v19, v19
	v_max_f32_e32 v24, v29, v29
	v_cmp_u_f32_e32 vcc_lo, v29, v29
	v_min_f32_e32 v30, v24, v23
	v_max_f32_e32 v24, v24, v23
	v_cndmask_b32_e32 v30, v30, v29, vcc_lo
	v_cndmask_b32_e32 v24, v24, v29, vcc_lo
	v_cndmask_b32_e64 v30, v30, v19, s23
	v_cndmask_b32_e64 v24, v24, v19, s23
	v_cmp_class_f32_e64 s24, v30, 0x1f8
	v_cmp_neq_f32_e32 vcc_lo, v30, v24
	s_or_b32 s26, vcc_lo, s24
	s_and_saveexec_b32 s24, s26
	s_cbranch_execz .LBB520_44
; %bb.43:
	v_sub_f32_e32 v29, v30, v24
	s_mov_b32 s26, 0x3e9b6dac
	v_mul_f32_e32 v30, 0x3fb8aa3b, v29
	v_cmp_ngt_f32_e32 vcc_lo, 0xc2ce8ed0, v29
	v_fma_f32 v31, 0x3fb8aa3b, v29, -v30
	v_rndne_f32_e32 v32, v30
	v_fmamk_f32 v31, v29, 0x32a5705f, v31
	v_sub_f32_e32 v30, v30, v32
	v_add_f32_e32 v30, v30, v31
	v_cvt_i32_f32_e32 v31, v32
	v_exp_f32_e32 v30, v30
	v_ldexp_f32 v30, v30, v31
	v_cndmask_b32_e32 v30, 0, v30, vcc_lo
	v_cmp_nlt_f32_e32 vcc_lo, 0x42b17218, v29
	v_cndmask_b32_e32 v31, 0x7f800000, v30, vcc_lo
	v_add_f32_e32 v32, 1.0, v31
	v_cvt_f64_f32_e32 v[29:30], v32
	v_frexp_exp_i32_f64_e32 v29, v[29:30]
	v_frexp_mant_f32_e32 v30, v32
	v_cmp_gt_f32_e32 vcc_lo, 0x3f2aaaab, v30
	v_add_f32_e32 v30, -1.0, v32
	v_sub_f32_e32 v34, v30, v32
	v_sub_f32_e32 v30, v31, v30
	v_add_f32_e32 v34, 1.0, v34
	v_add_f32_e32 v30, v30, v34
	v_subrev_co_ci_u32_e64 v29, null, 0, v29, vcc_lo
	v_cmp_neq_f32_e32 vcc_lo, 0x7f800000, v31
	v_sub_nc_u32_e32 v33, 0, v29
	v_cvt_f32_i32_e32 v29, v29
	v_ldexp_f32 v32, v32, v33
	v_ldexp_f32 v30, v30, v33
	v_add_f32_e32 v35, 1.0, v32
	v_add_f32_e32 v33, -1.0, v32
	v_add_f32_e32 v34, -1.0, v35
	v_add_f32_e32 v36, 1.0, v33
	v_sub_f32_e32 v34, v32, v34
	v_sub_f32_e32 v32, v32, v36
	v_add_f32_e32 v34, v30, v34
	v_add_f32_e32 v30, v30, v32
	;; [unrolled: 1-line block ×4, first 2 shown]
	v_rcp_f32_e32 v32, v36
	v_sub_f32_e32 v35, v35, v36
	v_sub_f32_e32 v33, v33, v37
	v_add_f32_e32 v34, v34, v35
	v_add_f32_e32 v30, v30, v33
	v_mul_f32_e32 v38, v37, v32
	v_mul_f32_e32 v39, v36, v38
	v_fma_f32 v35, v38, v36, -v39
	v_fmac_f32_e32 v35, v38, v34
	v_add_f32_e32 v40, v39, v35
	v_sub_f32_e32 v41, v37, v40
	v_sub_f32_e32 v33, v40, v39
	v_sub_f32_e32 v37, v37, v41
	v_sub_f32_e32 v33, v33, v35
	v_sub_f32_e32 v37, v37, v40
	v_add_f32_e32 v30, v30, v37
	v_add_f32_e32 v30, v33, v30
	;; [unrolled: 1-line block ×3, first 2 shown]
	v_mul_f32_e32 v35, v32, v33
	v_sub_f32_e32 v40, v41, v33
	v_mul_f32_e32 v37, v36, v35
	v_add_f32_e32 v30, v30, v40
	v_fma_f32 v36, v35, v36, -v37
	v_fmac_f32_e32 v36, v35, v34
	v_add_f32_e32 v34, v37, v36
	v_sub_f32_e32 v39, v33, v34
	v_sub_f32_e32 v37, v34, v37
	;; [unrolled: 1-line block ×5, first 2 shown]
	v_add_f32_e32 v30, v30, v33
	v_add_f32_e32 v33, v38, v35
	;; [unrolled: 1-line block ×3, first 2 shown]
	v_sub_f32_e32 v34, v33, v38
	v_add_f32_e32 v30, v39, v30
	v_sub_f32_e32 v34, v35, v34
	v_mul_f32_e32 v30, v32, v30
	v_add_f32_e32 v30, v34, v30
	v_add_f32_e32 v32, v33, v30
	v_mul_f32_e32 v34, v32, v32
	v_fmaak_f32 v35, s26, v34, 0x3ecc95a3
	v_mul_f32_e32 v36, v32, v34
	v_fmaak_f32 v34, v34, v35, 0x3f2aaada
	v_ldexp_f32 v35, v32, 1
	v_sub_f32_e32 v32, v32, v33
	v_mul_f32_e32 v34, v36, v34
	v_mul_f32_e32 v36, 0x3f317218, v29
	v_sub_f32_e32 v30, v30, v32
	v_add_f32_e32 v33, v35, v34
	v_ldexp_f32 v30, v30, 1
	v_sub_f32_e32 v32, v33, v35
	v_fma_f32 v35, 0x3f317218, v29, -v36
	v_sub_f32_e32 v32, v34, v32
	v_fmamk_f32 v29, v29, 0xb102e308, v35
	v_add_f32_e32 v30, v30, v32
	v_add_f32_e32 v32, v36, v29
	;; [unrolled: 1-line block ×3, first 2 shown]
	v_sub_f32_e32 v36, v32, v36
	v_add_f32_e32 v35, v32, v34
	v_sub_f32_e32 v33, v34, v33
	v_sub_f32_e32 v29, v29, v36
	v_sub_f32_e32 v37, v35, v32
	v_sub_f32_e32 v30, v30, v33
	v_sub_f32_e32 v38, v35, v37
	v_sub_f32_e32 v33, v34, v37
	v_add_f32_e32 v34, v29, v30
	v_sub_f32_e32 v32, v32, v38
	v_add_f32_e32 v32, v33, v32
	v_sub_f32_e32 v33, v34, v29
	;; [unrolled: 2-line block ×3, first 2 shown]
	v_sub_f32_e32 v30, v30, v33
	v_add_f32_e32 v36, v35, v32
	v_sub_f32_e32 v29, v29, v34
	v_sub_f32_e32 v33, v36, v35
	v_add_f32_e32 v29, v30, v29
	v_sub_f32_e32 v30, v32, v33
	v_add_f32_e32 v29, v29, v30
	v_add_f32_e32 v29, v36, v29
	v_cndmask_b32_e32 v29, 0x7f800000, v29, vcc_lo
	v_cmp_gt_f32_e64 vcc_lo, 0x33800000, |v31|
	v_cndmask_b32_e32 v29, v29, v31, vcc_lo
	v_add_f32_e32 v29, v24, v29
.LBB520_44:
	s_or_b32 exec_lo, exec_lo, s24
	v_bfe_u32 v24, v29, 16, 1
	v_cmp_o_f32_e32 vcc_lo, v29, v29
	v_and_b32_e32 v6, 0xffff0000, v6
	v_add3_u32 v24, v29, v24, 0x7fff
	v_cmp_u_f32_e64 s24, v6, v6
	v_and_b32_e32 v24, 0xffff0000, v24
	v_cndmask_b32_e32 v30, 0x7fc00000, v24, vcc_lo
	v_max_f32_e32 v24, v6, v6
	v_max_f32_e32 v29, v30, v30
	v_cmp_u_f32_e32 vcc_lo, v30, v30
	v_min_f32_e32 v31, v29, v24
	v_max_f32_e32 v29, v29, v24
	v_cndmask_b32_e32 v31, v31, v30, vcc_lo
	v_cndmask_b32_e32 v29, v29, v30, vcc_lo
	v_cndmask_b32_e64 v31, v31, v6, s24
	v_cndmask_b32_e64 v29, v29, v6, s24
	v_cmp_class_f32_e64 s26, v31, 0x1f8
	v_cmp_neq_f32_e32 vcc_lo, v31, v29
	s_or_b32 s27, vcc_lo, s26
	s_and_saveexec_b32 s26, s27
	s_cbranch_execz .LBB520_46
; %bb.45:
	v_sub_f32_e32 v30, v31, v29
	s_mov_b32 s27, 0x3e9b6dac
	v_mul_f32_e32 v31, 0x3fb8aa3b, v30
	v_cmp_ngt_f32_e32 vcc_lo, 0xc2ce8ed0, v30
	v_fma_f32 v32, 0x3fb8aa3b, v30, -v31
	v_rndne_f32_e32 v33, v31
	v_fmamk_f32 v32, v30, 0x32a5705f, v32
	v_sub_f32_e32 v31, v31, v33
	v_add_f32_e32 v31, v31, v32
	v_cvt_i32_f32_e32 v32, v33
	v_exp_f32_e32 v31, v31
	v_ldexp_f32 v31, v31, v32
	v_cndmask_b32_e32 v31, 0, v31, vcc_lo
	v_cmp_nlt_f32_e32 vcc_lo, 0x42b17218, v30
	v_cndmask_b32_e32 v32, 0x7f800000, v31, vcc_lo
	v_add_f32_e32 v33, 1.0, v32
	v_cvt_f64_f32_e32 v[30:31], v33
	v_frexp_exp_i32_f64_e32 v30, v[30:31]
	v_frexp_mant_f32_e32 v31, v33
	v_cmp_gt_f32_e32 vcc_lo, 0x3f2aaaab, v31
	v_add_f32_e32 v31, -1.0, v33
	v_sub_f32_e32 v35, v31, v33
	v_sub_f32_e32 v31, v32, v31
	v_add_f32_e32 v35, 1.0, v35
	v_add_f32_e32 v31, v31, v35
	v_subrev_co_ci_u32_e64 v30, null, 0, v30, vcc_lo
	v_cmp_neq_f32_e32 vcc_lo, 0x7f800000, v32
	v_sub_nc_u32_e32 v34, 0, v30
	v_cvt_f32_i32_e32 v30, v30
	v_ldexp_f32 v33, v33, v34
	v_ldexp_f32 v31, v31, v34
	v_add_f32_e32 v36, 1.0, v33
	v_add_f32_e32 v34, -1.0, v33
	v_add_f32_e32 v35, -1.0, v36
	v_add_f32_e32 v37, 1.0, v34
	v_sub_f32_e32 v35, v33, v35
	v_sub_f32_e32 v33, v33, v37
	v_add_f32_e32 v35, v31, v35
	v_add_f32_e32 v31, v31, v33
	;; [unrolled: 1-line block ×4, first 2 shown]
	v_rcp_f32_e32 v33, v37
	v_sub_f32_e32 v36, v36, v37
	v_sub_f32_e32 v34, v34, v38
	v_add_f32_e32 v35, v35, v36
	v_add_f32_e32 v31, v31, v34
	v_mul_f32_e32 v39, v38, v33
	v_mul_f32_e32 v40, v37, v39
	v_fma_f32 v36, v39, v37, -v40
	v_fmac_f32_e32 v36, v39, v35
	v_add_f32_e32 v41, v40, v36
	v_sub_f32_e32 v42, v38, v41
	v_sub_f32_e32 v34, v41, v40
	;; [unrolled: 1-line block ×5, first 2 shown]
	v_add_f32_e32 v31, v31, v38
	v_add_f32_e32 v31, v34, v31
	;; [unrolled: 1-line block ×3, first 2 shown]
	v_mul_f32_e32 v36, v33, v34
	v_sub_f32_e32 v41, v42, v34
	v_mul_f32_e32 v38, v37, v36
	v_add_f32_e32 v31, v31, v41
	v_fma_f32 v37, v36, v37, -v38
	v_fmac_f32_e32 v37, v36, v35
	v_add_f32_e32 v35, v38, v37
	v_sub_f32_e32 v40, v34, v35
	v_sub_f32_e32 v38, v35, v38
	;; [unrolled: 1-line block ×5, first 2 shown]
	v_add_f32_e32 v31, v31, v34
	v_add_f32_e32 v34, v39, v36
	;; [unrolled: 1-line block ×3, first 2 shown]
	v_sub_f32_e32 v35, v34, v39
	v_add_f32_e32 v31, v40, v31
	v_sub_f32_e32 v35, v36, v35
	v_mul_f32_e32 v31, v33, v31
	v_add_f32_e32 v31, v35, v31
	v_add_f32_e32 v33, v34, v31
	v_mul_f32_e32 v35, v33, v33
	v_fmaak_f32 v36, s27, v35, 0x3ecc95a3
	v_mul_f32_e32 v37, v33, v35
	v_fmaak_f32 v35, v35, v36, 0x3f2aaada
	v_ldexp_f32 v36, v33, 1
	v_sub_f32_e32 v33, v33, v34
	v_mul_f32_e32 v35, v37, v35
	v_mul_f32_e32 v37, 0x3f317218, v30
	v_sub_f32_e32 v31, v31, v33
	v_add_f32_e32 v34, v36, v35
	v_ldexp_f32 v31, v31, 1
	v_sub_f32_e32 v33, v34, v36
	v_fma_f32 v36, 0x3f317218, v30, -v37
	v_sub_f32_e32 v33, v35, v33
	v_fmamk_f32 v30, v30, 0xb102e308, v36
	v_add_f32_e32 v31, v31, v33
	v_add_f32_e32 v33, v37, v30
	;; [unrolled: 1-line block ×3, first 2 shown]
	v_sub_f32_e32 v37, v33, v37
	v_add_f32_e32 v36, v33, v35
	v_sub_f32_e32 v34, v35, v34
	v_sub_f32_e32 v30, v30, v37
	v_sub_f32_e32 v38, v36, v33
	v_sub_f32_e32 v31, v31, v34
	v_sub_f32_e32 v39, v36, v38
	v_sub_f32_e32 v34, v35, v38
	v_add_f32_e32 v35, v30, v31
	v_sub_f32_e32 v33, v33, v39
	v_add_f32_e32 v33, v34, v33
	v_sub_f32_e32 v34, v35, v30
	;; [unrolled: 2-line block ×3, first 2 shown]
	v_sub_f32_e32 v31, v31, v34
	v_add_f32_e32 v37, v36, v33
	v_sub_f32_e32 v30, v30, v35
	v_sub_f32_e32 v34, v37, v36
	v_add_f32_e32 v30, v31, v30
	v_sub_f32_e32 v31, v33, v34
	v_add_f32_e32 v30, v30, v31
	v_add_f32_e32 v30, v37, v30
	v_cndmask_b32_e32 v30, 0x7f800000, v30, vcc_lo
	v_cmp_gt_f32_e64 vcc_lo, 0x33800000, |v32|
	v_cndmask_b32_e32 v30, v30, v32, vcc_lo
	v_add_f32_e32 v30, v29, v30
.LBB520_46:
	s_or_b32 exec_lo, exec_lo, s26
	s_load_dwordx2 s[26:27], s[4:5], 0x18
	v_bfe_u32 v29, v30, 16, 1
	v_lshrrev_b32_e32 v31, 4, v0
	v_cmp_o_f32_e32 vcc_lo, v30, v30
	s_mov_b32 s5, exec_lo
	v_add3_u32 v29, v30, v29, 0x7fff
	v_mov_b32_e32 v30, 0x7fc0
	v_and_b32_e32 v31, 2, v31
	v_cndmask_b32_sdwa v30, v30, v29, vcc_lo dst_sel:DWORD dst_unused:UNUSED_PAD src0_sel:DWORD src1_sel:WORD_1
	v_lshl_add_u32 v29, v0, 1, v31
	ds_write_b16 v29, v30
	s_waitcnt lgkmcnt(0)
	s_barrier
	buffer_gl0_inv
	v_cmpx_gt_u32_e32 32, v0
	s_cbranch_execz .LBB520_74
; %bb.47:
	v_lshrrev_b32_e32 v29, 3, v0
	v_lshlrev_b32_e32 v31, 2, v0
	v_and_b32_e32 v29, 6, v29
	v_add_nc_u32_e32 v29, v29, v31
	ds_read_u16 v31, v29 offset:2
	ds_read_u16 v32, v29
	s_waitcnt lgkmcnt(1)
	v_lshlrev_b32_e32 v33, 16, v31
	s_waitcnt lgkmcnt(0)
	v_lshlrev_b32_e32 v31, 16, v32
	v_max_f32_e32 v34, v33, v33
	v_max_f32_e32 v32, v31, v31
	v_cmp_u_f32_e64 s4, v31, v31
	v_cmp_u_f32_e32 vcc_lo, v33, v33
	v_min_f32_e32 v35, v32, v34
	v_max_f32_e32 v34, v32, v34
	v_cndmask_b32_e64 v35, v35, v31, s4
	v_cndmask_b32_e64 v34, v34, v31, s4
	v_cndmask_b32_e32 v35, v35, v33, vcc_lo
	v_cndmask_b32_e32 v33, v34, v33, vcc_lo
	v_mov_b32_e32 v34, v31
	v_cmp_class_f32_e64 s28, v35, 0x1f8
	v_cmp_neq_f32_e32 vcc_lo, v35, v33
	s_or_b32 s29, vcc_lo, s28
	s_and_saveexec_b32 s28, s29
	s_cbranch_execz .LBB520_49
; %bb.48:
	v_sub_f32_e32 v34, v35, v33
	s_mov_b32 s29, 0x3e9b6dac
	v_mul_f32_e32 v35, 0x3fb8aa3b, v34
	v_cmp_ngt_f32_e32 vcc_lo, 0xc2ce8ed0, v34
	v_fma_f32 v36, 0x3fb8aa3b, v34, -v35
	v_rndne_f32_e32 v37, v35
	v_fmamk_f32 v36, v34, 0x32a5705f, v36
	v_sub_f32_e32 v35, v35, v37
	v_add_f32_e32 v35, v35, v36
	v_cvt_i32_f32_e32 v36, v37
	v_exp_f32_e32 v35, v35
	v_ldexp_f32 v35, v35, v36
	v_cndmask_b32_e32 v35, 0, v35, vcc_lo
	v_cmp_nlt_f32_e32 vcc_lo, 0x42b17218, v34
	v_cndmask_b32_e32 v36, 0x7f800000, v35, vcc_lo
	v_add_f32_e32 v37, 1.0, v36
	v_cvt_f64_f32_e32 v[34:35], v37
	v_frexp_exp_i32_f64_e32 v34, v[34:35]
	v_frexp_mant_f32_e32 v35, v37
	v_cmp_gt_f32_e32 vcc_lo, 0x3f2aaaab, v35
	v_add_f32_e32 v35, -1.0, v37
	v_sub_f32_e32 v39, v35, v37
	v_sub_f32_e32 v35, v36, v35
	v_add_f32_e32 v39, 1.0, v39
	v_add_f32_e32 v35, v35, v39
	v_subrev_co_ci_u32_e64 v34, null, 0, v34, vcc_lo
	v_cmp_neq_f32_e32 vcc_lo, 0x7f800000, v36
	v_sub_nc_u32_e32 v38, 0, v34
	v_cvt_f32_i32_e32 v34, v34
	v_ldexp_f32 v37, v37, v38
	v_ldexp_f32 v35, v35, v38
	v_add_f32_e32 v40, 1.0, v37
	v_add_f32_e32 v38, -1.0, v37
	v_add_f32_e32 v39, -1.0, v40
	v_add_f32_e32 v41, 1.0, v38
	v_sub_f32_e32 v39, v37, v39
	v_sub_f32_e32 v37, v37, v41
	v_add_f32_e32 v39, v35, v39
	v_add_f32_e32 v35, v35, v37
	;; [unrolled: 1-line block ×4, first 2 shown]
	v_rcp_f32_e32 v37, v41
	v_sub_f32_e32 v40, v40, v41
	v_sub_f32_e32 v38, v38, v42
	v_add_f32_e32 v39, v39, v40
	v_add_f32_e32 v35, v35, v38
	v_mul_f32_e32 v43, v42, v37
	v_mul_f32_e32 v44, v41, v43
	v_fma_f32 v40, v43, v41, -v44
	v_fmac_f32_e32 v40, v43, v39
	v_add_f32_e32 v45, v44, v40
	v_sub_f32_e32 v46, v42, v45
	v_sub_f32_e32 v38, v45, v44
	;; [unrolled: 1-line block ×5, first 2 shown]
	v_add_f32_e32 v35, v35, v42
	v_add_f32_e32 v35, v38, v35
	;; [unrolled: 1-line block ×3, first 2 shown]
	v_mul_f32_e32 v40, v37, v38
	v_sub_f32_e32 v45, v46, v38
	v_mul_f32_e32 v42, v41, v40
	v_add_f32_e32 v35, v35, v45
	v_fma_f32 v41, v40, v41, -v42
	v_fmac_f32_e32 v41, v40, v39
	v_add_f32_e32 v39, v42, v41
	v_sub_f32_e32 v44, v38, v39
	v_sub_f32_e32 v42, v39, v42
	;; [unrolled: 1-line block ×5, first 2 shown]
	v_add_f32_e32 v35, v35, v38
	v_add_f32_e32 v38, v43, v40
	;; [unrolled: 1-line block ×3, first 2 shown]
	v_sub_f32_e32 v39, v38, v43
	v_add_f32_e32 v35, v44, v35
	v_sub_f32_e32 v39, v40, v39
	v_mul_f32_e32 v35, v37, v35
	v_add_f32_e32 v35, v39, v35
	v_add_f32_e32 v37, v38, v35
	v_mul_f32_e32 v39, v37, v37
	v_fmaak_f32 v40, s29, v39, 0x3ecc95a3
	v_mul_f32_e32 v41, v37, v39
	v_fmaak_f32 v39, v39, v40, 0x3f2aaada
	v_ldexp_f32 v40, v37, 1
	v_sub_f32_e32 v37, v37, v38
	v_mul_f32_e32 v39, v41, v39
	v_mul_f32_e32 v41, 0x3f317218, v34
	v_sub_f32_e32 v35, v35, v37
	v_add_f32_e32 v38, v40, v39
	v_ldexp_f32 v35, v35, 1
	v_sub_f32_e32 v37, v38, v40
	v_fma_f32 v40, 0x3f317218, v34, -v41
	v_sub_f32_e32 v37, v39, v37
	v_fmamk_f32 v34, v34, 0xb102e308, v40
	v_add_f32_e32 v35, v35, v37
	v_add_f32_e32 v37, v41, v34
	;; [unrolled: 1-line block ×3, first 2 shown]
	v_sub_f32_e32 v41, v37, v41
	v_add_f32_e32 v40, v37, v39
	v_sub_f32_e32 v38, v39, v38
	v_sub_f32_e32 v34, v34, v41
	;; [unrolled: 1-line block ×6, first 2 shown]
	v_add_f32_e32 v39, v34, v35
	v_sub_f32_e32 v37, v37, v43
	v_add_f32_e32 v37, v38, v37
	v_sub_f32_e32 v38, v39, v34
	;; [unrolled: 2-line block ×3, first 2 shown]
	v_sub_f32_e32 v35, v35, v38
	v_add_f32_e32 v41, v40, v37
	v_sub_f32_e32 v34, v34, v39
	v_sub_f32_e32 v38, v41, v40
	v_add_f32_e32 v34, v35, v34
	v_sub_f32_e32 v35, v37, v38
	v_add_f32_e32 v34, v34, v35
	v_add_f32_e32 v34, v41, v34
	v_cndmask_b32_e32 v34, 0x7f800000, v34, vcc_lo
	v_cmp_gt_f32_e64 vcc_lo, 0x33800000, |v36|
	v_cndmask_b32_e32 v34, v34, v36, vcc_lo
	v_add_f32_e32 v34, v33, v34
.LBB520_49:
	s_or_b32 exec_lo, exec_lo, s28
	v_bfe_u32 v33, v34, 16, 1
	v_cmp_o_f32_e32 vcc_lo, v34, v34
	v_mov_b32_e32 v35, 0x7fc0
	s_mov_b32 s28, exec_lo
	v_add3_u32 v33, v34, v33, 0x7fff
	v_cndmask_b32_sdwa v35, v35, v33, vcc_lo dst_sel:DWORD dst_unused:UNUSED_PAD src0_sel:DWORD src1_sel:WORD_1
	v_mbcnt_lo_u32_b32 v33, -1, 0
	v_and_b32_e32 v36, 0xffff, v35
	v_and_b32_e32 v34, 15, v33
	v_mov_b32_dpp v37, v36 row_shr:1 row_mask:0xf bank_mask:0xf
	v_cmpx_ne_u32_e32 0, v34
	s_xor_b32 s28, exec_lo, s28
	s_cbranch_execz .LBB520_53
; %bb.50:
	v_lshlrev_b32_e32 v35, 16, v36
	v_lshlrev_b32_e32 v36, 16, v37
	v_max_f32_e32 v37, v35, v35
	v_max_f32_e32 v38, v36, v36
	v_cmp_u_f32_e32 vcc_lo, v36, v36
	v_min_f32_e32 v39, v38, v37
	v_max_f32_e32 v37, v38, v37
	v_cndmask_b32_e32 v38, v39, v36, vcc_lo
	v_cndmask_b32_e32 v39, v37, v36, vcc_lo
	v_cmp_u_f32_e32 vcc_lo, v35, v35
	v_cndmask_b32_e32 v37, v38, v35, vcc_lo
	v_cndmask_b32_e32 v35, v39, v35, vcc_lo
	v_cmp_class_f32_e64 s29, v37, 0x1f8
	v_cmp_neq_f32_e32 vcc_lo, v37, v35
	s_or_b32 s30, vcc_lo, s29
	s_and_saveexec_b32 s29, s30
	s_cbranch_execz .LBB520_52
; %bb.51:
	v_sub_f32_e32 v36, v37, v35
	s_mov_b32 s30, 0x3e9b6dac
	v_mul_f32_e32 v37, 0x3fb8aa3b, v36
	v_cmp_ngt_f32_e32 vcc_lo, 0xc2ce8ed0, v36
	v_fma_f32 v38, 0x3fb8aa3b, v36, -v37
	v_rndne_f32_e32 v39, v37
	v_fmamk_f32 v38, v36, 0x32a5705f, v38
	v_sub_f32_e32 v37, v37, v39
	v_add_f32_e32 v37, v37, v38
	v_cvt_i32_f32_e32 v38, v39
	v_exp_f32_e32 v37, v37
	v_ldexp_f32 v37, v37, v38
	v_cndmask_b32_e32 v37, 0, v37, vcc_lo
	v_cmp_nlt_f32_e32 vcc_lo, 0x42b17218, v36
	v_cndmask_b32_e32 v38, 0x7f800000, v37, vcc_lo
	v_add_f32_e32 v39, 1.0, v38
	v_cvt_f64_f32_e32 v[36:37], v39
	v_frexp_exp_i32_f64_e32 v36, v[36:37]
	v_frexp_mant_f32_e32 v37, v39
	v_cmp_gt_f32_e32 vcc_lo, 0x3f2aaaab, v37
	v_add_f32_e32 v37, -1.0, v39
	v_sub_f32_e32 v41, v37, v39
	v_sub_f32_e32 v37, v38, v37
	v_add_f32_e32 v41, 1.0, v41
	v_add_f32_e32 v37, v37, v41
	v_subrev_co_ci_u32_e64 v36, null, 0, v36, vcc_lo
	v_cmp_neq_f32_e32 vcc_lo, 0x7f800000, v38
	v_sub_nc_u32_e32 v40, 0, v36
	v_cvt_f32_i32_e32 v36, v36
	v_ldexp_f32 v39, v39, v40
	v_ldexp_f32 v37, v37, v40
	v_add_f32_e32 v42, 1.0, v39
	v_add_f32_e32 v40, -1.0, v39
	v_add_f32_e32 v41, -1.0, v42
	v_add_f32_e32 v43, 1.0, v40
	v_sub_f32_e32 v41, v39, v41
	v_sub_f32_e32 v39, v39, v43
	v_add_f32_e32 v41, v37, v41
	v_add_f32_e32 v37, v37, v39
	;; [unrolled: 1-line block ×4, first 2 shown]
	v_rcp_f32_e32 v39, v43
	v_sub_f32_e32 v42, v42, v43
	v_sub_f32_e32 v40, v40, v44
	v_add_f32_e32 v41, v41, v42
	v_add_f32_e32 v37, v37, v40
	v_mul_f32_e32 v45, v44, v39
	v_mul_f32_e32 v46, v43, v45
	v_fma_f32 v42, v45, v43, -v46
	v_fmac_f32_e32 v42, v45, v41
	v_add_f32_e32 v47, v46, v42
	v_sub_f32_e32 v48, v44, v47
	v_sub_f32_e32 v40, v47, v46
	;; [unrolled: 1-line block ×5, first 2 shown]
	v_add_f32_e32 v37, v37, v44
	v_add_f32_e32 v37, v40, v37
	;; [unrolled: 1-line block ×3, first 2 shown]
	v_mul_f32_e32 v42, v39, v40
	v_sub_f32_e32 v47, v48, v40
	v_mul_f32_e32 v44, v43, v42
	v_add_f32_e32 v37, v37, v47
	v_fma_f32 v43, v42, v43, -v44
	v_fmac_f32_e32 v43, v42, v41
	v_add_f32_e32 v41, v44, v43
	v_sub_f32_e32 v46, v40, v41
	v_sub_f32_e32 v44, v41, v44
	;; [unrolled: 1-line block ×5, first 2 shown]
	v_add_f32_e32 v37, v37, v40
	v_add_f32_e32 v40, v45, v42
	;; [unrolled: 1-line block ×3, first 2 shown]
	v_sub_f32_e32 v41, v40, v45
	v_add_f32_e32 v37, v46, v37
	v_sub_f32_e32 v41, v42, v41
	v_mul_f32_e32 v37, v39, v37
	v_add_f32_e32 v37, v41, v37
	v_add_f32_e32 v39, v40, v37
	v_mul_f32_e32 v41, v39, v39
	v_fmaak_f32 v42, s30, v41, 0x3ecc95a3
	v_mul_f32_e32 v43, v39, v41
	v_fmaak_f32 v41, v41, v42, 0x3f2aaada
	v_ldexp_f32 v42, v39, 1
	v_sub_f32_e32 v39, v39, v40
	v_mul_f32_e32 v41, v43, v41
	v_mul_f32_e32 v43, 0x3f317218, v36
	v_sub_f32_e32 v37, v37, v39
	v_add_f32_e32 v40, v42, v41
	v_ldexp_f32 v37, v37, 1
	v_sub_f32_e32 v39, v40, v42
	v_fma_f32 v42, 0x3f317218, v36, -v43
	v_sub_f32_e32 v39, v41, v39
	v_fmamk_f32 v36, v36, 0xb102e308, v42
	v_add_f32_e32 v37, v37, v39
	v_add_f32_e32 v39, v43, v36
	;; [unrolled: 1-line block ×3, first 2 shown]
	v_sub_f32_e32 v43, v39, v43
	v_add_f32_e32 v42, v39, v41
	v_sub_f32_e32 v40, v41, v40
	v_sub_f32_e32 v36, v36, v43
	;; [unrolled: 1-line block ×6, first 2 shown]
	v_add_f32_e32 v41, v36, v37
	v_sub_f32_e32 v39, v39, v45
	v_add_f32_e32 v39, v40, v39
	v_sub_f32_e32 v40, v41, v36
	;; [unrolled: 2-line block ×3, first 2 shown]
	v_sub_f32_e32 v37, v37, v40
	v_add_f32_e32 v43, v42, v39
	v_sub_f32_e32 v36, v36, v41
	v_sub_f32_e32 v40, v43, v42
	v_add_f32_e32 v36, v37, v36
	v_sub_f32_e32 v37, v39, v40
	v_add_f32_e32 v36, v36, v37
	v_add_f32_e32 v36, v43, v36
	v_cndmask_b32_e32 v36, 0x7f800000, v36, vcc_lo
	v_cmp_gt_f32_e64 vcc_lo, 0x33800000, |v38|
	v_cndmask_b32_e32 v36, v36, v38, vcc_lo
	v_add_f32_e32 v36, v35, v36
.LBB520_52:
	s_or_b32 exec_lo, exec_lo, s29
	v_bfe_u32 v35, v36, 16, 1
	v_cmp_o_f32_e32 vcc_lo, v36, v36
	v_add3_u32 v35, v36, v35, 0x7fff
	v_mov_b32_e32 v36, 0x7fc0
	v_cndmask_b32_sdwa v35, v36, v35, vcc_lo dst_sel:DWORD dst_unused:UNUSED_PAD src0_sel:DWORD src1_sel:WORD_1
	v_and_b32_e32 v36, 0xffff, v35
.LBB520_53:
	s_or_b32 exec_lo, exec_lo, s28
	v_mov_b32_dpp v37, v36 row_shr:2 row_mask:0xf bank_mask:0xf
	s_mov_b32 s28, exec_lo
	v_cmpx_lt_u32_e32 1, v34
	s_cbranch_execz .LBB520_57
; %bb.54:
	v_lshlrev_b32_e32 v35, 16, v36
	v_lshlrev_b32_e32 v36, 16, v37
	v_max_f32_e32 v37, v35, v35
	v_max_f32_e32 v38, v36, v36
	v_cmp_u_f32_e32 vcc_lo, v36, v36
	v_min_f32_e32 v39, v38, v37
	v_max_f32_e32 v37, v38, v37
	v_cndmask_b32_e32 v38, v39, v36, vcc_lo
	v_cndmask_b32_e32 v39, v37, v36, vcc_lo
	v_cmp_u_f32_e32 vcc_lo, v35, v35
	v_cndmask_b32_e32 v37, v38, v35, vcc_lo
	v_cndmask_b32_e32 v35, v39, v35, vcc_lo
	v_cmp_class_f32_e64 s29, v37, 0x1f8
	v_cmp_neq_f32_e32 vcc_lo, v37, v35
	s_or_b32 s30, vcc_lo, s29
	s_and_saveexec_b32 s29, s30
	s_cbranch_execz .LBB520_56
; %bb.55:
	v_sub_f32_e32 v36, v37, v35
	s_mov_b32 s30, 0x3e9b6dac
	v_mul_f32_e32 v37, 0x3fb8aa3b, v36
	v_cmp_ngt_f32_e32 vcc_lo, 0xc2ce8ed0, v36
	v_fma_f32 v38, 0x3fb8aa3b, v36, -v37
	v_rndne_f32_e32 v39, v37
	v_fmamk_f32 v38, v36, 0x32a5705f, v38
	v_sub_f32_e32 v37, v37, v39
	v_add_f32_e32 v37, v37, v38
	v_cvt_i32_f32_e32 v38, v39
	v_exp_f32_e32 v37, v37
	v_ldexp_f32 v37, v37, v38
	v_cndmask_b32_e32 v37, 0, v37, vcc_lo
	v_cmp_nlt_f32_e32 vcc_lo, 0x42b17218, v36
	v_cndmask_b32_e32 v38, 0x7f800000, v37, vcc_lo
	v_add_f32_e32 v39, 1.0, v38
	v_cvt_f64_f32_e32 v[36:37], v39
	v_frexp_exp_i32_f64_e32 v36, v[36:37]
	v_frexp_mant_f32_e32 v37, v39
	v_cmp_gt_f32_e32 vcc_lo, 0x3f2aaaab, v37
	v_add_f32_e32 v37, -1.0, v39
	v_sub_f32_e32 v41, v37, v39
	v_sub_f32_e32 v37, v38, v37
	v_add_f32_e32 v41, 1.0, v41
	v_add_f32_e32 v37, v37, v41
	v_subrev_co_ci_u32_e64 v36, null, 0, v36, vcc_lo
	v_cmp_neq_f32_e32 vcc_lo, 0x7f800000, v38
	v_sub_nc_u32_e32 v40, 0, v36
	v_cvt_f32_i32_e32 v36, v36
	v_ldexp_f32 v39, v39, v40
	v_ldexp_f32 v37, v37, v40
	v_add_f32_e32 v42, 1.0, v39
	v_add_f32_e32 v40, -1.0, v39
	v_add_f32_e32 v41, -1.0, v42
	v_add_f32_e32 v43, 1.0, v40
	v_sub_f32_e32 v41, v39, v41
	v_sub_f32_e32 v39, v39, v43
	v_add_f32_e32 v41, v37, v41
	v_add_f32_e32 v37, v37, v39
	;; [unrolled: 1-line block ×4, first 2 shown]
	v_rcp_f32_e32 v39, v43
	v_sub_f32_e32 v42, v42, v43
	v_sub_f32_e32 v40, v40, v44
	v_add_f32_e32 v41, v41, v42
	v_add_f32_e32 v37, v37, v40
	v_mul_f32_e32 v45, v44, v39
	v_mul_f32_e32 v46, v43, v45
	v_fma_f32 v42, v45, v43, -v46
	v_fmac_f32_e32 v42, v45, v41
	v_add_f32_e32 v47, v46, v42
	v_sub_f32_e32 v48, v44, v47
	v_sub_f32_e32 v40, v47, v46
	;; [unrolled: 1-line block ×5, first 2 shown]
	v_add_f32_e32 v37, v37, v44
	v_add_f32_e32 v37, v40, v37
	;; [unrolled: 1-line block ×3, first 2 shown]
	v_mul_f32_e32 v42, v39, v40
	v_sub_f32_e32 v47, v48, v40
	v_mul_f32_e32 v44, v43, v42
	v_add_f32_e32 v37, v37, v47
	v_fma_f32 v43, v42, v43, -v44
	v_fmac_f32_e32 v43, v42, v41
	v_add_f32_e32 v41, v44, v43
	v_sub_f32_e32 v46, v40, v41
	v_sub_f32_e32 v44, v41, v44
	;; [unrolled: 1-line block ×5, first 2 shown]
	v_add_f32_e32 v37, v37, v40
	v_add_f32_e32 v40, v45, v42
	v_add_f32_e32 v37, v41, v37
	v_sub_f32_e32 v41, v40, v45
	v_add_f32_e32 v37, v46, v37
	v_sub_f32_e32 v41, v42, v41
	v_mul_f32_e32 v37, v39, v37
	v_add_f32_e32 v37, v41, v37
	v_add_f32_e32 v39, v40, v37
	v_mul_f32_e32 v41, v39, v39
	v_fmaak_f32 v42, s30, v41, 0x3ecc95a3
	v_mul_f32_e32 v43, v39, v41
	v_fmaak_f32 v41, v41, v42, 0x3f2aaada
	v_ldexp_f32 v42, v39, 1
	v_sub_f32_e32 v39, v39, v40
	v_mul_f32_e32 v41, v43, v41
	v_mul_f32_e32 v43, 0x3f317218, v36
	v_sub_f32_e32 v37, v37, v39
	v_add_f32_e32 v40, v42, v41
	v_ldexp_f32 v37, v37, 1
	v_sub_f32_e32 v39, v40, v42
	v_fma_f32 v42, 0x3f317218, v36, -v43
	v_sub_f32_e32 v39, v41, v39
	v_fmamk_f32 v36, v36, 0xb102e308, v42
	v_add_f32_e32 v37, v37, v39
	v_add_f32_e32 v39, v43, v36
	;; [unrolled: 1-line block ×3, first 2 shown]
	v_sub_f32_e32 v43, v39, v43
	v_add_f32_e32 v42, v39, v41
	v_sub_f32_e32 v40, v41, v40
	v_sub_f32_e32 v36, v36, v43
	;; [unrolled: 1-line block ×6, first 2 shown]
	v_add_f32_e32 v41, v36, v37
	v_sub_f32_e32 v39, v39, v45
	v_add_f32_e32 v39, v40, v39
	v_sub_f32_e32 v40, v41, v36
	;; [unrolled: 2-line block ×3, first 2 shown]
	v_sub_f32_e32 v37, v37, v40
	v_add_f32_e32 v43, v42, v39
	v_sub_f32_e32 v36, v36, v41
	v_sub_f32_e32 v40, v43, v42
	v_add_f32_e32 v36, v37, v36
	v_sub_f32_e32 v37, v39, v40
	v_add_f32_e32 v36, v36, v37
	v_add_f32_e32 v36, v43, v36
	v_cndmask_b32_e32 v36, 0x7f800000, v36, vcc_lo
	v_cmp_gt_f32_e64 vcc_lo, 0x33800000, |v38|
	v_cndmask_b32_e32 v36, v36, v38, vcc_lo
	v_add_f32_e32 v36, v35, v36
.LBB520_56:
	s_or_b32 exec_lo, exec_lo, s29
	v_bfe_u32 v35, v36, 16, 1
	v_cmp_o_f32_e32 vcc_lo, v36, v36
	v_add3_u32 v35, v36, v35, 0x7fff
	v_mov_b32_e32 v36, 0x7fc0
	v_cndmask_b32_sdwa v35, v36, v35, vcc_lo dst_sel:DWORD dst_unused:UNUSED_PAD src0_sel:DWORD src1_sel:WORD_1
	v_and_b32_e32 v36, 0xffff, v35
.LBB520_57:
	s_or_b32 exec_lo, exec_lo, s28
	v_mov_b32_dpp v37, v36 row_shr:4 row_mask:0xf bank_mask:0xf
	s_mov_b32 s28, exec_lo
	v_cmpx_lt_u32_e32 3, v34
	s_cbranch_execz .LBB520_61
; %bb.58:
	v_lshlrev_b32_e32 v35, 16, v36
	v_lshlrev_b32_e32 v36, 16, v37
	v_max_f32_e32 v37, v35, v35
	v_max_f32_e32 v38, v36, v36
	v_cmp_u_f32_e32 vcc_lo, v36, v36
	v_min_f32_e32 v39, v38, v37
	v_max_f32_e32 v37, v38, v37
	v_cndmask_b32_e32 v38, v39, v36, vcc_lo
	v_cndmask_b32_e32 v39, v37, v36, vcc_lo
	v_cmp_u_f32_e32 vcc_lo, v35, v35
	v_cndmask_b32_e32 v37, v38, v35, vcc_lo
	v_cndmask_b32_e32 v35, v39, v35, vcc_lo
	v_cmp_class_f32_e64 s29, v37, 0x1f8
	v_cmp_neq_f32_e32 vcc_lo, v37, v35
	s_or_b32 s30, vcc_lo, s29
	s_and_saveexec_b32 s29, s30
	s_cbranch_execz .LBB520_60
; %bb.59:
	v_sub_f32_e32 v36, v37, v35
	s_mov_b32 s30, 0x3e9b6dac
	v_mul_f32_e32 v37, 0x3fb8aa3b, v36
	v_cmp_ngt_f32_e32 vcc_lo, 0xc2ce8ed0, v36
	v_fma_f32 v38, 0x3fb8aa3b, v36, -v37
	v_rndne_f32_e32 v39, v37
	v_fmamk_f32 v38, v36, 0x32a5705f, v38
	v_sub_f32_e32 v37, v37, v39
	v_add_f32_e32 v37, v37, v38
	v_cvt_i32_f32_e32 v38, v39
	v_exp_f32_e32 v37, v37
	v_ldexp_f32 v37, v37, v38
	v_cndmask_b32_e32 v37, 0, v37, vcc_lo
	v_cmp_nlt_f32_e32 vcc_lo, 0x42b17218, v36
	v_cndmask_b32_e32 v38, 0x7f800000, v37, vcc_lo
	v_add_f32_e32 v39, 1.0, v38
	v_cvt_f64_f32_e32 v[36:37], v39
	v_frexp_exp_i32_f64_e32 v36, v[36:37]
	v_frexp_mant_f32_e32 v37, v39
	v_cmp_gt_f32_e32 vcc_lo, 0x3f2aaaab, v37
	v_add_f32_e32 v37, -1.0, v39
	v_sub_f32_e32 v41, v37, v39
	v_sub_f32_e32 v37, v38, v37
	v_add_f32_e32 v41, 1.0, v41
	v_add_f32_e32 v37, v37, v41
	v_subrev_co_ci_u32_e64 v36, null, 0, v36, vcc_lo
	v_cmp_neq_f32_e32 vcc_lo, 0x7f800000, v38
	v_sub_nc_u32_e32 v40, 0, v36
	v_cvt_f32_i32_e32 v36, v36
	v_ldexp_f32 v39, v39, v40
	v_ldexp_f32 v37, v37, v40
	v_add_f32_e32 v42, 1.0, v39
	v_add_f32_e32 v40, -1.0, v39
	v_add_f32_e32 v41, -1.0, v42
	v_add_f32_e32 v43, 1.0, v40
	v_sub_f32_e32 v41, v39, v41
	v_sub_f32_e32 v39, v39, v43
	v_add_f32_e32 v41, v37, v41
	v_add_f32_e32 v37, v37, v39
	;; [unrolled: 1-line block ×4, first 2 shown]
	v_rcp_f32_e32 v39, v43
	v_sub_f32_e32 v42, v42, v43
	v_sub_f32_e32 v40, v40, v44
	v_add_f32_e32 v41, v41, v42
	v_add_f32_e32 v37, v37, v40
	v_mul_f32_e32 v45, v44, v39
	v_mul_f32_e32 v46, v43, v45
	v_fma_f32 v42, v45, v43, -v46
	v_fmac_f32_e32 v42, v45, v41
	v_add_f32_e32 v47, v46, v42
	v_sub_f32_e32 v48, v44, v47
	v_sub_f32_e32 v40, v47, v46
	;; [unrolled: 1-line block ×5, first 2 shown]
	v_add_f32_e32 v37, v37, v44
	v_add_f32_e32 v37, v40, v37
	;; [unrolled: 1-line block ×3, first 2 shown]
	v_mul_f32_e32 v42, v39, v40
	v_sub_f32_e32 v47, v48, v40
	v_mul_f32_e32 v44, v43, v42
	v_add_f32_e32 v37, v37, v47
	v_fma_f32 v43, v42, v43, -v44
	v_fmac_f32_e32 v43, v42, v41
	v_add_f32_e32 v41, v44, v43
	v_sub_f32_e32 v46, v40, v41
	v_sub_f32_e32 v44, v41, v44
	v_sub_f32_e32 v40, v40, v46
	v_sub_f32_e32 v40, v40, v41
	v_sub_f32_e32 v41, v44, v43
	v_add_f32_e32 v37, v37, v40
	v_add_f32_e32 v40, v45, v42
	;; [unrolled: 1-line block ×3, first 2 shown]
	v_sub_f32_e32 v41, v40, v45
	v_add_f32_e32 v37, v46, v37
	v_sub_f32_e32 v41, v42, v41
	v_mul_f32_e32 v37, v39, v37
	v_add_f32_e32 v37, v41, v37
	v_add_f32_e32 v39, v40, v37
	v_mul_f32_e32 v41, v39, v39
	v_fmaak_f32 v42, s30, v41, 0x3ecc95a3
	v_mul_f32_e32 v43, v39, v41
	v_fmaak_f32 v41, v41, v42, 0x3f2aaada
	v_ldexp_f32 v42, v39, 1
	v_sub_f32_e32 v39, v39, v40
	v_mul_f32_e32 v41, v43, v41
	v_mul_f32_e32 v43, 0x3f317218, v36
	v_sub_f32_e32 v37, v37, v39
	v_add_f32_e32 v40, v42, v41
	v_ldexp_f32 v37, v37, 1
	v_sub_f32_e32 v39, v40, v42
	v_fma_f32 v42, 0x3f317218, v36, -v43
	v_sub_f32_e32 v39, v41, v39
	v_fmamk_f32 v36, v36, 0xb102e308, v42
	v_add_f32_e32 v37, v37, v39
	v_add_f32_e32 v39, v43, v36
	;; [unrolled: 1-line block ×3, first 2 shown]
	v_sub_f32_e32 v43, v39, v43
	v_add_f32_e32 v42, v39, v41
	v_sub_f32_e32 v40, v41, v40
	v_sub_f32_e32 v36, v36, v43
	;; [unrolled: 1-line block ×6, first 2 shown]
	v_add_f32_e32 v41, v36, v37
	v_sub_f32_e32 v39, v39, v45
	v_add_f32_e32 v39, v40, v39
	v_sub_f32_e32 v40, v41, v36
	;; [unrolled: 2-line block ×3, first 2 shown]
	v_sub_f32_e32 v37, v37, v40
	v_add_f32_e32 v43, v42, v39
	v_sub_f32_e32 v36, v36, v41
	v_sub_f32_e32 v40, v43, v42
	v_add_f32_e32 v36, v37, v36
	v_sub_f32_e32 v37, v39, v40
	v_add_f32_e32 v36, v36, v37
	v_add_f32_e32 v36, v43, v36
	v_cndmask_b32_e32 v36, 0x7f800000, v36, vcc_lo
	v_cmp_gt_f32_e64 vcc_lo, 0x33800000, |v38|
	v_cndmask_b32_e32 v36, v36, v38, vcc_lo
	v_add_f32_e32 v36, v35, v36
.LBB520_60:
	s_or_b32 exec_lo, exec_lo, s29
	v_bfe_u32 v35, v36, 16, 1
	v_cmp_o_f32_e32 vcc_lo, v36, v36
	v_add3_u32 v35, v36, v35, 0x7fff
	v_mov_b32_e32 v36, 0x7fc0
	v_cndmask_b32_sdwa v35, v36, v35, vcc_lo dst_sel:DWORD dst_unused:UNUSED_PAD src0_sel:DWORD src1_sel:WORD_1
	v_and_b32_e32 v36, 0xffff, v35
.LBB520_61:
	s_or_b32 exec_lo, exec_lo, s28
	v_mov_b32_dpp v37, v36 row_shr:8 row_mask:0xf bank_mask:0xf
	s_mov_b32 s28, exec_lo
	v_cmpx_lt_u32_e32 7, v34
	s_cbranch_execz .LBB520_65
; %bb.62:
	v_lshlrev_b32_e32 v34, 16, v36
	v_lshlrev_b32_e32 v35, 16, v37
	v_max_f32_e32 v36, v34, v34
	v_max_f32_e32 v37, v35, v35
	v_cmp_u_f32_e32 vcc_lo, v35, v35
	v_min_f32_e32 v38, v37, v36
	v_max_f32_e32 v36, v37, v36
	v_cndmask_b32_e32 v37, v38, v35, vcc_lo
	v_cndmask_b32_e32 v38, v36, v35, vcc_lo
	v_cmp_u_f32_e32 vcc_lo, v34, v34
	v_cndmask_b32_e32 v36, v37, v34, vcc_lo
	v_cndmask_b32_e32 v34, v38, v34, vcc_lo
	v_cmp_class_f32_e64 s29, v36, 0x1f8
	v_cmp_neq_f32_e32 vcc_lo, v36, v34
	s_or_b32 s30, vcc_lo, s29
	s_and_saveexec_b32 s29, s30
	s_cbranch_execz .LBB520_64
; %bb.63:
	v_sub_f32_e32 v35, v36, v34
	s_mov_b32 s30, 0x3e9b6dac
	v_mul_f32_e32 v36, 0x3fb8aa3b, v35
	v_cmp_ngt_f32_e32 vcc_lo, 0xc2ce8ed0, v35
	v_fma_f32 v37, 0x3fb8aa3b, v35, -v36
	v_rndne_f32_e32 v38, v36
	v_fmamk_f32 v37, v35, 0x32a5705f, v37
	v_sub_f32_e32 v36, v36, v38
	v_add_f32_e32 v36, v36, v37
	v_cvt_i32_f32_e32 v37, v38
	v_exp_f32_e32 v36, v36
	v_ldexp_f32 v36, v36, v37
	v_cndmask_b32_e32 v36, 0, v36, vcc_lo
	v_cmp_nlt_f32_e32 vcc_lo, 0x42b17218, v35
	v_cndmask_b32_e32 v37, 0x7f800000, v36, vcc_lo
	v_add_f32_e32 v38, 1.0, v37
	v_cvt_f64_f32_e32 v[35:36], v38
	v_frexp_exp_i32_f64_e32 v35, v[35:36]
	v_frexp_mant_f32_e32 v36, v38
	v_cmp_gt_f32_e32 vcc_lo, 0x3f2aaaab, v36
	v_add_f32_e32 v36, -1.0, v38
	v_sub_f32_e32 v40, v36, v38
	v_sub_f32_e32 v36, v37, v36
	v_add_f32_e32 v40, 1.0, v40
	v_add_f32_e32 v36, v36, v40
	v_subrev_co_ci_u32_e64 v35, null, 0, v35, vcc_lo
	v_cmp_neq_f32_e32 vcc_lo, 0x7f800000, v37
	v_sub_nc_u32_e32 v39, 0, v35
	v_cvt_f32_i32_e32 v35, v35
	v_ldexp_f32 v38, v38, v39
	v_ldexp_f32 v36, v36, v39
	v_add_f32_e32 v41, 1.0, v38
	v_add_f32_e32 v39, -1.0, v38
	v_add_f32_e32 v40, -1.0, v41
	v_add_f32_e32 v42, 1.0, v39
	v_sub_f32_e32 v40, v38, v40
	v_sub_f32_e32 v38, v38, v42
	v_add_f32_e32 v40, v36, v40
	v_add_f32_e32 v36, v36, v38
	;; [unrolled: 1-line block ×4, first 2 shown]
	v_rcp_f32_e32 v38, v42
	v_sub_f32_e32 v41, v41, v42
	v_sub_f32_e32 v39, v39, v43
	v_add_f32_e32 v40, v40, v41
	v_add_f32_e32 v36, v36, v39
	v_mul_f32_e32 v44, v43, v38
	v_mul_f32_e32 v45, v42, v44
	v_fma_f32 v41, v44, v42, -v45
	v_fmac_f32_e32 v41, v44, v40
	v_add_f32_e32 v46, v45, v41
	v_sub_f32_e32 v47, v43, v46
	v_sub_f32_e32 v39, v46, v45
	;; [unrolled: 1-line block ×5, first 2 shown]
	v_add_f32_e32 v36, v36, v43
	v_add_f32_e32 v36, v39, v36
	;; [unrolled: 1-line block ×3, first 2 shown]
	v_mul_f32_e32 v41, v38, v39
	v_sub_f32_e32 v46, v47, v39
	v_mul_f32_e32 v43, v42, v41
	v_add_f32_e32 v36, v36, v46
	v_fma_f32 v42, v41, v42, -v43
	v_fmac_f32_e32 v42, v41, v40
	v_add_f32_e32 v40, v43, v42
	v_sub_f32_e32 v45, v39, v40
	v_sub_f32_e32 v43, v40, v43
	;; [unrolled: 1-line block ×5, first 2 shown]
	v_add_f32_e32 v36, v36, v39
	v_add_f32_e32 v39, v44, v41
	;; [unrolled: 1-line block ×3, first 2 shown]
	v_sub_f32_e32 v40, v39, v44
	v_add_f32_e32 v36, v45, v36
	v_sub_f32_e32 v40, v41, v40
	v_mul_f32_e32 v36, v38, v36
	v_add_f32_e32 v36, v40, v36
	v_add_f32_e32 v38, v39, v36
	v_mul_f32_e32 v40, v38, v38
	v_fmaak_f32 v41, s30, v40, 0x3ecc95a3
	v_mul_f32_e32 v42, v38, v40
	v_fmaak_f32 v40, v40, v41, 0x3f2aaada
	v_ldexp_f32 v41, v38, 1
	v_sub_f32_e32 v38, v38, v39
	v_mul_f32_e32 v40, v42, v40
	v_mul_f32_e32 v42, 0x3f317218, v35
	v_sub_f32_e32 v36, v36, v38
	v_add_f32_e32 v39, v41, v40
	v_ldexp_f32 v36, v36, 1
	v_sub_f32_e32 v38, v39, v41
	v_fma_f32 v41, 0x3f317218, v35, -v42
	v_sub_f32_e32 v38, v40, v38
	v_fmamk_f32 v35, v35, 0xb102e308, v41
	v_add_f32_e32 v36, v36, v38
	v_add_f32_e32 v38, v42, v35
	;; [unrolled: 1-line block ×3, first 2 shown]
	v_sub_f32_e32 v42, v38, v42
	v_add_f32_e32 v41, v38, v40
	v_sub_f32_e32 v39, v40, v39
	v_sub_f32_e32 v35, v35, v42
	;; [unrolled: 1-line block ×6, first 2 shown]
	v_add_f32_e32 v40, v35, v36
	v_sub_f32_e32 v38, v38, v44
	v_add_f32_e32 v38, v39, v38
	v_sub_f32_e32 v39, v40, v35
	;; [unrolled: 2-line block ×3, first 2 shown]
	v_sub_f32_e32 v36, v36, v39
	v_add_f32_e32 v42, v41, v38
	v_sub_f32_e32 v35, v35, v40
	v_sub_f32_e32 v39, v42, v41
	v_add_f32_e32 v35, v36, v35
	v_sub_f32_e32 v36, v38, v39
	v_add_f32_e32 v35, v35, v36
	v_add_f32_e32 v35, v42, v35
	v_cndmask_b32_e32 v35, 0x7f800000, v35, vcc_lo
	v_cmp_gt_f32_e64 vcc_lo, 0x33800000, |v37|
	v_cndmask_b32_e32 v35, v35, v37, vcc_lo
	v_add_f32_e32 v35, v34, v35
.LBB520_64:
	s_or_b32 exec_lo, exec_lo, s29
	v_bfe_u32 v34, v35, 16, 1
	v_cmp_o_f32_e32 vcc_lo, v35, v35
	v_add3_u32 v34, v35, v34, 0x7fff
	v_mov_b32_e32 v35, 0x7fc0
	v_cndmask_b32_sdwa v35, v35, v34, vcc_lo dst_sel:DWORD dst_unused:UNUSED_PAD src0_sel:DWORD src1_sel:WORD_1
	v_and_b32_e32 v36, 0xffff, v35
.LBB520_65:
	s_or_b32 exec_lo, exec_lo, s28
	ds_swizzle_b32 v34, v36 offset:swizzle(BROADCAST,32,15)
	v_and_b32_e32 v37, 16, v33
	s_mov_b32 s28, exec_lo
	v_cmpx_ne_u32_e32 0, v37
	s_cbranch_execz .LBB520_69
; %bb.66:
	v_lshlrev_b32_e32 v37, 16, v36
	s_waitcnt lgkmcnt(0)
	v_lshlrev_b32_e32 v35, 16, v34
	v_max_f32_e32 v34, v37, v37
	v_max_f32_e32 v36, v35, v35
	v_cmp_u_f32_e32 vcc_lo, v35, v35
	v_min_f32_e32 v38, v36, v34
	v_max_f32_e32 v34, v36, v34
	v_cndmask_b32_e32 v36, v38, v35, vcc_lo
	v_cndmask_b32_e32 v34, v34, v35, vcc_lo
	v_cmp_u_f32_e32 vcc_lo, v37, v37
	v_cndmask_b32_e32 v36, v36, v37, vcc_lo
	v_cndmask_b32_e32 v34, v34, v37, vcc_lo
	v_cmp_class_f32_e64 s29, v36, 0x1f8
	v_cmp_neq_f32_e32 vcc_lo, v36, v34
	s_or_b32 s30, vcc_lo, s29
	s_and_saveexec_b32 s29, s30
	s_cbranch_execz .LBB520_68
; %bb.67:
	v_sub_f32_e32 v35, v36, v34
	s_mov_b32 s30, 0x3e9b6dac
	v_mul_f32_e32 v36, 0x3fb8aa3b, v35
	v_cmp_ngt_f32_e32 vcc_lo, 0xc2ce8ed0, v35
	v_fma_f32 v37, 0x3fb8aa3b, v35, -v36
	v_rndne_f32_e32 v38, v36
	v_fmamk_f32 v37, v35, 0x32a5705f, v37
	v_sub_f32_e32 v36, v36, v38
	v_add_f32_e32 v36, v36, v37
	v_cvt_i32_f32_e32 v37, v38
	v_exp_f32_e32 v36, v36
	v_ldexp_f32 v36, v36, v37
	v_cndmask_b32_e32 v36, 0, v36, vcc_lo
	v_cmp_nlt_f32_e32 vcc_lo, 0x42b17218, v35
	v_cndmask_b32_e32 v37, 0x7f800000, v36, vcc_lo
	v_add_f32_e32 v38, 1.0, v37
	v_cvt_f64_f32_e32 v[35:36], v38
	v_frexp_exp_i32_f64_e32 v35, v[35:36]
	v_frexp_mant_f32_e32 v36, v38
	v_cmp_gt_f32_e32 vcc_lo, 0x3f2aaaab, v36
	v_add_f32_e32 v36, -1.0, v38
	v_sub_f32_e32 v40, v36, v38
	v_sub_f32_e32 v36, v37, v36
	v_add_f32_e32 v40, 1.0, v40
	v_add_f32_e32 v36, v36, v40
	v_subrev_co_ci_u32_e64 v35, null, 0, v35, vcc_lo
	v_cmp_neq_f32_e32 vcc_lo, 0x7f800000, v37
	v_sub_nc_u32_e32 v39, 0, v35
	v_cvt_f32_i32_e32 v35, v35
	v_ldexp_f32 v38, v38, v39
	v_ldexp_f32 v36, v36, v39
	v_add_f32_e32 v41, 1.0, v38
	v_add_f32_e32 v39, -1.0, v38
	v_add_f32_e32 v40, -1.0, v41
	v_add_f32_e32 v42, 1.0, v39
	v_sub_f32_e32 v40, v38, v40
	v_sub_f32_e32 v38, v38, v42
	v_add_f32_e32 v40, v36, v40
	v_add_f32_e32 v36, v36, v38
	;; [unrolled: 1-line block ×4, first 2 shown]
	v_rcp_f32_e32 v38, v42
	v_sub_f32_e32 v41, v41, v42
	v_sub_f32_e32 v39, v39, v43
	v_add_f32_e32 v40, v40, v41
	v_add_f32_e32 v36, v36, v39
	v_mul_f32_e32 v44, v43, v38
	v_mul_f32_e32 v45, v42, v44
	v_fma_f32 v41, v44, v42, -v45
	v_fmac_f32_e32 v41, v44, v40
	v_add_f32_e32 v46, v45, v41
	v_sub_f32_e32 v47, v43, v46
	v_sub_f32_e32 v39, v46, v45
	;; [unrolled: 1-line block ×5, first 2 shown]
	v_add_f32_e32 v36, v36, v43
	v_add_f32_e32 v36, v39, v36
	;; [unrolled: 1-line block ×3, first 2 shown]
	v_mul_f32_e32 v41, v38, v39
	v_sub_f32_e32 v46, v47, v39
	v_mul_f32_e32 v43, v42, v41
	v_add_f32_e32 v36, v36, v46
	v_fma_f32 v42, v41, v42, -v43
	v_fmac_f32_e32 v42, v41, v40
	v_add_f32_e32 v40, v43, v42
	v_sub_f32_e32 v45, v39, v40
	v_sub_f32_e32 v43, v40, v43
	;; [unrolled: 1-line block ×5, first 2 shown]
	v_add_f32_e32 v36, v36, v39
	v_add_f32_e32 v39, v44, v41
	;; [unrolled: 1-line block ×3, first 2 shown]
	v_sub_f32_e32 v40, v39, v44
	v_add_f32_e32 v36, v45, v36
	v_sub_f32_e32 v40, v41, v40
	v_mul_f32_e32 v36, v38, v36
	v_add_f32_e32 v36, v40, v36
	v_add_f32_e32 v38, v39, v36
	v_mul_f32_e32 v40, v38, v38
	v_fmaak_f32 v41, s30, v40, 0x3ecc95a3
	v_mul_f32_e32 v42, v38, v40
	v_fmaak_f32 v40, v40, v41, 0x3f2aaada
	v_ldexp_f32 v41, v38, 1
	v_sub_f32_e32 v38, v38, v39
	v_mul_f32_e32 v40, v42, v40
	v_mul_f32_e32 v42, 0x3f317218, v35
	v_sub_f32_e32 v36, v36, v38
	v_add_f32_e32 v39, v41, v40
	v_ldexp_f32 v36, v36, 1
	v_sub_f32_e32 v38, v39, v41
	v_fma_f32 v41, 0x3f317218, v35, -v42
	v_sub_f32_e32 v38, v40, v38
	v_fmamk_f32 v35, v35, 0xb102e308, v41
	v_add_f32_e32 v36, v36, v38
	v_add_f32_e32 v38, v42, v35
	;; [unrolled: 1-line block ×3, first 2 shown]
	v_sub_f32_e32 v42, v38, v42
	v_add_f32_e32 v41, v38, v40
	v_sub_f32_e32 v39, v40, v39
	v_sub_f32_e32 v35, v35, v42
	;; [unrolled: 1-line block ×6, first 2 shown]
	v_add_f32_e32 v40, v35, v36
	v_sub_f32_e32 v38, v38, v44
	v_add_f32_e32 v38, v39, v38
	v_sub_f32_e32 v39, v40, v35
	;; [unrolled: 2-line block ×3, first 2 shown]
	v_sub_f32_e32 v36, v36, v39
	v_add_f32_e32 v42, v41, v38
	v_sub_f32_e32 v35, v35, v40
	v_sub_f32_e32 v39, v42, v41
	v_add_f32_e32 v35, v36, v35
	v_sub_f32_e32 v36, v38, v39
	v_add_f32_e32 v35, v35, v36
	v_add_f32_e32 v35, v42, v35
	v_cndmask_b32_e32 v35, 0x7f800000, v35, vcc_lo
	v_cmp_gt_f32_e64 vcc_lo, 0x33800000, |v37|
	v_cndmask_b32_e32 v35, v35, v37, vcc_lo
	v_add_f32_e32 v35, v34, v35
.LBB520_68:
	s_or_b32 exec_lo, exec_lo, s29
	v_bfe_u32 v34, v35, 16, 1
	v_cmp_o_f32_e32 vcc_lo, v35, v35
	v_add3_u32 v34, v35, v34, 0x7fff
	v_mov_b32_e32 v35, 0x7fc0
	v_cndmask_b32_sdwa v35, v35, v34, vcc_lo dst_sel:DWORD dst_unused:UNUSED_PAD src0_sel:DWORD src1_sel:WORD_1
.LBB520_69:
	s_or_b32 exec_lo, exec_lo, s28
	s_waitcnt lgkmcnt(0)
	v_add_nc_u32_e32 v34, -1, v33
	v_cmp_gt_i32_e32 vcc_lo, 0, v34
	v_cndmask_b32_e32 v33, v34, v33, vcc_lo
	v_and_b32_e32 v34, 0xffff, v35
	v_lshlrev_b32_e32 v33, 2, v33
	ds_bpermute_b32 v33, v33, v34
	s_waitcnt lgkmcnt(0)
	v_lshlrev_b32_e32 v33, 16, v33
	v_max_f32_e32 v34, v33, v33
	v_cmp_u_f32_e32 vcc_lo, v33, v33
	v_min_f32_e32 v35, v34, v32
	v_max_f32_e32 v32, v34, v32
	v_cndmask_b32_e32 v34, v35, v33, vcc_lo
	v_cndmask_b32_e32 v35, v32, v33, vcc_lo
	v_cndmask_b32_e64 v32, v34, v31, s4
	v_cndmask_b32_e64 v31, v35, v31, s4
	v_cmp_class_f32_e64 s4, v32, 0x1f8
	v_cmp_neq_f32_e32 vcc_lo, v32, v31
	s_or_b32 s28, vcc_lo, s4
	s_and_saveexec_b32 s4, s28
	s_cbranch_execz .LBB520_71
; %bb.70:
	v_sub_f32_e32 v32, v32, v31
	s_mov_b32 s28, 0x3e9b6dac
	v_mul_f32_e32 v33, 0x3fb8aa3b, v32
	v_cmp_ngt_f32_e32 vcc_lo, 0xc2ce8ed0, v32
	v_fma_f32 v34, 0x3fb8aa3b, v32, -v33
	v_rndne_f32_e32 v35, v33
	v_fmamk_f32 v34, v32, 0x32a5705f, v34
	v_sub_f32_e32 v33, v33, v35
	v_add_f32_e32 v33, v33, v34
	v_cvt_i32_f32_e32 v34, v35
	v_exp_f32_e32 v33, v33
	v_ldexp_f32 v33, v33, v34
	v_cndmask_b32_e32 v33, 0, v33, vcc_lo
	v_cmp_nlt_f32_e32 vcc_lo, 0x42b17218, v32
	v_cndmask_b32_e32 v34, 0x7f800000, v33, vcc_lo
	v_add_f32_e32 v35, 1.0, v34
	v_cvt_f64_f32_e32 v[32:33], v35
	v_frexp_exp_i32_f64_e32 v32, v[32:33]
	v_frexp_mant_f32_e32 v33, v35
	v_cmp_gt_f32_e32 vcc_lo, 0x3f2aaaab, v33
	v_add_f32_e32 v33, -1.0, v35
	v_sub_f32_e32 v37, v33, v35
	v_sub_f32_e32 v33, v34, v33
	v_add_f32_e32 v37, 1.0, v37
	v_add_f32_e32 v33, v33, v37
	v_subrev_co_ci_u32_e64 v32, null, 0, v32, vcc_lo
	v_cmp_neq_f32_e32 vcc_lo, 0x7f800000, v34
	v_sub_nc_u32_e32 v36, 0, v32
	v_cvt_f32_i32_e32 v32, v32
	v_ldexp_f32 v35, v35, v36
	v_ldexp_f32 v33, v33, v36
	v_add_f32_e32 v38, 1.0, v35
	v_add_f32_e32 v36, -1.0, v35
	v_add_f32_e32 v37, -1.0, v38
	v_add_f32_e32 v39, 1.0, v36
	v_sub_f32_e32 v37, v35, v37
	v_sub_f32_e32 v35, v35, v39
	v_add_f32_e32 v37, v33, v37
	v_add_f32_e32 v33, v33, v35
	;; [unrolled: 1-line block ×4, first 2 shown]
	v_rcp_f32_e32 v35, v39
	v_sub_f32_e32 v38, v38, v39
	v_sub_f32_e32 v36, v36, v40
	v_add_f32_e32 v37, v37, v38
	v_add_f32_e32 v33, v33, v36
	v_mul_f32_e32 v41, v40, v35
	v_mul_f32_e32 v42, v39, v41
	v_fma_f32 v38, v41, v39, -v42
	v_fmac_f32_e32 v38, v41, v37
	v_add_f32_e32 v43, v42, v38
	v_sub_f32_e32 v44, v40, v43
	v_sub_f32_e32 v36, v43, v42
	;; [unrolled: 1-line block ×5, first 2 shown]
	v_add_f32_e32 v33, v33, v40
	v_add_f32_e32 v33, v36, v33
	;; [unrolled: 1-line block ×3, first 2 shown]
	v_mul_f32_e32 v38, v35, v36
	v_sub_f32_e32 v43, v44, v36
	v_mul_f32_e32 v40, v39, v38
	v_add_f32_e32 v33, v33, v43
	v_fma_f32 v39, v38, v39, -v40
	v_fmac_f32_e32 v39, v38, v37
	v_add_f32_e32 v37, v40, v39
	v_sub_f32_e32 v42, v36, v37
	v_sub_f32_e32 v40, v37, v40
	;; [unrolled: 1-line block ×5, first 2 shown]
	v_add_f32_e32 v33, v33, v36
	v_add_f32_e32 v36, v41, v38
	;; [unrolled: 1-line block ×3, first 2 shown]
	v_sub_f32_e32 v37, v36, v41
	v_add_f32_e32 v33, v42, v33
	v_sub_f32_e32 v37, v38, v37
	v_mul_f32_e32 v33, v35, v33
	v_add_f32_e32 v33, v37, v33
	v_add_f32_e32 v35, v36, v33
	v_mul_f32_e32 v37, v35, v35
	v_fmaak_f32 v38, s28, v37, 0x3ecc95a3
	v_mul_f32_e32 v39, v35, v37
	v_fmaak_f32 v37, v37, v38, 0x3f2aaada
	v_ldexp_f32 v38, v35, 1
	v_sub_f32_e32 v35, v35, v36
	v_mul_f32_e32 v37, v39, v37
	v_mul_f32_e32 v39, 0x3f317218, v32
	v_sub_f32_e32 v33, v33, v35
	v_add_f32_e32 v36, v38, v37
	v_ldexp_f32 v33, v33, 1
	v_sub_f32_e32 v35, v36, v38
	v_fma_f32 v38, 0x3f317218, v32, -v39
	v_sub_f32_e32 v35, v37, v35
	v_fmamk_f32 v32, v32, 0xb102e308, v38
	v_add_f32_e32 v33, v33, v35
	v_add_f32_e32 v35, v39, v32
	;; [unrolled: 1-line block ×3, first 2 shown]
	v_sub_f32_e32 v39, v35, v39
	v_add_f32_e32 v38, v35, v37
	v_sub_f32_e32 v36, v37, v36
	v_sub_f32_e32 v32, v32, v39
	;; [unrolled: 1-line block ×6, first 2 shown]
	v_add_f32_e32 v37, v32, v33
	v_sub_f32_e32 v35, v35, v41
	v_add_f32_e32 v35, v36, v35
	v_sub_f32_e32 v36, v37, v32
	;; [unrolled: 2-line block ×3, first 2 shown]
	v_sub_f32_e32 v33, v33, v36
	v_add_f32_e32 v39, v38, v35
	v_sub_f32_e32 v32, v32, v37
	v_sub_f32_e32 v36, v39, v38
	v_add_f32_e32 v32, v33, v32
	v_sub_f32_e32 v33, v35, v36
	v_add_f32_e32 v32, v32, v33
	v_add_f32_e32 v32, v39, v32
	v_cndmask_b32_e32 v32, 0x7f800000, v32, vcc_lo
	v_cmp_gt_f32_e64 vcc_lo, 0x33800000, |v34|
	v_cndmask_b32_e32 v32, v32, v34, vcc_lo
	v_add_f32_e32 v33, v31, v32
.LBB520_71:
	s_or_b32 exec_lo, exec_lo, s4
	v_bfe_u32 v32, v33, 16, 1
	v_cmp_o_f32_e32 vcc_lo, v33, v33
	v_mov_b32_e32 v31, 0x7fc0
	; wave barrier
	v_add3_u32 v32, v33, v32, 0x7fff
	v_cndmask_b32_sdwa v32, v31, v32, vcc_lo dst_sel:DWORD dst_unused:UNUSED_PAD src0_sel:DWORD src1_sel:WORD_1
	v_cmp_eq_u32_e32 vcc_lo, 0, v0
	v_cndmask_b32_e32 v30, v32, v30, vcc_lo
	ds_write_b16 v29, v30
	; wave barrier
	ds_read_u16 v33, v29 offset:2
	v_lshlrev_b32_e32 v32, 16, v30
	v_cmp_u_f32_e32 vcc_lo, v32, v32
	s_waitcnt lgkmcnt(0)
	v_lshlrev_b32_e32 v30, 16, v33
	v_max_f32_e32 v33, v32, v32
	v_max_f32_e32 v34, v30, v30
	v_min_f32_e32 v35, v33, v34
	v_max_f32_e32 v33, v33, v34
	v_cndmask_b32_e32 v34, v35, v32, vcc_lo
	v_cndmask_b32_e32 v35, v33, v32, vcc_lo
	v_cmp_u_f32_e32 vcc_lo, v30, v30
	v_cndmask_b32_e32 v33, v34, v30, vcc_lo
	v_cndmask_b32_e32 v30, v35, v30, vcc_lo
	v_cmp_class_f32_e64 s4, v33, 0x1f8
	v_cmp_neq_f32_e32 vcc_lo, v33, v30
	s_or_b32 s28, vcc_lo, s4
	s_and_saveexec_b32 s4, s28
	s_cbranch_execz .LBB520_73
; %bb.72:
	v_sub_f32_e32 v32, v33, v30
	s_mov_b32 s28, 0x3e9b6dac
	v_mul_f32_e32 v33, 0x3fb8aa3b, v32
	v_cmp_ngt_f32_e32 vcc_lo, 0xc2ce8ed0, v32
	v_fma_f32 v34, 0x3fb8aa3b, v32, -v33
	v_rndne_f32_e32 v35, v33
	v_fmamk_f32 v34, v32, 0x32a5705f, v34
	v_sub_f32_e32 v33, v33, v35
	v_add_f32_e32 v33, v33, v34
	v_cvt_i32_f32_e32 v34, v35
	v_exp_f32_e32 v33, v33
	v_ldexp_f32 v33, v33, v34
	v_cndmask_b32_e32 v33, 0, v33, vcc_lo
	v_cmp_nlt_f32_e32 vcc_lo, 0x42b17218, v32
	v_cndmask_b32_e32 v34, 0x7f800000, v33, vcc_lo
	v_add_f32_e32 v35, 1.0, v34
	v_cvt_f64_f32_e32 v[32:33], v35
	v_frexp_exp_i32_f64_e32 v32, v[32:33]
	v_frexp_mant_f32_e32 v33, v35
	v_cmp_gt_f32_e32 vcc_lo, 0x3f2aaaab, v33
	v_add_f32_e32 v33, -1.0, v35
	v_sub_f32_e32 v37, v33, v35
	v_sub_f32_e32 v33, v34, v33
	v_add_f32_e32 v37, 1.0, v37
	v_add_f32_e32 v33, v33, v37
	v_subrev_co_ci_u32_e64 v32, null, 0, v32, vcc_lo
	v_cmp_neq_f32_e32 vcc_lo, 0x7f800000, v34
	v_sub_nc_u32_e32 v36, 0, v32
	v_cvt_f32_i32_e32 v32, v32
	v_ldexp_f32 v35, v35, v36
	v_ldexp_f32 v33, v33, v36
	v_add_f32_e32 v38, 1.0, v35
	v_add_f32_e32 v36, -1.0, v35
	v_add_f32_e32 v37, -1.0, v38
	v_add_f32_e32 v39, 1.0, v36
	v_sub_f32_e32 v37, v35, v37
	v_sub_f32_e32 v35, v35, v39
	v_add_f32_e32 v37, v33, v37
	v_add_f32_e32 v33, v33, v35
	;; [unrolled: 1-line block ×4, first 2 shown]
	v_rcp_f32_e32 v35, v39
	v_sub_f32_e32 v38, v38, v39
	v_sub_f32_e32 v36, v36, v40
	v_add_f32_e32 v37, v37, v38
	v_add_f32_e32 v33, v33, v36
	v_mul_f32_e32 v41, v40, v35
	v_mul_f32_e32 v42, v39, v41
	v_fma_f32 v38, v41, v39, -v42
	v_fmac_f32_e32 v38, v41, v37
	v_add_f32_e32 v43, v42, v38
	v_sub_f32_e32 v44, v40, v43
	v_sub_f32_e32 v36, v43, v42
	;; [unrolled: 1-line block ×5, first 2 shown]
	v_add_f32_e32 v33, v33, v40
	v_add_f32_e32 v33, v36, v33
	;; [unrolled: 1-line block ×3, first 2 shown]
	v_mul_f32_e32 v38, v35, v36
	v_sub_f32_e32 v43, v44, v36
	v_mul_f32_e32 v40, v39, v38
	v_add_f32_e32 v33, v33, v43
	v_fma_f32 v39, v38, v39, -v40
	v_fmac_f32_e32 v39, v38, v37
	v_add_f32_e32 v37, v40, v39
	v_sub_f32_e32 v42, v36, v37
	v_sub_f32_e32 v40, v37, v40
	;; [unrolled: 1-line block ×5, first 2 shown]
	v_add_f32_e32 v33, v33, v36
	v_add_f32_e32 v36, v41, v38
	v_add_f32_e32 v33, v37, v33
	v_sub_f32_e32 v37, v36, v41
	v_add_f32_e32 v33, v42, v33
	v_sub_f32_e32 v37, v38, v37
	v_mul_f32_e32 v33, v35, v33
	v_add_f32_e32 v33, v37, v33
	v_add_f32_e32 v35, v36, v33
	v_mul_f32_e32 v37, v35, v35
	v_fmaak_f32 v38, s28, v37, 0x3ecc95a3
	v_mul_f32_e32 v39, v35, v37
	v_fmaak_f32 v37, v37, v38, 0x3f2aaada
	v_ldexp_f32 v38, v35, 1
	v_sub_f32_e32 v35, v35, v36
	v_mul_f32_e32 v37, v39, v37
	v_mul_f32_e32 v39, 0x3f317218, v32
	v_sub_f32_e32 v33, v33, v35
	v_add_f32_e32 v36, v38, v37
	v_ldexp_f32 v33, v33, 1
	v_sub_f32_e32 v35, v36, v38
	v_fma_f32 v38, 0x3f317218, v32, -v39
	v_sub_f32_e32 v35, v37, v35
	v_fmamk_f32 v32, v32, 0xb102e308, v38
	v_add_f32_e32 v33, v33, v35
	v_add_f32_e32 v35, v39, v32
	;; [unrolled: 1-line block ×3, first 2 shown]
	v_sub_f32_e32 v39, v35, v39
	v_add_f32_e32 v38, v35, v37
	v_sub_f32_e32 v36, v37, v36
	v_sub_f32_e32 v32, v32, v39
	;; [unrolled: 1-line block ×6, first 2 shown]
	v_add_f32_e32 v37, v32, v33
	v_sub_f32_e32 v35, v35, v41
	v_add_f32_e32 v35, v36, v35
	v_sub_f32_e32 v36, v37, v32
	;; [unrolled: 2-line block ×3, first 2 shown]
	v_sub_f32_e32 v33, v33, v36
	v_add_f32_e32 v39, v38, v35
	v_sub_f32_e32 v32, v32, v37
	v_sub_f32_e32 v36, v39, v38
	v_add_f32_e32 v32, v33, v32
	v_sub_f32_e32 v33, v35, v36
	v_add_f32_e32 v32, v32, v33
	v_add_f32_e32 v32, v39, v32
	v_cndmask_b32_e32 v32, 0x7f800000, v32, vcc_lo
	v_cmp_gt_f32_e64 vcc_lo, 0x33800000, |v34|
	v_cndmask_b32_e32 v32, v32, v34, vcc_lo
	v_add_f32_e32 v32, v30, v32
.LBB520_73:
	s_or_b32 exec_lo, exec_lo, s4
	v_bfe_u32 v30, v32, 16, 1
	v_cmp_o_f32_e32 vcc_lo, v32, v32
	v_add3_u32 v30, v32, v30, 0x7fff
	v_cndmask_b32_sdwa v30, v31, v30, vcc_lo dst_sel:DWORD dst_unused:UNUSED_PAD src0_sel:DWORD src1_sel:WORD_1
	ds_write_b16 v29, v30 offset:2
.LBB520_74:
	s_or_b32 exec_lo, exec_lo, s5
	v_mul_u32_u24_e32 v29, 22, v0
	s_mov_b32 s4, exec_lo
	s_waitcnt lgkmcnt(0)
	s_barrier
	buffer_gl0_inv
	v_cmpx_ne_u32_e32 0, v0
	s_cbranch_execz .LBB520_78
; %bb.75:
	v_add_nc_u32_e32 v1, -1, v0
	v_lshrrev_b32_e32 v26, 4, v1
	v_and_b32_e32 v26, 0xffffffe, v26
	v_lshl_add_u32 v1, v1, 1, v26
	ds_read_u16 v1, v1
	s_waitcnt lgkmcnt(0)
	v_lshlrev_b32_e32 v26, 16, v1
	v_max_f32_e32 v1, v26, v26
	v_cmp_u_f32_e32 vcc_lo, v26, v26
	v_min_f32_e32 v27, v1, v28
	v_max_f32_e32 v1, v1, v28
	v_cndmask_b32_e32 v27, v27, v26, vcc_lo
	v_cndmask_b32_e32 v1, v1, v26, vcc_lo
	v_cndmask_b32_e64 v27, v27, v25, s25
	v_cndmask_b32_e64 v1, v1, v25, s25
	v_cmp_class_f32_e64 s5, v27, 0x1f8
	v_cmp_neq_f32_e32 vcc_lo, v27, v1
	s_or_b32 s25, vcc_lo, s5
	s_and_saveexec_b32 s5, s25
	s_cbranch_execz .LBB520_77
; %bb.76:
	v_sub_f32_e32 v25, v27, v1
	s_mov_b32 s25, 0x3e9b6dac
	v_mul_f32_e32 v26, 0x3fb8aa3b, v25
	v_cmp_ngt_f32_e32 vcc_lo, 0xc2ce8ed0, v25
	v_fma_f32 v27, 0x3fb8aa3b, v25, -v26
	v_rndne_f32_e32 v28, v26
	v_fmamk_f32 v27, v25, 0x32a5705f, v27
	v_sub_f32_e32 v26, v26, v28
	v_add_f32_e32 v26, v26, v27
	v_cvt_i32_f32_e32 v27, v28
	v_exp_f32_e32 v26, v26
	v_ldexp_f32 v26, v26, v27
	v_cndmask_b32_e32 v26, 0, v26, vcc_lo
	v_cmp_nlt_f32_e32 vcc_lo, 0x42b17218, v25
	v_cndmask_b32_e32 v27, 0x7f800000, v26, vcc_lo
	v_add_f32_e32 v28, 1.0, v27
	v_cvt_f64_f32_e32 v[25:26], v28
	v_frexp_exp_i32_f64_e32 v25, v[25:26]
	v_frexp_mant_f32_e32 v26, v28
	v_cmp_gt_f32_e32 vcc_lo, 0x3f2aaaab, v26
	v_add_f32_e32 v26, -1.0, v28
	v_sub_f32_e32 v31, v26, v28
	v_sub_f32_e32 v26, v27, v26
	v_add_f32_e32 v31, 1.0, v31
	v_add_f32_e32 v26, v26, v31
	v_subrev_co_ci_u32_e64 v25, null, 0, v25, vcc_lo
	v_cmp_neq_f32_e32 vcc_lo, 0x7f800000, v27
	v_sub_nc_u32_e32 v30, 0, v25
	v_cvt_f32_i32_e32 v25, v25
	v_ldexp_f32 v28, v28, v30
	v_ldexp_f32 v26, v26, v30
	v_add_f32_e32 v32, 1.0, v28
	v_add_f32_e32 v30, -1.0, v28
	v_add_f32_e32 v31, -1.0, v32
	v_add_f32_e32 v33, 1.0, v30
	v_sub_f32_e32 v31, v28, v31
	v_sub_f32_e32 v28, v28, v33
	v_add_f32_e32 v31, v26, v31
	v_add_f32_e32 v26, v26, v28
	;; [unrolled: 1-line block ×4, first 2 shown]
	v_rcp_f32_e32 v28, v33
	v_sub_f32_e32 v32, v32, v33
	v_sub_f32_e32 v30, v30, v34
	v_add_f32_e32 v31, v31, v32
	v_add_f32_e32 v26, v26, v30
	v_mul_f32_e32 v35, v34, v28
	v_mul_f32_e32 v36, v33, v35
	v_fma_f32 v32, v35, v33, -v36
	v_fmac_f32_e32 v32, v35, v31
	v_add_f32_e32 v37, v36, v32
	v_sub_f32_e32 v38, v34, v37
	v_sub_f32_e32 v30, v37, v36
	;; [unrolled: 1-line block ×5, first 2 shown]
	v_add_f32_e32 v26, v26, v34
	v_add_f32_e32 v26, v30, v26
	;; [unrolled: 1-line block ×3, first 2 shown]
	v_mul_f32_e32 v32, v28, v30
	v_sub_f32_e32 v37, v38, v30
	v_mul_f32_e32 v34, v33, v32
	v_add_f32_e32 v26, v26, v37
	v_fma_f32 v33, v32, v33, -v34
	v_fmac_f32_e32 v33, v32, v31
	v_add_f32_e32 v31, v34, v33
	v_sub_f32_e32 v36, v30, v31
	v_sub_f32_e32 v34, v31, v34
	;; [unrolled: 1-line block ×5, first 2 shown]
	v_add_f32_e32 v26, v26, v30
	v_add_f32_e32 v30, v35, v32
	;; [unrolled: 1-line block ×3, first 2 shown]
	v_sub_f32_e32 v31, v30, v35
	v_add_f32_e32 v26, v36, v26
	v_sub_f32_e32 v31, v32, v31
	v_mul_f32_e32 v26, v28, v26
	v_add_f32_e32 v26, v31, v26
	v_add_f32_e32 v28, v30, v26
	v_mul_f32_e32 v31, v28, v28
	v_fmaak_f32 v32, s25, v31, 0x3ecc95a3
	v_mul_f32_e32 v33, v28, v31
	v_fmaak_f32 v31, v31, v32, 0x3f2aaada
	v_ldexp_f32 v32, v28, 1
	v_sub_f32_e32 v28, v28, v30
	v_mul_f32_e32 v31, v33, v31
	v_mul_f32_e32 v33, 0x3f317218, v25
	v_sub_f32_e32 v26, v26, v28
	v_add_f32_e32 v30, v32, v31
	v_ldexp_f32 v26, v26, 1
	v_sub_f32_e32 v28, v30, v32
	v_fma_f32 v32, 0x3f317218, v25, -v33
	v_sub_f32_e32 v28, v31, v28
	v_fmamk_f32 v25, v25, 0xb102e308, v32
	v_add_f32_e32 v26, v26, v28
	v_add_f32_e32 v28, v33, v25
	;; [unrolled: 1-line block ×3, first 2 shown]
	v_sub_f32_e32 v33, v28, v33
	v_add_f32_e32 v32, v28, v31
	v_sub_f32_e32 v30, v31, v30
	v_sub_f32_e32 v25, v25, v33
	;; [unrolled: 1-line block ×6, first 2 shown]
	v_add_f32_e32 v31, v25, v26
	v_sub_f32_e32 v28, v28, v35
	v_add_f32_e32 v28, v30, v28
	v_sub_f32_e32 v30, v31, v25
	;; [unrolled: 2-line block ×3, first 2 shown]
	v_sub_f32_e32 v26, v26, v30
	v_add_f32_e32 v33, v32, v28
	v_sub_f32_e32 v25, v25, v31
	v_sub_f32_e32 v30, v33, v32
	v_add_f32_e32 v25, v26, v25
	v_sub_f32_e32 v26, v28, v30
	v_add_f32_e32 v25, v25, v26
	v_add_f32_e32 v25, v33, v25
	v_cndmask_b32_e32 v25, 0x7f800000, v25, vcc_lo
	v_cmp_gt_f32_e64 vcc_lo, 0x33800000, |v27|
	v_cndmask_b32_e32 v25, v25, v27, vcc_lo
	v_add_f32_e32 v26, v1, v25
.LBB520_77:
	s_or_b32 exec_lo, exec_lo, s5
	v_bfe_u32 v1, v26, 16, 1
	v_cmp_o_f32_e32 vcc_lo, v26, v26
	v_mov_b32_e32 v25, 0x7fc0
	;;#ASMSTART
	;;#ASMEND
	v_add3_u32 v1, v26, v1, 0x7fff
	v_cndmask_b32_sdwa v1, v25, v1, vcc_lo dst_sel:DWORD dst_unused:UNUSED_PAD src0_sel:DWORD src1_sel:WORD_1
	v_lshlrev_b32_e32 v25, 16, v1
	v_max_f32_e32 v27, v25, v25
	v_min_f32_e32 v26, v27, v14
	v_max_f32_e32 v27, v27, v14
.LBB520_78:
	s_or_b32 exec_lo, exec_lo, s4
	v_cmp_u_f32_e32 vcc_lo, v25, v25
	v_cndmask_b32_e32 v14, v26, v25, vcc_lo
	v_cndmask_b32_e32 v26, v27, v25, vcc_lo
	v_cndmask_b32_e64 v14, v14, v8, s14
	v_cndmask_b32_e64 v8, v26, v8, s14
	v_cmp_class_f32_e64 s4, v14, 0x1f8
	v_cmp_neq_f32_e32 vcc_lo, v14, v8
	s_or_b32 s5, vcc_lo, s4
	s_and_saveexec_b32 s4, s5
	s_cbranch_execz .LBB520_80
; %bb.79:
	v_sub_f32_e32 v14, v14, v8
	s_mov_b32 s5, 0x3e9b6dac
	v_mul_f32_e32 v25, 0x3fb8aa3b, v14
	v_cmp_ngt_f32_e32 vcc_lo, 0xc2ce8ed0, v14
	v_fma_f32 v26, 0x3fb8aa3b, v14, -v25
	v_rndne_f32_e32 v27, v25
	v_fmamk_f32 v26, v14, 0x32a5705f, v26
	v_sub_f32_e32 v25, v25, v27
	v_add_f32_e32 v25, v25, v26
	v_cvt_i32_f32_e32 v26, v27
	v_exp_f32_e32 v25, v25
	v_ldexp_f32 v25, v25, v26
	v_cndmask_b32_e32 v25, 0, v25, vcc_lo
	v_cmp_nlt_f32_e32 vcc_lo, 0x42b17218, v14
	v_cndmask_b32_e32 v14, 0x7f800000, v25, vcc_lo
	v_add_f32_e32 v27, 1.0, v14
	v_cvt_f64_f32_e32 v[25:26], v27
	v_frexp_exp_i32_f64_e32 v25, v[25:26]
	v_frexp_mant_f32_e32 v26, v27
	v_cmp_gt_f32_e32 vcc_lo, 0x3f2aaaab, v26
	v_add_f32_e32 v26, -1.0, v27
	v_sub_f32_e32 v30, v26, v27
	v_sub_f32_e32 v26, v14, v26
	v_add_f32_e32 v30, 1.0, v30
	v_add_f32_e32 v26, v26, v30
	v_subrev_co_ci_u32_e64 v25, null, 0, v25, vcc_lo
	v_cmp_neq_f32_e32 vcc_lo, 0x7f800000, v14
	v_sub_nc_u32_e32 v28, 0, v25
	v_cvt_f32_i32_e32 v25, v25
	v_ldexp_f32 v27, v27, v28
	v_ldexp_f32 v26, v26, v28
	v_add_f32_e32 v31, 1.0, v27
	v_add_f32_e32 v28, -1.0, v27
	v_add_f32_e32 v30, -1.0, v31
	v_add_f32_e32 v32, 1.0, v28
	v_sub_f32_e32 v30, v27, v30
	v_sub_f32_e32 v27, v27, v32
	v_add_f32_e32 v30, v26, v30
	v_add_f32_e32 v26, v26, v27
	;; [unrolled: 1-line block ×4, first 2 shown]
	v_rcp_f32_e32 v27, v32
	v_sub_f32_e32 v31, v31, v32
	v_sub_f32_e32 v28, v28, v33
	v_add_f32_e32 v30, v30, v31
	v_add_f32_e32 v26, v26, v28
	v_mul_f32_e32 v34, v33, v27
	v_mul_f32_e32 v35, v32, v34
	v_fma_f32 v31, v34, v32, -v35
	v_fmac_f32_e32 v31, v34, v30
	v_add_f32_e32 v36, v35, v31
	v_sub_f32_e32 v37, v33, v36
	v_sub_f32_e32 v28, v36, v35
	;; [unrolled: 1-line block ×5, first 2 shown]
	v_add_f32_e32 v26, v26, v33
	v_add_f32_e32 v26, v28, v26
	v_add_f32_e32 v28, v37, v26
	v_mul_f32_e32 v31, v27, v28
	v_sub_f32_e32 v36, v37, v28
	v_mul_f32_e32 v33, v32, v31
	v_add_f32_e32 v26, v26, v36
	v_fma_f32 v32, v31, v32, -v33
	v_fmac_f32_e32 v32, v31, v30
	v_add_f32_e32 v30, v33, v32
	v_sub_f32_e32 v35, v28, v30
	v_sub_f32_e32 v33, v30, v33
	;; [unrolled: 1-line block ×5, first 2 shown]
	v_add_f32_e32 v26, v26, v28
	v_add_f32_e32 v28, v34, v31
	;; [unrolled: 1-line block ×3, first 2 shown]
	v_sub_f32_e32 v30, v28, v34
	v_add_f32_e32 v26, v35, v26
	v_sub_f32_e32 v30, v31, v30
	v_mul_f32_e32 v26, v27, v26
	v_add_f32_e32 v26, v30, v26
	v_add_f32_e32 v27, v28, v26
	v_mul_f32_e32 v30, v27, v27
	v_fmaak_f32 v31, s5, v30, 0x3ecc95a3
	v_mul_f32_e32 v32, v27, v30
	v_fmaak_f32 v30, v30, v31, 0x3f2aaada
	v_ldexp_f32 v31, v27, 1
	v_sub_f32_e32 v27, v27, v28
	v_mul_f32_e32 v30, v32, v30
	v_mul_f32_e32 v32, 0x3f317218, v25
	v_sub_f32_e32 v26, v26, v27
	v_add_f32_e32 v28, v31, v30
	v_ldexp_f32 v26, v26, 1
	v_sub_f32_e32 v27, v28, v31
	v_fma_f32 v31, 0x3f317218, v25, -v32
	v_sub_f32_e32 v27, v30, v27
	v_fmamk_f32 v25, v25, 0xb102e308, v31
	v_add_f32_e32 v26, v26, v27
	v_add_f32_e32 v27, v32, v25
	v_add_f32_e32 v30, v28, v26
	v_sub_f32_e32 v32, v27, v32
	v_add_f32_e32 v31, v27, v30
	v_sub_f32_e32 v28, v30, v28
	v_sub_f32_e32 v25, v25, v32
	;; [unrolled: 1-line block ×6, first 2 shown]
	v_add_f32_e32 v30, v25, v26
	v_sub_f32_e32 v27, v27, v34
	v_add_f32_e32 v27, v28, v27
	v_sub_f32_e32 v28, v30, v25
	;; [unrolled: 2-line block ×3, first 2 shown]
	v_sub_f32_e32 v26, v26, v28
	v_add_f32_e32 v32, v31, v27
	v_sub_f32_e32 v25, v25, v30
	v_sub_f32_e32 v28, v32, v31
	v_add_f32_e32 v25, v26, v25
	v_sub_f32_e32 v26, v27, v28
	v_add_f32_e32 v25, v25, v26
	v_add_f32_e32 v25, v32, v25
	v_cndmask_b32_e32 v25, 0x7f800000, v25, vcc_lo
	v_cmp_gt_f32_e64 vcc_lo, 0x33800000, |v14|
	v_cndmask_b32_e32 v14, v25, v14, vcc_lo
	v_add_f32_e32 v25, v8, v14
.LBB520_80:
	s_or_b32 exec_lo, exec_lo, s4
	v_bfe_u32 v8, v25, 16, 1
	v_cmp_o_f32_e32 vcc_lo, v25, v25
	v_mov_b32_e32 v14, 0x7fc0
	v_add3_u32 v8, v25, v8, 0x7fff
	v_cndmask_b32_sdwa v8, v14, v8, vcc_lo dst_sel:DWORD dst_unused:UNUSED_PAD src0_sel:DWORD src1_sel:WORD_1
	v_lshlrev_b32_e32 v25, 16, v8
	v_max_f32_e32 v26, v25, v25
	v_cmp_u_f32_e32 vcc_lo, v25, v25
	v_min_f32_e32 v27, v26, v11
	v_max_f32_e32 v11, v26, v11
	v_cndmask_b32_e32 v26, v27, v25, vcc_lo
	v_cndmask_b32_e32 v27, v11, v25, vcc_lo
	v_cndmask_b32_e64 v11, v26, v9, s15
	v_cndmask_b32_e64 v9, v27, v9, s15
	v_cmp_class_f32_e64 s4, v11, 0x1f8
	v_cmp_neq_f32_e32 vcc_lo, v11, v9
	s_or_b32 s5, vcc_lo, s4
	s_and_saveexec_b32 s4, s5
	s_cbranch_execz .LBB520_82
; %bb.81:
	v_sub_f32_e32 v11, v11, v9
	s_mov_b32 s5, 0x3e9b6dac
	v_mul_f32_e32 v25, 0x3fb8aa3b, v11
	v_cmp_ngt_f32_e32 vcc_lo, 0xc2ce8ed0, v11
	v_fma_f32 v26, 0x3fb8aa3b, v11, -v25
	v_rndne_f32_e32 v27, v25
	v_fmamk_f32 v26, v11, 0x32a5705f, v26
	v_sub_f32_e32 v25, v25, v27
	v_add_f32_e32 v25, v25, v26
	v_cvt_i32_f32_e32 v26, v27
	v_exp_f32_e32 v25, v25
	v_ldexp_f32 v25, v25, v26
	v_cndmask_b32_e32 v25, 0, v25, vcc_lo
	v_cmp_nlt_f32_e32 vcc_lo, 0x42b17218, v11
	v_cndmask_b32_e32 v11, 0x7f800000, v25, vcc_lo
	v_add_f32_e32 v27, 1.0, v11
	v_cvt_f64_f32_e32 v[25:26], v27
	v_frexp_exp_i32_f64_e32 v25, v[25:26]
	v_frexp_mant_f32_e32 v26, v27
	v_cmp_gt_f32_e32 vcc_lo, 0x3f2aaaab, v26
	v_add_f32_e32 v26, -1.0, v27
	v_sub_f32_e32 v30, v26, v27
	v_sub_f32_e32 v26, v11, v26
	v_add_f32_e32 v30, 1.0, v30
	v_add_f32_e32 v26, v26, v30
	v_subrev_co_ci_u32_e64 v25, null, 0, v25, vcc_lo
	v_cmp_neq_f32_e32 vcc_lo, 0x7f800000, v11
	v_sub_nc_u32_e32 v28, 0, v25
	v_cvt_f32_i32_e32 v25, v25
	v_ldexp_f32 v27, v27, v28
	v_ldexp_f32 v26, v26, v28
	v_add_f32_e32 v31, 1.0, v27
	v_add_f32_e32 v28, -1.0, v27
	v_add_f32_e32 v30, -1.0, v31
	v_add_f32_e32 v32, 1.0, v28
	v_sub_f32_e32 v30, v27, v30
	v_sub_f32_e32 v27, v27, v32
	v_add_f32_e32 v30, v26, v30
	v_add_f32_e32 v26, v26, v27
	;; [unrolled: 1-line block ×4, first 2 shown]
	v_rcp_f32_e32 v27, v32
	v_sub_f32_e32 v31, v31, v32
	v_sub_f32_e32 v28, v28, v33
	v_add_f32_e32 v30, v30, v31
	v_add_f32_e32 v26, v26, v28
	v_mul_f32_e32 v34, v33, v27
	v_mul_f32_e32 v35, v32, v34
	v_fma_f32 v31, v34, v32, -v35
	v_fmac_f32_e32 v31, v34, v30
	v_add_f32_e32 v36, v35, v31
	v_sub_f32_e32 v37, v33, v36
	v_sub_f32_e32 v28, v36, v35
	;; [unrolled: 1-line block ×5, first 2 shown]
	v_add_f32_e32 v26, v26, v33
	v_add_f32_e32 v26, v28, v26
	;; [unrolled: 1-line block ×3, first 2 shown]
	v_mul_f32_e32 v31, v27, v28
	v_sub_f32_e32 v36, v37, v28
	v_mul_f32_e32 v33, v32, v31
	v_add_f32_e32 v26, v26, v36
	v_fma_f32 v32, v31, v32, -v33
	v_fmac_f32_e32 v32, v31, v30
	v_add_f32_e32 v30, v33, v32
	v_sub_f32_e32 v35, v28, v30
	v_sub_f32_e32 v33, v30, v33
	;; [unrolled: 1-line block ×5, first 2 shown]
	v_add_f32_e32 v26, v26, v28
	v_add_f32_e32 v28, v34, v31
	;; [unrolled: 1-line block ×3, first 2 shown]
	v_sub_f32_e32 v30, v28, v34
	v_add_f32_e32 v26, v35, v26
	v_sub_f32_e32 v30, v31, v30
	v_mul_f32_e32 v26, v27, v26
	v_add_f32_e32 v26, v30, v26
	v_add_f32_e32 v27, v28, v26
	v_mul_f32_e32 v30, v27, v27
	v_fmaak_f32 v31, s5, v30, 0x3ecc95a3
	v_mul_f32_e32 v32, v27, v30
	v_fmaak_f32 v30, v30, v31, 0x3f2aaada
	v_ldexp_f32 v31, v27, 1
	v_sub_f32_e32 v27, v27, v28
	v_mul_f32_e32 v30, v32, v30
	v_mul_f32_e32 v32, 0x3f317218, v25
	v_sub_f32_e32 v26, v26, v27
	v_add_f32_e32 v28, v31, v30
	v_ldexp_f32 v26, v26, 1
	v_sub_f32_e32 v27, v28, v31
	v_fma_f32 v31, 0x3f317218, v25, -v32
	v_sub_f32_e32 v27, v30, v27
	v_fmamk_f32 v25, v25, 0xb102e308, v31
	v_add_f32_e32 v26, v26, v27
	v_add_f32_e32 v27, v32, v25
	;; [unrolled: 1-line block ×3, first 2 shown]
	v_sub_f32_e32 v32, v27, v32
	v_add_f32_e32 v31, v27, v30
	v_sub_f32_e32 v28, v30, v28
	v_sub_f32_e32 v25, v25, v32
	;; [unrolled: 1-line block ×6, first 2 shown]
	v_add_f32_e32 v30, v25, v26
	v_sub_f32_e32 v27, v27, v34
	v_add_f32_e32 v27, v28, v27
	v_sub_f32_e32 v28, v30, v25
	;; [unrolled: 2-line block ×3, first 2 shown]
	v_sub_f32_e32 v26, v26, v28
	v_add_f32_e32 v32, v31, v27
	v_sub_f32_e32 v25, v25, v30
	v_sub_f32_e32 v28, v32, v31
	v_add_f32_e32 v25, v26, v25
	v_sub_f32_e32 v26, v27, v28
	v_add_f32_e32 v25, v25, v26
	v_add_f32_e32 v25, v32, v25
	v_cndmask_b32_e32 v25, 0x7f800000, v25, vcc_lo
	v_cmp_gt_f32_e64 vcc_lo, 0x33800000, |v11|
	v_cndmask_b32_e32 v11, v25, v11, vcc_lo
	v_add_f32_e32 v25, v9, v11
.LBB520_82:
	s_or_b32 exec_lo, exec_lo, s4
	v_bfe_u32 v9, v25, 16, 1
	v_cmp_o_f32_e32 vcc_lo, v25, v25
	v_add3_u32 v9, v25, v9, 0x7fff
	v_cndmask_b32_sdwa v9, v14, v9, vcc_lo dst_sel:DWORD dst_unused:UNUSED_PAD src0_sel:DWORD src1_sel:WORD_1
	v_lshlrev_b32_e32 v14, 16, v9
	v_max_f32_e32 v11, v14, v14
	v_cmp_u_f32_e32 vcc_lo, v14, v14
	v_min_f32_e32 v25, v11, v13
	v_max_f32_e32 v11, v11, v13
	v_cndmask_b32_e32 v13, v25, v14, vcc_lo
	v_cndmask_b32_e32 v25, v11, v14, vcc_lo
	v_cndmask_b32_e64 v11, v13, v2, s16
	v_cndmask_b32_e64 v2, v25, v2, s16
	v_cmp_class_f32_e64 s4, v11, 0x1f8
	v_cmp_neq_f32_e32 vcc_lo, v11, v2
	s_or_b32 s5, vcc_lo, s4
	s_and_saveexec_b32 s4, s5
	s_cbranch_execz .LBB520_84
; %bb.83:
	v_sub_f32_e32 v11, v11, v2
	s_mov_b32 s5, 0x3e9b6dac
	v_mul_f32_e32 v13, 0x3fb8aa3b, v11
	v_cmp_ngt_f32_e32 vcc_lo, 0xc2ce8ed0, v11
	v_fma_f32 v14, 0x3fb8aa3b, v11, -v13
	v_rndne_f32_e32 v25, v13
	v_fmamk_f32 v14, v11, 0x32a5705f, v14
	v_sub_f32_e32 v13, v13, v25
	v_add_f32_e32 v13, v13, v14
	v_cvt_i32_f32_e32 v14, v25
	v_exp_f32_e32 v13, v13
	v_ldexp_f32 v13, v13, v14
	v_cndmask_b32_e32 v13, 0, v13, vcc_lo
	v_cmp_nlt_f32_e32 vcc_lo, 0x42b17218, v11
	v_cndmask_b32_e32 v11, 0x7f800000, v13, vcc_lo
	v_add_f32_e32 v25, 1.0, v11
	v_cvt_f64_f32_e32 v[13:14], v25
	v_frexp_exp_i32_f64_e32 v13, v[13:14]
	v_frexp_mant_f32_e32 v14, v25
	v_cmp_gt_f32_e32 vcc_lo, 0x3f2aaaab, v14
	v_add_f32_e32 v14, -1.0, v25
	v_sub_f32_e32 v27, v14, v25
	v_sub_f32_e32 v14, v11, v14
	v_add_f32_e32 v27, 1.0, v27
	v_add_f32_e32 v14, v14, v27
	v_subrev_co_ci_u32_e64 v13, null, 0, v13, vcc_lo
	v_cmp_neq_f32_e32 vcc_lo, 0x7f800000, v11
	v_sub_nc_u32_e32 v26, 0, v13
	v_cvt_f32_i32_e32 v13, v13
	v_ldexp_f32 v25, v25, v26
	v_ldexp_f32 v14, v14, v26
	v_add_f32_e32 v28, 1.0, v25
	v_add_f32_e32 v26, -1.0, v25
	v_add_f32_e32 v27, -1.0, v28
	v_add_f32_e32 v30, 1.0, v26
	v_sub_f32_e32 v27, v25, v27
	v_sub_f32_e32 v25, v25, v30
	v_add_f32_e32 v27, v14, v27
	v_add_f32_e32 v14, v14, v25
	;; [unrolled: 1-line block ×4, first 2 shown]
	v_rcp_f32_e32 v25, v30
	v_sub_f32_e32 v28, v28, v30
	v_sub_f32_e32 v26, v26, v31
	v_add_f32_e32 v27, v27, v28
	v_add_f32_e32 v14, v14, v26
	v_mul_f32_e32 v32, v31, v25
	v_mul_f32_e32 v33, v30, v32
	v_fma_f32 v28, v32, v30, -v33
	v_fmac_f32_e32 v28, v32, v27
	v_add_f32_e32 v34, v33, v28
	v_sub_f32_e32 v35, v31, v34
	v_sub_f32_e32 v26, v34, v33
	;; [unrolled: 1-line block ×5, first 2 shown]
	v_add_f32_e32 v14, v14, v31
	v_add_f32_e32 v14, v26, v14
	;; [unrolled: 1-line block ×3, first 2 shown]
	v_mul_f32_e32 v28, v25, v26
	v_sub_f32_e32 v34, v35, v26
	v_mul_f32_e32 v31, v30, v28
	v_add_f32_e32 v14, v14, v34
	v_fma_f32 v30, v28, v30, -v31
	v_fmac_f32_e32 v30, v28, v27
	v_add_f32_e32 v27, v31, v30
	v_sub_f32_e32 v33, v26, v27
	v_sub_f32_e32 v31, v27, v31
	;; [unrolled: 1-line block ×5, first 2 shown]
	v_add_f32_e32 v14, v14, v26
	v_add_f32_e32 v26, v32, v28
	;; [unrolled: 1-line block ×3, first 2 shown]
	v_sub_f32_e32 v27, v26, v32
	v_add_f32_e32 v14, v33, v14
	v_sub_f32_e32 v27, v28, v27
	v_mul_f32_e32 v14, v25, v14
	v_add_f32_e32 v14, v27, v14
	v_add_f32_e32 v25, v26, v14
	v_mul_f32_e32 v27, v25, v25
	v_fmaak_f32 v28, s5, v27, 0x3ecc95a3
	v_mul_f32_e32 v30, v25, v27
	v_fmaak_f32 v27, v27, v28, 0x3f2aaada
	v_ldexp_f32 v28, v25, 1
	v_sub_f32_e32 v25, v25, v26
	v_mul_f32_e32 v27, v30, v27
	v_mul_f32_e32 v30, 0x3f317218, v13
	v_sub_f32_e32 v14, v14, v25
	v_add_f32_e32 v26, v28, v27
	v_ldexp_f32 v14, v14, 1
	v_sub_f32_e32 v25, v26, v28
	v_fma_f32 v28, 0x3f317218, v13, -v30
	v_sub_f32_e32 v25, v27, v25
	v_fmamk_f32 v13, v13, 0xb102e308, v28
	v_add_f32_e32 v14, v14, v25
	v_add_f32_e32 v25, v30, v13
	;; [unrolled: 1-line block ×3, first 2 shown]
	v_sub_f32_e32 v30, v25, v30
	v_add_f32_e32 v28, v25, v27
	v_sub_f32_e32 v26, v27, v26
	v_sub_f32_e32 v13, v13, v30
	;; [unrolled: 1-line block ×6, first 2 shown]
	v_add_f32_e32 v27, v13, v14
	v_sub_f32_e32 v25, v25, v32
	v_add_f32_e32 v25, v26, v25
	v_sub_f32_e32 v26, v27, v13
	v_add_f32_e32 v25, v27, v25
	v_sub_f32_e32 v27, v27, v26
	v_sub_f32_e32 v14, v14, v26
	v_add_f32_e32 v30, v28, v25
	v_sub_f32_e32 v13, v13, v27
	v_sub_f32_e32 v26, v30, v28
	v_add_f32_e32 v13, v14, v13
	v_sub_f32_e32 v14, v25, v26
	v_add_f32_e32 v13, v13, v14
	v_add_f32_e32 v13, v30, v13
	v_cndmask_b32_e32 v13, 0x7f800000, v13, vcc_lo
	v_cmp_gt_f32_e64 vcc_lo, 0x33800000, |v11|
	v_cndmask_b32_e32 v11, v13, v11, vcc_lo
	v_add_f32_e32 v14, v2, v11
.LBB520_84:
	s_or_b32 exec_lo, exec_lo, s4
	v_bfe_u32 v2, v14, 16, 1
	v_cmp_o_f32_e32 vcc_lo, v14, v14
	v_mov_b32_e32 v11, 0x7fc0
	v_add3_u32 v2, v14, v2, 0x7fff
	v_cndmask_b32_sdwa v2, v11, v2, vcc_lo dst_sel:DWORD dst_unused:UNUSED_PAD src0_sel:DWORD src1_sel:WORD_1
	v_lshlrev_b32_e32 v13, 16, v2
	v_max_f32_e32 v14, v13, v13
	v_cmp_u_f32_e32 vcc_lo, v13, v13
	v_min_f32_e32 v25, v14, v15
	v_max_f32_e32 v14, v14, v15
	v_cndmask_b32_e32 v15, v25, v13, vcc_lo
	v_cndmask_b32_e32 v25, v14, v13, vcc_lo
	v_cndmask_b32_e64 v14, v15, v10, s17
	v_cndmask_b32_e64 v10, v25, v10, s17
	v_cmp_class_f32_e64 s4, v14, 0x1f8
	v_cmp_neq_f32_e32 vcc_lo, v14, v10
	s_or_b32 s5, vcc_lo, s4
	s_and_saveexec_b32 s4, s5
	s_cbranch_execz .LBB520_86
; %bb.85:
	v_sub_f32_e32 v13, v14, v10
	s_mov_b32 s5, 0x3e9b6dac
	v_mul_f32_e32 v14, 0x3fb8aa3b, v13
	v_cmp_ngt_f32_e32 vcc_lo, 0xc2ce8ed0, v13
	v_fma_f32 v15, 0x3fb8aa3b, v13, -v14
	v_rndne_f32_e32 v25, v14
	v_fmamk_f32 v15, v13, 0x32a5705f, v15
	v_sub_f32_e32 v14, v14, v25
	v_add_f32_e32 v14, v14, v15
	v_cvt_i32_f32_e32 v15, v25
	v_exp_f32_e32 v14, v14
	v_ldexp_f32 v14, v14, v15
	v_cndmask_b32_e32 v14, 0, v14, vcc_lo
	v_cmp_nlt_f32_e32 vcc_lo, 0x42b17218, v13
	v_cndmask_b32_e32 v15, 0x7f800000, v14, vcc_lo
	v_add_f32_e32 v25, 1.0, v15
	v_cvt_f64_f32_e32 v[13:14], v25
	v_frexp_exp_i32_f64_e32 v13, v[13:14]
	v_frexp_mant_f32_e32 v14, v25
	v_cmp_gt_f32_e32 vcc_lo, 0x3f2aaaab, v14
	v_add_f32_e32 v14, -1.0, v25
	v_sub_f32_e32 v27, v14, v25
	v_sub_f32_e32 v14, v15, v14
	v_add_f32_e32 v27, 1.0, v27
	v_add_f32_e32 v14, v14, v27
	v_subrev_co_ci_u32_e64 v13, null, 0, v13, vcc_lo
	v_cmp_neq_f32_e32 vcc_lo, 0x7f800000, v15
	v_sub_nc_u32_e32 v26, 0, v13
	v_cvt_f32_i32_e32 v13, v13
	v_ldexp_f32 v25, v25, v26
	v_ldexp_f32 v14, v14, v26
	v_add_f32_e32 v28, 1.0, v25
	v_add_f32_e32 v26, -1.0, v25
	v_add_f32_e32 v27, -1.0, v28
	v_add_f32_e32 v30, 1.0, v26
	v_sub_f32_e32 v27, v25, v27
	v_sub_f32_e32 v25, v25, v30
	v_add_f32_e32 v27, v14, v27
	v_add_f32_e32 v14, v14, v25
	v_add_f32_e32 v30, v28, v27
	v_add_f32_e32 v31, v26, v14
	v_rcp_f32_e32 v25, v30
	v_sub_f32_e32 v28, v28, v30
	v_sub_f32_e32 v26, v26, v31
	v_add_f32_e32 v27, v27, v28
	v_add_f32_e32 v14, v14, v26
	v_mul_f32_e32 v32, v31, v25
	v_mul_f32_e32 v33, v30, v32
	v_fma_f32 v28, v32, v30, -v33
	v_fmac_f32_e32 v28, v32, v27
	v_add_f32_e32 v34, v33, v28
	v_sub_f32_e32 v35, v31, v34
	v_sub_f32_e32 v26, v34, v33
	;; [unrolled: 1-line block ×5, first 2 shown]
	v_add_f32_e32 v14, v14, v31
	v_add_f32_e32 v14, v26, v14
	;; [unrolled: 1-line block ×3, first 2 shown]
	v_mul_f32_e32 v28, v25, v26
	v_sub_f32_e32 v34, v35, v26
	v_mul_f32_e32 v31, v30, v28
	v_add_f32_e32 v14, v14, v34
	v_fma_f32 v30, v28, v30, -v31
	v_fmac_f32_e32 v30, v28, v27
	v_add_f32_e32 v27, v31, v30
	v_sub_f32_e32 v33, v26, v27
	v_sub_f32_e32 v31, v27, v31
	;; [unrolled: 1-line block ×5, first 2 shown]
	v_add_f32_e32 v14, v14, v26
	v_add_f32_e32 v26, v32, v28
	;; [unrolled: 1-line block ×3, first 2 shown]
	v_sub_f32_e32 v27, v26, v32
	v_add_f32_e32 v14, v33, v14
	v_sub_f32_e32 v27, v28, v27
	v_mul_f32_e32 v14, v25, v14
	v_add_f32_e32 v14, v27, v14
	v_add_f32_e32 v25, v26, v14
	v_mul_f32_e32 v27, v25, v25
	v_fmaak_f32 v28, s5, v27, 0x3ecc95a3
	v_mul_f32_e32 v30, v25, v27
	v_fmaak_f32 v27, v27, v28, 0x3f2aaada
	v_ldexp_f32 v28, v25, 1
	v_sub_f32_e32 v25, v25, v26
	v_mul_f32_e32 v27, v30, v27
	v_mul_f32_e32 v30, 0x3f317218, v13
	v_sub_f32_e32 v14, v14, v25
	v_add_f32_e32 v26, v28, v27
	v_ldexp_f32 v14, v14, 1
	v_sub_f32_e32 v25, v26, v28
	v_fma_f32 v28, 0x3f317218, v13, -v30
	v_sub_f32_e32 v25, v27, v25
	v_fmamk_f32 v13, v13, 0xb102e308, v28
	v_add_f32_e32 v14, v14, v25
	v_add_f32_e32 v25, v30, v13
	;; [unrolled: 1-line block ×3, first 2 shown]
	v_sub_f32_e32 v30, v25, v30
	v_add_f32_e32 v28, v25, v27
	v_sub_f32_e32 v26, v27, v26
	v_sub_f32_e32 v13, v13, v30
	;; [unrolled: 1-line block ×6, first 2 shown]
	v_add_f32_e32 v27, v13, v14
	v_sub_f32_e32 v25, v25, v32
	v_add_f32_e32 v25, v26, v25
	v_sub_f32_e32 v26, v27, v13
	;; [unrolled: 2-line block ×3, first 2 shown]
	v_sub_f32_e32 v14, v14, v26
	v_add_f32_e32 v30, v28, v25
	v_sub_f32_e32 v13, v13, v27
	v_sub_f32_e32 v26, v30, v28
	v_add_f32_e32 v13, v14, v13
	v_sub_f32_e32 v14, v25, v26
	v_add_f32_e32 v13, v13, v14
	v_add_f32_e32 v13, v30, v13
	v_cndmask_b32_e32 v13, 0x7f800000, v13, vcc_lo
	v_cmp_gt_f32_e64 vcc_lo, 0x33800000, |v15|
	v_cndmask_b32_e32 v13, v13, v15, vcc_lo
	v_add_f32_e32 v13, v10, v13
.LBB520_86:
	s_or_b32 exec_lo, exec_lo, s4
	v_bfe_u32 v10, v13, 16, 1
	v_cmp_o_f32_e32 vcc_lo, v13, v13
	v_add3_u32 v10, v13, v10, 0x7fff
	v_cndmask_b32_sdwa v10, v11, v10, vcc_lo dst_sel:DWORD dst_unused:UNUSED_PAD src0_sel:DWORD src1_sel:WORD_1
	v_lshlrev_b32_e32 v13, 16, v10
	v_max_f32_e32 v11, v13, v13
	v_cmp_u_f32_e32 vcc_lo, v13, v13
	v_min_f32_e32 v14, v11, v17
	v_max_f32_e32 v11, v11, v17
	v_cndmask_b32_e32 v14, v14, v13, vcc_lo
	v_cndmask_b32_e32 v15, v11, v13, vcc_lo
	v_cndmask_b32_e64 v11, v14, v3, s18
	v_cndmask_b32_e64 v3, v15, v3, s18
	v_cmp_class_f32_e64 s4, v11, 0x1f8
	v_cmp_neq_f32_e32 vcc_lo, v11, v3
	s_or_b32 s5, vcc_lo, s4
	s_and_saveexec_b32 s4, s5
	s_cbranch_execz .LBB520_88
; %bb.87:
	v_sub_f32_e32 v11, v11, v3
	s_mov_b32 s5, 0x3e9b6dac
	v_mul_f32_e32 v13, 0x3fb8aa3b, v11
	v_cmp_ngt_f32_e32 vcc_lo, 0xc2ce8ed0, v11
	v_fma_f32 v14, 0x3fb8aa3b, v11, -v13
	v_rndne_f32_e32 v15, v13
	v_fmamk_f32 v14, v11, 0x32a5705f, v14
	v_sub_f32_e32 v13, v13, v15
	v_add_f32_e32 v13, v13, v14
	v_cvt_i32_f32_e32 v14, v15
	v_exp_f32_e32 v13, v13
	v_ldexp_f32 v13, v13, v14
	v_cndmask_b32_e32 v13, 0, v13, vcc_lo
	v_cmp_nlt_f32_e32 vcc_lo, 0x42b17218, v11
	v_cndmask_b32_e32 v11, 0x7f800000, v13, vcc_lo
	v_add_f32_e32 v15, 1.0, v11
	v_cvt_f64_f32_e32 v[13:14], v15
	v_frexp_exp_i32_f64_e32 v13, v[13:14]
	v_frexp_mant_f32_e32 v14, v15
	v_cmp_gt_f32_e32 vcc_lo, 0x3f2aaaab, v14
	v_add_f32_e32 v14, -1.0, v15
	v_sub_f32_e32 v25, v14, v15
	v_sub_f32_e32 v14, v11, v14
	v_add_f32_e32 v25, 1.0, v25
	v_add_f32_e32 v14, v14, v25
	v_subrev_co_ci_u32_e64 v13, null, 0, v13, vcc_lo
	v_cmp_neq_f32_e32 vcc_lo, 0x7f800000, v11
	v_sub_nc_u32_e32 v17, 0, v13
	v_cvt_f32_i32_e32 v13, v13
	v_ldexp_f32 v15, v15, v17
	v_ldexp_f32 v14, v14, v17
	v_add_f32_e32 v26, 1.0, v15
	v_add_f32_e32 v17, -1.0, v15
	v_add_f32_e32 v25, -1.0, v26
	v_add_f32_e32 v27, 1.0, v17
	v_sub_f32_e32 v25, v15, v25
	v_sub_f32_e32 v15, v15, v27
	v_add_f32_e32 v25, v14, v25
	v_add_f32_e32 v14, v14, v15
	;; [unrolled: 1-line block ×4, first 2 shown]
	v_rcp_f32_e32 v15, v27
	v_sub_f32_e32 v26, v26, v27
	v_sub_f32_e32 v17, v17, v28
	v_add_f32_e32 v25, v25, v26
	v_add_f32_e32 v14, v14, v17
	v_mul_f32_e32 v30, v28, v15
	v_mul_f32_e32 v31, v27, v30
	v_fma_f32 v26, v30, v27, -v31
	v_fmac_f32_e32 v26, v30, v25
	v_add_f32_e32 v32, v31, v26
	v_sub_f32_e32 v33, v28, v32
	v_sub_f32_e32 v17, v32, v31
	;; [unrolled: 1-line block ×5, first 2 shown]
	v_add_f32_e32 v14, v14, v28
	v_add_f32_e32 v14, v17, v14
	v_add_f32_e32 v17, v33, v14
	v_mul_f32_e32 v26, v15, v17
	v_sub_f32_e32 v32, v33, v17
	v_mul_f32_e32 v28, v27, v26
	v_add_f32_e32 v14, v14, v32
	v_fma_f32 v27, v26, v27, -v28
	v_fmac_f32_e32 v27, v26, v25
	v_add_f32_e32 v25, v28, v27
	v_sub_f32_e32 v31, v17, v25
	v_sub_f32_e32 v28, v25, v28
	;; [unrolled: 1-line block ×5, first 2 shown]
	v_add_f32_e32 v14, v14, v17
	v_add_f32_e32 v17, v30, v26
	v_add_f32_e32 v14, v25, v14
	v_sub_f32_e32 v25, v17, v30
	v_add_f32_e32 v14, v31, v14
	v_sub_f32_e32 v25, v26, v25
	v_mul_f32_e32 v14, v15, v14
	v_add_f32_e32 v14, v25, v14
	v_add_f32_e32 v15, v17, v14
	v_mul_f32_e32 v25, v15, v15
	v_fmaak_f32 v26, s5, v25, 0x3ecc95a3
	v_mul_f32_e32 v27, v15, v25
	v_fmaak_f32 v25, v25, v26, 0x3f2aaada
	v_ldexp_f32 v26, v15, 1
	v_sub_f32_e32 v15, v15, v17
	v_mul_f32_e32 v25, v27, v25
	v_mul_f32_e32 v27, 0x3f317218, v13
	v_sub_f32_e32 v14, v14, v15
	v_add_f32_e32 v17, v26, v25
	v_ldexp_f32 v14, v14, 1
	v_sub_f32_e32 v15, v17, v26
	v_fma_f32 v26, 0x3f317218, v13, -v27
	v_sub_f32_e32 v15, v25, v15
	v_fmamk_f32 v13, v13, 0xb102e308, v26
	v_add_f32_e32 v14, v14, v15
	v_add_f32_e32 v15, v27, v13
	;; [unrolled: 1-line block ×3, first 2 shown]
	v_sub_f32_e32 v27, v15, v27
	v_add_f32_e32 v26, v15, v25
	v_sub_f32_e32 v17, v25, v17
	v_sub_f32_e32 v13, v13, v27
	;; [unrolled: 1-line block ×6, first 2 shown]
	v_add_f32_e32 v25, v13, v14
	v_sub_f32_e32 v15, v15, v30
	v_add_f32_e32 v15, v17, v15
	v_sub_f32_e32 v17, v25, v13
	;; [unrolled: 2-line block ×3, first 2 shown]
	v_sub_f32_e32 v14, v14, v17
	v_add_f32_e32 v27, v26, v15
	v_sub_f32_e32 v13, v13, v25
	v_sub_f32_e32 v17, v27, v26
	v_add_f32_e32 v13, v14, v13
	v_sub_f32_e32 v14, v15, v17
	v_add_f32_e32 v13, v13, v14
	v_add_f32_e32 v13, v27, v13
	v_cndmask_b32_e32 v13, 0x7f800000, v13, vcc_lo
	v_cmp_gt_f32_e64 vcc_lo, 0x33800000, |v11|
	v_cndmask_b32_e32 v11, v13, v11, vcc_lo
	v_add_f32_e32 v13, v3, v11
.LBB520_88:
	s_or_b32 exec_lo, exec_lo, s4
	v_bfe_u32 v3, v13, 16, 1
	v_cmp_o_f32_e32 vcc_lo, v13, v13
	v_mov_b32_e32 v11, 0x7fc0
	v_add3_u32 v3, v13, v3, 0x7fff
	v_cndmask_b32_sdwa v3, v11, v3, vcc_lo dst_sel:DWORD dst_unused:UNUSED_PAD src0_sel:DWORD src1_sel:WORD_1
	v_lshlrev_b32_e32 v13, 16, v3
	v_max_f32_e32 v14, v13, v13
	v_cmp_u_f32_e32 vcc_lo, v13, v13
	v_min_f32_e32 v15, v14, v18
	v_max_f32_e32 v14, v14, v18
	v_cndmask_b32_e32 v15, v15, v13, vcc_lo
	v_cndmask_b32_e32 v17, v14, v13, vcc_lo
	v_cndmask_b32_e64 v14, v15, v12, s19
	v_cndmask_b32_e64 v12, v17, v12, s19
	v_cmp_class_f32_e64 s4, v14, 0x1f8
	v_cmp_neq_f32_e32 vcc_lo, v14, v12
	s_or_b32 s5, vcc_lo, s4
	s_and_saveexec_b32 s4, s5
	s_cbranch_execz .LBB520_90
; %bb.89:
	v_sub_f32_e32 v13, v14, v12
	s_mov_b32 s5, 0x3e9b6dac
	v_mul_f32_e32 v14, 0x3fb8aa3b, v13
	v_cmp_ngt_f32_e32 vcc_lo, 0xc2ce8ed0, v13
	v_fma_f32 v15, 0x3fb8aa3b, v13, -v14
	v_rndne_f32_e32 v17, v14
	v_fmamk_f32 v15, v13, 0x32a5705f, v15
	v_sub_f32_e32 v14, v14, v17
	v_add_f32_e32 v14, v14, v15
	v_cvt_i32_f32_e32 v15, v17
	v_exp_f32_e32 v14, v14
	v_ldexp_f32 v14, v14, v15
	v_cndmask_b32_e32 v14, 0, v14, vcc_lo
	v_cmp_nlt_f32_e32 vcc_lo, 0x42b17218, v13
	v_cndmask_b32_e32 v15, 0x7f800000, v14, vcc_lo
	v_add_f32_e32 v17, 1.0, v15
	v_cvt_f64_f32_e32 v[13:14], v17
	v_frexp_exp_i32_f64_e32 v13, v[13:14]
	v_frexp_mant_f32_e32 v14, v17
	v_cmp_gt_f32_e32 vcc_lo, 0x3f2aaaab, v14
	v_add_f32_e32 v14, -1.0, v17
	v_sub_f32_e32 v25, v14, v17
	v_sub_f32_e32 v14, v15, v14
	v_add_f32_e32 v25, 1.0, v25
	v_add_f32_e32 v14, v14, v25
	v_subrev_co_ci_u32_e64 v13, null, 0, v13, vcc_lo
	v_cmp_neq_f32_e32 vcc_lo, 0x7f800000, v15
	v_sub_nc_u32_e32 v18, 0, v13
	v_cvt_f32_i32_e32 v13, v13
	v_ldexp_f32 v17, v17, v18
	v_ldexp_f32 v14, v14, v18
	v_add_f32_e32 v26, 1.0, v17
	v_add_f32_e32 v18, -1.0, v17
	v_add_f32_e32 v25, -1.0, v26
	v_add_f32_e32 v27, 1.0, v18
	v_sub_f32_e32 v25, v17, v25
	v_sub_f32_e32 v17, v17, v27
	v_add_f32_e32 v25, v14, v25
	v_add_f32_e32 v14, v14, v17
	;; [unrolled: 1-line block ×4, first 2 shown]
	v_rcp_f32_e32 v17, v27
	v_sub_f32_e32 v26, v26, v27
	v_sub_f32_e32 v18, v18, v28
	v_add_f32_e32 v25, v25, v26
	v_add_f32_e32 v14, v14, v18
	v_mul_f32_e32 v30, v28, v17
	v_mul_f32_e32 v31, v27, v30
	v_fma_f32 v26, v30, v27, -v31
	v_fmac_f32_e32 v26, v30, v25
	v_add_f32_e32 v32, v31, v26
	v_sub_f32_e32 v33, v28, v32
	v_sub_f32_e32 v18, v32, v31
	;; [unrolled: 1-line block ×5, first 2 shown]
	v_add_f32_e32 v14, v14, v28
	v_add_f32_e32 v14, v18, v14
	;; [unrolled: 1-line block ×3, first 2 shown]
	v_mul_f32_e32 v26, v17, v18
	v_sub_f32_e32 v32, v33, v18
	v_mul_f32_e32 v28, v27, v26
	v_add_f32_e32 v14, v14, v32
	v_fma_f32 v27, v26, v27, -v28
	v_fmac_f32_e32 v27, v26, v25
	v_add_f32_e32 v25, v28, v27
	v_sub_f32_e32 v31, v18, v25
	v_sub_f32_e32 v28, v25, v28
	;; [unrolled: 1-line block ×5, first 2 shown]
	v_add_f32_e32 v14, v14, v18
	v_add_f32_e32 v18, v30, v26
	;; [unrolled: 1-line block ×3, first 2 shown]
	v_sub_f32_e32 v25, v18, v30
	v_add_f32_e32 v14, v31, v14
	v_sub_f32_e32 v25, v26, v25
	v_mul_f32_e32 v14, v17, v14
	v_add_f32_e32 v14, v25, v14
	v_add_f32_e32 v17, v18, v14
	v_mul_f32_e32 v25, v17, v17
	v_fmaak_f32 v26, s5, v25, 0x3ecc95a3
	v_mul_f32_e32 v27, v17, v25
	v_fmaak_f32 v25, v25, v26, 0x3f2aaada
	v_ldexp_f32 v26, v17, 1
	v_sub_f32_e32 v17, v17, v18
	v_mul_f32_e32 v25, v27, v25
	v_mul_f32_e32 v27, 0x3f317218, v13
	v_sub_f32_e32 v14, v14, v17
	v_add_f32_e32 v18, v26, v25
	v_ldexp_f32 v14, v14, 1
	v_sub_f32_e32 v17, v18, v26
	v_fma_f32 v26, 0x3f317218, v13, -v27
	v_sub_f32_e32 v17, v25, v17
	v_fmamk_f32 v13, v13, 0xb102e308, v26
	v_add_f32_e32 v14, v14, v17
	v_add_f32_e32 v17, v27, v13
	;; [unrolled: 1-line block ×3, first 2 shown]
	v_sub_f32_e32 v27, v17, v27
	v_add_f32_e32 v26, v17, v25
	v_sub_f32_e32 v18, v25, v18
	v_sub_f32_e32 v13, v13, v27
	;; [unrolled: 1-line block ×6, first 2 shown]
	v_add_f32_e32 v25, v13, v14
	v_sub_f32_e32 v17, v17, v30
	v_add_f32_e32 v17, v18, v17
	v_sub_f32_e32 v18, v25, v13
	;; [unrolled: 2-line block ×3, first 2 shown]
	v_sub_f32_e32 v14, v14, v18
	v_add_f32_e32 v27, v26, v17
	v_sub_f32_e32 v13, v13, v25
	v_sub_f32_e32 v18, v27, v26
	v_add_f32_e32 v13, v14, v13
	v_sub_f32_e32 v14, v17, v18
	v_add_f32_e32 v13, v13, v14
	v_add_f32_e32 v13, v27, v13
	v_cndmask_b32_e32 v13, 0x7f800000, v13, vcc_lo
	v_cmp_gt_f32_e64 vcc_lo, 0x33800000, |v15|
	v_cndmask_b32_e32 v13, v13, v15, vcc_lo
	v_add_f32_e32 v13, v12, v13
.LBB520_90:
	s_or_b32 exec_lo, exec_lo, s4
	v_bfe_u32 v12, v13, 16, 1
	v_cmp_o_f32_e32 vcc_lo, v13, v13
	v_add3_u32 v12, v13, v12, 0x7fff
	v_cndmask_b32_sdwa v11, v11, v12, vcc_lo dst_sel:DWORD dst_unused:UNUSED_PAD src0_sel:DWORD src1_sel:WORD_1
	v_lshlrev_b32_e32 v13, 16, v11
	v_max_f32_e32 v12, v13, v13
	v_cmp_u_f32_e32 vcc_lo, v13, v13
	v_min_f32_e32 v14, v12, v20
	v_max_f32_e32 v12, v12, v20
	v_cndmask_b32_e32 v14, v14, v13, vcc_lo
	v_cndmask_b32_e32 v15, v12, v13, vcc_lo
	v_cndmask_b32_e64 v12, v14, v4, s20
	v_cndmask_b32_e64 v4, v15, v4, s20
	v_cmp_class_f32_e64 s4, v12, 0x1f8
	v_cmp_neq_f32_e32 vcc_lo, v12, v4
	s_or_b32 s5, vcc_lo, s4
	s_and_saveexec_b32 s4, s5
	s_cbranch_execz .LBB520_92
; %bb.91:
	v_sub_f32_e32 v12, v12, v4
	s_mov_b32 s5, 0x3e9b6dac
	v_mul_f32_e32 v13, 0x3fb8aa3b, v12
	v_cmp_ngt_f32_e32 vcc_lo, 0xc2ce8ed0, v12
	v_fma_f32 v14, 0x3fb8aa3b, v12, -v13
	v_rndne_f32_e32 v15, v13
	v_fmamk_f32 v14, v12, 0x32a5705f, v14
	v_sub_f32_e32 v13, v13, v15
	v_add_f32_e32 v13, v13, v14
	v_cvt_i32_f32_e32 v14, v15
	v_exp_f32_e32 v13, v13
	v_ldexp_f32 v13, v13, v14
	v_cndmask_b32_e32 v13, 0, v13, vcc_lo
	v_cmp_nlt_f32_e32 vcc_lo, 0x42b17218, v12
	v_cndmask_b32_e32 v14, 0x7f800000, v13, vcc_lo
	v_add_f32_e32 v15, 1.0, v14
	v_cvt_f64_f32_e32 v[12:13], v15
	v_frexp_exp_i32_f64_e32 v12, v[12:13]
	v_frexp_mant_f32_e32 v13, v15
	v_cmp_gt_f32_e32 vcc_lo, 0x3f2aaaab, v13
	v_add_f32_e32 v13, -1.0, v15
	v_sub_f32_e32 v18, v13, v15
	v_sub_f32_e32 v13, v14, v13
	v_add_f32_e32 v18, 1.0, v18
	v_add_f32_e32 v13, v13, v18
	v_subrev_co_ci_u32_e64 v12, null, 0, v12, vcc_lo
	v_cmp_neq_f32_e32 vcc_lo, 0x7f800000, v14
	v_sub_nc_u32_e32 v17, 0, v12
	v_cvt_f32_i32_e32 v12, v12
	v_ldexp_f32 v15, v15, v17
	v_ldexp_f32 v13, v13, v17
	v_add_f32_e32 v20, 1.0, v15
	v_add_f32_e32 v17, -1.0, v15
	v_add_f32_e32 v18, -1.0, v20
	v_add_f32_e32 v25, 1.0, v17
	v_sub_f32_e32 v18, v15, v18
	v_sub_f32_e32 v15, v15, v25
	v_add_f32_e32 v18, v13, v18
	v_add_f32_e32 v13, v13, v15
	v_add_f32_e32 v25, v20, v18
	v_add_f32_e32 v26, v17, v13
	v_rcp_f32_e32 v15, v25
	v_sub_f32_e32 v20, v20, v25
	v_sub_f32_e32 v17, v17, v26
	v_add_f32_e32 v18, v18, v20
	v_add_f32_e32 v13, v13, v17
	v_mul_f32_e32 v27, v26, v15
	v_mul_f32_e32 v28, v25, v27
	v_fma_f32 v20, v27, v25, -v28
	v_fmac_f32_e32 v20, v27, v18
	v_add_f32_e32 v30, v28, v20
	v_sub_f32_e32 v31, v26, v30
	v_sub_f32_e32 v17, v30, v28
	v_sub_f32_e32 v26, v26, v31
	v_sub_f32_e32 v17, v17, v20
	v_sub_f32_e32 v26, v26, v30
	v_add_f32_e32 v13, v13, v26
	v_add_f32_e32 v13, v17, v13
	v_add_f32_e32 v17, v31, v13
	v_mul_f32_e32 v20, v15, v17
	v_sub_f32_e32 v30, v31, v17
	v_mul_f32_e32 v26, v25, v20
	v_add_f32_e32 v13, v13, v30
	v_fma_f32 v25, v20, v25, -v26
	v_fmac_f32_e32 v25, v20, v18
	v_add_f32_e32 v18, v26, v25
	v_sub_f32_e32 v28, v17, v18
	v_sub_f32_e32 v26, v18, v26
	;; [unrolled: 1-line block ×5, first 2 shown]
	v_add_f32_e32 v13, v13, v17
	v_add_f32_e32 v17, v27, v20
	;; [unrolled: 1-line block ×3, first 2 shown]
	v_sub_f32_e32 v18, v17, v27
	v_add_f32_e32 v13, v28, v13
	v_sub_f32_e32 v18, v20, v18
	v_mul_f32_e32 v13, v15, v13
	v_add_f32_e32 v13, v18, v13
	v_add_f32_e32 v15, v17, v13
	v_mul_f32_e32 v18, v15, v15
	v_fmaak_f32 v20, s5, v18, 0x3ecc95a3
	v_mul_f32_e32 v25, v15, v18
	v_fmaak_f32 v18, v18, v20, 0x3f2aaada
	v_ldexp_f32 v20, v15, 1
	v_sub_f32_e32 v15, v15, v17
	v_mul_f32_e32 v18, v25, v18
	v_mul_f32_e32 v25, 0x3f317218, v12
	v_sub_f32_e32 v13, v13, v15
	v_add_f32_e32 v17, v20, v18
	v_ldexp_f32 v13, v13, 1
	v_sub_f32_e32 v15, v17, v20
	v_fma_f32 v20, 0x3f317218, v12, -v25
	v_sub_f32_e32 v15, v18, v15
	v_fmamk_f32 v12, v12, 0xb102e308, v20
	v_add_f32_e32 v13, v13, v15
	v_add_f32_e32 v15, v25, v12
	;; [unrolled: 1-line block ×3, first 2 shown]
	v_sub_f32_e32 v25, v15, v25
	v_add_f32_e32 v20, v15, v18
	v_sub_f32_e32 v17, v18, v17
	v_sub_f32_e32 v12, v12, v25
	;; [unrolled: 1-line block ×6, first 2 shown]
	v_add_f32_e32 v18, v12, v13
	v_sub_f32_e32 v15, v15, v27
	v_add_f32_e32 v15, v17, v15
	v_sub_f32_e32 v17, v18, v12
	v_add_f32_e32 v15, v18, v15
	v_sub_f32_e32 v18, v18, v17
	v_sub_f32_e32 v13, v13, v17
	v_add_f32_e32 v25, v20, v15
	v_sub_f32_e32 v12, v12, v18
	v_sub_f32_e32 v17, v25, v20
	v_add_f32_e32 v12, v13, v12
	v_sub_f32_e32 v13, v15, v17
	v_add_f32_e32 v12, v12, v13
	v_add_f32_e32 v12, v25, v12
	v_cndmask_b32_e32 v12, 0x7f800000, v12, vcc_lo
	v_cmp_gt_f32_e64 vcc_lo, 0x33800000, |v14|
	v_cndmask_b32_e32 v12, v12, v14, vcc_lo
	v_add_f32_e32 v13, v4, v12
.LBB520_92:
	s_or_b32 exec_lo, exec_lo, s4
	v_bfe_u32 v4, v13, 16, 1
	v_cmp_o_f32_e32 vcc_lo, v13, v13
	v_mov_b32_e32 v12, 0x7fc0
	v_add3_u32 v4, v13, v4, 0x7fff
	v_cndmask_b32_sdwa v4, v12, v4, vcc_lo dst_sel:DWORD dst_unused:UNUSED_PAD src0_sel:DWORD src1_sel:WORD_1
	v_lshlrev_b32_e32 v14, 16, v4
	v_max_f32_e32 v13, v14, v14
	v_cmp_u_f32_e32 vcc_lo, v14, v14
	v_min_f32_e32 v15, v13, v21
	v_max_f32_e32 v13, v13, v21
	v_cndmask_b32_e32 v15, v15, v14, vcc_lo
	v_cndmask_b32_e32 v13, v13, v14, vcc_lo
	v_cndmask_b32_e64 v15, v15, v16, s21
	v_cndmask_b32_e64 v13, v13, v16, s21
	v_cmp_class_f32_e64 s4, v15, 0x1f8
	v_cmp_neq_f32_e32 vcc_lo, v15, v13
	s_or_b32 s5, vcc_lo, s4
	s_and_saveexec_b32 s4, s5
	s_cbranch_execz .LBB520_94
; %bb.93:
	v_sub_f32_e32 v14, v15, v13
	s_mov_b32 s5, 0x3e9b6dac
	v_mul_f32_e32 v15, 0x3fb8aa3b, v14
	v_cmp_ngt_f32_e32 vcc_lo, 0xc2ce8ed0, v14
	v_fma_f32 v16, 0x3fb8aa3b, v14, -v15
	v_rndne_f32_e32 v17, v15
	v_fmamk_f32 v16, v14, 0x32a5705f, v16
	v_sub_f32_e32 v15, v15, v17
	v_add_f32_e32 v15, v15, v16
	v_cvt_i32_f32_e32 v16, v17
	v_exp_f32_e32 v15, v15
	v_ldexp_f32 v15, v15, v16
	v_cndmask_b32_e32 v15, 0, v15, vcc_lo
	v_cmp_nlt_f32_e32 vcc_lo, 0x42b17218, v14
	v_cndmask_b32_e32 v16, 0x7f800000, v15, vcc_lo
	v_add_f32_e32 v17, 1.0, v16
	v_cvt_f64_f32_e32 v[14:15], v17
	v_frexp_exp_i32_f64_e32 v14, v[14:15]
	v_frexp_mant_f32_e32 v15, v17
	v_cmp_gt_f32_e32 vcc_lo, 0x3f2aaaab, v15
	v_add_f32_e32 v15, -1.0, v17
	v_sub_f32_e32 v20, v15, v17
	v_sub_f32_e32 v15, v16, v15
	v_add_f32_e32 v20, 1.0, v20
	v_add_f32_e32 v15, v15, v20
	v_subrev_co_ci_u32_e64 v14, null, 0, v14, vcc_lo
	v_cmp_neq_f32_e32 vcc_lo, 0x7f800000, v16
	v_sub_nc_u32_e32 v18, 0, v14
	v_cvt_f32_i32_e32 v14, v14
	v_ldexp_f32 v17, v17, v18
	v_ldexp_f32 v15, v15, v18
	v_add_f32_e32 v21, 1.0, v17
	v_add_f32_e32 v18, -1.0, v17
	v_add_f32_e32 v20, -1.0, v21
	v_add_f32_e32 v25, 1.0, v18
	v_sub_f32_e32 v20, v17, v20
	v_sub_f32_e32 v17, v17, v25
	v_add_f32_e32 v20, v15, v20
	v_add_f32_e32 v15, v15, v17
	;; [unrolled: 1-line block ×4, first 2 shown]
	v_rcp_f32_e32 v17, v25
	v_sub_f32_e32 v21, v21, v25
	v_sub_f32_e32 v18, v18, v26
	v_add_f32_e32 v20, v20, v21
	v_add_f32_e32 v15, v15, v18
	v_mul_f32_e32 v27, v26, v17
	v_mul_f32_e32 v28, v25, v27
	v_fma_f32 v21, v27, v25, -v28
	v_fmac_f32_e32 v21, v27, v20
	v_add_f32_e32 v30, v28, v21
	v_sub_f32_e32 v31, v26, v30
	v_sub_f32_e32 v18, v30, v28
	;; [unrolled: 1-line block ×5, first 2 shown]
	v_add_f32_e32 v15, v15, v26
	v_add_f32_e32 v15, v18, v15
	;; [unrolled: 1-line block ×3, first 2 shown]
	v_mul_f32_e32 v21, v17, v18
	v_sub_f32_e32 v30, v31, v18
	v_mul_f32_e32 v26, v25, v21
	v_add_f32_e32 v15, v15, v30
	v_fma_f32 v25, v21, v25, -v26
	v_fmac_f32_e32 v25, v21, v20
	v_add_f32_e32 v20, v26, v25
	v_sub_f32_e32 v28, v18, v20
	v_sub_f32_e32 v26, v20, v26
	;; [unrolled: 1-line block ×5, first 2 shown]
	v_add_f32_e32 v15, v15, v18
	v_add_f32_e32 v18, v27, v21
	;; [unrolled: 1-line block ×3, first 2 shown]
	v_sub_f32_e32 v20, v18, v27
	v_add_f32_e32 v15, v28, v15
	v_sub_f32_e32 v20, v21, v20
	v_mul_f32_e32 v15, v17, v15
	v_add_f32_e32 v15, v20, v15
	v_add_f32_e32 v17, v18, v15
	v_mul_f32_e32 v20, v17, v17
	v_fmaak_f32 v21, s5, v20, 0x3ecc95a3
	v_mul_f32_e32 v25, v17, v20
	v_fmaak_f32 v20, v20, v21, 0x3f2aaada
	v_ldexp_f32 v21, v17, 1
	v_sub_f32_e32 v17, v17, v18
	v_mul_f32_e32 v20, v25, v20
	v_mul_f32_e32 v25, 0x3f317218, v14
	v_sub_f32_e32 v15, v15, v17
	v_add_f32_e32 v18, v21, v20
	v_ldexp_f32 v15, v15, 1
	v_sub_f32_e32 v17, v18, v21
	v_fma_f32 v21, 0x3f317218, v14, -v25
	v_sub_f32_e32 v17, v20, v17
	v_fmamk_f32 v14, v14, 0xb102e308, v21
	v_add_f32_e32 v15, v15, v17
	v_add_f32_e32 v17, v25, v14
	;; [unrolled: 1-line block ×3, first 2 shown]
	v_sub_f32_e32 v25, v17, v25
	v_add_f32_e32 v21, v17, v20
	v_sub_f32_e32 v18, v20, v18
	v_sub_f32_e32 v14, v14, v25
	;; [unrolled: 1-line block ×6, first 2 shown]
	v_add_f32_e32 v20, v14, v15
	v_sub_f32_e32 v17, v17, v27
	v_add_f32_e32 v17, v18, v17
	v_sub_f32_e32 v18, v20, v14
	;; [unrolled: 2-line block ×3, first 2 shown]
	v_sub_f32_e32 v15, v15, v18
	v_add_f32_e32 v25, v21, v17
	v_sub_f32_e32 v14, v14, v20
	v_sub_f32_e32 v18, v25, v21
	v_add_f32_e32 v14, v15, v14
	v_sub_f32_e32 v15, v17, v18
	v_add_f32_e32 v14, v14, v15
	v_add_f32_e32 v14, v25, v14
	v_cndmask_b32_e32 v14, 0x7f800000, v14, vcc_lo
	v_cmp_gt_f32_e64 vcc_lo, 0x33800000, |v16|
	v_cndmask_b32_e32 v14, v14, v16, vcc_lo
	v_add_f32_e32 v14, v13, v14
.LBB520_94:
	s_or_b32 exec_lo, exec_lo, s4
	v_bfe_u32 v13, v14, 16, 1
	v_cmp_o_f32_e32 vcc_lo, v14, v14
	v_add3_u32 v13, v14, v13, 0x7fff
	v_cndmask_b32_sdwa v12, v12, v13, vcc_lo dst_sel:DWORD dst_unused:UNUSED_PAD src0_sel:DWORD src1_sel:WORD_1
	v_lshlrev_b32_e32 v14, 16, v12
	v_max_f32_e32 v13, v14, v14
	v_cmp_u_f32_e32 vcc_lo, v14, v14
	v_min_f32_e32 v15, v13, v22
	v_max_f32_e32 v13, v13, v22
	v_cndmask_b32_e32 v15, v15, v14, vcc_lo
	v_cndmask_b32_e32 v16, v13, v14, vcc_lo
	v_cndmask_b32_e64 v13, v15, v5, s22
	v_cndmask_b32_e64 v5, v16, v5, s22
	v_cmp_class_f32_e64 s4, v13, 0x1f8
	v_cmp_neq_f32_e32 vcc_lo, v13, v5
	s_or_b32 s5, vcc_lo, s4
	s_and_saveexec_b32 s4, s5
	s_cbranch_execz .LBB520_96
; %bb.95:
	v_sub_f32_e32 v13, v13, v5
	s_mov_b32 s5, 0x3e9b6dac
	v_mul_f32_e32 v14, 0x3fb8aa3b, v13
	v_cmp_ngt_f32_e32 vcc_lo, 0xc2ce8ed0, v13
	v_fma_f32 v15, 0x3fb8aa3b, v13, -v14
	v_rndne_f32_e32 v16, v14
	v_fmamk_f32 v15, v13, 0x32a5705f, v15
	v_sub_f32_e32 v14, v14, v16
	v_add_f32_e32 v14, v14, v15
	v_cvt_i32_f32_e32 v15, v16
	v_exp_f32_e32 v14, v14
	v_ldexp_f32 v14, v14, v15
	v_cndmask_b32_e32 v14, 0, v14, vcc_lo
	v_cmp_nlt_f32_e32 vcc_lo, 0x42b17218, v13
	v_cndmask_b32_e32 v15, 0x7f800000, v14, vcc_lo
	v_add_f32_e32 v16, 1.0, v15
	v_cvt_f64_f32_e32 v[13:14], v16
	v_frexp_exp_i32_f64_e32 v13, v[13:14]
	v_frexp_mant_f32_e32 v14, v16
	v_cmp_gt_f32_e32 vcc_lo, 0x3f2aaaab, v14
	v_add_f32_e32 v14, -1.0, v16
	v_sub_f32_e32 v18, v14, v16
	v_sub_f32_e32 v14, v15, v14
	v_add_f32_e32 v18, 1.0, v18
	v_add_f32_e32 v14, v14, v18
	v_subrev_co_ci_u32_e64 v13, null, 0, v13, vcc_lo
	v_cmp_neq_f32_e32 vcc_lo, 0x7f800000, v15
	v_sub_nc_u32_e32 v17, 0, v13
	v_cvt_f32_i32_e32 v13, v13
	v_ldexp_f32 v16, v16, v17
	v_ldexp_f32 v14, v14, v17
	v_add_f32_e32 v20, 1.0, v16
	v_add_f32_e32 v17, -1.0, v16
	v_add_f32_e32 v18, -1.0, v20
	v_add_f32_e32 v21, 1.0, v17
	v_sub_f32_e32 v18, v16, v18
	v_sub_f32_e32 v16, v16, v21
	v_add_f32_e32 v18, v14, v18
	v_add_f32_e32 v14, v14, v16
	;; [unrolled: 1-line block ×4, first 2 shown]
	v_rcp_f32_e32 v16, v21
	v_sub_f32_e32 v20, v20, v21
	v_sub_f32_e32 v17, v17, v22
	v_add_f32_e32 v18, v18, v20
	v_add_f32_e32 v14, v14, v17
	v_mul_f32_e32 v25, v22, v16
	v_mul_f32_e32 v26, v21, v25
	v_fma_f32 v20, v25, v21, -v26
	v_fmac_f32_e32 v20, v25, v18
	v_add_f32_e32 v27, v26, v20
	v_sub_f32_e32 v28, v22, v27
	v_sub_f32_e32 v17, v27, v26
	;; [unrolled: 1-line block ×5, first 2 shown]
	v_add_f32_e32 v14, v14, v22
	v_add_f32_e32 v14, v17, v14
	;; [unrolled: 1-line block ×3, first 2 shown]
	v_mul_f32_e32 v20, v16, v17
	v_sub_f32_e32 v27, v28, v17
	v_mul_f32_e32 v22, v21, v20
	v_add_f32_e32 v14, v14, v27
	v_fma_f32 v21, v20, v21, -v22
	v_fmac_f32_e32 v21, v20, v18
	v_add_f32_e32 v18, v22, v21
	v_sub_f32_e32 v26, v17, v18
	v_sub_f32_e32 v22, v18, v22
	;; [unrolled: 1-line block ×5, first 2 shown]
	v_add_f32_e32 v14, v14, v17
	v_add_f32_e32 v17, v25, v20
	;; [unrolled: 1-line block ×3, first 2 shown]
	v_sub_f32_e32 v18, v17, v25
	v_add_f32_e32 v14, v26, v14
	v_sub_f32_e32 v18, v20, v18
	v_mul_f32_e32 v14, v16, v14
	v_add_f32_e32 v14, v18, v14
	v_add_f32_e32 v16, v17, v14
	v_mul_f32_e32 v18, v16, v16
	v_fmaak_f32 v20, s5, v18, 0x3ecc95a3
	v_mul_f32_e32 v21, v16, v18
	v_fmaak_f32 v18, v18, v20, 0x3f2aaada
	v_ldexp_f32 v20, v16, 1
	v_sub_f32_e32 v16, v16, v17
	v_mul_f32_e32 v18, v21, v18
	v_mul_f32_e32 v21, 0x3f317218, v13
	v_sub_f32_e32 v14, v14, v16
	v_add_f32_e32 v17, v20, v18
	v_ldexp_f32 v14, v14, 1
	v_sub_f32_e32 v16, v17, v20
	v_fma_f32 v20, 0x3f317218, v13, -v21
	v_sub_f32_e32 v16, v18, v16
	v_fmamk_f32 v13, v13, 0xb102e308, v20
	v_add_f32_e32 v14, v14, v16
	v_add_f32_e32 v16, v21, v13
	;; [unrolled: 1-line block ×3, first 2 shown]
	v_sub_f32_e32 v21, v16, v21
	v_add_f32_e32 v20, v16, v18
	v_sub_f32_e32 v17, v18, v17
	v_sub_f32_e32 v13, v13, v21
	;; [unrolled: 1-line block ×6, first 2 shown]
	v_add_f32_e32 v18, v13, v14
	v_sub_f32_e32 v16, v16, v25
	v_add_f32_e32 v16, v17, v16
	v_sub_f32_e32 v17, v18, v13
	;; [unrolled: 2-line block ×3, first 2 shown]
	v_sub_f32_e32 v14, v14, v17
	v_add_f32_e32 v21, v20, v16
	v_sub_f32_e32 v13, v13, v18
	v_sub_f32_e32 v17, v21, v20
	v_add_f32_e32 v13, v14, v13
	v_sub_f32_e32 v14, v16, v17
	v_add_f32_e32 v13, v13, v14
	v_add_f32_e32 v13, v21, v13
	v_cndmask_b32_e32 v13, 0x7f800000, v13, vcc_lo
	v_cmp_gt_f32_e64 vcc_lo, 0x33800000, |v15|
	v_cndmask_b32_e32 v13, v13, v15, vcc_lo
	v_add_f32_e32 v14, v5, v13
.LBB520_96:
	s_or_b32 exec_lo, exec_lo, s4
	v_bfe_u32 v5, v14, 16, 1
	v_cmp_o_f32_e32 vcc_lo, v14, v14
	v_mov_b32_e32 v13, 0x7fc0
	v_add3_u32 v5, v14, v5, 0x7fff
	v_cndmask_b32_sdwa v5, v13, v5, vcc_lo dst_sel:DWORD dst_unused:UNUSED_PAD src0_sel:DWORD src1_sel:WORD_1
	v_lshlrev_b32_e32 v15, 16, v5
	v_max_f32_e32 v14, v15, v15
	v_cmp_u_f32_e32 vcc_lo, v15, v15
	v_min_f32_e32 v16, v14, v23
	v_max_f32_e32 v14, v14, v23
	v_cndmask_b32_e32 v16, v16, v15, vcc_lo
	v_cndmask_b32_e32 v14, v14, v15, vcc_lo
	v_cndmask_b32_e64 v16, v16, v19, s23
	v_cndmask_b32_e64 v14, v14, v19, s23
	v_cmp_class_f32_e64 s4, v16, 0x1f8
	v_cmp_neq_f32_e32 vcc_lo, v16, v14
	s_or_b32 s5, vcc_lo, s4
	s_and_saveexec_b32 s4, s5
	s_cbranch_execz .LBB520_98
; %bb.97:
	v_sub_f32_e32 v15, v16, v14
	s_mov_b32 s5, 0x3e9b6dac
	v_mul_f32_e32 v16, 0x3fb8aa3b, v15
	v_cmp_ngt_f32_e32 vcc_lo, 0xc2ce8ed0, v15
	v_fma_f32 v17, 0x3fb8aa3b, v15, -v16
	v_rndne_f32_e32 v18, v16
	v_fmamk_f32 v17, v15, 0x32a5705f, v17
	v_sub_f32_e32 v16, v16, v18
	v_add_f32_e32 v16, v16, v17
	v_cvt_i32_f32_e32 v17, v18
	v_exp_f32_e32 v16, v16
	v_ldexp_f32 v16, v16, v17
	v_cndmask_b32_e32 v16, 0, v16, vcc_lo
	v_cmp_nlt_f32_e32 vcc_lo, 0x42b17218, v15
	v_cndmask_b32_e32 v17, 0x7f800000, v16, vcc_lo
	v_add_f32_e32 v18, 1.0, v17
	v_cvt_f64_f32_e32 v[15:16], v18
	v_frexp_exp_i32_f64_e32 v15, v[15:16]
	v_frexp_mant_f32_e32 v16, v18
	v_cmp_gt_f32_e32 vcc_lo, 0x3f2aaaab, v16
	v_add_f32_e32 v16, -1.0, v18
	v_sub_f32_e32 v20, v16, v18
	v_sub_f32_e32 v16, v17, v16
	v_add_f32_e32 v20, 1.0, v20
	v_add_f32_e32 v16, v16, v20
	v_subrev_co_ci_u32_e64 v15, null, 0, v15, vcc_lo
	v_cmp_neq_f32_e32 vcc_lo, 0x7f800000, v17
	v_sub_nc_u32_e32 v19, 0, v15
	v_cvt_f32_i32_e32 v15, v15
	v_ldexp_f32 v18, v18, v19
	v_ldexp_f32 v16, v16, v19
	v_add_f32_e32 v21, 1.0, v18
	v_add_f32_e32 v19, -1.0, v18
	v_add_f32_e32 v20, -1.0, v21
	v_add_f32_e32 v22, 1.0, v19
	v_sub_f32_e32 v20, v18, v20
	v_sub_f32_e32 v18, v18, v22
	v_add_f32_e32 v20, v16, v20
	v_add_f32_e32 v16, v16, v18
	;; [unrolled: 1-line block ×4, first 2 shown]
	v_rcp_f32_e32 v18, v22
	v_sub_f32_e32 v21, v21, v22
	v_sub_f32_e32 v19, v19, v23
	v_add_f32_e32 v20, v20, v21
	v_add_f32_e32 v16, v16, v19
	v_mul_f32_e32 v25, v23, v18
	v_mul_f32_e32 v26, v22, v25
	v_fma_f32 v21, v25, v22, -v26
	v_fmac_f32_e32 v21, v25, v20
	v_add_f32_e32 v27, v26, v21
	v_sub_f32_e32 v28, v23, v27
	v_sub_f32_e32 v19, v27, v26
	;; [unrolled: 1-line block ×5, first 2 shown]
	v_add_f32_e32 v16, v16, v23
	v_add_f32_e32 v16, v19, v16
	;; [unrolled: 1-line block ×3, first 2 shown]
	v_mul_f32_e32 v21, v18, v19
	v_sub_f32_e32 v27, v28, v19
	v_mul_f32_e32 v23, v22, v21
	v_add_f32_e32 v16, v16, v27
	v_fma_f32 v22, v21, v22, -v23
	v_fmac_f32_e32 v22, v21, v20
	v_add_f32_e32 v20, v23, v22
	v_sub_f32_e32 v26, v19, v20
	v_sub_f32_e32 v23, v20, v23
	;; [unrolled: 1-line block ×5, first 2 shown]
	v_add_f32_e32 v16, v16, v19
	v_add_f32_e32 v19, v25, v21
	;; [unrolled: 1-line block ×3, first 2 shown]
	v_sub_f32_e32 v20, v19, v25
	v_add_f32_e32 v16, v26, v16
	v_sub_f32_e32 v20, v21, v20
	v_mul_f32_e32 v16, v18, v16
	v_add_f32_e32 v16, v20, v16
	v_add_f32_e32 v18, v19, v16
	v_mul_f32_e32 v20, v18, v18
	v_fmaak_f32 v21, s5, v20, 0x3ecc95a3
	v_mul_f32_e32 v22, v18, v20
	v_fmaak_f32 v20, v20, v21, 0x3f2aaada
	v_ldexp_f32 v21, v18, 1
	v_sub_f32_e32 v18, v18, v19
	v_mul_f32_e32 v20, v22, v20
	v_mul_f32_e32 v22, 0x3f317218, v15
	v_sub_f32_e32 v16, v16, v18
	v_add_f32_e32 v19, v21, v20
	v_ldexp_f32 v16, v16, 1
	v_sub_f32_e32 v18, v19, v21
	v_fma_f32 v21, 0x3f317218, v15, -v22
	v_sub_f32_e32 v18, v20, v18
	v_fmamk_f32 v15, v15, 0xb102e308, v21
	v_add_f32_e32 v16, v16, v18
	v_add_f32_e32 v18, v22, v15
	;; [unrolled: 1-line block ×3, first 2 shown]
	v_sub_f32_e32 v22, v18, v22
	v_add_f32_e32 v21, v18, v20
	v_sub_f32_e32 v19, v20, v19
	v_sub_f32_e32 v15, v15, v22
	;; [unrolled: 1-line block ×6, first 2 shown]
	v_add_f32_e32 v20, v15, v16
	v_sub_f32_e32 v18, v18, v25
	v_add_f32_e32 v18, v19, v18
	v_sub_f32_e32 v19, v20, v15
	;; [unrolled: 2-line block ×3, first 2 shown]
	v_sub_f32_e32 v16, v16, v19
	v_add_f32_e32 v22, v21, v18
	v_sub_f32_e32 v15, v15, v20
	v_sub_f32_e32 v19, v22, v21
	v_add_f32_e32 v15, v16, v15
	v_sub_f32_e32 v16, v18, v19
	v_add_f32_e32 v15, v15, v16
	v_add_f32_e32 v15, v22, v15
	v_cndmask_b32_e32 v15, 0x7f800000, v15, vcc_lo
	v_cmp_gt_f32_e64 vcc_lo, 0x33800000, |v17|
	v_cndmask_b32_e32 v15, v15, v17, vcc_lo
	v_add_f32_e32 v15, v14, v15
.LBB520_98:
	s_or_b32 exec_lo, exec_lo, s4
	v_bfe_u32 v14, v15, 16, 1
	v_cmp_o_f32_e32 vcc_lo, v15, v15
	v_add3_u32 v14, v15, v14, 0x7fff
	v_cndmask_b32_sdwa v13, v13, v14, vcc_lo dst_sel:DWORD dst_unused:UNUSED_PAD src0_sel:DWORD src1_sel:WORD_1
	v_lshlrev_b32_e32 v14, 16, v13
	v_max_f32_e32 v15, v14, v14
	v_cmp_u_f32_e32 vcc_lo, v14, v14
	v_min_f32_e32 v16, v15, v24
	v_max_f32_e32 v15, v15, v24
	v_cndmask_b32_e32 v16, v16, v14, vcc_lo
	v_cndmask_b32_e32 v17, v15, v14, vcc_lo
	v_cndmask_b32_e64 v15, v16, v6, s24
	v_cndmask_b32_e64 v6, v17, v6, s24
	v_cmp_class_f32_e64 s4, v15, 0x1f8
	v_cmp_neq_f32_e32 vcc_lo, v15, v6
	s_or_b32 s5, vcc_lo, s4
	s_and_saveexec_b32 s4, s5
	s_cbranch_execz .LBB520_100
; %bb.99:
	v_sub_f32_e32 v14, v15, v6
	s_mov_b32 s5, 0x3e9b6dac
	v_mul_f32_e32 v15, 0x3fb8aa3b, v14
	v_cmp_ngt_f32_e32 vcc_lo, 0xc2ce8ed0, v14
	v_fma_f32 v16, 0x3fb8aa3b, v14, -v15
	v_rndne_f32_e32 v17, v15
	v_fmamk_f32 v16, v14, 0x32a5705f, v16
	v_sub_f32_e32 v15, v15, v17
	v_add_f32_e32 v15, v15, v16
	v_cvt_i32_f32_e32 v16, v17
	v_exp_f32_e32 v15, v15
	v_ldexp_f32 v15, v15, v16
	v_cndmask_b32_e32 v15, 0, v15, vcc_lo
	v_cmp_nlt_f32_e32 vcc_lo, 0x42b17218, v14
	v_cndmask_b32_e32 v16, 0x7f800000, v15, vcc_lo
	v_add_f32_e32 v17, 1.0, v16
	v_cvt_f64_f32_e32 v[14:15], v17
	v_frexp_exp_i32_f64_e32 v14, v[14:15]
	v_frexp_mant_f32_e32 v15, v17
	v_cmp_gt_f32_e32 vcc_lo, 0x3f2aaaab, v15
	v_add_f32_e32 v15, -1.0, v17
	v_sub_f32_e32 v19, v15, v17
	v_sub_f32_e32 v15, v16, v15
	v_add_f32_e32 v19, 1.0, v19
	v_add_f32_e32 v15, v15, v19
	v_subrev_co_ci_u32_e64 v14, null, 0, v14, vcc_lo
	v_cmp_neq_f32_e32 vcc_lo, 0x7f800000, v16
	v_sub_nc_u32_e32 v18, 0, v14
	v_cvt_f32_i32_e32 v14, v14
	v_ldexp_f32 v17, v17, v18
	v_ldexp_f32 v15, v15, v18
	v_add_f32_e32 v20, 1.0, v17
	v_add_f32_e32 v18, -1.0, v17
	v_add_f32_e32 v19, -1.0, v20
	v_add_f32_e32 v21, 1.0, v18
	v_sub_f32_e32 v19, v17, v19
	v_sub_f32_e32 v17, v17, v21
	v_add_f32_e32 v19, v15, v19
	v_add_f32_e32 v15, v15, v17
	;; [unrolled: 1-line block ×4, first 2 shown]
	v_rcp_f32_e32 v17, v21
	v_sub_f32_e32 v20, v20, v21
	v_sub_f32_e32 v18, v18, v22
	v_add_f32_e32 v19, v19, v20
	v_add_f32_e32 v15, v15, v18
	v_mul_f32_e32 v23, v22, v17
	v_mul_f32_e32 v24, v21, v23
	v_fma_f32 v20, v23, v21, -v24
	v_fmac_f32_e32 v20, v23, v19
	v_add_f32_e32 v25, v24, v20
	v_sub_f32_e32 v26, v22, v25
	v_sub_f32_e32 v18, v25, v24
	;; [unrolled: 1-line block ×5, first 2 shown]
	v_add_f32_e32 v15, v15, v22
	v_add_f32_e32 v15, v18, v15
	;; [unrolled: 1-line block ×3, first 2 shown]
	v_mul_f32_e32 v20, v17, v18
	v_sub_f32_e32 v25, v26, v18
	v_mul_f32_e32 v22, v21, v20
	v_add_f32_e32 v15, v15, v25
	v_fma_f32 v21, v20, v21, -v22
	v_fmac_f32_e32 v21, v20, v19
	v_add_f32_e32 v19, v22, v21
	v_sub_f32_e32 v24, v18, v19
	v_sub_f32_e32 v22, v19, v22
	;; [unrolled: 1-line block ×5, first 2 shown]
	v_add_f32_e32 v15, v15, v18
	v_add_f32_e32 v18, v23, v20
	;; [unrolled: 1-line block ×3, first 2 shown]
	v_sub_f32_e32 v19, v18, v23
	v_add_f32_e32 v15, v24, v15
	v_sub_f32_e32 v19, v20, v19
	v_mul_f32_e32 v15, v17, v15
	v_add_f32_e32 v15, v19, v15
	v_add_f32_e32 v17, v18, v15
	v_mul_f32_e32 v19, v17, v17
	v_fmaak_f32 v20, s5, v19, 0x3ecc95a3
	v_mul_f32_e32 v21, v17, v19
	v_fmaak_f32 v19, v19, v20, 0x3f2aaada
	v_ldexp_f32 v20, v17, 1
	v_sub_f32_e32 v17, v17, v18
	v_mul_f32_e32 v19, v21, v19
	v_mul_f32_e32 v21, 0x3f317218, v14
	v_sub_f32_e32 v15, v15, v17
	v_add_f32_e32 v18, v20, v19
	v_ldexp_f32 v15, v15, 1
	v_sub_f32_e32 v17, v18, v20
	v_fma_f32 v20, 0x3f317218, v14, -v21
	v_sub_f32_e32 v17, v19, v17
	v_fmamk_f32 v14, v14, 0xb102e308, v20
	v_add_f32_e32 v15, v15, v17
	v_add_f32_e32 v17, v21, v14
	;; [unrolled: 1-line block ×3, first 2 shown]
	v_sub_f32_e32 v21, v17, v21
	v_add_f32_e32 v20, v17, v19
	v_sub_f32_e32 v18, v19, v18
	v_sub_f32_e32 v14, v14, v21
	;; [unrolled: 1-line block ×6, first 2 shown]
	v_add_f32_e32 v19, v14, v15
	v_sub_f32_e32 v17, v17, v23
	v_add_f32_e32 v17, v18, v17
	v_sub_f32_e32 v18, v19, v14
	;; [unrolled: 2-line block ×3, first 2 shown]
	v_sub_f32_e32 v15, v15, v18
	v_add_f32_e32 v21, v20, v17
	v_sub_f32_e32 v14, v14, v19
	v_sub_f32_e32 v18, v21, v20
	v_add_f32_e32 v14, v15, v14
	v_sub_f32_e32 v15, v17, v18
	v_add_f32_e32 v14, v14, v15
	v_add_f32_e32 v14, v21, v14
	v_cndmask_b32_e32 v14, 0x7f800000, v14, vcc_lo
	v_cmp_gt_f32_e64 vcc_lo, 0x33800000, |v16|
	v_cndmask_b32_e32 v14, v14, v16, vcc_lo
	v_add_f32_e32 v14, v6, v14
.LBB520_100:
	s_or_b32 exec_lo, exec_lo, s4
	v_bfe_u32 v6, v14, 16, 1
	v_cmp_o_f32_e32 vcc_lo, v14, v14
	v_mov_b32_e32 v15, 0x7fc0
	v_perm_b32 v4, v4, v11, 0x5040100
	v_perm_b32 v3, v3, v10, 0x5040100
	v_add3_u32 v6, v14, v6, 0x7fff
	v_add_nc_u32_e32 v14, v7, v29
	v_perm_b32 v2, v2, v9, 0x5040100
	v_perm_b32 v1, v8, v1, 0x5040100
	;; [unrolled: 1-line block ×3, first 2 shown]
	v_cndmask_b32_sdwa v6, v15, v6, vcc_lo dst_sel:DWORD dst_unused:UNUSED_PAD src0_sel:DWORD src1_sel:WORD_1
	s_barrier
	buffer_gl0_inv
	v_lshlrev_b32_e32 v0, 1, v0
	v_perm_b32 v6, v6, v13, 0x5040100
	ds_write2_b64 v14, v[1:2], v[3:4] offset1:1
	ds_write_b64 v14, v[5:6] offset:16
	s_waitcnt lgkmcnt(0)
	s_barrier
	buffer_gl0_inv
	ds_read_u16 v13, v7 offset:128
	ds_read_u16 v12, v7 offset:256
	ds_read_u16 v11, v7 offset:384
	ds_read_u16 v10, v7 offset:512
	ds_read_u16 v9, v7 offset:640
	ds_read_u16 v8, v7 offset:768
	ds_read_u16 v6, v7 offset:896
	ds_read_u16 v5, v7 offset:1024
	ds_read_u16 v4, v7 offset:1152
	ds_read_u16 v3, v7 offset:1280
	ds_read_u16 v2, v7 offset:1408
	v_add_co_u32 v0, s4, s26, v0
	v_add_co_ci_u32_e64 v1, null, s27, 0, s4
	s_and_saveexec_b32 s4, s0
	s_cbranch_execnz .LBB520_113
; %bb.101:
	s_or_b32 exec_lo, exec_lo, s4
	s_and_saveexec_b32 s0, s1
	s_cbranch_execnz .LBB520_114
.LBB520_102:
	s_or_b32 exec_lo, exec_lo, s0
	s_and_saveexec_b32 s0, s2
	s_cbranch_execnz .LBB520_115
.LBB520_103:
	s_or_b32 exec_lo, exec_lo, s0
	s_and_saveexec_b32 s0, s3
	s_cbranch_execnz .LBB520_116
.LBB520_104:
	s_or_b32 exec_lo, exec_lo, s0
	s_and_saveexec_b32 s0, s6
	s_cbranch_execnz .LBB520_117
.LBB520_105:
	s_or_b32 exec_lo, exec_lo, s0
	s_and_saveexec_b32 s0, s7
	s_cbranch_execnz .LBB520_118
.LBB520_106:
	s_or_b32 exec_lo, exec_lo, s0
	s_and_saveexec_b32 s0, s8
	s_cbranch_execnz .LBB520_119
.LBB520_107:
	s_or_b32 exec_lo, exec_lo, s0
	s_and_saveexec_b32 s0, s9
	s_cbranch_execnz .LBB520_120
.LBB520_108:
	s_or_b32 exec_lo, exec_lo, s0
	s_and_saveexec_b32 s0, s10
	s_cbranch_execnz .LBB520_121
.LBB520_109:
	s_or_b32 exec_lo, exec_lo, s0
	s_and_saveexec_b32 s0, s11
	s_cbranch_execnz .LBB520_122
.LBB520_110:
	s_or_b32 exec_lo, exec_lo, s0
	s_and_saveexec_b32 s0, s12
	s_cbranch_execnz .LBB520_123
.LBB520_111:
	s_or_b32 exec_lo, exec_lo, s0
	s_and_saveexec_b32 s0, s13
	s_cbranch_execnz .LBB520_124
.LBB520_112:
	s_endpgm
.LBB520_113:
	ds_read_u16 v7, v7
	s_waitcnt lgkmcnt(0)
	global_store_short v[0:1], v7, off
	s_or_b32 exec_lo, exec_lo, s4
	s_and_saveexec_b32 s0, s1
	s_cbranch_execz .LBB520_102
.LBB520_114:
	s_waitcnt lgkmcnt(10)
	global_store_short v[0:1], v13, off offset:128
	s_or_b32 exec_lo, exec_lo, s0
	s_and_saveexec_b32 s0, s2
	s_cbranch_execz .LBB520_103
.LBB520_115:
	s_waitcnt lgkmcnt(9)
	global_store_short v[0:1], v12, off offset:256
	s_or_b32 exec_lo, exec_lo, s0
	s_and_saveexec_b32 s0, s3
	s_cbranch_execz .LBB520_104
.LBB520_116:
	s_waitcnt lgkmcnt(8)
	global_store_short v[0:1], v11, off offset:384
	s_or_b32 exec_lo, exec_lo, s0
	s_and_saveexec_b32 s0, s6
	s_cbranch_execz .LBB520_105
.LBB520_117:
	s_waitcnt lgkmcnt(7)
	global_store_short v[0:1], v10, off offset:512
	s_or_b32 exec_lo, exec_lo, s0
	s_and_saveexec_b32 s0, s7
	s_cbranch_execz .LBB520_106
.LBB520_118:
	s_waitcnt lgkmcnt(6)
	global_store_short v[0:1], v9, off offset:640
	s_or_b32 exec_lo, exec_lo, s0
	s_and_saveexec_b32 s0, s8
	s_cbranch_execz .LBB520_107
.LBB520_119:
	s_waitcnt lgkmcnt(5)
	global_store_short v[0:1], v8, off offset:768
	s_or_b32 exec_lo, exec_lo, s0
	s_and_saveexec_b32 s0, s9
	s_cbranch_execz .LBB520_108
.LBB520_120:
	s_waitcnt lgkmcnt(4)
	global_store_short v[0:1], v6, off offset:896
	s_or_b32 exec_lo, exec_lo, s0
	s_and_saveexec_b32 s0, s10
	s_cbranch_execz .LBB520_109
.LBB520_121:
	s_waitcnt lgkmcnt(3)
	global_store_short v[0:1], v5, off offset:1024
	s_or_b32 exec_lo, exec_lo, s0
	s_and_saveexec_b32 s0, s11
	s_cbranch_execz .LBB520_110
.LBB520_122:
	s_waitcnt lgkmcnt(2)
	global_store_short v[0:1], v4, off offset:1152
	s_or_b32 exec_lo, exec_lo, s0
	s_and_saveexec_b32 s0, s12
	s_cbranch_execz .LBB520_111
.LBB520_123:
	s_waitcnt lgkmcnt(1)
	global_store_short v[0:1], v3, off offset:1280
	s_or_b32 exec_lo, exec_lo, s0
	s_and_saveexec_b32 s0, s13
	s_cbranch_execz .LBB520_112
.LBB520_124:
	s_waitcnt lgkmcnt(0)
	global_store_short v[0:1], v2, off offset:1408
	s_endpgm
	.section	.rodata,"a",@progbits
	.p2align	6, 0x0
	.amdhsa_kernel _ZN7rocprim17ROCPRIM_400000_NS6detail17trampoline_kernelINS0_14default_configENS1_20scan_config_selectorIN3c108BFloat16EEEZZNS1_9scan_implILNS1_25lookback_scan_determinismE0ELb0ELb0ES3_PKS6_PS6_S6_ZZZN2at6native31launch_logcumsumexp_cuda_kernelERKNSD_10TensorBaseESH_lENKUlvE_clEvENKUlvE4_clEvEUlS6_S6_E_S6_EEDaPvRmT3_T4_T5_mT6_P12ihipStream_tbENKUlT_T0_E_clISt17integral_constantIbLb0EESX_IbLb1EEEEDaST_SU_EUlST_E0_NS1_11comp_targetILNS1_3genE8ELNS1_11target_archE1030ELNS1_3gpuE2ELNS1_3repE0EEENS1_30default_config_static_selectorELNS0_4arch9wavefront6targetE0EEEvT1_
		.amdhsa_group_segment_fixed_size 1536
		.amdhsa_private_segment_fixed_size 0
		.amdhsa_kernarg_size 32
		.amdhsa_user_sgpr_count 6
		.amdhsa_user_sgpr_private_segment_buffer 1
		.amdhsa_user_sgpr_dispatch_ptr 0
		.amdhsa_user_sgpr_queue_ptr 0
		.amdhsa_user_sgpr_kernarg_segment_ptr 1
		.amdhsa_user_sgpr_dispatch_id 0
		.amdhsa_user_sgpr_flat_scratch_init 0
		.amdhsa_user_sgpr_private_segment_size 0
		.amdhsa_wavefront_size32 1
		.amdhsa_uses_dynamic_stack 0
		.amdhsa_system_sgpr_private_segment_wavefront_offset 0
		.amdhsa_system_sgpr_workgroup_id_x 1
		.amdhsa_system_sgpr_workgroup_id_y 0
		.amdhsa_system_sgpr_workgroup_id_z 0
		.amdhsa_system_sgpr_workgroup_info 0
		.amdhsa_system_vgpr_workitem_id 0
		.amdhsa_next_free_vgpr 49
		.amdhsa_next_free_sgpr 31
		.amdhsa_reserve_vcc 1
		.amdhsa_reserve_flat_scratch 0
		.amdhsa_float_round_mode_32 0
		.amdhsa_float_round_mode_16_64 0
		.amdhsa_float_denorm_mode_32 3
		.amdhsa_float_denorm_mode_16_64 3
		.amdhsa_dx10_clamp 1
		.amdhsa_ieee_mode 1
		.amdhsa_fp16_overflow 0
		.amdhsa_workgroup_processor_mode 1
		.amdhsa_memory_ordered 1
		.amdhsa_forward_progress 1
		.amdhsa_shared_vgpr_count 0
		.amdhsa_exception_fp_ieee_invalid_op 0
		.amdhsa_exception_fp_denorm_src 0
		.amdhsa_exception_fp_ieee_div_zero 0
		.amdhsa_exception_fp_ieee_overflow 0
		.amdhsa_exception_fp_ieee_underflow 0
		.amdhsa_exception_fp_ieee_inexact 0
		.amdhsa_exception_int_div_zero 0
	.end_amdhsa_kernel
	.section	.text._ZN7rocprim17ROCPRIM_400000_NS6detail17trampoline_kernelINS0_14default_configENS1_20scan_config_selectorIN3c108BFloat16EEEZZNS1_9scan_implILNS1_25lookback_scan_determinismE0ELb0ELb0ES3_PKS6_PS6_S6_ZZZN2at6native31launch_logcumsumexp_cuda_kernelERKNSD_10TensorBaseESH_lENKUlvE_clEvENKUlvE4_clEvEUlS6_S6_E_S6_EEDaPvRmT3_T4_T5_mT6_P12ihipStream_tbENKUlT_T0_E_clISt17integral_constantIbLb0EESX_IbLb1EEEEDaST_SU_EUlST_E0_NS1_11comp_targetILNS1_3genE8ELNS1_11target_archE1030ELNS1_3gpuE2ELNS1_3repE0EEENS1_30default_config_static_selectorELNS0_4arch9wavefront6targetE0EEEvT1_,"axG",@progbits,_ZN7rocprim17ROCPRIM_400000_NS6detail17trampoline_kernelINS0_14default_configENS1_20scan_config_selectorIN3c108BFloat16EEEZZNS1_9scan_implILNS1_25lookback_scan_determinismE0ELb0ELb0ES3_PKS6_PS6_S6_ZZZN2at6native31launch_logcumsumexp_cuda_kernelERKNSD_10TensorBaseESH_lENKUlvE_clEvENKUlvE4_clEvEUlS6_S6_E_S6_EEDaPvRmT3_T4_T5_mT6_P12ihipStream_tbENKUlT_T0_E_clISt17integral_constantIbLb0EESX_IbLb1EEEEDaST_SU_EUlST_E0_NS1_11comp_targetILNS1_3genE8ELNS1_11target_archE1030ELNS1_3gpuE2ELNS1_3repE0EEENS1_30default_config_static_selectorELNS0_4arch9wavefront6targetE0EEEvT1_,comdat
.Lfunc_end520:
	.size	_ZN7rocprim17ROCPRIM_400000_NS6detail17trampoline_kernelINS0_14default_configENS1_20scan_config_selectorIN3c108BFloat16EEEZZNS1_9scan_implILNS1_25lookback_scan_determinismE0ELb0ELb0ES3_PKS6_PS6_S6_ZZZN2at6native31launch_logcumsumexp_cuda_kernelERKNSD_10TensorBaseESH_lENKUlvE_clEvENKUlvE4_clEvEUlS6_S6_E_S6_EEDaPvRmT3_T4_T5_mT6_P12ihipStream_tbENKUlT_T0_E_clISt17integral_constantIbLb0EESX_IbLb1EEEEDaST_SU_EUlST_E0_NS1_11comp_targetILNS1_3genE8ELNS1_11target_archE1030ELNS1_3gpuE2ELNS1_3repE0EEENS1_30default_config_static_selectorELNS0_4arch9wavefront6targetE0EEEvT1_, .Lfunc_end520-_ZN7rocprim17ROCPRIM_400000_NS6detail17trampoline_kernelINS0_14default_configENS1_20scan_config_selectorIN3c108BFloat16EEEZZNS1_9scan_implILNS1_25lookback_scan_determinismE0ELb0ELb0ES3_PKS6_PS6_S6_ZZZN2at6native31launch_logcumsumexp_cuda_kernelERKNSD_10TensorBaseESH_lENKUlvE_clEvENKUlvE4_clEvEUlS6_S6_E_S6_EEDaPvRmT3_T4_T5_mT6_P12ihipStream_tbENKUlT_T0_E_clISt17integral_constantIbLb0EESX_IbLb1EEEEDaST_SU_EUlST_E0_NS1_11comp_targetILNS1_3genE8ELNS1_11target_archE1030ELNS1_3gpuE2ELNS1_3repE0EEENS1_30default_config_static_selectorELNS0_4arch9wavefront6targetE0EEEvT1_
                                        ; -- End function
	.set _ZN7rocprim17ROCPRIM_400000_NS6detail17trampoline_kernelINS0_14default_configENS1_20scan_config_selectorIN3c108BFloat16EEEZZNS1_9scan_implILNS1_25lookback_scan_determinismE0ELb0ELb0ES3_PKS6_PS6_S6_ZZZN2at6native31launch_logcumsumexp_cuda_kernelERKNSD_10TensorBaseESH_lENKUlvE_clEvENKUlvE4_clEvEUlS6_S6_E_S6_EEDaPvRmT3_T4_T5_mT6_P12ihipStream_tbENKUlT_T0_E_clISt17integral_constantIbLb0EESX_IbLb1EEEEDaST_SU_EUlST_E0_NS1_11comp_targetILNS1_3genE8ELNS1_11target_archE1030ELNS1_3gpuE2ELNS1_3repE0EEENS1_30default_config_static_selectorELNS0_4arch9wavefront6targetE0EEEvT1_.num_vgpr, 49
	.set _ZN7rocprim17ROCPRIM_400000_NS6detail17trampoline_kernelINS0_14default_configENS1_20scan_config_selectorIN3c108BFloat16EEEZZNS1_9scan_implILNS1_25lookback_scan_determinismE0ELb0ELb0ES3_PKS6_PS6_S6_ZZZN2at6native31launch_logcumsumexp_cuda_kernelERKNSD_10TensorBaseESH_lENKUlvE_clEvENKUlvE4_clEvEUlS6_S6_E_S6_EEDaPvRmT3_T4_T5_mT6_P12ihipStream_tbENKUlT_T0_E_clISt17integral_constantIbLb0EESX_IbLb1EEEEDaST_SU_EUlST_E0_NS1_11comp_targetILNS1_3genE8ELNS1_11target_archE1030ELNS1_3gpuE2ELNS1_3repE0EEENS1_30default_config_static_selectorELNS0_4arch9wavefront6targetE0EEEvT1_.num_agpr, 0
	.set _ZN7rocprim17ROCPRIM_400000_NS6detail17trampoline_kernelINS0_14default_configENS1_20scan_config_selectorIN3c108BFloat16EEEZZNS1_9scan_implILNS1_25lookback_scan_determinismE0ELb0ELb0ES3_PKS6_PS6_S6_ZZZN2at6native31launch_logcumsumexp_cuda_kernelERKNSD_10TensorBaseESH_lENKUlvE_clEvENKUlvE4_clEvEUlS6_S6_E_S6_EEDaPvRmT3_T4_T5_mT6_P12ihipStream_tbENKUlT_T0_E_clISt17integral_constantIbLb0EESX_IbLb1EEEEDaST_SU_EUlST_E0_NS1_11comp_targetILNS1_3genE8ELNS1_11target_archE1030ELNS1_3gpuE2ELNS1_3repE0EEENS1_30default_config_static_selectorELNS0_4arch9wavefront6targetE0EEEvT1_.numbered_sgpr, 31
	.set _ZN7rocprim17ROCPRIM_400000_NS6detail17trampoline_kernelINS0_14default_configENS1_20scan_config_selectorIN3c108BFloat16EEEZZNS1_9scan_implILNS1_25lookback_scan_determinismE0ELb0ELb0ES3_PKS6_PS6_S6_ZZZN2at6native31launch_logcumsumexp_cuda_kernelERKNSD_10TensorBaseESH_lENKUlvE_clEvENKUlvE4_clEvEUlS6_S6_E_S6_EEDaPvRmT3_T4_T5_mT6_P12ihipStream_tbENKUlT_T0_E_clISt17integral_constantIbLb0EESX_IbLb1EEEEDaST_SU_EUlST_E0_NS1_11comp_targetILNS1_3genE8ELNS1_11target_archE1030ELNS1_3gpuE2ELNS1_3repE0EEENS1_30default_config_static_selectorELNS0_4arch9wavefront6targetE0EEEvT1_.num_named_barrier, 0
	.set _ZN7rocprim17ROCPRIM_400000_NS6detail17trampoline_kernelINS0_14default_configENS1_20scan_config_selectorIN3c108BFloat16EEEZZNS1_9scan_implILNS1_25lookback_scan_determinismE0ELb0ELb0ES3_PKS6_PS6_S6_ZZZN2at6native31launch_logcumsumexp_cuda_kernelERKNSD_10TensorBaseESH_lENKUlvE_clEvENKUlvE4_clEvEUlS6_S6_E_S6_EEDaPvRmT3_T4_T5_mT6_P12ihipStream_tbENKUlT_T0_E_clISt17integral_constantIbLb0EESX_IbLb1EEEEDaST_SU_EUlST_E0_NS1_11comp_targetILNS1_3genE8ELNS1_11target_archE1030ELNS1_3gpuE2ELNS1_3repE0EEENS1_30default_config_static_selectorELNS0_4arch9wavefront6targetE0EEEvT1_.private_seg_size, 0
	.set _ZN7rocprim17ROCPRIM_400000_NS6detail17trampoline_kernelINS0_14default_configENS1_20scan_config_selectorIN3c108BFloat16EEEZZNS1_9scan_implILNS1_25lookback_scan_determinismE0ELb0ELb0ES3_PKS6_PS6_S6_ZZZN2at6native31launch_logcumsumexp_cuda_kernelERKNSD_10TensorBaseESH_lENKUlvE_clEvENKUlvE4_clEvEUlS6_S6_E_S6_EEDaPvRmT3_T4_T5_mT6_P12ihipStream_tbENKUlT_T0_E_clISt17integral_constantIbLb0EESX_IbLb1EEEEDaST_SU_EUlST_E0_NS1_11comp_targetILNS1_3genE8ELNS1_11target_archE1030ELNS1_3gpuE2ELNS1_3repE0EEENS1_30default_config_static_selectorELNS0_4arch9wavefront6targetE0EEEvT1_.uses_vcc, 1
	.set _ZN7rocprim17ROCPRIM_400000_NS6detail17trampoline_kernelINS0_14default_configENS1_20scan_config_selectorIN3c108BFloat16EEEZZNS1_9scan_implILNS1_25lookback_scan_determinismE0ELb0ELb0ES3_PKS6_PS6_S6_ZZZN2at6native31launch_logcumsumexp_cuda_kernelERKNSD_10TensorBaseESH_lENKUlvE_clEvENKUlvE4_clEvEUlS6_S6_E_S6_EEDaPvRmT3_T4_T5_mT6_P12ihipStream_tbENKUlT_T0_E_clISt17integral_constantIbLb0EESX_IbLb1EEEEDaST_SU_EUlST_E0_NS1_11comp_targetILNS1_3genE8ELNS1_11target_archE1030ELNS1_3gpuE2ELNS1_3repE0EEENS1_30default_config_static_selectorELNS0_4arch9wavefront6targetE0EEEvT1_.uses_flat_scratch, 0
	.set _ZN7rocprim17ROCPRIM_400000_NS6detail17trampoline_kernelINS0_14default_configENS1_20scan_config_selectorIN3c108BFloat16EEEZZNS1_9scan_implILNS1_25lookback_scan_determinismE0ELb0ELb0ES3_PKS6_PS6_S6_ZZZN2at6native31launch_logcumsumexp_cuda_kernelERKNSD_10TensorBaseESH_lENKUlvE_clEvENKUlvE4_clEvEUlS6_S6_E_S6_EEDaPvRmT3_T4_T5_mT6_P12ihipStream_tbENKUlT_T0_E_clISt17integral_constantIbLb0EESX_IbLb1EEEEDaST_SU_EUlST_E0_NS1_11comp_targetILNS1_3genE8ELNS1_11target_archE1030ELNS1_3gpuE2ELNS1_3repE0EEENS1_30default_config_static_selectorELNS0_4arch9wavefront6targetE0EEEvT1_.has_dyn_sized_stack, 0
	.set _ZN7rocprim17ROCPRIM_400000_NS6detail17trampoline_kernelINS0_14default_configENS1_20scan_config_selectorIN3c108BFloat16EEEZZNS1_9scan_implILNS1_25lookback_scan_determinismE0ELb0ELb0ES3_PKS6_PS6_S6_ZZZN2at6native31launch_logcumsumexp_cuda_kernelERKNSD_10TensorBaseESH_lENKUlvE_clEvENKUlvE4_clEvEUlS6_S6_E_S6_EEDaPvRmT3_T4_T5_mT6_P12ihipStream_tbENKUlT_T0_E_clISt17integral_constantIbLb0EESX_IbLb1EEEEDaST_SU_EUlST_E0_NS1_11comp_targetILNS1_3genE8ELNS1_11target_archE1030ELNS1_3gpuE2ELNS1_3repE0EEENS1_30default_config_static_selectorELNS0_4arch9wavefront6targetE0EEEvT1_.has_recursion, 0
	.set _ZN7rocprim17ROCPRIM_400000_NS6detail17trampoline_kernelINS0_14default_configENS1_20scan_config_selectorIN3c108BFloat16EEEZZNS1_9scan_implILNS1_25lookback_scan_determinismE0ELb0ELb0ES3_PKS6_PS6_S6_ZZZN2at6native31launch_logcumsumexp_cuda_kernelERKNSD_10TensorBaseESH_lENKUlvE_clEvENKUlvE4_clEvEUlS6_S6_E_S6_EEDaPvRmT3_T4_T5_mT6_P12ihipStream_tbENKUlT_T0_E_clISt17integral_constantIbLb0EESX_IbLb1EEEEDaST_SU_EUlST_E0_NS1_11comp_targetILNS1_3genE8ELNS1_11target_archE1030ELNS1_3gpuE2ELNS1_3repE0EEENS1_30default_config_static_selectorELNS0_4arch9wavefront6targetE0EEEvT1_.has_indirect_call, 0
	.section	.AMDGPU.csdata,"",@progbits
; Kernel info:
; codeLenInByte = 24260
; TotalNumSgprs: 33
; NumVgprs: 49
; ScratchSize: 0
; MemoryBound: 0
; FloatMode: 240
; IeeeMode: 1
; LDSByteSize: 1536 bytes/workgroup (compile time only)
; SGPRBlocks: 0
; VGPRBlocks: 6
; NumSGPRsForWavesPerEU: 33
; NumVGPRsForWavesPerEU: 49
; Occupancy: 16
; WaveLimiterHint : 0
; COMPUTE_PGM_RSRC2:SCRATCH_EN: 0
; COMPUTE_PGM_RSRC2:USER_SGPR: 6
; COMPUTE_PGM_RSRC2:TRAP_HANDLER: 0
; COMPUTE_PGM_RSRC2:TGID_X_EN: 1
; COMPUTE_PGM_RSRC2:TGID_Y_EN: 0
; COMPUTE_PGM_RSRC2:TGID_Z_EN: 0
; COMPUTE_PGM_RSRC2:TIDIG_COMP_CNT: 0
	.section	.text._ZN2at6native32tensor_kernel_scan_innermost_dimIN3c108BFloat16EZZZNS0_31launch_logcumsumexp_cuda_kernelERKNS_10TensorBaseES6_lENKUlvE_clEvENKUlvE4_clEvEUlS3_S3_E_EEvPT_PKSA_jjjSA_T0_,"axG",@progbits,_ZN2at6native32tensor_kernel_scan_innermost_dimIN3c108BFloat16EZZZNS0_31launch_logcumsumexp_cuda_kernelERKNS_10TensorBaseES6_lENKUlvE_clEvENKUlvE4_clEvEUlS3_S3_E_EEvPT_PKSA_jjjSA_T0_,comdat
	.globl	_ZN2at6native32tensor_kernel_scan_innermost_dimIN3c108BFloat16EZZZNS0_31launch_logcumsumexp_cuda_kernelERKNS_10TensorBaseES6_lENKUlvE_clEvENKUlvE4_clEvEUlS3_S3_E_EEvPT_PKSA_jjjSA_T0_ ; -- Begin function _ZN2at6native32tensor_kernel_scan_innermost_dimIN3c108BFloat16EZZZNS0_31launch_logcumsumexp_cuda_kernelERKNS_10TensorBaseES6_lENKUlvE_clEvENKUlvE4_clEvEUlS3_S3_E_EEvPT_PKSA_jjjSA_T0_
	.p2align	8
	.type	_ZN2at6native32tensor_kernel_scan_innermost_dimIN3c108BFloat16EZZZNS0_31launch_logcumsumexp_cuda_kernelERKNS_10TensorBaseES6_lENKUlvE_clEvENKUlvE4_clEvEUlS3_S3_E_EEvPT_PKSA_jjjSA_T0_,@function
_ZN2at6native32tensor_kernel_scan_innermost_dimIN3c108BFloat16EZZZNS0_31launch_logcumsumexp_cuda_kernelERKNS_10TensorBaseES6_lENKUlvE_clEvENKUlvE4_clEvEUlS3_S3_E_EEvPT_PKSA_jjjSA_T0_: ; @_ZN2at6native32tensor_kernel_scan_innermost_dimIN3c108BFloat16EZZZNS0_31launch_logcumsumexp_cuda_kernelERKNS_10TensorBaseES6_lENKUlvE_clEvENKUlvE4_clEvEUlS3_S3_E_EEvPT_PKSA_jjjSA_T0_
; %bb.0:
	s_load_dwordx8 s[8:15], s[4:5], 0x0
	v_mov_b32_e32 v2, v1
	s_waitcnt lgkmcnt(0)
	s_lshl_b32 s3, 2, s14
	s_mul_hi_u32 s0, s12, s13
	v_mul_lo_u32 v1, s3, v2
	s_cmp_lg_u32 s0, 0
	s_mov_b32 s0, -1
	v_lshl_add_u32 v10, v1, 1, 0
	s_cbranch_scc1 .LBB521_30
; %bb.1:
	s_load_dword s2, s[4:5], 0x2c
	s_add_u32 s0, s4, 32
	s_addc_u32 s1, s5, 0
	s_waitcnt lgkmcnt(0)
	s_lshr_b32 s2, s2, 16
	s_mul_i32 s7, s6, s2
	s_cmp_ge_u32 s7, s12
	s_cbranch_scc1 .LBB521_29
; %bb.2:
	s_load_dword s19, s[0:1], 0x0
	s_lshl_b32 s16, 1, s14
	v_lshl_add_u32 v1, v0, 1, v10
	s_cmp_lg_u32 s13, 0
	v_cmp_eq_u32_e64 s0, 0, v0
	s_cselect_b32 s17, -1, 0
	s_lshl_b32 s1, s3, 1
	v_mov_b32_e32 v4, 0
	v_mov_b32_e32 v7, 0x7fc0
	v_lshl_add_u32 v8, s16, 1, v1
	v_add3_u32 v9, v10, s1, -2
	s_add_i32 s18, s14, 1
	s_mov_b32 s20, 0x3e9b6dac
	s_waitcnt lgkmcnt(0)
	s_mul_i32 s19, s19, s2
	s_branch .LBB521_4
.LBB521_3:                              ;   in Loop: Header=BB521_4 Depth=1
	s_add_i32 s7, s7, s19
	s_cmp_ge_u32 s7, s12
	s_cbranch_scc1 .LBB521_29
.LBB521_4:                              ; =>This Loop Header: Depth=1
                                        ;     Child Loop BB521_7 Depth 2
                                        ;       Child Loop BB521_19 Depth 3
	s_andn2_b32 vcc_lo, exec_lo, s17
	s_cbranch_vccnz .LBB521_3
; %bb.5:                                ;   in Loop: Header=BB521_4 Depth=1
	v_add_nc_u32_e32 v11, s7, v2
	v_mov_b32_e32 v15, s15
	s_mov_b32 s21, 0
	v_mul_lo_u32 v3, v11, s13
	v_cmp_gt_u32_e64 s1, s12, v11
	v_cmp_le_u32_e64 s2, s12, v11
	v_lshlrev_b64 v[5:6], 1, v[3:4]
	v_add_co_u32 v11, vcc_lo, s10, v5
	v_add_co_ci_u32_e64 v12, null, s11, v6, vcc_lo
	v_add_co_u32 v13, vcc_lo, s8, v5
	v_add_co_ci_u32_e64 v14, null, s9, v6, vcc_lo
	s_branch .LBB521_7
.LBB521_6:                              ;   in Loop: Header=BB521_7 Depth=2
	s_or_b32 exec_lo, exec_lo, s22
	ds_read_u16 v15, v9
	s_add_i32 s21, s21, s3
	s_waitcnt lgkmcnt(0)
	s_waitcnt_vscnt null, 0x0
	s_cmp_ge_u32 s21, s13
	s_barrier
	buffer_gl0_inv
	s_cbranch_scc1 .LBB521_3
.LBB521_7:                              ;   Parent Loop BB521_4 Depth=1
                                        ; =>  This Loop Header: Depth=2
                                        ;       Child Loop BB521_19 Depth 3
	v_add_nc_u32_e32 v3, s21, v0
	v_add_nc_u32_e32 v5, s16, v3
	s_and_saveexec_b32 s22, s1
	s_cbranch_execz .LBB521_16
; %bb.8:                                ;   in Loop: Header=BB521_7 Depth=2
	v_mov_b32_e32 v6, s15
	s_mov_b32 s23, exec_lo
	v_cmpx_gt_u32_e64 s13, v3
	s_cbranch_execz .LBB521_10
; %bb.9:                                ;   in Loop: Header=BB521_7 Depth=2
	v_lshlrev_b64 v[16:17], 1, v[3:4]
	v_add_co_u32 v16, vcc_lo, v11, v16
	v_add_co_ci_u32_e64 v17, null, v12, v17, vcc_lo
	global_load_ushort v6, v[16:17], off
.LBB521_10:                             ;   in Loop: Header=BB521_7 Depth=2
	s_or_b32 exec_lo, exec_lo, s23
	v_mov_b32_e32 v16, s15
	s_mov_b32 s23, exec_lo
	s_waitcnt vmcnt(0)
	ds_write_b16 v1, v6
	v_cmpx_gt_u32_e64 s13, v5
	s_cbranch_execz .LBB521_12
; %bb.11:                               ;   in Loop: Header=BB521_7 Depth=2
	v_mov_b32_e32 v6, v4
	v_lshlrev_b64 v[16:17], 1, v[5:6]
	v_add_co_u32 v16, vcc_lo, v11, v16
	v_add_co_ci_u32_e64 v17, null, v12, v17, vcc_lo
	global_load_ushort v16, v[16:17], off
.LBB521_12:                             ;   in Loop: Header=BB521_7 Depth=2
	s_or_b32 exec_lo, exec_lo, s23
	s_waitcnt vmcnt(0)
	ds_write_b16 v8, v16
	s_and_b32 exec_lo, exec_lo, s0
	s_cbranch_execz .LBB521_16
; %bb.13:                               ;   in Loop: Header=BB521_7 Depth=2
	ds_read_u16 v6, v10
	v_lshlrev_b32_e32 v17, 16, v15
	s_waitcnt lgkmcnt(0)
	v_lshlrev_b32_e32 v15, 16, v6
	v_max_f32_e32 v6, v17, v17
	v_max_f32_e32 v16, v15, v15
	v_cmp_u_f32_e32 vcc_lo, v15, v15
	v_min_f32_e32 v18, v16, v6
	v_max_f32_e32 v6, v16, v6
	v_cndmask_b32_e32 v16, v18, v15, vcc_lo
	v_cndmask_b32_e32 v6, v6, v15, vcc_lo
	v_cmp_u_f32_e32 vcc_lo, v17, v17
	v_cndmask_b32_e32 v16, v16, v17, vcc_lo
	v_cndmask_b32_e32 v6, v6, v17, vcc_lo
	v_cmp_class_f32_e64 s23, v16, 0x1f8
	v_cmp_neq_f32_e32 vcc_lo, v16, v6
	s_or_b32 s24, vcc_lo, s23
	s_and_saveexec_b32 s23, s24
	s_cbranch_execz .LBB521_15
; %bb.14:                               ;   in Loop: Header=BB521_7 Depth=2
	v_sub_f32_e32 v15, v16, v6
	v_mul_f32_e32 v16, 0x3fb8aa3b, v15
	v_cmp_ngt_f32_e32 vcc_lo, 0xc2ce8ed0, v15
	v_fma_f32 v17, 0x3fb8aa3b, v15, -v16
	v_rndne_f32_e32 v18, v16
	v_fmac_f32_e32 v17, 0x32a5705f, v15
	v_sub_f32_e32 v16, v16, v18
	v_add_f32_e32 v16, v16, v17
	v_cvt_i32_f32_e32 v17, v18
	v_exp_f32_e32 v16, v16
	v_ldexp_f32 v16, v16, v17
	v_cndmask_b32_e32 v16, 0, v16, vcc_lo
	v_cmp_nlt_f32_e32 vcc_lo, 0x42b17218, v15
	v_cndmask_b32_e32 v17, 0x7f800000, v16, vcc_lo
	v_add_f32_e32 v18, 1.0, v17
	v_cvt_f64_f32_e32 v[15:16], v18
	v_frexp_exp_i32_f64_e32 v15, v[15:16]
	v_frexp_mant_f32_e32 v16, v18
	v_cmp_gt_f32_e32 vcc_lo, 0x3f2aaaab, v16
	v_add_f32_e32 v16, -1.0, v18
	v_sub_f32_e32 v20, v16, v18
	v_sub_f32_e32 v16, v17, v16
	v_add_f32_e32 v20, 1.0, v20
	v_add_f32_e32 v16, v16, v20
	v_subrev_co_ci_u32_e64 v15, null, 0, v15, vcc_lo
	v_cmp_neq_f32_e32 vcc_lo, 0x7f800000, v17
	v_sub_nc_u32_e32 v19, 0, v15
	v_cvt_f32_i32_e32 v15, v15
	v_ldexp_f32 v18, v18, v19
	v_ldexp_f32 v16, v16, v19
	v_add_f32_e32 v21, 1.0, v18
	v_add_f32_e32 v19, -1.0, v18
	v_add_f32_e32 v20, -1.0, v21
	v_add_f32_e32 v22, 1.0, v19
	v_sub_f32_e32 v20, v18, v20
	v_sub_f32_e32 v18, v18, v22
	v_add_f32_e32 v20, v16, v20
	v_add_f32_e32 v16, v16, v18
	;; [unrolled: 1-line block ×4, first 2 shown]
	v_rcp_f32_e32 v18, v22
	v_sub_f32_e32 v21, v21, v22
	v_sub_f32_e32 v19, v19, v23
	v_add_f32_e32 v20, v20, v21
	v_add_f32_e32 v16, v16, v19
	v_mul_f32_e32 v24, v23, v18
	v_mul_f32_e32 v25, v22, v24
	v_fma_f32 v21, v24, v22, -v25
	v_fmac_f32_e32 v21, v24, v20
	v_add_f32_e32 v26, v25, v21
	v_sub_f32_e32 v27, v23, v26
	v_sub_f32_e32 v19, v26, v25
	;; [unrolled: 1-line block ×5, first 2 shown]
	v_add_f32_e32 v16, v16, v23
	v_add_f32_e32 v16, v19, v16
	;; [unrolled: 1-line block ×3, first 2 shown]
	v_mul_f32_e32 v21, v18, v19
	v_sub_f32_e32 v26, v27, v19
	v_mul_f32_e32 v23, v22, v21
	v_add_f32_e32 v16, v16, v26
	v_fma_f32 v22, v21, v22, -v23
	v_fmac_f32_e32 v22, v21, v20
	v_add_f32_e32 v20, v23, v22
	v_sub_f32_e32 v25, v19, v20
	v_sub_f32_e32 v23, v20, v23
	;; [unrolled: 1-line block ×5, first 2 shown]
	v_add_f32_e32 v16, v16, v19
	v_add_f32_e32 v19, v24, v21
	;; [unrolled: 1-line block ×3, first 2 shown]
	v_sub_f32_e32 v20, v19, v24
	v_add_f32_e32 v16, v25, v16
	v_sub_f32_e32 v20, v21, v20
	v_mul_f32_e32 v16, v18, v16
	v_add_f32_e32 v16, v20, v16
	v_add_f32_e32 v18, v19, v16
	v_mul_f32_e32 v20, v18, v18
	v_fmaak_f32 v21, s20, v20, 0x3ecc95a3
	v_mul_f32_e32 v22, v18, v20
	v_fmaak_f32 v20, v20, v21, 0x3f2aaada
	v_ldexp_f32 v21, v18, 1
	v_sub_f32_e32 v18, v18, v19
	v_mul_f32_e32 v20, v22, v20
	v_mul_f32_e32 v22, 0x3f317218, v15
	v_sub_f32_e32 v16, v16, v18
	v_add_f32_e32 v19, v21, v20
	v_ldexp_f32 v16, v16, 1
	v_sub_f32_e32 v18, v19, v21
	v_fma_f32 v21, 0x3f317218, v15, -v22
	v_sub_f32_e32 v18, v20, v18
	v_fmac_f32_e32 v21, 0xb102e308, v15
	v_add_f32_e32 v15, v16, v18
	v_add_f32_e32 v16, v22, v21
	;; [unrolled: 1-line block ×3, first 2 shown]
	v_sub_f32_e32 v22, v16, v22
	v_add_f32_e32 v20, v16, v18
	v_sub_f32_e32 v19, v18, v19
	v_sub_f32_e32 v21, v21, v22
	;; [unrolled: 1-line block ×6, first 2 shown]
	v_add_f32_e32 v19, v21, v15
	v_sub_f32_e32 v16, v16, v24
	v_add_f32_e32 v16, v18, v16
	v_sub_f32_e32 v18, v19, v21
	;; [unrolled: 2-line block ×3, first 2 shown]
	v_sub_f32_e32 v15, v15, v18
	v_add_f32_e32 v22, v20, v16
	v_sub_f32_e32 v19, v21, v19
	v_sub_f32_e32 v18, v22, v20
	v_add_f32_e32 v15, v15, v19
	v_sub_f32_e32 v16, v16, v18
	v_add_f32_e32 v15, v15, v16
	v_add_f32_e32 v15, v22, v15
	v_cndmask_b32_e32 v15, 0x7f800000, v15, vcc_lo
	v_cmp_gt_f32_e64 vcc_lo, 0x33800000, |v17|
	v_cndmask_b32_e32 v15, v15, v17, vcc_lo
	v_add_f32_e32 v15, v6, v15
.LBB521_15:                             ;   in Loop: Header=BB521_7 Depth=2
	s_or_b32 exec_lo, exec_lo, s23
	v_bfe_u32 v6, v15, 16, 1
	v_cmp_o_f32_e32 vcc_lo, v15, v15
	v_add3_u32 v6, v15, v6, 0x7fff
	v_cndmask_b32_sdwa v6, v7, v6, vcc_lo dst_sel:DWORD dst_unused:UNUSED_PAD src0_sel:DWORD src1_sel:WORD_1
	ds_write_b16 v10, v6
.LBB521_16:                             ;   in Loop: Header=BB521_7 Depth=2
	s_or_b32 exec_lo, exec_lo, s22
	v_mov_b32_e32 v15, 0
	s_mov_b32 s22, 0
	s_waitcnt lgkmcnt(0)
	s_barrier
	buffer_gl0_inv
	s_branch .LBB521_19
.LBB521_17:                             ;   in Loop: Header=BB521_19 Depth=3
	s_or_b32 exec_lo, exec_lo, s24
	v_bfe_u32 v16, v17, 16, 1
	v_cmp_o_f32_e32 vcc_lo, v17, v17
	v_add3_u32 v16, v17, v16, 0x7fff
	v_cndmask_b32_sdwa v16, v7, v16, vcc_lo dst_sel:DWORD dst_unused:UNUSED_PAD src0_sel:DWORD src1_sel:WORD_1
	ds_write_b16 v15, v16
.LBB521_18:                             ;   in Loop: Header=BB521_19 Depth=3
	s_or_b32 exec_lo, exec_lo, s23
	v_cmp_eq_u32_e32 vcc_lo, s18, v6
	v_mov_b32_e32 v15, v6
	s_waitcnt lgkmcnt(0)
	s_barrier
	buffer_gl0_inv
	s_or_b32 s22, vcc_lo, s22
	s_andn2_b32 exec_lo, exec_lo, s22
	s_cbranch_execz .LBB521_24
.LBB521_19:                             ;   Parent Loop BB521_4 Depth=1
                                        ;     Parent Loop BB521_7 Depth=2
                                        ; =>    This Inner Loop Header: Depth=3
	v_add_nc_u32_e32 v6, 1, v15
	s_and_saveexec_b32 s23, s2
	s_xor_b32 s23, exec_lo, s23
; %bb.20:                               ;   in Loop: Header=BB521_19 Depth=3
	v_add_nc_u32_e32 v6, 1, v15
                                        ; implicit-def: $vgpr15
; %bb.21:                               ;   in Loop: Header=BB521_19 Depth=3
	s_andn2_saveexec_b32 s23, s23
	s_cbranch_execz .LBB521_18
; %bb.22:                               ;   in Loop: Header=BB521_19 Depth=3
	v_lshlrev_b32_e64 v16, v15, 1
	v_lshrrev_b32_e32 v17, v15, v0
	v_bfm_b32 v15, v15, 0
	v_lshl_or_b32 v16, v17, v6, v16
	v_and_b32_e32 v15, v15, v0
	v_lshl_add_u32 v16, v16, 1, v10
	v_add_nc_u32_e32 v17, -2, v16
	v_lshl_add_u32 v15, v15, 1, v16
	ds_read_u16 v16, v17
	ds_read_u16 v17, v15
	s_waitcnt lgkmcnt(1)
	v_lshlrev_b32_e32 v16, 16, v16
	s_waitcnt lgkmcnt(0)
	v_lshlrev_b32_e32 v17, 16, v17
	v_max_f32_e32 v18, v16, v16
	v_max_f32_e32 v19, v17, v17
	v_cmp_u_f32_e32 vcc_lo, v17, v17
	v_min_f32_e32 v20, v19, v18
	v_max_f32_e32 v18, v19, v18
	v_cndmask_b32_e32 v19, v20, v17, vcc_lo
	v_cndmask_b32_e32 v20, v18, v17, vcc_lo
	v_cmp_u_f32_e32 vcc_lo, v16, v16
	v_cndmask_b32_e32 v18, v19, v16, vcc_lo
	v_cndmask_b32_e32 v16, v20, v16, vcc_lo
	v_cmp_class_f32_e64 s24, v18, 0x1f8
	v_cmp_neq_f32_e32 vcc_lo, v18, v16
	s_or_b32 s25, vcc_lo, s24
	s_and_saveexec_b32 s24, s25
	s_cbranch_execz .LBB521_17
; %bb.23:                               ;   in Loop: Header=BB521_19 Depth=3
	v_sub_f32_e32 v17, v18, v16
	v_mul_f32_e32 v18, 0x3fb8aa3b, v17
	v_cmp_ngt_f32_e32 vcc_lo, 0xc2ce8ed0, v17
	v_fma_f32 v19, 0x3fb8aa3b, v17, -v18
	v_rndne_f32_e32 v20, v18
	v_fmac_f32_e32 v19, 0x32a5705f, v17
	v_sub_f32_e32 v18, v18, v20
	v_add_f32_e32 v18, v18, v19
	v_cvt_i32_f32_e32 v19, v20
	v_exp_f32_e32 v18, v18
	v_ldexp_f32 v18, v18, v19
	v_cndmask_b32_e32 v18, 0, v18, vcc_lo
	v_cmp_nlt_f32_e32 vcc_lo, 0x42b17218, v17
	v_cndmask_b32_e32 v19, 0x7f800000, v18, vcc_lo
	v_add_f32_e32 v20, 1.0, v19
	v_cvt_f64_f32_e32 v[17:18], v20
	v_frexp_exp_i32_f64_e32 v17, v[17:18]
	v_frexp_mant_f32_e32 v18, v20
	v_cmp_gt_f32_e32 vcc_lo, 0x3f2aaaab, v18
	v_add_f32_e32 v18, -1.0, v20
	v_sub_f32_e32 v22, v18, v20
	v_sub_f32_e32 v18, v19, v18
	v_add_f32_e32 v22, 1.0, v22
	v_add_f32_e32 v18, v18, v22
	v_subrev_co_ci_u32_e64 v17, null, 0, v17, vcc_lo
	v_cmp_neq_f32_e32 vcc_lo, 0x7f800000, v19
	v_sub_nc_u32_e32 v21, 0, v17
	v_cvt_f32_i32_e32 v17, v17
	v_ldexp_f32 v20, v20, v21
	v_ldexp_f32 v18, v18, v21
	v_add_f32_e32 v23, 1.0, v20
	v_add_f32_e32 v21, -1.0, v20
	v_add_f32_e32 v22, -1.0, v23
	v_add_f32_e32 v24, 1.0, v21
	v_sub_f32_e32 v22, v20, v22
	v_sub_f32_e32 v20, v20, v24
	v_add_f32_e32 v22, v18, v22
	v_add_f32_e32 v18, v18, v20
	;; [unrolled: 1-line block ×4, first 2 shown]
	v_rcp_f32_e32 v20, v24
	v_sub_f32_e32 v23, v23, v24
	v_sub_f32_e32 v21, v21, v25
	v_add_f32_e32 v22, v22, v23
	v_add_f32_e32 v18, v18, v21
	v_mul_f32_e32 v26, v25, v20
	v_mul_f32_e32 v27, v24, v26
	v_fma_f32 v23, v26, v24, -v27
	v_fmac_f32_e32 v23, v26, v22
	v_add_f32_e32 v28, v27, v23
	v_sub_f32_e32 v29, v25, v28
	v_sub_f32_e32 v21, v28, v27
	;; [unrolled: 1-line block ×5, first 2 shown]
	v_add_f32_e32 v18, v18, v25
	v_add_f32_e32 v18, v21, v18
	;; [unrolled: 1-line block ×3, first 2 shown]
	v_mul_f32_e32 v23, v20, v21
	v_sub_f32_e32 v28, v29, v21
	v_mul_f32_e32 v25, v24, v23
	v_add_f32_e32 v18, v18, v28
	v_fma_f32 v24, v23, v24, -v25
	v_fmac_f32_e32 v24, v23, v22
	v_add_f32_e32 v22, v25, v24
	v_sub_f32_e32 v27, v21, v22
	v_sub_f32_e32 v25, v22, v25
	v_sub_f32_e32 v21, v21, v27
	v_sub_f32_e32 v21, v21, v22
	v_sub_f32_e32 v22, v25, v24
	v_add_f32_e32 v18, v18, v21
	v_add_f32_e32 v21, v26, v23
	;; [unrolled: 1-line block ×3, first 2 shown]
	v_sub_f32_e32 v22, v21, v26
	v_add_f32_e32 v18, v27, v18
	v_sub_f32_e32 v22, v23, v22
	v_mul_f32_e32 v18, v20, v18
	v_add_f32_e32 v18, v22, v18
	v_add_f32_e32 v20, v21, v18
	v_mul_f32_e32 v22, v20, v20
	v_fmaak_f32 v23, s20, v22, 0x3ecc95a3
	v_mul_f32_e32 v24, v20, v22
	v_fmaak_f32 v22, v22, v23, 0x3f2aaada
	v_ldexp_f32 v23, v20, 1
	v_sub_f32_e32 v20, v20, v21
	v_mul_f32_e32 v22, v24, v22
	v_mul_f32_e32 v24, 0x3f317218, v17
	v_sub_f32_e32 v18, v18, v20
	v_add_f32_e32 v21, v23, v22
	v_ldexp_f32 v18, v18, 1
	v_sub_f32_e32 v20, v21, v23
	v_fma_f32 v23, 0x3f317218, v17, -v24
	v_sub_f32_e32 v20, v22, v20
	v_fmac_f32_e32 v23, 0xb102e308, v17
	v_add_f32_e32 v17, v18, v20
	v_add_f32_e32 v18, v24, v23
	;; [unrolled: 1-line block ×3, first 2 shown]
	v_sub_f32_e32 v24, v18, v24
	v_add_f32_e32 v22, v18, v20
	v_sub_f32_e32 v21, v20, v21
	v_sub_f32_e32 v23, v23, v24
	;; [unrolled: 1-line block ×6, first 2 shown]
	v_add_f32_e32 v21, v23, v17
	v_sub_f32_e32 v18, v18, v26
	v_add_f32_e32 v18, v20, v18
	v_sub_f32_e32 v20, v21, v23
	;; [unrolled: 2-line block ×3, first 2 shown]
	v_sub_f32_e32 v17, v17, v20
	v_add_f32_e32 v24, v22, v18
	v_sub_f32_e32 v21, v23, v21
	v_sub_f32_e32 v20, v24, v22
	v_add_f32_e32 v17, v17, v21
	v_sub_f32_e32 v18, v18, v20
	v_add_f32_e32 v17, v17, v18
	v_add_f32_e32 v17, v24, v17
	v_cndmask_b32_e32 v17, 0x7f800000, v17, vcc_lo
	v_cmp_gt_f32_e64 vcc_lo, 0x33800000, |v19|
	v_cndmask_b32_e32 v17, v17, v19, vcc_lo
	v_add_f32_e32 v17, v16, v17
	s_branch .LBB521_17
.LBB521_24:                             ;   in Loop: Header=BB521_7 Depth=2
	s_or_b32 exec_lo, exec_lo, s22
	s_and_saveexec_b32 s22, s1
	s_cbranch_execz .LBB521_6
; %bb.25:                               ;   in Loop: Header=BB521_7 Depth=2
	s_mov_b32 s23, exec_lo
	v_cmpx_gt_u32_e64 s13, v3
	s_cbranch_execz .LBB521_27
; %bb.26:                               ;   in Loop: Header=BB521_7 Depth=2
	ds_read_u16 v6, v1
	v_lshlrev_b64 v[15:16], 1, v[3:4]
	v_add_co_u32 v15, vcc_lo, v13, v15
	v_add_co_ci_u32_e64 v16, null, v14, v16, vcc_lo
	s_waitcnt lgkmcnt(0)
	global_store_short v[15:16], v6, off
.LBB521_27:                             ;   in Loop: Header=BB521_7 Depth=2
	s_or_b32 exec_lo, exec_lo, s23
	v_cmp_gt_u32_e32 vcc_lo, s13, v5
	s_and_b32 exec_lo, exec_lo, vcc_lo
	s_cbranch_execz .LBB521_6
; %bb.28:                               ;   in Loop: Header=BB521_7 Depth=2
	ds_read_u16 v3, v8
	v_mov_b32_e32 v6, v4
	v_lshlrev_b64 v[5:6], 1, v[5:6]
	v_add_co_u32 v5, vcc_lo, v13, v5
	v_add_co_ci_u32_e64 v6, null, v14, v6, vcc_lo
	s_waitcnt lgkmcnt(0)
	global_store_short v[5:6], v3, off
	s_branch .LBB521_6
.LBB521_29:
	s_mov_b32 s0, 0
.LBB521_30:
	s_andn2_b32 vcc_lo, exec_lo, s0
	s_cbranch_vccnz .LBB521_61
; %bb.31:
	s_load_dword s2, s[4:5], 0x2c
	s_add_u32 s0, s4, 32
	s_addc_u32 s1, s5, 0
	s_mov_b32 s5, 0
	s_mov_b32 s4, s12
	s_waitcnt lgkmcnt(0)
	s_lshr_b32 s2, s2, 16
	s_mul_hi_u32 s7, s2, s6
	s_mul_i32 s6, s2, s6
	v_cmp_ge_u64_e64 s3, s[6:7], s[4:5]
	s_and_b32 vcc_lo, exec_lo, s3
	s_cbranch_vccnz .LBB521_61
; %bb.32:
	s_load_dword s1, s[0:1], 0x0
	s_lshl_b32 s16, 1, s14
	s_and_b32 s2, 0xffff, s2
	s_ashr_i32 s17, s16, 31
	s_cmp_lg_u32 s13, 0
	v_lshl_add_u32 v11, v0, 1, v10
	s_mov_b32 s18, s13
	s_cselect_b32 s3, -1, 0
	s_lshl_b64 s[12:13], s[16:17], 1
	v_mov_b32_e32 v1, 0
	s_lshl_b32 s20, s12, 1
	v_cmp_eq_u32_e64 s0, 0, v0
	v_mov_b32_e32 v12, 0x7fc0
	v_lshl_add_u32 v13, s16, 1, v11
	v_add3_u32 v14, v10, s20, -2
	s_mov_b32 s19, s5
	s_add_i32 s14, s14, 1
	s_mov_b32 s23, 0x3e9b6dac
	s_waitcnt lgkmcnt(0)
	s_mul_i32 s22, s1, s2
	s_branch .LBB521_34
.LBB521_33:                             ;   in Loop: Header=BB521_34 Depth=1
	s_add_u32 s6, s6, s22
	s_addc_u32 s7, s7, 0
	v_cmp_ge_u64_e64 s1, s[6:7], s[4:5]
	s_and_b32 vcc_lo, exec_lo, s1
	s_cbranch_vccnz .LBB521_61
.LBB521_34:                             ; =>This Loop Header: Depth=1
                                        ;     Child Loop BB521_37 Depth 2
                                        ;       Child Loop BB521_49 Depth 3
	s_andn2_b32 vcc_lo, exec_lo, s3
	s_cbranch_vccnz .LBB521_33
; %bb.35:                               ;   in Loop: Header=BB521_34 Depth=1
	v_add_co_u32 v3, s1, s6, v2
	v_add_co_ci_u32_e64 v4, null, s7, 0, s1
	s_mov_b64 s[20:21], 0
	v_mad_u64_u32 v[5:6], null, v3, s18, 0
	v_cmp_gt_u64_e64 s1, s[4:5], v[3:4]
	v_cmp_le_u64_e64 s2, s[4:5], v[3:4]
	v_mad_u64_u32 v[6:7], null, v4, s18, v[6:7]
	v_mov_b32_e32 v7, s15
	v_lshlrev_b64 v[5:6], 1, v[5:6]
	v_add_co_u32 v15, vcc_lo, s10, v5
	v_add_co_ci_u32_e64 v16, null, s11, v6, vcc_lo
	v_add_co_u32 v17, vcc_lo, s8, v5
	v_add_co_ci_u32_e64 v18, null, s9, v6, vcc_lo
	s_branch .LBB521_37
.LBB521_36:                             ;   in Loop: Header=BB521_37 Depth=2
	s_or_b32 exec_lo, exec_lo, s24
	ds_read_u16 v7, v14
	s_add_u32 s20, s20, s12
	s_addc_u32 s21, s21, s13
	s_waitcnt lgkmcnt(0)
	s_waitcnt_vscnt null, 0x0
	v_cmp_ge_u64_e64 s24, s[20:21], s[18:19]
	s_barrier
	buffer_gl0_inv
	s_and_b32 vcc_lo, exec_lo, s24
	s_cbranch_vccnz .LBB521_33
.LBB521_37:                             ;   Parent Loop BB521_34 Depth=1
                                        ; =>  This Loop Header: Depth=2
                                        ;       Child Loop BB521_49 Depth 3
	v_add_co_u32 v5, s24, s20, v0
	v_add_co_ci_u32_e64 v6, null, s21, 0, s24
	v_add_co_u32 v3, vcc_lo, v5, s16
	v_add_co_ci_u32_e64 v4, null, s17, v6, vcc_lo
	s_and_saveexec_b32 s24, s1
	s_cbranch_execz .LBB521_46
; %bb.38:                               ;   in Loop: Header=BB521_37 Depth=2
	v_mov_b32_e32 v8, s15
	s_mov_b32 s25, exec_lo
	v_cmpx_gt_u64_e64 s[18:19], v[5:6]
	s_cbranch_execz .LBB521_40
; %bb.39:                               ;   in Loop: Header=BB521_37 Depth=2
	v_lshlrev_b64 v[8:9], 1, v[5:6]
	v_add_co_u32 v8, vcc_lo, v15, v8
	v_add_co_ci_u32_e64 v9, null, v16, v9, vcc_lo
	global_load_ushort v8, v[8:9], off
.LBB521_40:                             ;   in Loop: Header=BB521_37 Depth=2
	s_or_b32 exec_lo, exec_lo, s25
	v_mov_b32_e32 v9, s15
	s_mov_b32 s25, exec_lo
	s_waitcnt vmcnt(0)
	ds_write_b16 v11, v8
	v_cmpx_gt_u64_e64 s[18:19], v[3:4]
	s_cbranch_execz .LBB521_42
; %bb.41:                               ;   in Loop: Header=BB521_37 Depth=2
	v_lshlrev_b64 v[8:9], 1, v[3:4]
	v_add_co_u32 v8, vcc_lo, v15, v8
	v_add_co_ci_u32_e64 v9, null, v16, v9, vcc_lo
	global_load_ushort v9, v[8:9], off
.LBB521_42:                             ;   in Loop: Header=BB521_37 Depth=2
	s_or_b32 exec_lo, exec_lo, s25
	s_waitcnt vmcnt(0)
	ds_write_b16 v13, v9
	s_and_b32 exec_lo, exec_lo, s0
	s_cbranch_execz .LBB521_46
; %bb.43:                               ;   in Loop: Header=BB521_37 Depth=2
	ds_read_u16 v8, v10
	v_lshlrev_b32_e32 v7, 16, v7
	v_max_f32_e32 v9, v7, v7
	s_waitcnt lgkmcnt(0)
	v_lshlrev_b32_e32 v8, 16, v8
	v_max_f32_e32 v19, v8, v8
	v_cmp_u_f32_e32 vcc_lo, v8, v8
	v_min_f32_e32 v20, v19, v9
	v_max_f32_e32 v9, v19, v9
	v_cndmask_b32_e32 v19, v20, v8, vcc_lo
	v_cndmask_b32_e32 v20, v9, v8, vcc_lo
	v_cmp_u_f32_e32 vcc_lo, v7, v7
	v_cndmask_b32_e32 v9, v19, v7, vcc_lo
	v_cndmask_b32_e32 v7, v20, v7, vcc_lo
	v_cmp_class_f32_e64 s25, v9, 0x1f8
	v_cmp_neq_f32_e32 vcc_lo, v9, v7
	s_or_b32 s26, vcc_lo, s25
	s_and_saveexec_b32 s25, s26
	s_cbranch_execz .LBB521_45
; %bb.44:                               ;   in Loop: Header=BB521_37 Depth=2
	v_sub_f32_e32 v8, v9, v7
	v_mul_f32_e32 v9, 0x3fb8aa3b, v8
	v_cmp_ngt_f32_e32 vcc_lo, 0xc2ce8ed0, v8
	v_fma_f32 v19, 0x3fb8aa3b, v8, -v9
	v_rndne_f32_e32 v20, v9
	v_fmac_f32_e32 v19, 0x32a5705f, v8
	v_sub_f32_e32 v9, v9, v20
	v_add_f32_e32 v9, v9, v19
	v_cvt_i32_f32_e32 v19, v20
	v_exp_f32_e32 v9, v9
	v_ldexp_f32 v9, v9, v19
	v_cndmask_b32_e32 v9, 0, v9, vcc_lo
	v_cmp_nlt_f32_e32 vcc_lo, 0x42b17218, v8
	v_cndmask_b32_e32 v19, 0x7f800000, v9, vcc_lo
	v_add_f32_e32 v20, 1.0, v19
	v_cvt_f64_f32_e32 v[8:9], v20
	v_frexp_exp_i32_f64_e32 v8, v[8:9]
	v_frexp_mant_f32_e32 v9, v20
	v_cmp_gt_f32_e32 vcc_lo, 0x3f2aaaab, v9
	v_add_f32_e32 v9, -1.0, v20
	v_sub_f32_e32 v22, v9, v20
	v_sub_f32_e32 v9, v19, v9
	v_add_f32_e32 v22, 1.0, v22
	v_add_f32_e32 v9, v9, v22
	v_subrev_co_ci_u32_e64 v8, null, 0, v8, vcc_lo
	v_cmp_neq_f32_e32 vcc_lo, 0x7f800000, v19
	v_sub_nc_u32_e32 v21, 0, v8
	v_cvt_f32_i32_e32 v8, v8
	v_ldexp_f32 v20, v20, v21
	v_ldexp_f32 v9, v9, v21
	v_add_f32_e32 v23, 1.0, v20
	v_add_f32_e32 v21, -1.0, v20
	v_add_f32_e32 v22, -1.0, v23
	v_add_f32_e32 v24, 1.0, v21
	v_sub_f32_e32 v22, v20, v22
	v_sub_f32_e32 v20, v20, v24
	v_add_f32_e32 v22, v9, v22
	v_add_f32_e32 v9, v9, v20
	;; [unrolled: 1-line block ×4, first 2 shown]
	v_rcp_f32_e32 v20, v24
	v_sub_f32_e32 v23, v23, v24
	v_sub_f32_e32 v21, v21, v25
	v_add_f32_e32 v22, v22, v23
	v_add_f32_e32 v9, v9, v21
	v_mul_f32_e32 v26, v25, v20
	v_mul_f32_e32 v27, v24, v26
	v_fma_f32 v23, v26, v24, -v27
	v_fmac_f32_e32 v23, v26, v22
	v_add_f32_e32 v28, v27, v23
	v_sub_f32_e32 v29, v25, v28
	v_sub_f32_e32 v21, v28, v27
	;; [unrolled: 1-line block ×5, first 2 shown]
	v_add_f32_e32 v9, v9, v25
	v_add_f32_e32 v9, v21, v9
	;; [unrolled: 1-line block ×3, first 2 shown]
	v_mul_f32_e32 v23, v20, v21
	v_sub_f32_e32 v28, v29, v21
	v_mul_f32_e32 v25, v24, v23
	v_add_f32_e32 v9, v9, v28
	v_fma_f32 v24, v23, v24, -v25
	v_fmac_f32_e32 v24, v23, v22
	v_add_f32_e32 v22, v25, v24
	v_sub_f32_e32 v27, v21, v22
	v_sub_f32_e32 v25, v22, v25
	;; [unrolled: 1-line block ×5, first 2 shown]
	v_add_f32_e32 v9, v9, v21
	v_add_f32_e32 v21, v26, v23
	;; [unrolled: 1-line block ×3, first 2 shown]
	v_sub_f32_e32 v22, v21, v26
	v_add_f32_e32 v9, v27, v9
	v_sub_f32_e32 v22, v23, v22
	v_mul_f32_e32 v9, v20, v9
	v_add_f32_e32 v9, v22, v9
	v_add_f32_e32 v20, v21, v9
	v_mul_f32_e32 v22, v20, v20
	v_fmaak_f32 v23, s23, v22, 0x3ecc95a3
	v_mul_f32_e32 v24, v20, v22
	v_fmaak_f32 v22, v22, v23, 0x3f2aaada
	v_ldexp_f32 v23, v20, 1
	v_sub_f32_e32 v20, v20, v21
	v_mul_f32_e32 v22, v24, v22
	v_mul_f32_e32 v24, 0x3f317218, v8
	v_sub_f32_e32 v9, v9, v20
	v_add_f32_e32 v21, v23, v22
	v_ldexp_f32 v9, v9, 1
	v_sub_f32_e32 v20, v21, v23
	v_fma_f32 v23, 0x3f317218, v8, -v24
	v_sub_f32_e32 v20, v22, v20
	v_fmac_f32_e32 v23, 0xb102e308, v8
	v_add_f32_e32 v8, v9, v20
	v_add_f32_e32 v9, v24, v23
	;; [unrolled: 1-line block ×3, first 2 shown]
	v_sub_f32_e32 v24, v9, v24
	v_add_f32_e32 v22, v9, v20
	v_sub_f32_e32 v21, v20, v21
	v_sub_f32_e32 v23, v23, v24
	;; [unrolled: 1-line block ×6, first 2 shown]
	v_add_f32_e32 v21, v23, v8
	v_sub_f32_e32 v9, v9, v26
	v_add_f32_e32 v9, v20, v9
	v_sub_f32_e32 v20, v21, v23
	;; [unrolled: 2-line block ×3, first 2 shown]
	v_sub_f32_e32 v8, v8, v20
	v_add_f32_e32 v24, v22, v9
	v_sub_f32_e32 v21, v23, v21
	v_sub_f32_e32 v20, v24, v22
	v_add_f32_e32 v8, v8, v21
	v_sub_f32_e32 v9, v9, v20
	v_add_f32_e32 v8, v8, v9
	v_add_f32_e32 v8, v24, v8
	v_cndmask_b32_e32 v8, 0x7f800000, v8, vcc_lo
	v_cmp_gt_f32_e64 vcc_lo, 0x33800000, |v19|
	v_cndmask_b32_e32 v8, v8, v19, vcc_lo
	v_add_f32_e32 v8, v7, v8
.LBB521_45:                             ;   in Loop: Header=BB521_37 Depth=2
	s_or_b32 exec_lo, exec_lo, s25
	v_bfe_u32 v7, v8, 16, 1
	v_cmp_o_f32_e32 vcc_lo, v8, v8
	v_add3_u32 v7, v8, v7, 0x7fff
	v_cndmask_b32_sdwa v7, v12, v7, vcc_lo dst_sel:DWORD dst_unused:UNUSED_PAD src0_sel:DWORD src1_sel:WORD_1
	ds_write_b16 v10, v7
.LBB521_46:                             ;   in Loop: Header=BB521_37 Depth=2
	s_or_b32 exec_lo, exec_lo, s24
	v_mov_b32_e32 v20, 0
	s_mov_b32 s24, 0
	s_waitcnt lgkmcnt(0)
	s_barrier
	buffer_gl0_inv
	s_branch .LBB521_49
.LBB521_47:                             ;   in Loop: Header=BB521_49 Depth=3
	s_or_b32 exec_lo, exec_lo, s26
	v_bfe_u32 v8, v9, 16, 1
	v_cmp_o_f32_e32 vcc_lo, v9, v9
	v_add3_u32 v8, v9, v8, 0x7fff
	v_cndmask_b32_sdwa v8, v12, v8, vcc_lo dst_sel:DWORD dst_unused:UNUSED_PAD src0_sel:DWORD src1_sel:WORD_1
	ds_write_b16 v7, v8
.LBB521_48:                             ;   in Loop: Header=BB521_49 Depth=3
	s_or_b32 exec_lo, exec_lo, s25
	v_cmp_eq_u32_e32 vcc_lo, s14, v19
	v_mov_b32_e32 v20, v19
	s_waitcnt lgkmcnt(0)
	s_barrier
	buffer_gl0_inv
	s_or_b32 s24, vcc_lo, s24
	s_andn2_b32 exec_lo, exec_lo, s24
	s_cbranch_execz .LBB521_56
.LBB521_49:                             ;   Parent Loop BB521_34 Depth=1
                                        ;     Parent Loop BB521_37 Depth=2
                                        ; =>    This Inner Loop Header: Depth=3
	v_add_nc_u32_e32 v19, 1, v20
	s_and_saveexec_b32 s25, s2
	s_xor_b32 s25, exec_lo, s25
; %bb.50:                               ;   in Loop: Header=BB521_49 Depth=3
	v_add_nc_u32_e32 v19, 1, v20
                                        ; implicit-def: $vgpr20
; %bb.51:                               ;   in Loop: Header=BB521_49 Depth=3
	s_andn2_saveexec_b32 s25, s25
	s_cbranch_execz .LBB521_48
; %bb.52:                               ;   in Loop: Header=BB521_49 Depth=3
	v_lshlrev_b32_e64 v7, v20, 1
	v_ashrrev_i32_e32 v8, 31, v7
	v_cmp_ge_u64_e32 vcc_lo, v[0:1], v[7:8]
	v_mov_b32_e32 v9, v1
	v_mov_b32_e32 v8, v0
	s_and_saveexec_b32 s26, vcc_lo
	s_cbranch_execz .LBB521_54
; %bb.53:                               ;   in Loop: Header=BB521_49 Depth=3
	v_cvt_f32_u32_e32 v8, v7
	v_sub_nc_u32_e32 v9, 0, v7
	v_rcp_iflag_f32_e32 v8, v8
	v_mul_f32_e32 v8, 0x4f7ffffe, v8
	v_cvt_u32_f32_e32 v8, v8
	v_mul_lo_u32 v9, v9, v8
	v_mul_hi_u32 v9, v8, v9
	v_add_nc_u32_e32 v8, v8, v9
	v_mul_hi_u32 v8, v0, v8
	v_mul_lo_u32 v8, v8, v7
	v_sub_nc_u32_e32 v8, v0, v8
	v_sub_nc_u32_e32 v9, v8, v7
	v_cmp_ge_u32_e32 vcc_lo, v8, v7
	v_cndmask_b32_e32 v8, v8, v9, vcc_lo
	v_sub_nc_u32_e32 v9, v8, v7
	v_cmp_ge_u32_e32 vcc_lo, v8, v7
	v_cndmask_b32_e32 v8, v8, v9, vcc_lo
.LBB521_54:                             ;   in Loop: Header=BB521_49 Depth=3
	s_or_b32 exec_lo, exec_lo, s26
	v_lshrrev_b32_e32 v9, v20, v0
	v_lshl_or_b32 v7, v9, v19, v7
	v_lshl_add_u32 v7, v7, 1, v10
	v_add_nc_u32_e32 v9, -2, v7
	v_lshl_add_u32 v7, v8, 1, v7
	ds_read_u16 v8, v9
	ds_read_u16 v9, v7
	s_waitcnt lgkmcnt(1)
	v_lshlrev_b32_e32 v8, 16, v8
	s_waitcnt lgkmcnt(0)
	v_lshlrev_b32_e32 v9, 16, v9
	v_max_f32_e32 v20, v8, v8
	v_max_f32_e32 v21, v9, v9
	v_cmp_u_f32_e32 vcc_lo, v9, v9
	v_min_f32_e32 v22, v21, v20
	v_max_f32_e32 v20, v21, v20
	v_cndmask_b32_e32 v21, v22, v9, vcc_lo
	v_cndmask_b32_e32 v22, v20, v9, vcc_lo
	v_cmp_u_f32_e32 vcc_lo, v8, v8
	v_cndmask_b32_e32 v20, v21, v8, vcc_lo
	v_cndmask_b32_e32 v8, v22, v8, vcc_lo
	v_cmp_class_f32_e64 s26, v20, 0x1f8
	v_cmp_neq_f32_e32 vcc_lo, v20, v8
	s_or_b32 s27, vcc_lo, s26
	s_and_saveexec_b32 s26, s27
	s_cbranch_execz .LBB521_47
; %bb.55:                               ;   in Loop: Header=BB521_49 Depth=3
	v_sub_f32_e32 v9, v20, v8
	v_mul_f32_e32 v20, 0x3fb8aa3b, v9
	v_cmp_ngt_f32_e32 vcc_lo, 0xc2ce8ed0, v9
	v_fma_f32 v21, 0x3fb8aa3b, v9, -v20
	v_rndne_f32_e32 v22, v20
	v_fmac_f32_e32 v21, 0x32a5705f, v9
	v_sub_f32_e32 v20, v20, v22
	v_add_f32_e32 v20, v20, v21
	v_cvt_i32_f32_e32 v21, v22
	v_exp_f32_e32 v20, v20
	v_ldexp_f32 v20, v20, v21
	v_cndmask_b32_e32 v20, 0, v20, vcc_lo
	v_cmp_nlt_f32_e32 vcc_lo, 0x42b17218, v9
	v_cndmask_b32_e32 v9, 0x7f800000, v20, vcc_lo
	v_add_f32_e32 v22, 1.0, v9
	v_cvt_f64_f32_e32 v[20:21], v22
	v_frexp_exp_i32_f64_e32 v20, v[20:21]
	v_frexp_mant_f32_e32 v21, v22
	v_cmp_gt_f32_e32 vcc_lo, 0x3f2aaaab, v21
	v_add_f32_e32 v21, -1.0, v22
	v_sub_f32_e32 v24, v21, v22
	v_sub_f32_e32 v21, v9, v21
	v_add_f32_e32 v24, 1.0, v24
	v_add_f32_e32 v21, v21, v24
	v_subrev_co_ci_u32_e64 v20, null, 0, v20, vcc_lo
	v_cmp_neq_f32_e32 vcc_lo, 0x7f800000, v9
	v_sub_nc_u32_e32 v23, 0, v20
	v_cvt_f32_i32_e32 v20, v20
	v_ldexp_f32 v22, v22, v23
	v_ldexp_f32 v21, v21, v23
	v_add_f32_e32 v25, 1.0, v22
	v_add_f32_e32 v23, -1.0, v22
	v_add_f32_e32 v24, -1.0, v25
	v_add_f32_e32 v26, 1.0, v23
	v_sub_f32_e32 v24, v22, v24
	v_sub_f32_e32 v22, v22, v26
	v_add_f32_e32 v24, v21, v24
	v_add_f32_e32 v21, v21, v22
	;; [unrolled: 1-line block ×4, first 2 shown]
	v_rcp_f32_e32 v22, v26
	v_sub_f32_e32 v25, v25, v26
	v_sub_f32_e32 v23, v23, v27
	v_add_f32_e32 v24, v24, v25
	v_add_f32_e32 v21, v21, v23
	v_mul_f32_e32 v28, v27, v22
	v_mul_f32_e32 v29, v26, v28
	v_fma_f32 v25, v28, v26, -v29
	v_fmac_f32_e32 v25, v28, v24
	v_add_f32_e32 v30, v29, v25
	v_sub_f32_e32 v31, v27, v30
	v_sub_f32_e32 v23, v30, v29
	;; [unrolled: 1-line block ×5, first 2 shown]
	v_add_f32_e32 v21, v21, v27
	v_add_f32_e32 v21, v23, v21
	;; [unrolled: 1-line block ×3, first 2 shown]
	v_mul_f32_e32 v25, v22, v23
	v_sub_f32_e32 v30, v31, v23
	v_mul_f32_e32 v27, v26, v25
	v_add_f32_e32 v21, v21, v30
	v_fma_f32 v26, v25, v26, -v27
	v_fmac_f32_e32 v26, v25, v24
	v_add_f32_e32 v24, v27, v26
	v_sub_f32_e32 v29, v23, v24
	v_sub_f32_e32 v27, v24, v27
	;; [unrolled: 1-line block ×5, first 2 shown]
	v_add_f32_e32 v21, v21, v23
	v_add_f32_e32 v23, v28, v25
	;; [unrolled: 1-line block ×3, first 2 shown]
	v_sub_f32_e32 v24, v23, v28
	v_add_f32_e32 v21, v29, v21
	v_sub_f32_e32 v24, v25, v24
	v_mul_f32_e32 v21, v22, v21
	v_add_f32_e32 v21, v24, v21
	v_add_f32_e32 v22, v23, v21
	v_mul_f32_e32 v24, v22, v22
	v_fmaak_f32 v25, s23, v24, 0x3ecc95a3
	v_mul_f32_e32 v26, v22, v24
	v_fmaak_f32 v24, v24, v25, 0x3f2aaada
	v_ldexp_f32 v25, v22, 1
	v_sub_f32_e32 v22, v22, v23
	v_mul_f32_e32 v24, v26, v24
	v_mul_f32_e32 v26, 0x3f317218, v20
	v_sub_f32_e32 v21, v21, v22
	v_add_f32_e32 v23, v25, v24
	v_ldexp_f32 v21, v21, 1
	v_sub_f32_e32 v22, v23, v25
	v_fma_f32 v25, 0x3f317218, v20, -v26
	v_sub_f32_e32 v22, v24, v22
	v_fmac_f32_e32 v25, 0xb102e308, v20
	v_add_f32_e32 v20, v21, v22
	v_add_f32_e32 v21, v26, v25
	;; [unrolled: 1-line block ×3, first 2 shown]
	v_sub_f32_e32 v26, v21, v26
	v_add_f32_e32 v24, v21, v22
	v_sub_f32_e32 v23, v22, v23
	v_sub_f32_e32 v25, v25, v26
	;; [unrolled: 1-line block ×6, first 2 shown]
	v_add_f32_e32 v23, v25, v20
	v_sub_f32_e32 v21, v21, v28
	v_add_f32_e32 v21, v22, v21
	v_sub_f32_e32 v22, v23, v25
	;; [unrolled: 2-line block ×3, first 2 shown]
	v_sub_f32_e32 v20, v20, v22
	v_add_f32_e32 v26, v24, v21
	v_sub_f32_e32 v23, v25, v23
	v_sub_f32_e32 v22, v26, v24
	v_add_f32_e32 v20, v20, v23
	v_sub_f32_e32 v21, v21, v22
	v_add_f32_e32 v20, v20, v21
	v_add_f32_e32 v20, v26, v20
	v_cndmask_b32_e32 v20, 0x7f800000, v20, vcc_lo
	v_cmp_gt_f32_e64 vcc_lo, 0x33800000, |v9|
	v_cndmask_b32_e32 v9, v20, v9, vcc_lo
	v_add_f32_e32 v9, v8, v9
	s_branch .LBB521_47
.LBB521_56:                             ;   in Loop: Header=BB521_37 Depth=2
	s_or_b32 exec_lo, exec_lo, s24
	s_and_saveexec_b32 s24, s1
	s_cbranch_execz .LBB521_36
; %bb.57:                               ;   in Loop: Header=BB521_37 Depth=2
	s_mov_b32 s25, exec_lo
	v_cmpx_gt_u64_e64 s[18:19], v[5:6]
	s_cbranch_execz .LBB521_59
; %bb.58:                               ;   in Loop: Header=BB521_37 Depth=2
	ds_read_u16 v7, v11
	v_lshlrev_b64 v[5:6], 1, v[5:6]
	v_add_co_u32 v5, vcc_lo, v17, v5
	v_add_co_ci_u32_e64 v6, null, v18, v6, vcc_lo
	s_waitcnt lgkmcnt(0)
	global_store_short v[5:6], v7, off
.LBB521_59:                             ;   in Loop: Header=BB521_37 Depth=2
	s_or_b32 exec_lo, exec_lo, s25
	v_cmp_gt_u64_e32 vcc_lo, s[18:19], v[3:4]
	s_and_b32 exec_lo, exec_lo, vcc_lo
	s_cbranch_execz .LBB521_36
; %bb.60:                               ;   in Loop: Header=BB521_37 Depth=2
	ds_read_u16 v5, v13
	v_lshlrev_b64 v[3:4], 1, v[3:4]
	v_add_co_u32 v3, vcc_lo, v17, v3
	v_add_co_ci_u32_e64 v4, null, v18, v4, vcc_lo
	s_waitcnt lgkmcnt(0)
	global_store_short v[3:4], v5, off
	s_branch .LBB521_36
.LBB521_61:
	s_endpgm
	.section	.rodata,"a",@progbits
	.p2align	6, 0x0
	.amdhsa_kernel _ZN2at6native32tensor_kernel_scan_innermost_dimIN3c108BFloat16EZZZNS0_31launch_logcumsumexp_cuda_kernelERKNS_10TensorBaseES6_lENKUlvE_clEvENKUlvE4_clEvEUlS3_S3_E_EEvPT_PKSA_jjjSA_T0_
		.amdhsa_group_segment_fixed_size 0
		.amdhsa_private_segment_fixed_size 0
		.amdhsa_kernarg_size 288
		.amdhsa_user_sgpr_count 6
		.amdhsa_user_sgpr_private_segment_buffer 1
		.amdhsa_user_sgpr_dispatch_ptr 0
		.amdhsa_user_sgpr_queue_ptr 0
		.amdhsa_user_sgpr_kernarg_segment_ptr 1
		.amdhsa_user_sgpr_dispatch_id 0
		.amdhsa_user_sgpr_flat_scratch_init 0
		.amdhsa_user_sgpr_private_segment_size 0
		.amdhsa_wavefront_size32 1
		.amdhsa_uses_dynamic_stack 0
		.amdhsa_system_sgpr_private_segment_wavefront_offset 0
		.amdhsa_system_sgpr_workgroup_id_x 1
		.amdhsa_system_sgpr_workgroup_id_y 0
		.amdhsa_system_sgpr_workgroup_id_z 0
		.amdhsa_system_sgpr_workgroup_info 0
		.amdhsa_system_vgpr_workitem_id 1
		.amdhsa_next_free_vgpr 32
		.amdhsa_next_free_sgpr 28
		.amdhsa_reserve_vcc 1
		.amdhsa_reserve_flat_scratch 0
		.amdhsa_float_round_mode_32 0
		.amdhsa_float_round_mode_16_64 0
		.amdhsa_float_denorm_mode_32 3
		.amdhsa_float_denorm_mode_16_64 3
		.amdhsa_dx10_clamp 1
		.amdhsa_ieee_mode 1
		.amdhsa_fp16_overflow 0
		.amdhsa_workgroup_processor_mode 1
		.amdhsa_memory_ordered 1
		.amdhsa_forward_progress 1
		.amdhsa_shared_vgpr_count 0
		.amdhsa_exception_fp_ieee_invalid_op 0
		.amdhsa_exception_fp_denorm_src 0
		.amdhsa_exception_fp_ieee_div_zero 0
		.amdhsa_exception_fp_ieee_overflow 0
		.amdhsa_exception_fp_ieee_underflow 0
		.amdhsa_exception_fp_ieee_inexact 0
		.amdhsa_exception_int_div_zero 0
	.end_amdhsa_kernel
	.section	.text._ZN2at6native32tensor_kernel_scan_innermost_dimIN3c108BFloat16EZZZNS0_31launch_logcumsumexp_cuda_kernelERKNS_10TensorBaseES6_lENKUlvE_clEvENKUlvE4_clEvEUlS3_S3_E_EEvPT_PKSA_jjjSA_T0_,"axG",@progbits,_ZN2at6native32tensor_kernel_scan_innermost_dimIN3c108BFloat16EZZZNS0_31launch_logcumsumexp_cuda_kernelERKNS_10TensorBaseES6_lENKUlvE_clEvENKUlvE4_clEvEUlS3_S3_E_EEvPT_PKSA_jjjSA_T0_,comdat
.Lfunc_end521:
	.size	_ZN2at6native32tensor_kernel_scan_innermost_dimIN3c108BFloat16EZZZNS0_31launch_logcumsumexp_cuda_kernelERKNS_10TensorBaseES6_lENKUlvE_clEvENKUlvE4_clEvEUlS3_S3_E_EEvPT_PKSA_jjjSA_T0_, .Lfunc_end521-_ZN2at6native32tensor_kernel_scan_innermost_dimIN3c108BFloat16EZZZNS0_31launch_logcumsumexp_cuda_kernelERKNS_10TensorBaseES6_lENKUlvE_clEvENKUlvE4_clEvEUlS3_S3_E_EEvPT_PKSA_jjjSA_T0_
                                        ; -- End function
	.set _ZN2at6native32tensor_kernel_scan_innermost_dimIN3c108BFloat16EZZZNS0_31launch_logcumsumexp_cuda_kernelERKNS_10TensorBaseES6_lENKUlvE_clEvENKUlvE4_clEvEUlS3_S3_E_EEvPT_PKSA_jjjSA_T0_.num_vgpr, 32
	.set _ZN2at6native32tensor_kernel_scan_innermost_dimIN3c108BFloat16EZZZNS0_31launch_logcumsumexp_cuda_kernelERKNS_10TensorBaseES6_lENKUlvE_clEvENKUlvE4_clEvEUlS3_S3_E_EEvPT_PKSA_jjjSA_T0_.num_agpr, 0
	.set _ZN2at6native32tensor_kernel_scan_innermost_dimIN3c108BFloat16EZZZNS0_31launch_logcumsumexp_cuda_kernelERKNS_10TensorBaseES6_lENKUlvE_clEvENKUlvE4_clEvEUlS3_S3_E_EEvPT_PKSA_jjjSA_T0_.numbered_sgpr, 28
	.set _ZN2at6native32tensor_kernel_scan_innermost_dimIN3c108BFloat16EZZZNS0_31launch_logcumsumexp_cuda_kernelERKNS_10TensorBaseES6_lENKUlvE_clEvENKUlvE4_clEvEUlS3_S3_E_EEvPT_PKSA_jjjSA_T0_.num_named_barrier, 0
	.set _ZN2at6native32tensor_kernel_scan_innermost_dimIN3c108BFloat16EZZZNS0_31launch_logcumsumexp_cuda_kernelERKNS_10TensorBaseES6_lENKUlvE_clEvENKUlvE4_clEvEUlS3_S3_E_EEvPT_PKSA_jjjSA_T0_.private_seg_size, 0
	.set _ZN2at6native32tensor_kernel_scan_innermost_dimIN3c108BFloat16EZZZNS0_31launch_logcumsumexp_cuda_kernelERKNS_10TensorBaseES6_lENKUlvE_clEvENKUlvE4_clEvEUlS3_S3_E_EEvPT_PKSA_jjjSA_T0_.uses_vcc, 1
	.set _ZN2at6native32tensor_kernel_scan_innermost_dimIN3c108BFloat16EZZZNS0_31launch_logcumsumexp_cuda_kernelERKNS_10TensorBaseES6_lENKUlvE_clEvENKUlvE4_clEvEUlS3_S3_E_EEvPT_PKSA_jjjSA_T0_.uses_flat_scratch, 0
	.set _ZN2at6native32tensor_kernel_scan_innermost_dimIN3c108BFloat16EZZZNS0_31launch_logcumsumexp_cuda_kernelERKNS_10TensorBaseES6_lENKUlvE_clEvENKUlvE4_clEvEUlS3_S3_E_EEvPT_PKSA_jjjSA_T0_.has_dyn_sized_stack, 0
	.set _ZN2at6native32tensor_kernel_scan_innermost_dimIN3c108BFloat16EZZZNS0_31launch_logcumsumexp_cuda_kernelERKNS_10TensorBaseES6_lENKUlvE_clEvENKUlvE4_clEvEUlS3_S3_E_EEvPT_PKSA_jjjSA_T0_.has_recursion, 0
	.set _ZN2at6native32tensor_kernel_scan_innermost_dimIN3c108BFloat16EZZZNS0_31launch_logcumsumexp_cuda_kernelERKNS_10TensorBaseES6_lENKUlvE_clEvENKUlvE4_clEvEUlS3_S3_E_EEvPT_PKSA_jjjSA_T0_.has_indirect_call, 0
	.section	.AMDGPU.csdata,"",@progbits
; Kernel info:
; codeLenInByte = 4668
; TotalNumSgprs: 30
; NumVgprs: 32
; ScratchSize: 0
; MemoryBound: 0
; FloatMode: 240
; IeeeMode: 1
; LDSByteSize: 0 bytes/workgroup (compile time only)
; SGPRBlocks: 0
; VGPRBlocks: 3
; NumSGPRsForWavesPerEU: 30
; NumVGPRsForWavesPerEU: 32
; Occupancy: 16
; WaveLimiterHint : 0
; COMPUTE_PGM_RSRC2:SCRATCH_EN: 0
; COMPUTE_PGM_RSRC2:USER_SGPR: 6
; COMPUTE_PGM_RSRC2:TRAP_HANDLER: 0
; COMPUTE_PGM_RSRC2:TGID_X_EN: 1
; COMPUTE_PGM_RSRC2:TGID_Y_EN: 0
; COMPUTE_PGM_RSRC2:TGID_Z_EN: 0
; COMPUTE_PGM_RSRC2:TIDIG_COMP_CNT: 1
	.section	.text._ZN2at6native28tensor_kernel_scan_outer_dimIN3c108BFloat16EjZZZNS0_31launch_logcumsumexp_cuda_kernelERKNS_10TensorBaseES6_lENKUlvE_clEvENKUlvE4_clEvEUlS3_S3_E_EEvPT_PKSA_jjjSA_T1_,"axG",@progbits,_ZN2at6native28tensor_kernel_scan_outer_dimIN3c108BFloat16EjZZZNS0_31launch_logcumsumexp_cuda_kernelERKNS_10TensorBaseES6_lENKUlvE_clEvENKUlvE4_clEvEUlS3_S3_E_EEvPT_PKSA_jjjSA_T1_,comdat
	.globl	_ZN2at6native28tensor_kernel_scan_outer_dimIN3c108BFloat16EjZZZNS0_31launch_logcumsumexp_cuda_kernelERKNS_10TensorBaseES6_lENKUlvE_clEvENKUlvE4_clEvEUlS3_S3_E_EEvPT_PKSA_jjjSA_T1_ ; -- Begin function _ZN2at6native28tensor_kernel_scan_outer_dimIN3c108BFloat16EjZZZNS0_31launch_logcumsumexp_cuda_kernelERKNS_10TensorBaseES6_lENKUlvE_clEvENKUlvE4_clEvEUlS3_S3_E_EEvPT_PKSA_jjjSA_T1_
	.p2align	8
	.type	_ZN2at6native28tensor_kernel_scan_outer_dimIN3c108BFloat16EjZZZNS0_31launch_logcumsumexp_cuda_kernelERKNS_10TensorBaseES6_lENKUlvE_clEvENKUlvE4_clEvEUlS3_S3_E_EEvPT_PKSA_jjjSA_T1_,@function
_ZN2at6native28tensor_kernel_scan_outer_dimIN3c108BFloat16EjZZZNS0_31launch_logcumsumexp_cuda_kernelERKNS_10TensorBaseES6_lENKUlvE_clEvENKUlvE4_clEvEUlS3_S3_E_EEvPT_PKSA_jjjSA_T1_: ; @_ZN2at6native28tensor_kernel_scan_outer_dimIN3c108BFloat16EjZZZNS0_31launch_logcumsumexp_cuda_kernelERKNS_10TensorBaseES6_lENKUlvE_clEvENKUlvE4_clEvEUlS3_S3_E_EEvPT_PKSA_jjjSA_T1_
; %bb.0:
	s_load_dwordx4 s[8:11], s[4:5], 0x10
	s_waitcnt lgkmcnt(0)
	s_cmp_ge_u32 s6, s8
	s_cbranch_scc1 .LBB522_11
; %bb.1:
	s_clause 0x2
	s_load_dword s0, s[4:5], 0x2c
	s_load_dword s20, s[4:5], 0x20
	s_load_dwordx4 s[12:15], s[4:5], 0x0
	s_add_u32 s2, s4, 32
	s_addc_u32 s3, s5, 0
	s_mul_i32 s1, s6, s10
	v_mov_b32_e32 v2, 0
	v_mov_b32_e32 v3, 0x7fc0
	s_mov_b32 s17, 0
	s_mov_b32 s16, s9
	s_mul_i32 s1, s1, s9
	s_mov_b32 s23, 0x3e9b6dac
	s_waitcnt lgkmcnt(0)
	s_and_b32 s21, s0, 0xffff
	s_cmp_lg_u32 s10, 0
	v_mad_u64_u32 v[0:1], null, s7, s21, v[0:1]
	s_mul_i32 s7, s20, s10
	s_cselect_b32 s22, -1, 0
	s_mul_i32 s7, s7, s9
	s_lshl_b64 s[4:5], s[16:17], 1
	s_mov_b32 s16, s1
	v_cmp_gt_u32_e64 s0, s9, v0
	s_branch .LBB522_3
.LBB522_2:                              ;   in Loop: Header=BB522_3 Depth=1
	s_or_b32 exec_lo, exec_lo, s24
	s_add_i32 s6, s20, s6
	s_add_i32 s16, s16, s7
	s_cmp_ge_u32 s6, s8
	s_cbranch_scc1 .LBB522_11
.LBB522_3:                              ; =>This Loop Header: Depth=1
                                        ;     Child Loop BB522_6 Depth 2
                                        ;       Child Loop BB522_9 Depth 3
	s_and_saveexec_b32 s24, s0
	s_cbranch_execz .LBB522_2
; %bb.4:                                ;   in Loop: Header=BB522_3 Depth=1
	s_load_dword s25, s[2:3], 0x4
	v_mov_b32_e32 v1, v0
	s_lshl_b64 s[18:19], s[16:17], 1
	s_mov_b32 s26, 0
	s_waitcnt lgkmcnt(0)
	s_mul_i32 s25, s25, s21
	s_branch .LBB522_6
.LBB522_5:                              ;   in Loop: Header=BB522_6 Depth=2
	v_add_nc_u32_e32 v1, s25, v1
	v_cmp_le_u32_e32 vcc_lo, s9, v1
	s_or_b32 s26, vcc_lo, s26
	s_andn2_b32 exec_lo, exec_lo, s26
	s_cbranch_execz .LBB522_2
.LBB522_6:                              ;   Parent Loop BB522_3 Depth=1
                                        ; =>  This Loop Header: Depth=2
                                        ;       Child Loop BB522_9 Depth 3
	s_andn2_b32 vcc_lo, exec_lo, s22
	s_cbranch_vccnz .LBB522_5
; %bb.7:                                ;   in Loop: Header=BB522_6 Depth=2
	v_lshlrev_b64 v[4:5], 1, v[1:2]
	v_mov_b32_e32 v6, s11
	s_mov_b32 s27, s10
	v_add_co_u32 v4, vcc_lo, s18, v4
	v_add_co_ci_u32_e64 v5, null, s19, v5, vcc_lo
	s_branch .LBB522_9
.LBB522_8:                              ;   in Loop: Header=BB522_9 Depth=3
	s_or_b32 exec_lo, exec_lo, s1
	v_bfe_u32 v6, v7, 16, 1
	v_cmp_o_f32_e32 vcc_lo, v7, v7
	s_add_i32 s27, s27, -1
	s_cmp_eq_u32 s27, 0
	v_add3_u32 v6, v7, v6, 0x7fff
	v_add_co_u32 v7, s1, s12, v4
	v_add_co_ci_u32_e64 v8, null, s13, v5, s1
	v_cndmask_b32_sdwa v6, v3, v6, vcc_lo dst_sel:DWORD dst_unused:UNUSED_PAD src0_sel:DWORD src1_sel:WORD_1
	v_add_co_u32 v4, vcc_lo, v4, s4
	v_add_co_ci_u32_e64 v5, null, s5, v5, vcc_lo
	global_store_short v[7:8], v6, off
	s_cbranch_scc1 .LBB522_5
.LBB522_9:                              ;   Parent Loop BB522_3 Depth=1
                                        ;     Parent Loop BB522_6 Depth=2
                                        ; =>    This Inner Loop Header: Depth=3
	v_add_co_u32 v7, vcc_lo, s14, v4
	v_add_co_ci_u32_e64 v8, null, s15, v5, vcc_lo
	global_load_ushort v8, v[7:8], off
	v_lshlrev_b32_e32 v7, 16, v6
	v_cmp_u_f32_e32 vcc_lo, v7, v7
	s_waitcnt vmcnt(0)
	v_lshlrev_b32_e32 v6, 16, v8
	v_max_f32_e32 v8, v7, v7
	v_max_f32_e32 v9, v6, v6
	v_min_f32_e32 v10, v8, v9
	v_max_f32_e32 v8, v8, v9
	v_cndmask_b32_e32 v9, v10, v7, vcc_lo
	v_cndmask_b32_e32 v10, v8, v7, vcc_lo
	v_cmp_u_f32_e32 vcc_lo, v6, v6
	v_cndmask_b32_e32 v8, v9, v6, vcc_lo
	v_cndmask_b32_e32 v6, v10, v6, vcc_lo
	v_cmp_class_f32_e64 s1, v8, 0x1f8
	v_cmp_neq_f32_e32 vcc_lo, v8, v6
	s_or_b32 s28, vcc_lo, s1
	s_and_saveexec_b32 s1, s28
	s_cbranch_execz .LBB522_8
; %bb.10:                               ;   in Loop: Header=BB522_9 Depth=3
	v_sub_f32_e32 v7, v8, v6
	v_mul_f32_e32 v8, 0x3fb8aa3b, v7
	v_cmp_ngt_f32_e32 vcc_lo, 0xc2ce8ed0, v7
	v_fma_f32 v9, 0x3fb8aa3b, v7, -v8
	v_rndne_f32_e32 v10, v8
	v_fmac_f32_e32 v9, 0x32a5705f, v7
	v_sub_f32_e32 v8, v8, v10
	v_add_f32_e32 v8, v8, v9
	v_cvt_i32_f32_e32 v9, v10
	v_exp_f32_e32 v8, v8
	v_ldexp_f32 v8, v8, v9
	v_cndmask_b32_e32 v8, 0, v8, vcc_lo
	v_cmp_nlt_f32_e32 vcc_lo, 0x42b17218, v7
	v_cndmask_b32_e32 v9, 0x7f800000, v8, vcc_lo
	v_add_f32_e32 v10, 1.0, v9
	v_cvt_f64_f32_e32 v[7:8], v10
	v_frexp_exp_i32_f64_e32 v7, v[7:8]
	v_frexp_mant_f32_e32 v8, v10
	v_cmp_gt_f32_e32 vcc_lo, 0x3f2aaaab, v8
	v_add_f32_e32 v8, -1.0, v10
	v_sub_f32_e32 v12, v8, v10
	v_sub_f32_e32 v8, v9, v8
	v_add_f32_e32 v12, 1.0, v12
	v_add_f32_e32 v8, v8, v12
	v_subrev_co_ci_u32_e64 v7, null, 0, v7, vcc_lo
	v_cmp_neq_f32_e32 vcc_lo, 0x7f800000, v9
	v_sub_nc_u32_e32 v11, 0, v7
	v_cvt_f32_i32_e32 v7, v7
	v_ldexp_f32 v10, v10, v11
	v_ldexp_f32 v8, v8, v11
	v_add_f32_e32 v13, 1.0, v10
	v_add_f32_e32 v11, -1.0, v10
	v_add_f32_e32 v12, -1.0, v13
	v_add_f32_e32 v14, 1.0, v11
	v_sub_f32_e32 v12, v10, v12
	v_sub_f32_e32 v10, v10, v14
	v_add_f32_e32 v12, v8, v12
	v_add_f32_e32 v8, v8, v10
	;; [unrolled: 1-line block ×4, first 2 shown]
	v_rcp_f32_e32 v10, v14
	v_sub_f32_e32 v13, v13, v14
	v_sub_f32_e32 v11, v11, v15
	v_add_f32_e32 v12, v12, v13
	v_add_f32_e32 v8, v8, v11
	v_mul_f32_e32 v16, v15, v10
	v_mul_f32_e32 v17, v14, v16
	v_fma_f32 v13, v16, v14, -v17
	v_fmac_f32_e32 v13, v16, v12
	v_add_f32_e32 v18, v17, v13
	v_sub_f32_e32 v19, v15, v18
	v_sub_f32_e32 v11, v18, v17
	;; [unrolled: 1-line block ×5, first 2 shown]
	v_add_f32_e32 v8, v8, v15
	v_add_f32_e32 v8, v11, v8
	;; [unrolled: 1-line block ×3, first 2 shown]
	v_mul_f32_e32 v13, v10, v11
	v_sub_f32_e32 v18, v19, v11
	v_mul_f32_e32 v15, v14, v13
	v_add_f32_e32 v8, v8, v18
	v_fma_f32 v14, v13, v14, -v15
	v_fmac_f32_e32 v14, v13, v12
	v_add_f32_e32 v12, v15, v14
	v_sub_f32_e32 v17, v11, v12
	v_sub_f32_e32 v15, v12, v15
	v_sub_f32_e32 v11, v11, v17
	v_sub_f32_e32 v11, v11, v12
	v_sub_f32_e32 v12, v15, v14
	v_add_f32_e32 v8, v8, v11
	v_add_f32_e32 v11, v16, v13
	;; [unrolled: 1-line block ×3, first 2 shown]
	v_sub_f32_e32 v12, v11, v16
	v_add_f32_e32 v8, v17, v8
	v_sub_f32_e32 v12, v13, v12
	v_mul_f32_e32 v8, v10, v8
	v_add_f32_e32 v8, v12, v8
	v_add_f32_e32 v10, v11, v8
	v_mul_f32_e32 v12, v10, v10
	v_fmaak_f32 v13, s23, v12, 0x3ecc95a3
	v_mul_f32_e32 v14, v10, v12
	v_fmaak_f32 v12, v12, v13, 0x3f2aaada
	v_ldexp_f32 v13, v10, 1
	v_sub_f32_e32 v10, v10, v11
	v_mul_f32_e32 v12, v14, v12
	v_mul_f32_e32 v14, 0x3f317218, v7
	v_sub_f32_e32 v8, v8, v10
	v_add_f32_e32 v11, v13, v12
	v_ldexp_f32 v8, v8, 1
	v_sub_f32_e32 v10, v11, v13
	v_fma_f32 v13, 0x3f317218, v7, -v14
	v_sub_f32_e32 v10, v12, v10
	v_fmac_f32_e32 v13, 0xb102e308, v7
	v_add_f32_e32 v7, v8, v10
	v_add_f32_e32 v8, v14, v13
	;; [unrolled: 1-line block ×3, first 2 shown]
	v_sub_f32_e32 v14, v8, v14
	v_add_f32_e32 v12, v8, v10
	v_sub_f32_e32 v11, v10, v11
	v_sub_f32_e32 v13, v13, v14
	;; [unrolled: 1-line block ×6, first 2 shown]
	v_add_f32_e32 v11, v13, v7
	v_sub_f32_e32 v8, v8, v16
	v_add_f32_e32 v8, v10, v8
	v_sub_f32_e32 v10, v11, v13
	;; [unrolled: 2-line block ×3, first 2 shown]
	v_sub_f32_e32 v7, v7, v10
	v_add_f32_e32 v14, v12, v8
	v_sub_f32_e32 v11, v13, v11
	v_sub_f32_e32 v10, v14, v12
	v_add_f32_e32 v7, v7, v11
	v_sub_f32_e32 v8, v8, v10
	v_add_f32_e32 v7, v7, v8
	v_add_f32_e32 v7, v14, v7
	v_cndmask_b32_e32 v7, 0x7f800000, v7, vcc_lo
	v_cmp_gt_f32_e64 vcc_lo, 0x33800000, |v9|
	v_cndmask_b32_e32 v7, v7, v9, vcc_lo
	v_add_f32_e32 v7, v6, v7
	s_branch .LBB522_8
.LBB522_11:
	s_endpgm
	.section	.rodata,"a",@progbits
	.p2align	6, 0x0
	.amdhsa_kernel _ZN2at6native28tensor_kernel_scan_outer_dimIN3c108BFloat16EjZZZNS0_31launch_logcumsumexp_cuda_kernelERKNS_10TensorBaseES6_lENKUlvE_clEvENKUlvE4_clEvEUlS3_S3_E_EEvPT_PKSA_jjjSA_T1_
		.amdhsa_group_segment_fixed_size 0
		.amdhsa_private_segment_fixed_size 0
		.amdhsa_kernarg_size 288
		.amdhsa_user_sgpr_count 6
		.amdhsa_user_sgpr_private_segment_buffer 1
		.amdhsa_user_sgpr_dispatch_ptr 0
		.amdhsa_user_sgpr_queue_ptr 0
		.amdhsa_user_sgpr_kernarg_segment_ptr 1
		.amdhsa_user_sgpr_dispatch_id 0
		.amdhsa_user_sgpr_flat_scratch_init 0
		.amdhsa_user_sgpr_private_segment_size 0
		.amdhsa_wavefront_size32 1
		.amdhsa_uses_dynamic_stack 0
		.amdhsa_system_sgpr_private_segment_wavefront_offset 0
		.amdhsa_system_sgpr_workgroup_id_x 1
		.amdhsa_system_sgpr_workgroup_id_y 1
		.amdhsa_system_sgpr_workgroup_id_z 0
		.amdhsa_system_sgpr_workgroup_info 0
		.amdhsa_system_vgpr_workitem_id 0
		.amdhsa_next_free_vgpr 20
		.amdhsa_next_free_sgpr 29
		.amdhsa_reserve_vcc 1
		.amdhsa_reserve_flat_scratch 0
		.amdhsa_float_round_mode_32 0
		.amdhsa_float_round_mode_16_64 0
		.amdhsa_float_denorm_mode_32 3
		.amdhsa_float_denorm_mode_16_64 3
		.amdhsa_dx10_clamp 1
		.amdhsa_ieee_mode 1
		.amdhsa_fp16_overflow 0
		.amdhsa_workgroup_processor_mode 1
		.amdhsa_memory_ordered 1
		.amdhsa_forward_progress 1
		.amdhsa_shared_vgpr_count 0
		.amdhsa_exception_fp_ieee_invalid_op 0
		.amdhsa_exception_fp_denorm_src 0
		.amdhsa_exception_fp_ieee_div_zero 0
		.amdhsa_exception_fp_ieee_overflow 0
		.amdhsa_exception_fp_ieee_underflow 0
		.amdhsa_exception_fp_ieee_inexact 0
		.amdhsa_exception_int_div_zero 0
	.end_amdhsa_kernel
	.section	.text._ZN2at6native28tensor_kernel_scan_outer_dimIN3c108BFloat16EjZZZNS0_31launch_logcumsumexp_cuda_kernelERKNS_10TensorBaseES6_lENKUlvE_clEvENKUlvE4_clEvEUlS3_S3_E_EEvPT_PKSA_jjjSA_T1_,"axG",@progbits,_ZN2at6native28tensor_kernel_scan_outer_dimIN3c108BFloat16EjZZZNS0_31launch_logcumsumexp_cuda_kernelERKNS_10TensorBaseES6_lENKUlvE_clEvENKUlvE4_clEvEUlS3_S3_E_EEvPT_PKSA_jjjSA_T1_,comdat
.Lfunc_end522:
	.size	_ZN2at6native28tensor_kernel_scan_outer_dimIN3c108BFloat16EjZZZNS0_31launch_logcumsumexp_cuda_kernelERKNS_10TensorBaseES6_lENKUlvE_clEvENKUlvE4_clEvEUlS3_S3_E_EEvPT_PKSA_jjjSA_T1_, .Lfunc_end522-_ZN2at6native28tensor_kernel_scan_outer_dimIN3c108BFloat16EjZZZNS0_31launch_logcumsumexp_cuda_kernelERKNS_10TensorBaseES6_lENKUlvE_clEvENKUlvE4_clEvEUlS3_S3_E_EEvPT_PKSA_jjjSA_T1_
                                        ; -- End function
	.set _ZN2at6native28tensor_kernel_scan_outer_dimIN3c108BFloat16EjZZZNS0_31launch_logcumsumexp_cuda_kernelERKNS_10TensorBaseES6_lENKUlvE_clEvENKUlvE4_clEvEUlS3_S3_E_EEvPT_PKSA_jjjSA_T1_.num_vgpr, 20
	.set _ZN2at6native28tensor_kernel_scan_outer_dimIN3c108BFloat16EjZZZNS0_31launch_logcumsumexp_cuda_kernelERKNS_10TensorBaseES6_lENKUlvE_clEvENKUlvE4_clEvEUlS3_S3_E_EEvPT_PKSA_jjjSA_T1_.num_agpr, 0
	.set _ZN2at6native28tensor_kernel_scan_outer_dimIN3c108BFloat16EjZZZNS0_31launch_logcumsumexp_cuda_kernelERKNS_10TensorBaseES6_lENKUlvE_clEvENKUlvE4_clEvEUlS3_S3_E_EEvPT_PKSA_jjjSA_T1_.numbered_sgpr, 29
	.set _ZN2at6native28tensor_kernel_scan_outer_dimIN3c108BFloat16EjZZZNS0_31launch_logcumsumexp_cuda_kernelERKNS_10TensorBaseES6_lENKUlvE_clEvENKUlvE4_clEvEUlS3_S3_E_EEvPT_PKSA_jjjSA_T1_.num_named_barrier, 0
	.set _ZN2at6native28tensor_kernel_scan_outer_dimIN3c108BFloat16EjZZZNS0_31launch_logcumsumexp_cuda_kernelERKNS_10TensorBaseES6_lENKUlvE_clEvENKUlvE4_clEvEUlS3_S3_E_EEvPT_PKSA_jjjSA_T1_.private_seg_size, 0
	.set _ZN2at6native28tensor_kernel_scan_outer_dimIN3c108BFloat16EjZZZNS0_31launch_logcumsumexp_cuda_kernelERKNS_10TensorBaseES6_lENKUlvE_clEvENKUlvE4_clEvEUlS3_S3_E_EEvPT_PKSA_jjjSA_T1_.uses_vcc, 1
	.set _ZN2at6native28tensor_kernel_scan_outer_dimIN3c108BFloat16EjZZZNS0_31launch_logcumsumexp_cuda_kernelERKNS_10TensorBaseES6_lENKUlvE_clEvENKUlvE4_clEvEUlS3_S3_E_EEvPT_PKSA_jjjSA_T1_.uses_flat_scratch, 0
	.set _ZN2at6native28tensor_kernel_scan_outer_dimIN3c108BFloat16EjZZZNS0_31launch_logcumsumexp_cuda_kernelERKNS_10TensorBaseES6_lENKUlvE_clEvENKUlvE4_clEvEUlS3_S3_E_EEvPT_PKSA_jjjSA_T1_.has_dyn_sized_stack, 0
	.set _ZN2at6native28tensor_kernel_scan_outer_dimIN3c108BFloat16EjZZZNS0_31launch_logcumsumexp_cuda_kernelERKNS_10TensorBaseES6_lENKUlvE_clEvENKUlvE4_clEvEUlS3_S3_E_EEvPT_PKSA_jjjSA_T1_.has_recursion, 0
	.set _ZN2at6native28tensor_kernel_scan_outer_dimIN3c108BFloat16EjZZZNS0_31launch_logcumsumexp_cuda_kernelERKNS_10TensorBaseES6_lENKUlvE_clEvENKUlvE4_clEvEUlS3_S3_E_EEvPT_PKSA_jjjSA_T1_.has_indirect_call, 0
	.section	.AMDGPU.csdata,"",@progbits
; Kernel info:
; codeLenInByte = 1068
; TotalNumSgprs: 31
; NumVgprs: 20
; ScratchSize: 0
; MemoryBound: 0
; FloatMode: 240
; IeeeMode: 1
; LDSByteSize: 0 bytes/workgroup (compile time only)
; SGPRBlocks: 0
; VGPRBlocks: 2
; NumSGPRsForWavesPerEU: 31
; NumVGPRsForWavesPerEU: 20
; Occupancy: 16
; WaveLimiterHint : 0
; COMPUTE_PGM_RSRC2:SCRATCH_EN: 0
; COMPUTE_PGM_RSRC2:USER_SGPR: 6
; COMPUTE_PGM_RSRC2:TRAP_HANDLER: 0
; COMPUTE_PGM_RSRC2:TGID_X_EN: 1
; COMPUTE_PGM_RSRC2:TGID_Y_EN: 1
; COMPUTE_PGM_RSRC2:TGID_Z_EN: 0
; COMPUTE_PGM_RSRC2:TIDIG_COMP_CNT: 0
	.section	.text._ZN2at6native28tensor_kernel_scan_outer_dimIN3c108BFloat16EmZZZNS0_31launch_logcumsumexp_cuda_kernelERKNS_10TensorBaseES6_lENKUlvE_clEvENKUlvE4_clEvEUlS3_S3_E_EEvPT_PKSA_jjjSA_T1_,"axG",@progbits,_ZN2at6native28tensor_kernel_scan_outer_dimIN3c108BFloat16EmZZZNS0_31launch_logcumsumexp_cuda_kernelERKNS_10TensorBaseES6_lENKUlvE_clEvENKUlvE4_clEvEUlS3_S3_E_EEvPT_PKSA_jjjSA_T1_,comdat
	.globl	_ZN2at6native28tensor_kernel_scan_outer_dimIN3c108BFloat16EmZZZNS0_31launch_logcumsumexp_cuda_kernelERKNS_10TensorBaseES6_lENKUlvE_clEvENKUlvE4_clEvEUlS3_S3_E_EEvPT_PKSA_jjjSA_T1_ ; -- Begin function _ZN2at6native28tensor_kernel_scan_outer_dimIN3c108BFloat16EmZZZNS0_31launch_logcumsumexp_cuda_kernelERKNS_10TensorBaseES6_lENKUlvE_clEvENKUlvE4_clEvEUlS3_S3_E_EEvPT_PKSA_jjjSA_T1_
	.p2align	8
	.type	_ZN2at6native28tensor_kernel_scan_outer_dimIN3c108BFloat16EmZZZNS0_31launch_logcumsumexp_cuda_kernelERKNS_10TensorBaseES6_lENKUlvE_clEvENKUlvE4_clEvEUlS3_S3_E_EEvPT_PKSA_jjjSA_T1_,@function
_ZN2at6native28tensor_kernel_scan_outer_dimIN3c108BFloat16EmZZZNS0_31launch_logcumsumexp_cuda_kernelERKNS_10TensorBaseES6_lENKUlvE_clEvENKUlvE4_clEvEUlS3_S3_E_EEvPT_PKSA_jjjSA_T1_: ; @_ZN2at6native28tensor_kernel_scan_outer_dimIN3c108BFloat16EmZZZNS0_31launch_logcumsumexp_cuda_kernelERKNS_10TensorBaseES6_lENKUlvE_clEvENKUlvE4_clEvEUlS3_S3_E_EEvPT_PKSA_jjjSA_T1_
; %bb.0:
	s_load_dwordx4 s[8:11], s[4:5], 0x10
	s_waitcnt lgkmcnt(0)
	s_cmp_ge_u32 s6, s8
	s_cbranch_scc1 .LBB523_11
; %bb.1:
	s_clause 0x2
	s_load_dword s0, s[4:5], 0x2c
	s_load_dwordx4 s[12:15], s[4:5], 0x0
	s_load_dword s18, s[4:5], 0x20
	s_add_u32 s2, s4, 32
	s_addc_u32 s3, s5, 0
	v_mov_b32_e32 v2, 0
	v_mov_b32_e32 v3, 0x7fc0
	s_mov_b32 s17, 0
	s_mov_b32 s16, s9
	s_mul_hi_u32 s5, s10, s9
	s_mul_i32 s4, s10, s9
	s_mov_b32 s20, 0x3e9b6dac
	s_waitcnt lgkmcnt(0)
	s_and_b32 s19, s0, 0xffff
	s_cmp_lg_u32 s10, 0
	v_mad_u64_u32 v[0:1], null, s7, s19, v[0:1]
	s_cselect_b32 s7, -1, 0
	s_lshl_b64 s[4:5], s[4:5], 1
	s_lshl_b64 s[16:17], s[16:17], 1
	v_cmp_gt_u32_e64 s0, s9, v0
	s_branch .LBB523_3
.LBB523_2:                              ;   in Loop: Header=BB523_3 Depth=1
	s_or_b32 exec_lo, exec_lo, s21
	s_add_i32 s6, s6, s18
	s_cmp_ge_u32 s6, s8
	s_cbranch_scc1 .LBB523_11
.LBB523_3:                              ; =>This Loop Header: Depth=1
                                        ;     Child Loop BB523_6 Depth 2
                                        ;       Child Loop BB523_9 Depth 3
	s_and_saveexec_b32 s21, s0
	s_cbranch_execz .LBB523_2
; %bb.4:                                ;   in Loop: Header=BB523_3 Depth=1
	s_load_dword s24, s[2:3], 0x4
	v_mov_b32_e32 v1, v0
	s_mul_i32 s1, s5, s6
	s_mul_hi_u32 s23, s4, s6
	s_mul_i32 s22, s4, s6
	s_add_i32 s23, s23, s1
	s_mov_b32 s25, 0
	s_waitcnt lgkmcnt(0)
	s_mul_i32 s24, s24, s19
	s_branch .LBB523_6
.LBB523_5:                              ;   in Loop: Header=BB523_6 Depth=2
	v_add_nc_u32_e32 v1, s24, v1
	v_cmp_le_u32_e32 vcc_lo, s9, v1
	s_or_b32 s25, vcc_lo, s25
	s_andn2_b32 exec_lo, exec_lo, s25
	s_cbranch_execz .LBB523_2
.LBB523_6:                              ;   Parent Loop BB523_3 Depth=1
                                        ; =>  This Loop Header: Depth=2
                                        ;       Child Loop BB523_9 Depth 3
	s_andn2_b32 vcc_lo, exec_lo, s7
	s_cbranch_vccnz .LBB523_5
; %bb.7:                                ;   in Loop: Header=BB523_6 Depth=2
	v_lshlrev_b64 v[4:5], 1, v[1:2]
	v_mov_b32_e32 v6, s11
	s_mov_b32 s26, s10
	v_add_co_u32 v4, vcc_lo, s22, v4
	v_add_co_ci_u32_e64 v5, null, s23, v5, vcc_lo
	s_branch .LBB523_9
.LBB523_8:                              ;   in Loop: Header=BB523_9 Depth=3
	s_or_b32 exec_lo, exec_lo, s1
	v_bfe_u32 v6, v7, 16, 1
	v_cmp_o_f32_e32 vcc_lo, v7, v7
	s_add_i32 s26, s26, -1
	s_cmp_eq_u32 s26, 0
	v_add3_u32 v6, v7, v6, 0x7fff
	v_add_co_u32 v7, s1, s12, v4
	v_add_co_ci_u32_e64 v8, null, s13, v5, s1
	v_cndmask_b32_sdwa v6, v3, v6, vcc_lo dst_sel:DWORD dst_unused:UNUSED_PAD src0_sel:DWORD src1_sel:WORD_1
	v_add_co_u32 v4, vcc_lo, v4, s16
	v_add_co_ci_u32_e64 v5, null, s17, v5, vcc_lo
	global_store_short v[7:8], v6, off
	s_cbranch_scc1 .LBB523_5
.LBB523_9:                              ;   Parent Loop BB523_3 Depth=1
                                        ;     Parent Loop BB523_6 Depth=2
                                        ; =>    This Inner Loop Header: Depth=3
	v_add_co_u32 v7, vcc_lo, s14, v4
	v_add_co_ci_u32_e64 v8, null, s15, v5, vcc_lo
	global_load_ushort v8, v[7:8], off
	v_lshlrev_b32_e32 v7, 16, v6
	v_cmp_u_f32_e32 vcc_lo, v7, v7
	s_waitcnt vmcnt(0)
	v_lshlrev_b32_e32 v6, 16, v8
	v_max_f32_e32 v8, v7, v7
	v_max_f32_e32 v9, v6, v6
	v_min_f32_e32 v10, v8, v9
	v_max_f32_e32 v8, v8, v9
	v_cndmask_b32_e32 v9, v10, v7, vcc_lo
	v_cndmask_b32_e32 v10, v8, v7, vcc_lo
	v_cmp_u_f32_e32 vcc_lo, v6, v6
	v_cndmask_b32_e32 v8, v9, v6, vcc_lo
	v_cndmask_b32_e32 v6, v10, v6, vcc_lo
	v_cmp_class_f32_e64 s1, v8, 0x1f8
	v_cmp_neq_f32_e32 vcc_lo, v8, v6
	s_or_b32 s27, vcc_lo, s1
	s_and_saveexec_b32 s1, s27
	s_cbranch_execz .LBB523_8
; %bb.10:                               ;   in Loop: Header=BB523_9 Depth=3
	v_sub_f32_e32 v7, v8, v6
	v_mul_f32_e32 v8, 0x3fb8aa3b, v7
	v_cmp_ngt_f32_e32 vcc_lo, 0xc2ce8ed0, v7
	v_fma_f32 v9, 0x3fb8aa3b, v7, -v8
	v_rndne_f32_e32 v10, v8
	v_fmac_f32_e32 v9, 0x32a5705f, v7
	v_sub_f32_e32 v8, v8, v10
	v_add_f32_e32 v8, v8, v9
	v_cvt_i32_f32_e32 v9, v10
	v_exp_f32_e32 v8, v8
	v_ldexp_f32 v8, v8, v9
	v_cndmask_b32_e32 v8, 0, v8, vcc_lo
	v_cmp_nlt_f32_e32 vcc_lo, 0x42b17218, v7
	v_cndmask_b32_e32 v9, 0x7f800000, v8, vcc_lo
	v_add_f32_e32 v10, 1.0, v9
	v_cvt_f64_f32_e32 v[7:8], v10
	v_frexp_exp_i32_f64_e32 v7, v[7:8]
	v_frexp_mant_f32_e32 v8, v10
	v_cmp_gt_f32_e32 vcc_lo, 0x3f2aaaab, v8
	v_add_f32_e32 v8, -1.0, v10
	v_sub_f32_e32 v12, v8, v10
	v_sub_f32_e32 v8, v9, v8
	v_add_f32_e32 v12, 1.0, v12
	v_add_f32_e32 v8, v8, v12
	v_subrev_co_ci_u32_e64 v7, null, 0, v7, vcc_lo
	v_cmp_neq_f32_e32 vcc_lo, 0x7f800000, v9
	v_sub_nc_u32_e32 v11, 0, v7
	v_cvt_f32_i32_e32 v7, v7
	v_ldexp_f32 v10, v10, v11
	v_ldexp_f32 v8, v8, v11
	v_add_f32_e32 v13, 1.0, v10
	v_add_f32_e32 v11, -1.0, v10
	v_add_f32_e32 v12, -1.0, v13
	v_add_f32_e32 v14, 1.0, v11
	v_sub_f32_e32 v12, v10, v12
	v_sub_f32_e32 v10, v10, v14
	v_add_f32_e32 v12, v8, v12
	v_add_f32_e32 v8, v8, v10
	;; [unrolled: 1-line block ×4, first 2 shown]
	v_rcp_f32_e32 v10, v14
	v_sub_f32_e32 v13, v13, v14
	v_sub_f32_e32 v11, v11, v15
	v_add_f32_e32 v12, v12, v13
	v_add_f32_e32 v8, v8, v11
	v_mul_f32_e32 v16, v15, v10
	v_mul_f32_e32 v17, v14, v16
	v_fma_f32 v13, v16, v14, -v17
	v_fmac_f32_e32 v13, v16, v12
	v_add_f32_e32 v18, v17, v13
	v_sub_f32_e32 v19, v15, v18
	v_sub_f32_e32 v11, v18, v17
	;; [unrolled: 1-line block ×5, first 2 shown]
	v_add_f32_e32 v8, v8, v15
	v_add_f32_e32 v8, v11, v8
	;; [unrolled: 1-line block ×3, first 2 shown]
	v_mul_f32_e32 v13, v10, v11
	v_sub_f32_e32 v18, v19, v11
	v_mul_f32_e32 v15, v14, v13
	v_add_f32_e32 v8, v8, v18
	v_fma_f32 v14, v13, v14, -v15
	v_fmac_f32_e32 v14, v13, v12
	v_add_f32_e32 v12, v15, v14
	v_sub_f32_e32 v17, v11, v12
	v_sub_f32_e32 v15, v12, v15
	;; [unrolled: 1-line block ×5, first 2 shown]
	v_add_f32_e32 v8, v8, v11
	v_add_f32_e32 v11, v16, v13
	;; [unrolled: 1-line block ×3, first 2 shown]
	v_sub_f32_e32 v12, v11, v16
	v_add_f32_e32 v8, v17, v8
	v_sub_f32_e32 v12, v13, v12
	v_mul_f32_e32 v8, v10, v8
	v_add_f32_e32 v8, v12, v8
	v_add_f32_e32 v10, v11, v8
	v_mul_f32_e32 v12, v10, v10
	v_fmaak_f32 v13, s20, v12, 0x3ecc95a3
	v_mul_f32_e32 v14, v10, v12
	v_fmaak_f32 v12, v12, v13, 0x3f2aaada
	v_ldexp_f32 v13, v10, 1
	v_sub_f32_e32 v10, v10, v11
	v_mul_f32_e32 v12, v14, v12
	v_mul_f32_e32 v14, 0x3f317218, v7
	v_sub_f32_e32 v8, v8, v10
	v_add_f32_e32 v11, v13, v12
	v_ldexp_f32 v8, v8, 1
	v_sub_f32_e32 v10, v11, v13
	v_fma_f32 v13, 0x3f317218, v7, -v14
	v_sub_f32_e32 v10, v12, v10
	v_fmac_f32_e32 v13, 0xb102e308, v7
	v_add_f32_e32 v7, v8, v10
	v_add_f32_e32 v8, v14, v13
	;; [unrolled: 1-line block ×3, first 2 shown]
	v_sub_f32_e32 v14, v8, v14
	v_add_f32_e32 v12, v8, v10
	v_sub_f32_e32 v11, v10, v11
	v_sub_f32_e32 v13, v13, v14
	;; [unrolled: 1-line block ×6, first 2 shown]
	v_add_f32_e32 v11, v13, v7
	v_sub_f32_e32 v8, v8, v16
	v_add_f32_e32 v8, v10, v8
	v_sub_f32_e32 v10, v11, v13
	v_add_f32_e32 v8, v11, v8
	v_sub_f32_e32 v11, v11, v10
	v_sub_f32_e32 v7, v7, v10
	v_add_f32_e32 v14, v12, v8
	v_sub_f32_e32 v11, v13, v11
	v_sub_f32_e32 v10, v14, v12
	v_add_f32_e32 v7, v7, v11
	v_sub_f32_e32 v8, v8, v10
	v_add_f32_e32 v7, v7, v8
	v_add_f32_e32 v7, v14, v7
	v_cndmask_b32_e32 v7, 0x7f800000, v7, vcc_lo
	v_cmp_gt_f32_e64 vcc_lo, 0x33800000, |v9|
	v_cndmask_b32_e32 v7, v7, v9, vcc_lo
	v_add_f32_e32 v7, v6, v7
	s_branch .LBB523_8
.LBB523_11:
	s_endpgm
	.section	.rodata,"a",@progbits
	.p2align	6, 0x0
	.amdhsa_kernel _ZN2at6native28tensor_kernel_scan_outer_dimIN3c108BFloat16EmZZZNS0_31launch_logcumsumexp_cuda_kernelERKNS_10TensorBaseES6_lENKUlvE_clEvENKUlvE4_clEvEUlS3_S3_E_EEvPT_PKSA_jjjSA_T1_
		.amdhsa_group_segment_fixed_size 0
		.amdhsa_private_segment_fixed_size 0
		.amdhsa_kernarg_size 288
		.amdhsa_user_sgpr_count 6
		.amdhsa_user_sgpr_private_segment_buffer 1
		.amdhsa_user_sgpr_dispatch_ptr 0
		.amdhsa_user_sgpr_queue_ptr 0
		.amdhsa_user_sgpr_kernarg_segment_ptr 1
		.amdhsa_user_sgpr_dispatch_id 0
		.amdhsa_user_sgpr_flat_scratch_init 0
		.amdhsa_user_sgpr_private_segment_size 0
		.amdhsa_wavefront_size32 1
		.amdhsa_uses_dynamic_stack 0
		.amdhsa_system_sgpr_private_segment_wavefront_offset 0
		.amdhsa_system_sgpr_workgroup_id_x 1
		.amdhsa_system_sgpr_workgroup_id_y 1
		.amdhsa_system_sgpr_workgroup_id_z 0
		.amdhsa_system_sgpr_workgroup_info 0
		.amdhsa_system_vgpr_workitem_id 0
		.amdhsa_next_free_vgpr 20
		.amdhsa_next_free_sgpr 28
		.amdhsa_reserve_vcc 1
		.amdhsa_reserve_flat_scratch 0
		.amdhsa_float_round_mode_32 0
		.amdhsa_float_round_mode_16_64 0
		.amdhsa_float_denorm_mode_32 3
		.amdhsa_float_denorm_mode_16_64 3
		.amdhsa_dx10_clamp 1
		.amdhsa_ieee_mode 1
		.amdhsa_fp16_overflow 0
		.amdhsa_workgroup_processor_mode 1
		.amdhsa_memory_ordered 1
		.amdhsa_forward_progress 1
		.amdhsa_shared_vgpr_count 0
		.amdhsa_exception_fp_ieee_invalid_op 0
		.amdhsa_exception_fp_denorm_src 0
		.amdhsa_exception_fp_ieee_div_zero 0
		.amdhsa_exception_fp_ieee_overflow 0
		.amdhsa_exception_fp_ieee_underflow 0
		.amdhsa_exception_fp_ieee_inexact 0
		.amdhsa_exception_int_div_zero 0
	.end_amdhsa_kernel
	.section	.text._ZN2at6native28tensor_kernel_scan_outer_dimIN3c108BFloat16EmZZZNS0_31launch_logcumsumexp_cuda_kernelERKNS_10TensorBaseES6_lENKUlvE_clEvENKUlvE4_clEvEUlS3_S3_E_EEvPT_PKSA_jjjSA_T1_,"axG",@progbits,_ZN2at6native28tensor_kernel_scan_outer_dimIN3c108BFloat16EmZZZNS0_31launch_logcumsumexp_cuda_kernelERKNS_10TensorBaseES6_lENKUlvE_clEvENKUlvE4_clEvEUlS3_S3_E_EEvPT_PKSA_jjjSA_T1_,comdat
.Lfunc_end523:
	.size	_ZN2at6native28tensor_kernel_scan_outer_dimIN3c108BFloat16EmZZZNS0_31launch_logcumsumexp_cuda_kernelERKNS_10TensorBaseES6_lENKUlvE_clEvENKUlvE4_clEvEUlS3_S3_E_EEvPT_PKSA_jjjSA_T1_, .Lfunc_end523-_ZN2at6native28tensor_kernel_scan_outer_dimIN3c108BFloat16EmZZZNS0_31launch_logcumsumexp_cuda_kernelERKNS_10TensorBaseES6_lENKUlvE_clEvENKUlvE4_clEvEUlS3_S3_E_EEvPT_PKSA_jjjSA_T1_
                                        ; -- End function
	.set _ZN2at6native28tensor_kernel_scan_outer_dimIN3c108BFloat16EmZZZNS0_31launch_logcumsumexp_cuda_kernelERKNS_10TensorBaseES6_lENKUlvE_clEvENKUlvE4_clEvEUlS3_S3_E_EEvPT_PKSA_jjjSA_T1_.num_vgpr, 20
	.set _ZN2at6native28tensor_kernel_scan_outer_dimIN3c108BFloat16EmZZZNS0_31launch_logcumsumexp_cuda_kernelERKNS_10TensorBaseES6_lENKUlvE_clEvENKUlvE4_clEvEUlS3_S3_E_EEvPT_PKSA_jjjSA_T1_.num_agpr, 0
	.set _ZN2at6native28tensor_kernel_scan_outer_dimIN3c108BFloat16EmZZZNS0_31launch_logcumsumexp_cuda_kernelERKNS_10TensorBaseES6_lENKUlvE_clEvENKUlvE4_clEvEUlS3_S3_E_EEvPT_PKSA_jjjSA_T1_.numbered_sgpr, 28
	.set _ZN2at6native28tensor_kernel_scan_outer_dimIN3c108BFloat16EmZZZNS0_31launch_logcumsumexp_cuda_kernelERKNS_10TensorBaseES6_lENKUlvE_clEvENKUlvE4_clEvEUlS3_S3_E_EEvPT_PKSA_jjjSA_T1_.num_named_barrier, 0
	.set _ZN2at6native28tensor_kernel_scan_outer_dimIN3c108BFloat16EmZZZNS0_31launch_logcumsumexp_cuda_kernelERKNS_10TensorBaseES6_lENKUlvE_clEvENKUlvE4_clEvEUlS3_S3_E_EEvPT_PKSA_jjjSA_T1_.private_seg_size, 0
	.set _ZN2at6native28tensor_kernel_scan_outer_dimIN3c108BFloat16EmZZZNS0_31launch_logcumsumexp_cuda_kernelERKNS_10TensorBaseES6_lENKUlvE_clEvENKUlvE4_clEvEUlS3_S3_E_EEvPT_PKSA_jjjSA_T1_.uses_vcc, 1
	.set _ZN2at6native28tensor_kernel_scan_outer_dimIN3c108BFloat16EmZZZNS0_31launch_logcumsumexp_cuda_kernelERKNS_10TensorBaseES6_lENKUlvE_clEvENKUlvE4_clEvEUlS3_S3_E_EEvPT_PKSA_jjjSA_T1_.uses_flat_scratch, 0
	.set _ZN2at6native28tensor_kernel_scan_outer_dimIN3c108BFloat16EmZZZNS0_31launch_logcumsumexp_cuda_kernelERKNS_10TensorBaseES6_lENKUlvE_clEvENKUlvE4_clEvEUlS3_S3_E_EEvPT_PKSA_jjjSA_T1_.has_dyn_sized_stack, 0
	.set _ZN2at6native28tensor_kernel_scan_outer_dimIN3c108BFloat16EmZZZNS0_31launch_logcumsumexp_cuda_kernelERKNS_10TensorBaseES6_lENKUlvE_clEvENKUlvE4_clEvEUlS3_S3_E_EEvPT_PKSA_jjjSA_T1_.has_recursion, 0
	.set _ZN2at6native28tensor_kernel_scan_outer_dimIN3c108BFloat16EmZZZNS0_31launch_logcumsumexp_cuda_kernelERKNS_10TensorBaseES6_lENKUlvE_clEvENKUlvE4_clEvEUlS3_S3_E_EEvPT_PKSA_jjjSA_T1_.has_indirect_call, 0
	.section	.AMDGPU.csdata,"",@progbits
; Kernel info:
; codeLenInByte = 1068
; TotalNumSgprs: 30
; NumVgprs: 20
; ScratchSize: 0
; MemoryBound: 0
; FloatMode: 240
; IeeeMode: 1
; LDSByteSize: 0 bytes/workgroup (compile time only)
; SGPRBlocks: 0
; VGPRBlocks: 2
; NumSGPRsForWavesPerEU: 30
; NumVGPRsForWavesPerEU: 20
; Occupancy: 16
; WaveLimiterHint : 0
; COMPUTE_PGM_RSRC2:SCRATCH_EN: 0
; COMPUTE_PGM_RSRC2:USER_SGPR: 6
; COMPUTE_PGM_RSRC2:TRAP_HANDLER: 0
; COMPUTE_PGM_RSRC2:TGID_X_EN: 1
; COMPUTE_PGM_RSRC2:TGID_Y_EN: 1
; COMPUTE_PGM_RSRC2:TGID_Z_EN: 0
; COMPUTE_PGM_RSRC2:TIDIG_COMP_CNT: 0
	.text
	.p2alignl 6, 3214868480
	.fill 48, 4, 3214868480
	.section	.AMDGPU.gpr_maximums,"",@progbits
	.set amdgpu.max_num_vgpr, 86
	.set amdgpu.max_num_agpr, 0
	.set amdgpu.max_num_sgpr, 42
	.text
	.type	__hip_cuid_8d5a6001f8da6a3d,@object ; @__hip_cuid_8d5a6001f8da6a3d
	.section	.bss,"aw",@nobits
	.globl	__hip_cuid_8d5a6001f8da6a3d
__hip_cuid_8d5a6001f8da6a3d:
	.byte	0                               ; 0x0
	.size	__hip_cuid_8d5a6001f8da6a3d, 1

	.ident	"AMD clang version 22.0.0git (https://github.com/RadeonOpenCompute/llvm-project roc-7.2.4 26084 f58b06dce1f9c15707c5f808fd002e18c2accf7e)"
	.section	".note.GNU-stack","",@progbits
	.addrsig
	.addrsig_sym __hip_cuid_8d5a6001f8da6a3d
	.amdgpu_metadata
---
amdhsa.kernels:
  - .args:
      - .address_space:  global
        .offset:         0
        .size:           8
        .value_kind:     global_buffer
      - .offset:         8
        .size:           4
        .value_kind:     by_value
      - .offset:         12
        .size:           1
        .value_kind:     by_value
      - .offset:         16
        .size:           4
        .value_kind:     by_value
      - .address_space:  global
        .offset:         24
        .size:           8
        .value_kind:     global_buffer
      - .offset:         32
        .size:           4
        .value_kind:     hidden_block_count_x
      - .offset:         36
        .size:           4
        .value_kind:     hidden_block_count_y
      - .offset:         40
        .size:           4
        .value_kind:     hidden_block_count_z
      - .offset:         44
        .size:           2
        .value_kind:     hidden_group_size_x
      - .offset:         46
        .size:           2
        .value_kind:     hidden_group_size_y
      - .offset:         48
        .size:           2
        .value_kind:     hidden_group_size_z
      - .offset:         50
        .size:           2
        .value_kind:     hidden_remainder_x
      - .offset:         52
        .size:           2
        .value_kind:     hidden_remainder_y
      - .offset:         54
        .size:           2
        .value_kind:     hidden_remainder_z
      - .offset:         72
        .size:           8
        .value_kind:     hidden_global_offset_x
      - .offset:         80
        .size:           8
        .value_kind:     hidden_global_offset_y
      - .offset:         88
        .size:           8
        .value_kind:     hidden_global_offset_z
      - .offset:         96
        .size:           2
        .value_kind:     hidden_grid_dims
    .group_segment_fixed_size: 0
    .kernarg_segment_align: 8
    .kernarg_segment_size: 288
    .language:       OpenCL C
    .language_version:
      - 2
      - 0
    .max_flat_workgroup_size: 256
    .name:           _ZN7rocprim17ROCPRIM_400000_NS6detail31init_lookback_scan_state_kernelINS1_19lookback_scan_stateIdLb0ELb1EEENS1_16block_id_wrapperIjLb0EEEEEvT_jT0_jPNS7_10value_typeE
    .private_segment_fixed_size: 0
    .sgpr_count:     11
    .sgpr_spill_count: 0
    .symbol:         _ZN7rocprim17ROCPRIM_400000_NS6detail31init_lookback_scan_state_kernelINS1_19lookback_scan_stateIdLb0ELb1EEENS1_16block_id_wrapperIjLb0EEEEEvT_jT0_jPNS7_10value_typeE.kd
    .uniform_work_group_size: 1
    .uses_dynamic_stack: false
    .vgpr_count:     8
    .vgpr_spill_count: 0
    .wavefront_size: 32
    .workgroup_processor_mode: 1
  - .args:
      - .offset:         0
        .size:           104
        .value_kind:     by_value
    .group_segment_fixed_size: 0
    .kernarg_segment_align: 8
    .kernarg_segment_size: 104
    .language:       OpenCL C
    .language_version:
      - 2
      - 0
    .max_flat_workgroup_size: 256
    .name:           _ZN7rocprim17ROCPRIM_400000_NS6detail17trampoline_kernelINS0_14default_configENS1_20scan_config_selectorIdEEZZNS1_9scan_implILNS1_25lookback_scan_determinismE0ELb0ELb0ES3_PKdPddZZZN2at6native31launch_logcumsumexp_cuda_kernelERKNSB_10TensorBaseESF_lENKUlvE_clEvENKUlvE_clEvEUlddE_dEEDaPvRmT3_T4_T5_mT6_P12ihipStream_tbENKUlT_T0_E_clISt17integral_constantIbLb0EESW_EEDaSR_SS_EUlSR_E_NS1_11comp_targetILNS1_3genE0ELNS1_11target_archE4294967295ELNS1_3gpuE0ELNS1_3repE0EEENS1_30default_config_static_selectorELNS0_4arch9wavefront6targetE0EEEvT1_
    .private_segment_fixed_size: 0
    .sgpr_count:     0
    .sgpr_spill_count: 0
    .symbol:         _ZN7rocprim17ROCPRIM_400000_NS6detail17trampoline_kernelINS0_14default_configENS1_20scan_config_selectorIdEEZZNS1_9scan_implILNS1_25lookback_scan_determinismE0ELb0ELb0ES3_PKdPddZZZN2at6native31launch_logcumsumexp_cuda_kernelERKNSB_10TensorBaseESF_lENKUlvE_clEvENKUlvE_clEvEUlddE_dEEDaPvRmT3_T4_T5_mT6_P12ihipStream_tbENKUlT_T0_E_clISt17integral_constantIbLb0EESW_EEDaSR_SS_EUlSR_E_NS1_11comp_targetILNS1_3genE0ELNS1_11target_archE4294967295ELNS1_3gpuE0ELNS1_3repE0EEENS1_30default_config_static_selectorELNS0_4arch9wavefront6targetE0EEEvT1_.kd
    .uniform_work_group_size: 1
    .uses_dynamic_stack: false
    .vgpr_count:     0
    .vgpr_spill_count: 0
    .wavefront_size: 32
    .workgroup_processor_mode: 1
  - .args:
      - .offset:         0
        .size:           104
        .value_kind:     by_value
    .group_segment_fixed_size: 0
    .kernarg_segment_align: 8
    .kernarg_segment_size: 104
    .language:       OpenCL C
    .language_version:
      - 2
      - 0
    .max_flat_workgroup_size: 256
    .name:           _ZN7rocprim17ROCPRIM_400000_NS6detail17trampoline_kernelINS0_14default_configENS1_20scan_config_selectorIdEEZZNS1_9scan_implILNS1_25lookback_scan_determinismE0ELb0ELb0ES3_PKdPddZZZN2at6native31launch_logcumsumexp_cuda_kernelERKNSB_10TensorBaseESF_lENKUlvE_clEvENKUlvE_clEvEUlddE_dEEDaPvRmT3_T4_T5_mT6_P12ihipStream_tbENKUlT_T0_E_clISt17integral_constantIbLb0EESW_EEDaSR_SS_EUlSR_E_NS1_11comp_targetILNS1_3genE5ELNS1_11target_archE942ELNS1_3gpuE9ELNS1_3repE0EEENS1_30default_config_static_selectorELNS0_4arch9wavefront6targetE0EEEvT1_
    .private_segment_fixed_size: 0
    .sgpr_count:     0
    .sgpr_spill_count: 0
    .symbol:         _ZN7rocprim17ROCPRIM_400000_NS6detail17trampoline_kernelINS0_14default_configENS1_20scan_config_selectorIdEEZZNS1_9scan_implILNS1_25lookback_scan_determinismE0ELb0ELb0ES3_PKdPddZZZN2at6native31launch_logcumsumexp_cuda_kernelERKNSB_10TensorBaseESF_lENKUlvE_clEvENKUlvE_clEvEUlddE_dEEDaPvRmT3_T4_T5_mT6_P12ihipStream_tbENKUlT_T0_E_clISt17integral_constantIbLb0EESW_EEDaSR_SS_EUlSR_E_NS1_11comp_targetILNS1_3genE5ELNS1_11target_archE942ELNS1_3gpuE9ELNS1_3repE0EEENS1_30default_config_static_selectorELNS0_4arch9wavefront6targetE0EEEvT1_.kd
    .uniform_work_group_size: 1
    .uses_dynamic_stack: false
    .vgpr_count:     0
    .vgpr_spill_count: 0
    .wavefront_size: 32
    .workgroup_processor_mode: 1
  - .args:
      - .offset:         0
        .size:           104
        .value_kind:     by_value
    .group_segment_fixed_size: 0
    .kernarg_segment_align: 8
    .kernarg_segment_size: 104
    .language:       OpenCL C
    .language_version:
      - 2
      - 0
    .max_flat_workgroup_size: 128
    .name:           _ZN7rocprim17ROCPRIM_400000_NS6detail17trampoline_kernelINS0_14default_configENS1_20scan_config_selectorIdEEZZNS1_9scan_implILNS1_25lookback_scan_determinismE0ELb0ELb0ES3_PKdPddZZZN2at6native31launch_logcumsumexp_cuda_kernelERKNSB_10TensorBaseESF_lENKUlvE_clEvENKUlvE_clEvEUlddE_dEEDaPvRmT3_T4_T5_mT6_P12ihipStream_tbENKUlT_T0_E_clISt17integral_constantIbLb0EESW_EEDaSR_SS_EUlSR_E_NS1_11comp_targetILNS1_3genE4ELNS1_11target_archE910ELNS1_3gpuE8ELNS1_3repE0EEENS1_30default_config_static_selectorELNS0_4arch9wavefront6targetE0EEEvT1_
    .private_segment_fixed_size: 0
    .sgpr_count:     0
    .sgpr_spill_count: 0
    .symbol:         _ZN7rocprim17ROCPRIM_400000_NS6detail17trampoline_kernelINS0_14default_configENS1_20scan_config_selectorIdEEZZNS1_9scan_implILNS1_25lookback_scan_determinismE0ELb0ELb0ES3_PKdPddZZZN2at6native31launch_logcumsumexp_cuda_kernelERKNSB_10TensorBaseESF_lENKUlvE_clEvENKUlvE_clEvEUlddE_dEEDaPvRmT3_T4_T5_mT6_P12ihipStream_tbENKUlT_T0_E_clISt17integral_constantIbLb0EESW_EEDaSR_SS_EUlSR_E_NS1_11comp_targetILNS1_3genE4ELNS1_11target_archE910ELNS1_3gpuE8ELNS1_3repE0EEENS1_30default_config_static_selectorELNS0_4arch9wavefront6targetE0EEEvT1_.kd
    .uniform_work_group_size: 1
    .uses_dynamic_stack: false
    .vgpr_count:     0
    .vgpr_spill_count: 0
    .wavefront_size: 32
    .workgroup_processor_mode: 1
  - .args:
      - .offset:         0
        .size:           104
        .value_kind:     by_value
    .group_segment_fixed_size: 0
    .kernarg_segment_align: 8
    .kernarg_segment_size: 104
    .language:       OpenCL C
    .language_version:
      - 2
      - 0
    .max_flat_workgroup_size: 256
    .name:           _ZN7rocprim17ROCPRIM_400000_NS6detail17trampoline_kernelINS0_14default_configENS1_20scan_config_selectorIdEEZZNS1_9scan_implILNS1_25lookback_scan_determinismE0ELb0ELb0ES3_PKdPddZZZN2at6native31launch_logcumsumexp_cuda_kernelERKNSB_10TensorBaseESF_lENKUlvE_clEvENKUlvE_clEvEUlddE_dEEDaPvRmT3_T4_T5_mT6_P12ihipStream_tbENKUlT_T0_E_clISt17integral_constantIbLb0EESW_EEDaSR_SS_EUlSR_E_NS1_11comp_targetILNS1_3genE3ELNS1_11target_archE908ELNS1_3gpuE7ELNS1_3repE0EEENS1_30default_config_static_selectorELNS0_4arch9wavefront6targetE0EEEvT1_
    .private_segment_fixed_size: 0
    .sgpr_count:     0
    .sgpr_spill_count: 0
    .symbol:         _ZN7rocprim17ROCPRIM_400000_NS6detail17trampoline_kernelINS0_14default_configENS1_20scan_config_selectorIdEEZZNS1_9scan_implILNS1_25lookback_scan_determinismE0ELb0ELb0ES3_PKdPddZZZN2at6native31launch_logcumsumexp_cuda_kernelERKNSB_10TensorBaseESF_lENKUlvE_clEvENKUlvE_clEvEUlddE_dEEDaPvRmT3_T4_T5_mT6_P12ihipStream_tbENKUlT_T0_E_clISt17integral_constantIbLb0EESW_EEDaSR_SS_EUlSR_E_NS1_11comp_targetILNS1_3genE3ELNS1_11target_archE908ELNS1_3gpuE7ELNS1_3repE0EEENS1_30default_config_static_selectorELNS0_4arch9wavefront6targetE0EEEvT1_.kd
    .uniform_work_group_size: 1
    .uses_dynamic_stack: false
    .vgpr_count:     0
    .vgpr_spill_count: 0
    .wavefront_size: 32
    .workgroup_processor_mode: 1
  - .args:
      - .offset:         0
        .size:           104
        .value_kind:     by_value
    .group_segment_fixed_size: 0
    .kernarg_segment_align: 8
    .kernarg_segment_size: 104
    .language:       OpenCL C
    .language_version:
      - 2
      - 0
    .max_flat_workgroup_size: 128
    .name:           _ZN7rocprim17ROCPRIM_400000_NS6detail17trampoline_kernelINS0_14default_configENS1_20scan_config_selectorIdEEZZNS1_9scan_implILNS1_25lookback_scan_determinismE0ELb0ELb0ES3_PKdPddZZZN2at6native31launch_logcumsumexp_cuda_kernelERKNSB_10TensorBaseESF_lENKUlvE_clEvENKUlvE_clEvEUlddE_dEEDaPvRmT3_T4_T5_mT6_P12ihipStream_tbENKUlT_T0_E_clISt17integral_constantIbLb0EESW_EEDaSR_SS_EUlSR_E_NS1_11comp_targetILNS1_3genE2ELNS1_11target_archE906ELNS1_3gpuE6ELNS1_3repE0EEENS1_30default_config_static_selectorELNS0_4arch9wavefront6targetE0EEEvT1_
    .private_segment_fixed_size: 0
    .sgpr_count:     0
    .sgpr_spill_count: 0
    .symbol:         _ZN7rocprim17ROCPRIM_400000_NS6detail17trampoline_kernelINS0_14default_configENS1_20scan_config_selectorIdEEZZNS1_9scan_implILNS1_25lookback_scan_determinismE0ELb0ELb0ES3_PKdPddZZZN2at6native31launch_logcumsumexp_cuda_kernelERKNSB_10TensorBaseESF_lENKUlvE_clEvENKUlvE_clEvEUlddE_dEEDaPvRmT3_T4_T5_mT6_P12ihipStream_tbENKUlT_T0_E_clISt17integral_constantIbLb0EESW_EEDaSR_SS_EUlSR_E_NS1_11comp_targetILNS1_3genE2ELNS1_11target_archE906ELNS1_3gpuE6ELNS1_3repE0EEENS1_30default_config_static_selectorELNS0_4arch9wavefront6targetE0EEEvT1_.kd
    .uniform_work_group_size: 1
    .uses_dynamic_stack: false
    .vgpr_count:     0
    .vgpr_spill_count: 0
    .wavefront_size: 32
    .workgroup_processor_mode: 1
  - .args:
      - .offset:         0
        .size:           104
        .value_kind:     by_value
    .group_segment_fixed_size: 0
    .kernarg_segment_align: 8
    .kernarg_segment_size: 104
    .language:       OpenCL C
    .language_version:
      - 2
      - 0
    .max_flat_workgroup_size: 256
    .name:           _ZN7rocprim17ROCPRIM_400000_NS6detail17trampoline_kernelINS0_14default_configENS1_20scan_config_selectorIdEEZZNS1_9scan_implILNS1_25lookback_scan_determinismE0ELb0ELb0ES3_PKdPddZZZN2at6native31launch_logcumsumexp_cuda_kernelERKNSB_10TensorBaseESF_lENKUlvE_clEvENKUlvE_clEvEUlddE_dEEDaPvRmT3_T4_T5_mT6_P12ihipStream_tbENKUlT_T0_E_clISt17integral_constantIbLb0EESW_EEDaSR_SS_EUlSR_E_NS1_11comp_targetILNS1_3genE10ELNS1_11target_archE1201ELNS1_3gpuE5ELNS1_3repE0EEENS1_30default_config_static_selectorELNS0_4arch9wavefront6targetE0EEEvT1_
    .private_segment_fixed_size: 0
    .sgpr_count:     0
    .sgpr_spill_count: 0
    .symbol:         _ZN7rocprim17ROCPRIM_400000_NS6detail17trampoline_kernelINS0_14default_configENS1_20scan_config_selectorIdEEZZNS1_9scan_implILNS1_25lookback_scan_determinismE0ELb0ELb0ES3_PKdPddZZZN2at6native31launch_logcumsumexp_cuda_kernelERKNSB_10TensorBaseESF_lENKUlvE_clEvENKUlvE_clEvEUlddE_dEEDaPvRmT3_T4_T5_mT6_P12ihipStream_tbENKUlT_T0_E_clISt17integral_constantIbLb0EESW_EEDaSR_SS_EUlSR_E_NS1_11comp_targetILNS1_3genE10ELNS1_11target_archE1201ELNS1_3gpuE5ELNS1_3repE0EEENS1_30default_config_static_selectorELNS0_4arch9wavefront6targetE0EEEvT1_.kd
    .uniform_work_group_size: 1
    .uses_dynamic_stack: false
    .vgpr_count:     0
    .vgpr_spill_count: 0
    .wavefront_size: 32
    .workgroup_processor_mode: 1
  - .args:
      - .offset:         0
        .size:           104
        .value_kind:     by_value
    .group_segment_fixed_size: 0
    .kernarg_segment_align: 8
    .kernarg_segment_size: 104
    .language:       OpenCL C
    .language_version:
      - 2
      - 0
    .max_flat_workgroup_size: 256
    .name:           _ZN7rocprim17ROCPRIM_400000_NS6detail17trampoline_kernelINS0_14default_configENS1_20scan_config_selectorIdEEZZNS1_9scan_implILNS1_25lookback_scan_determinismE0ELb0ELb0ES3_PKdPddZZZN2at6native31launch_logcumsumexp_cuda_kernelERKNSB_10TensorBaseESF_lENKUlvE_clEvENKUlvE_clEvEUlddE_dEEDaPvRmT3_T4_T5_mT6_P12ihipStream_tbENKUlT_T0_E_clISt17integral_constantIbLb0EESW_EEDaSR_SS_EUlSR_E_NS1_11comp_targetILNS1_3genE10ELNS1_11target_archE1200ELNS1_3gpuE4ELNS1_3repE0EEENS1_30default_config_static_selectorELNS0_4arch9wavefront6targetE0EEEvT1_
    .private_segment_fixed_size: 0
    .sgpr_count:     0
    .sgpr_spill_count: 0
    .symbol:         _ZN7rocprim17ROCPRIM_400000_NS6detail17trampoline_kernelINS0_14default_configENS1_20scan_config_selectorIdEEZZNS1_9scan_implILNS1_25lookback_scan_determinismE0ELb0ELb0ES3_PKdPddZZZN2at6native31launch_logcumsumexp_cuda_kernelERKNSB_10TensorBaseESF_lENKUlvE_clEvENKUlvE_clEvEUlddE_dEEDaPvRmT3_T4_T5_mT6_P12ihipStream_tbENKUlT_T0_E_clISt17integral_constantIbLb0EESW_EEDaSR_SS_EUlSR_E_NS1_11comp_targetILNS1_3genE10ELNS1_11target_archE1200ELNS1_3gpuE4ELNS1_3repE0EEENS1_30default_config_static_selectorELNS0_4arch9wavefront6targetE0EEEvT1_.kd
    .uniform_work_group_size: 1
    .uses_dynamic_stack: false
    .vgpr_count:     0
    .vgpr_spill_count: 0
    .wavefront_size: 32
    .workgroup_processor_mode: 1
  - .args:
      - .offset:         0
        .size:           104
        .value_kind:     by_value
    .group_segment_fixed_size: 0
    .kernarg_segment_align: 8
    .kernarg_segment_size: 104
    .language:       OpenCL C
    .language_version:
      - 2
      - 0
    .max_flat_workgroup_size: 256
    .name:           _ZN7rocprim17ROCPRIM_400000_NS6detail17trampoline_kernelINS0_14default_configENS1_20scan_config_selectorIdEEZZNS1_9scan_implILNS1_25lookback_scan_determinismE0ELb0ELb0ES3_PKdPddZZZN2at6native31launch_logcumsumexp_cuda_kernelERKNSB_10TensorBaseESF_lENKUlvE_clEvENKUlvE_clEvEUlddE_dEEDaPvRmT3_T4_T5_mT6_P12ihipStream_tbENKUlT_T0_E_clISt17integral_constantIbLb0EESW_EEDaSR_SS_EUlSR_E_NS1_11comp_targetILNS1_3genE9ELNS1_11target_archE1100ELNS1_3gpuE3ELNS1_3repE0EEENS1_30default_config_static_selectorELNS0_4arch9wavefront6targetE0EEEvT1_
    .private_segment_fixed_size: 0
    .sgpr_count:     0
    .sgpr_spill_count: 0
    .symbol:         _ZN7rocprim17ROCPRIM_400000_NS6detail17trampoline_kernelINS0_14default_configENS1_20scan_config_selectorIdEEZZNS1_9scan_implILNS1_25lookback_scan_determinismE0ELb0ELb0ES3_PKdPddZZZN2at6native31launch_logcumsumexp_cuda_kernelERKNSB_10TensorBaseESF_lENKUlvE_clEvENKUlvE_clEvEUlddE_dEEDaPvRmT3_T4_T5_mT6_P12ihipStream_tbENKUlT_T0_E_clISt17integral_constantIbLb0EESW_EEDaSR_SS_EUlSR_E_NS1_11comp_targetILNS1_3genE9ELNS1_11target_archE1100ELNS1_3gpuE3ELNS1_3repE0EEENS1_30default_config_static_selectorELNS0_4arch9wavefront6targetE0EEEvT1_.kd
    .uniform_work_group_size: 1
    .uses_dynamic_stack: false
    .vgpr_count:     0
    .vgpr_spill_count: 0
    .wavefront_size: 32
    .workgroup_processor_mode: 1
  - .args:
      - .offset:         0
        .size:           104
        .value_kind:     by_value
    .group_segment_fixed_size: 14336
    .kernarg_segment_align: 8
    .kernarg_segment_size: 104
    .language:       OpenCL C
    .language_version:
      - 2
      - 0
    .max_flat_workgroup_size: 128
    .name:           _ZN7rocprim17ROCPRIM_400000_NS6detail17trampoline_kernelINS0_14default_configENS1_20scan_config_selectorIdEEZZNS1_9scan_implILNS1_25lookback_scan_determinismE0ELb0ELb0ES3_PKdPddZZZN2at6native31launch_logcumsumexp_cuda_kernelERKNSB_10TensorBaseESF_lENKUlvE_clEvENKUlvE_clEvEUlddE_dEEDaPvRmT3_T4_T5_mT6_P12ihipStream_tbENKUlT_T0_E_clISt17integral_constantIbLb0EESW_EEDaSR_SS_EUlSR_E_NS1_11comp_targetILNS1_3genE8ELNS1_11target_archE1030ELNS1_3gpuE2ELNS1_3repE0EEENS1_30default_config_static_selectorELNS0_4arch9wavefront6targetE0EEEvT1_
    .private_segment_fixed_size: 0
    .sgpr_count:     89
    .sgpr_spill_count: 0
    .symbol:         _ZN7rocprim17ROCPRIM_400000_NS6detail17trampoline_kernelINS0_14default_configENS1_20scan_config_selectorIdEEZZNS1_9scan_implILNS1_25lookback_scan_determinismE0ELb0ELb0ES3_PKdPddZZZN2at6native31launch_logcumsumexp_cuda_kernelERKNSB_10TensorBaseESF_lENKUlvE_clEvENKUlvE_clEvEUlddE_dEEDaPvRmT3_T4_T5_mT6_P12ihipStream_tbENKUlT_T0_E_clISt17integral_constantIbLb0EESW_EEDaSR_SS_EUlSR_E_NS1_11comp_targetILNS1_3genE8ELNS1_11target_archE1030ELNS1_3gpuE2ELNS1_3repE0EEENS1_30default_config_static_selectorELNS0_4arch9wavefront6targetE0EEEvT1_.kd
    .uniform_work_group_size: 1
    .uses_dynamic_stack: false
    .vgpr_count:     110
    .vgpr_spill_count: 0
    .wavefront_size: 32
    .workgroup_processor_mode: 1
  - .args:
      - .offset:         0
        .size:           40
        .value_kind:     by_value
    .group_segment_fixed_size: 0
    .kernarg_segment_align: 8
    .kernarg_segment_size: 40
    .language:       OpenCL C
    .language_version:
      - 2
      - 0
    .max_flat_workgroup_size: 128
    .name:           _ZN7rocprim17ROCPRIM_400000_NS6detail17trampoline_kernelINS0_14default_configENS1_25transform_config_selectorIdLb1EEEZNS1_14transform_implILb1ES3_S5_PdS7_NS0_8identityIdEEEE10hipError_tT2_T3_mT4_P12ihipStream_tbEUlT_E_NS1_11comp_targetILNS1_3genE0ELNS1_11target_archE4294967295ELNS1_3gpuE0ELNS1_3repE0EEENS1_30default_config_static_selectorELNS0_4arch9wavefront6targetE0EEEvT1_
    .private_segment_fixed_size: 0
    .sgpr_count:     0
    .sgpr_spill_count: 0
    .symbol:         _ZN7rocprim17ROCPRIM_400000_NS6detail17trampoline_kernelINS0_14default_configENS1_25transform_config_selectorIdLb1EEEZNS1_14transform_implILb1ES3_S5_PdS7_NS0_8identityIdEEEE10hipError_tT2_T3_mT4_P12ihipStream_tbEUlT_E_NS1_11comp_targetILNS1_3genE0ELNS1_11target_archE4294967295ELNS1_3gpuE0ELNS1_3repE0EEENS1_30default_config_static_selectorELNS0_4arch9wavefront6targetE0EEEvT1_.kd
    .uniform_work_group_size: 1
    .uses_dynamic_stack: false
    .vgpr_count:     0
    .vgpr_spill_count: 0
    .wavefront_size: 32
    .workgroup_processor_mode: 1
  - .args:
      - .offset:         0
        .size:           40
        .value_kind:     by_value
    .group_segment_fixed_size: 0
    .kernarg_segment_align: 8
    .kernarg_segment_size: 40
    .language:       OpenCL C
    .language_version:
      - 2
      - 0
    .max_flat_workgroup_size: 1024
    .name:           _ZN7rocprim17ROCPRIM_400000_NS6detail17trampoline_kernelINS0_14default_configENS1_25transform_config_selectorIdLb1EEEZNS1_14transform_implILb1ES3_S5_PdS7_NS0_8identityIdEEEE10hipError_tT2_T3_mT4_P12ihipStream_tbEUlT_E_NS1_11comp_targetILNS1_3genE10ELNS1_11target_archE1201ELNS1_3gpuE5ELNS1_3repE0EEENS1_30default_config_static_selectorELNS0_4arch9wavefront6targetE0EEEvT1_
    .private_segment_fixed_size: 0
    .sgpr_count:     0
    .sgpr_spill_count: 0
    .symbol:         _ZN7rocprim17ROCPRIM_400000_NS6detail17trampoline_kernelINS0_14default_configENS1_25transform_config_selectorIdLb1EEEZNS1_14transform_implILb1ES3_S5_PdS7_NS0_8identityIdEEEE10hipError_tT2_T3_mT4_P12ihipStream_tbEUlT_E_NS1_11comp_targetILNS1_3genE10ELNS1_11target_archE1201ELNS1_3gpuE5ELNS1_3repE0EEENS1_30default_config_static_selectorELNS0_4arch9wavefront6targetE0EEEvT1_.kd
    .uniform_work_group_size: 1
    .uses_dynamic_stack: false
    .vgpr_count:     0
    .vgpr_spill_count: 0
    .wavefront_size: 32
    .workgroup_processor_mode: 1
  - .args:
      - .offset:         0
        .size:           40
        .value_kind:     by_value
    .group_segment_fixed_size: 0
    .kernarg_segment_align: 8
    .kernarg_segment_size: 40
    .language:       OpenCL C
    .language_version:
      - 2
      - 0
    .max_flat_workgroup_size: 1024
    .name:           _ZN7rocprim17ROCPRIM_400000_NS6detail17trampoline_kernelINS0_14default_configENS1_25transform_config_selectorIdLb1EEEZNS1_14transform_implILb1ES3_S5_PdS7_NS0_8identityIdEEEE10hipError_tT2_T3_mT4_P12ihipStream_tbEUlT_E_NS1_11comp_targetILNS1_3genE5ELNS1_11target_archE942ELNS1_3gpuE9ELNS1_3repE0EEENS1_30default_config_static_selectorELNS0_4arch9wavefront6targetE0EEEvT1_
    .private_segment_fixed_size: 0
    .sgpr_count:     0
    .sgpr_spill_count: 0
    .symbol:         _ZN7rocprim17ROCPRIM_400000_NS6detail17trampoline_kernelINS0_14default_configENS1_25transform_config_selectorIdLb1EEEZNS1_14transform_implILb1ES3_S5_PdS7_NS0_8identityIdEEEE10hipError_tT2_T3_mT4_P12ihipStream_tbEUlT_E_NS1_11comp_targetILNS1_3genE5ELNS1_11target_archE942ELNS1_3gpuE9ELNS1_3repE0EEENS1_30default_config_static_selectorELNS0_4arch9wavefront6targetE0EEEvT1_.kd
    .uniform_work_group_size: 1
    .uses_dynamic_stack: false
    .vgpr_count:     0
    .vgpr_spill_count: 0
    .wavefront_size: 32
    .workgroup_processor_mode: 1
  - .args:
      - .offset:         0
        .size:           40
        .value_kind:     by_value
    .group_segment_fixed_size: 0
    .kernarg_segment_align: 8
    .kernarg_segment_size: 40
    .language:       OpenCL C
    .language_version:
      - 2
      - 0
    .max_flat_workgroup_size: 1024
    .name:           _ZN7rocprim17ROCPRIM_400000_NS6detail17trampoline_kernelINS0_14default_configENS1_25transform_config_selectorIdLb1EEEZNS1_14transform_implILb1ES3_S5_PdS7_NS0_8identityIdEEEE10hipError_tT2_T3_mT4_P12ihipStream_tbEUlT_E_NS1_11comp_targetILNS1_3genE4ELNS1_11target_archE910ELNS1_3gpuE8ELNS1_3repE0EEENS1_30default_config_static_selectorELNS0_4arch9wavefront6targetE0EEEvT1_
    .private_segment_fixed_size: 0
    .sgpr_count:     0
    .sgpr_spill_count: 0
    .symbol:         _ZN7rocprim17ROCPRIM_400000_NS6detail17trampoline_kernelINS0_14default_configENS1_25transform_config_selectorIdLb1EEEZNS1_14transform_implILb1ES3_S5_PdS7_NS0_8identityIdEEEE10hipError_tT2_T3_mT4_P12ihipStream_tbEUlT_E_NS1_11comp_targetILNS1_3genE4ELNS1_11target_archE910ELNS1_3gpuE8ELNS1_3repE0EEENS1_30default_config_static_selectorELNS0_4arch9wavefront6targetE0EEEvT1_.kd
    .uniform_work_group_size: 1
    .uses_dynamic_stack: false
    .vgpr_count:     0
    .vgpr_spill_count: 0
    .wavefront_size: 32
    .workgroup_processor_mode: 1
  - .args:
      - .offset:         0
        .size:           40
        .value_kind:     by_value
    .group_segment_fixed_size: 0
    .kernarg_segment_align: 8
    .kernarg_segment_size: 40
    .language:       OpenCL C
    .language_version:
      - 2
      - 0
    .max_flat_workgroup_size: 128
    .name:           _ZN7rocprim17ROCPRIM_400000_NS6detail17trampoline_kernelINS0_14default_configENS1_25transform_config_selectorIdLb1EEEZNS1_14transform_implILb1ES3_S5_PdS7_NS0_8identityIdEEEE10hipError_tT2_T3_mT4_P12ihipStream_tbEUlT_E_NS1_11comp_targetILNS1_3genE3ELNS1_11target_archE908ELNS1_3gpuE7ELNS1_3repE0EEENS1_30default_config_static_selectorELNS0_4arch9wavefront6targetE0EEEvT1_
    .private_segment_fixed_size: 0
    .sgpr_count:     0
    .sgpr_spill_count: 0
    .symbol:         _ZN7rocprim17ROCPRIM_400000_NS6detail17trampoline_kernelINS0_14default_configENS1_25transform_config_selectorIdLb1EEEZNS1_14transform_implILb1ES3_S5_PdS7_NS0_8identityIdEEEE10hipError_tT2_T3_mT4_P12ihipStream_tbEUlT_E_NS1_11comp_targetILNS1_3genE3ELNS1_11target_archE908ELNS1_3gpuE7ELNS1_3repE0EEENS1_30default_config_static_selectorELNS0_4arch9wavefront6targetE0EEEvT1_.kd
    .uniform_work_group_size: 1
    .uses_dynamic_stack: false
    .vgpr_count:     0
    .vgpr_spill_count: 0
    .wavefront_size: 32
    .workgroup_processor_mode: 1
  - .args:
      - .offset:         0
        .size:           40
        .value_kind:     by_value
    .group_segment_fixed_size: 0
    .kernarg_segment_align: 8
    .kernarg_segment_size: 40
    .language:       OpenCL C
    .language_version:
      - 2
      - 0
    .max_flat_workgroup_size: 1024
    .name:           _ZN7rocprim17ROCPRIM_400000_NS6detail17trampoline_kernelINS0_14default_configENS1_25transform_config_selectorIdLb1EEEZNS1_14transform_implILb1ES3_S5_PdS7_NS0_8identityIdEEEE10hipError_tT2_T3_mT4_P12ihipStream_tbEUlT_E_NS1_11comp_targetILNS1_3genE2ELNS1_11target_archE906ELNS1_3gpuE6ELNS1_3repE0EEENS1_30default_config_static_selectorELNS0_4arch9wavefront6targetE0EEEvT1_
    .private_segment_fixed_size: 0
    .sgpr_count:     0
    .sgpr_spill_count: 0
    .symbol:         _ZN7rocprim17ROCPRIM_400000_NS6detail17trampoline_kernelINS0_14default_configENS1_25transform_config_selectorIdLb1EEEZNS1_14transform_implILb1ES3_S5_PdS7_NS0_8identityIdEEEE10hipError_tT2_T3_mT4_P12ihipStream_tbEUlT_E_NS1_11comp_targetILNS1_3genE2ELNS1_11target_archE906ELNS1_3gpuE6ELNS1_3repE0EEENS1_30default_config_static_selectorELNS0_4arch9wavefront6targetE0EEEvT1_.kd
    .uniform_work_group_size: 1
    .uses_dynamic_stack: false
    .vgpr_count:     0
    .vgpr_spill_count: 0
    .wavefront_size: 32
    .workgroup_processor_mode: 1
  - .args:
      - .offset:         0
        .size:           40
        .value_kind:     by_value
    .group_segment_fixed_size: 0
    .kernarg_segment_align: 8
    .kernarg_segment_size: 40
    .language:       OpenCL C
    .language_version:
      - 2
      - 0
    .max_flat_workgroup_size: 1024
    .name:           _ZN7rocprim17ROCPRIM_400000_NS6detail17trampoline_kernelINS0_14default_configENS1_25transform_config_selectorIdLb1EEEZNS1_14transform_implILb1ES3_S5_PdS7_NS0_8identityIdEEEE10hipError_tT2_T3_mT4_P12ihipStream_tbEUlT_E_NS1_11comp_targetILNS1_3genE9ELNS1_11target_archE1100ELNS1_3gpuE3ELNS1_3repE0EEENS1_30default_config_static_selectorELNS0_4arch9wavefront6targetE0EEEvT1_
    .private_segment_fixed_size: 0
    .sgpr_count:     0
    .sgpr_spill_count: 0
    .symbol:         _ZN7rocprim17ROCPRIM_400000_NS6detail17trampoline_kernelINS0_14default_configENS1_25transform_config_selectorIdLb1EEEZNS1_14transform_implILb1ES3_S5_PdS7_NS0_8identityIdEEEE10hipError_tT2_T3_mT4_P12ihipStream_tbEUlT_E_NS1_11comp_targetILNS1_3genE9ELNS1_11target_archE1100ELNS1_3gpuE3ELNS1_3repE0EEENS1_30default_config_static_selectorELNS0_4arch9wavefront6targetE0EEEvT1_.kd
    .uniform_work_group_size: 1
    .uses_dynamic_stack: false
    .vgpr_count:     0
    .vgpr_spill_count: 0
    .wavefront_size: 32
    .workgroup_processor_mode: 1
  - .args:
      - .offset:         0
        .size:           40
        .value_kind:     by_value
      - .offset:         40
        .size:           4
        .value_kind:     hidden_block_count_x
      - .offset:         44
        .size:           4
        .value_kind:     hidden_block_count_y
      - .offset:         48
        .size:           4
        .value_kind:     hidden_block_count_z
      - .offset:         52
        .size:           2
        .value_kind:     hidden_group_size_x
      - .offset:         54
        .size:           2
        .value_kind:     hidden_group_size_y
      - .offset:         56
        .size:           2
        .value_kind:     hidden_group_size_z
      - .offset:         58
        .size:           2
        .value_kind:     hidden_remainder_x
      - .offset:         60
        .size:           2
        .value_kind:     hidden_remainder_y
      - .offset:         62
        .size:           2
        .value_kind:     hidden_remainder_z
      - .offset:         80
        .size:           8
        .value_kind:     hidden_global_offset_x
      - .offset:         88
        .size:           8
        .value_kind:     hidden_global_offset_y
      - .offset:         96
        .size:           8
        .value_kind:     hidden_global_offset_z
      - .offset:         104
        .size:           2
        .value_kind:     hidden_grid_dims
    .group_segment_fixed_size: 0
    .kernarg_segment_align: 8
    .kernarg_segment_size: 296
    .language:       OpenCL C
    .language_version:
      - 2
      - 0
    .max_flat_workgroup_size: 1024
    .name:           _ZN7rocprim17ROCPRIM_400000_NS6detail17trampoline_kernelINS0_14default_configENS1_25transform_config_selectorIdLb1EEEZNS1_14transform_implILb1ES3_S5_PdS7_NS0_8identityIdEEEE10hipError_tT2_T3_mT4_P12ihipStream_tbEUlT_E_NS1_11comp_targetILNS1_3genE8ELNS1_11target_archE1030ELNS1_3gpuE2ELNS1_3repE0EEENS1_30default_config_static_selectorELNS0_4arch9wavefront6targetE0EEEvT1_
    .private_segment_fixed_size: 0
    .sgpr_count:     14
    .sgpr_spill_count: 0
    .symbol:         _ZN7rocprim17ROCPRIM_400000_NS6detail17trampoline_kernelINS0_14default_configENS1_25transform_config_selectorIdLb1EEEZNS1_14transform_implILb1ES3_S5_PdS7_NS0_8identityIdEEEE10hipError_tT2_T3_mT4_P12ihipStream_tbEUlT_E_NS1_11comp_targetILNS1_3genE8ELNS1_11target_archE1030ELNS1_3gpuE2ELNS1_3repE0EEENS1_30default_config_static_selectorELNS0_4arch9wavefront6targetE0EEEvT1_.kd
    .uniform_work_group_size: 1
    .uses_dynamic_stack: false
    .vgpr_count:     3
    .vgpr_spill_count: 0
    .wavefront_size: 32
    .workgroup_processor_mode: 1
  - .args:
      - .offset:         0
        .size:           40
        .value_kind:     by_value
    .group_segment_fixed_size: 0
    .kernarg_segment_align: 8
    .kernarg_segment_size: 40
    .language:       OpenCL C
    .language_version:
      - 2
      - 0
    .max_flat_workgroup_size: 256
    .name:           _ZN7rocprim17ROCPRIM_400000_NS6detail17trampoline_kernelINS0_14default_configENS1_20scan_config_selectorIdEEZZNS1_9scan_implILNS1_25lookback_scan_determinismE0ELb0ELb0ES3_PKdPddZZZN2at6native31launch_logcumsumexp_cuda_kernelERKNSB_10TensorBaseESF_lENKUlvE_clEvENKUlvE_clEvEUlddE_dEEDaPvRmT3_T4_T5_mT6_P12ihipStream_tbENKUlT_T0_E_clISt17integral_constantIbLb0EESW_EEDaSR_SS_EUlSR_E0_NS1_11comp_targetILNS1_3genE0ELNS1_11target_archE4294967295ELNS1_3gpuE0ELNS1_3repE0EEENS1_30default_config_static_selectorELNS0_4arch9wavefront6targetE0EEEvT1_
    .private_segment_fixed_size: 0
    .sgpr_count:     0
    .sgpr_spill_count: 0
    .symbol:         _ZN7rocprim17ROCPRIM_400000_NS6detail17trampoline_kernelINS0_14default_configENS1_20scan_config_selectorIdEEZZNS1_9scan_implILNS1_25lookback_scan_determinismE0ELb0ELb0ES3_PKdPddZZZN2at6native31launch_logcumsumexp_cuda_kernelERKNSB_10TensorBaseESF_lENKUlvE_clEvENKUlvE_clEvEUlddE_dEEDaPvRmT3_T4_T5_mT6_P12ihipStream_tbENKUlT_T0_E_clISt17integral_constantIbLb0EESW_EEDaSR_SS_EUlSR_E0_NS1_11comp_targetILNS1_3genE0ELNS1_11target_archE4294967295ELNS1_3gpuE0ELNS1_3repE0EEENS1_30default_config_static_selectorELNS0_4arch9wavefront6targetE0EEEvT1_.kd
    .uniform_work_group_size: 1
    .uses_dynamic_stack: false
    .vgpr_count:     0
    .vgpr_spill_count: 0
    .wavefront_size: 32
    .workgroup_processor_mode: 1
  - .args:
      - .offset:         0
        .size:           40
        .value_kind:     by_value
    .group_segment_fixed_size: 0
    .kernarg_segment_align: 8
    .kernarg_segment_size: 40
    .language:       OpenCL C
    .language_version:
      - 2
      - 0
    .max_flat_workgroup_size: 256
    .name:           _ZN7rocprim17ROCPRIM_400000_NS6detail17trampoline_kernelINS0_14default_configENS1_20scan_config_selectorIdEEZZNS1_9scan_implILNS1_25lookback_scan_determinismE0ELb0ELb0ES3_PKdPddZZZN2at6native31launch_logcumsumexp_cuda_kernelERKNSB_10TensorBaseESF_lENKUlvE_clEvENKUlvE_clEvEUlddE_dEEDaPvRmT3_T4_T5_mT6_P12ihipStream_tbENKUlT_T0_E_clISt17integral_constantIbLb0EESW_EEDaSR_SS_EUlSR_E0_NS1_11comp_targetILNS1_3genE5ELNS1_11target_archE942ELNS1_3gpuE9ELNS1_3repE0EEENS1_30default_config_static_selectorELNS0_4arch9wavefront6targetE0EEEvT1_
    .private_segment_fixed_size: 0
    .sgpr_count:     0
    .sgpr_spill_count: 0
    .symbol:         _ZN7rocprim17ROCPRIM_400000_NS6detail17trampoline_kernelINS0_14default_configENS1_20scan_config_selectorIdEEZZNS1_9scan_implILNS1_25lookback_scan_determinismE0ELb0ELb0ES3_PKdPddZZZN2at6native31launch_logcumsumexp_cuda_kernelERKNSB_10TensorBaseESF_lENKUlvE_clEvENKUlvE_clEvEUlddE_dEEDaPvRmT3_T4_T5_mT6_P12ihipStream_tbENKUlT_T0_E_clISt17integral_constantIbLb0EESW_EEDaSR_SS_EUlSR_E0_NS1_11comp_targetILNS1_3genE5ELNS1_11target_archE942ELNS1_3gpuE9ELNS1_3repE0EEENS1_30default_config_static_selectorELNS0_4arch9wavefront6targetE0EEEvT1_.kd
    .uniform_work_group_size: 1
    .uses_dynamic_stack: false
    .vgpr_count:     0
    .vgpr_spill_count: 0
    .wavefront_size: 32
    .workgroup_processor_mode: 1
  - .args:
      - .offset:         0
        .size:           40
        .value_kind:     by_value
    .group_segment_fixed_size: 0
    .kernarg_segment_align: 8
    .kernarg_segment_size: 40
    .language:       OpenCL C
    .language_version:
      - 2
      - 0
    .max_flat_workgroup_size: 128
    .name:           _ZN7rocprim17ROCPRIM_400000_NS6detail17trampoline_kernelINS0_14default_configENS1_20scan_config_selectorIdEEZZNS1_9scan_implILNS1_25lookback_scan_determinismE0ELb0ELb0ES3_PKdPddZZZN2at6native31launch_logcumsumexp_cuda_kernelERKNSB_10TensorBaseESF_lENKUlvE_clEvENKUlvE_clEvEUlddE_dEEDaPvRmT3_T4_T5_mT6_P12ihipStream_tbENKUlT_T0_E_clISt17integral_constantIbLb0EESW_EEDaSR_SS_EUlSR_E0_NS1_11comp_targetILNS1_3genE4ELNS1_11target_archE910ELNS1_3gpuE8ELNS1_3repE0EEENS1_30default_config_static_selectorELNS0_4arch9wavefront6targetE0EEEvT1_
    .private_segment_fixed_size: 0
    .sgpr_count:     0
    .sgpr_spill_count: 0
    .symbol:         _ZN7rocprim17ROCPRIM_400000_NS6detail17trampoline_kernelINS0_14default_configENS1_20scan_config_selectorIdEEZZNS1_9scan_implILNS1_25lookback_scan_determinismE0ELb0ELb0ES3_PKdPddZZZN2at6native31launch_logcumsumexp_cuda_kernelERKNSB_10TensorBaseESF_lENKUlvE_clEvENKUlvE_clEvEUlddE_dEEDaPvRmT3_T4_T5_mT6_P12ihipStream_tbENKUlT_T0_E_clISt17integral_constantIbLb0EESW_EEDaSR_SS_EUlSR_E0_NS1_11comp_targetILNS1_3genE4ELNS1_11target_archE910ELNS1_3gpuE8ELNS1_3repE0EEENS1_30default_config_static_selectorELNS0_4arch9wavefront6targetE0EEEvT1_.kd
    .uniform_work_group_size: 1
    .uses_dynamic_stack: false
    .vgpr_count:     0
    .vgpr_spill_count: 0
    .wavefront_size: 32
    .workgroup_processor_mode: 1
  - .args:
      - .offset:         0
        .size:           40
        .value_kind:     by_value
    .group_segment_fixed_size: 0
    .kernarg_segment_align: 8
    .kernarg_segment_size: 40
    .language:       OpenCL C
    .language_version:
      - 2
      - 0
    .max_flat_workgroup_size: 256
    .name:           _ZN7rocprim17ROCPRIM_400000_NS6detail17trampoline_kernelINS0_14default_configENS1_20scan_config_selectorIdEEZZNS1_9scan_implILNS1_25lookback_scan_determinismE0ELb0ELb0ES3_PKdPddZZZN2at6native31launch_logcumsumexp_cuda_kernelERKNSB_10TensorBaseESF_lENKUlvE_clEvENKUlvE_clEvEUlddE_dEEDaPvRmT3_T4_T5_mT6_P12ihipStream_tbENKUlT_T0_E_clISt17integral_constantIbLb0EESW_EEDaSR_SS_EUlSR_E0_NS1_11comp_targetILNS1_3genE3ELNS1_11target_archE908ELNS1_3gpuE7ELNS1_3repE0EEENS1_30default_config_static_selectorELNS0_4arch9wavefront6targetE0EEEvT1_
    .private_segment_fixed_size: 0
    .sgpr_count:     0
    .sgpr_spill_count: 0
    .symbol:         _ZN7rocprim17ROCPRIM_400000_NS6detail17trampoline_kernelINS0_14default_configENS1_20scan_config_selectorIdEEZZNS1_9scan_implILNS1_25lookback_scan_determinismE0ELb0ELb0ES3_PKdPddZZZN2at6native31launch_logcumsumexp_cuda_kernelERKNSB_10TensorBaseESF_lENKUlvE_clEvENKUlvE_clEvEUlddE_dEEDaPvRmT3_T4_T5_mT6_P12ihipStream_tbENKUlT_T0_E_clISt17integral_constantIbLb0EESW_EEDaSR_SS_EUlSR_E0_NS1_11comp_targetILNS1_3genE3ELNS1_11target_archE908ELNS1_3gpuE7ELNS1_3repE0EEENS1_30default_config_static_selectorELNS0_4arch9wavefront6targetE0EEEvT1_.kd
    .uniform_work_group_size: 1
    .uses_dynamic_stack: false
    .vgpr_count:     0
    .vgpr_spill_count: 0
    .wavefront_size: 32
    .workgroup_processor_mode: 1
  - .args:
      - .offset:         0
        .size:           40
        .value_kind:     by_value
    .group_segment_fixed_size: 0
    .kernarg_segment_align: 8
    .kernarg_segment_size: 40
    .language:       OpenCL C
    .language_version:
      - 2
      - 0
    .max_flat_workgroup_size: 128
    .name:           _ZN7rocprim17ROCPRIM_400000_NS6detail17trampoline_kernelINS0_14default_configENS1_20scan_config_selectorIdEEZZNS1_9scan_implILNS1_25lookback_scan_determinismE0ELb0ELb0ES3_PKdPddZZZN2at6native31launch_logcumsumexp_cuda_kernelERKNSB_10TensorBaseESF_lENKUlvE_clEvENKUlvE_clEvEUlddE_dEEDaPvRmT3_T4_T5_mT6_P12ihipStream_tbENKUlT_T0_E_clISt17integral_constantIbLb0EESW_EEDaSR_SS_EUlSR_E0_NS1_11comp_targetILNS1_3genE2ELNS1_11target_archE906ELNS1_3gpuE6ELNS1_3repE0EEENS1_30default_config_static_selectorELNS0_4arch9wavefront6targetE0EEEvT1_
    .private_segment_fixed_size: 0
    .sgpr_count:     0
    .sgpr_spill_count: 0
    .symbol:         _ZN7rocprim17ROCPRIM_400000_NS6detail17trampoline_kernelINS0_14default_configENS1_20scan_config_selectorIdEEZZNS1_9scan_implILNS1_25lookback_scan_determinismE0ELb0ELb0ES3_PKdPddZZZN2at6native31launch_logcumsumexp_cuda_kernelERKNSB_10TensorBaseESF_lENKUlvE_clEvENKUlvE_clEvEUlddE_dEEDaPvRmT3_T4_T5_mT6_P12ihipStream_tbENKUlT_T0_E_clISt17integral_constantIbLb0EESW_EEDaSR_SS_EUlSR_E0_NS1_11comp_targetILNS1_3genE2ELNS1_11target_archE906ELNS1_3gpuE6ELNS1_3repE0EEENS1_30default_config_static_selectorELNS0_4arch9wavefront6targetE0EEEvT1_.kd
    .uniform_work_group_size: 1
    .uses_dynamic_stack: false
    .vgpr_count:     0
    .vgpr_spill_count: 0
    .wavefront_size: 32
    .workgroup_processor_mode: 1
  - .args:
      - .offset:         0
        .size:           40
        .value_kind:     by_value
    .group_segment_fixed_size: 0
    .kernarg_segment_align: 8
    .kernarg_segment_size: 40
    .language:       OpenCL C
    .language_version:
      - 2
      - 0
    .max_flat_workgroup_size: 256
    .name:           _ZN7rocprim17ROCPRIM_400000_NS6detail17trampoline_kernelINS0_14default_configENS1_20scan_config_selectorIdEEZZNS1_9scan_implILNS1_25lookback_scan_determinismE0ELb0ELb0ES3_PKdPddZZZN2at6native31launch_logcumsumexp_cuda_kernelERKNSB_10TensorBaseESF_lENKUlvE_clEvENKUlvE_clEvEUlddE_dEEDaPvRmT3_T4_T5_mT6_P12ihipStream_tbENKUlT_T0_E_clISt17integral_constantIbLb0EESW_EEDaSR_SS_EUlSR_E0_NS1_11comp_targetILNS1_3genE10ELNS1_11target_archE1201ELNS1_3gpuE5ELNS1_3repE0EEENS1_30default_config_static_selectorELNS0_4arch9wavefront6targetE0EEEvT1_
    .private_segment_fixed_size: 0
    .sgpr_count:     0
    .sgpr_spill_count: 0
    .symbol:         _ZN7rocprim17ROCPRIM_400000_NS6detail17trampoline_kernelINS0_14default_configENS1_20scan_config_selectorIdEEZZNS1_9scan_implILNS1_25lookback_scan_determinismE0ELb0ELb0ES3_PKdPddZZZN2at6native31launch_logcumsumexp_cuda_kernelERKNSB_10TensorBaseESF_lENKUlvE_clEvENKUlvE_clEvEUlddE_dEEDaPvRmT3_T4_T5_mT6_P12ihipStream_tbENKUlT_T0_E_clISt17integral_constantIbLb0EESW_EEDaSR_SS_EUlSR_E0_NS1_11comp_targetILNS1_3genE10ELNS1_11target_archE1201ELNS1_3gpuE5ELNS1_3repE0EEENS1_30default_config_static_selectorELNS0_4arch9wavefront6targetE0EEEvT1_.kd
    .uniform_work_group_size: 1
    .uses_dynamic_stack: false
    .vgpr_count:     0
    .vgpr_spill_count: 0
    .wavefront_size: 32
    .workgroup_processor_mode: 1
  - .args:
      - .offset:         0
        .size:           40
        .value_kind:     by_value
    .group_segment_fixed_size: 0
    .kernarg_segment_align: 8
    .kernarg_segment_size: 40
    .language:       OpenCL C
    .language_version:
      - 2
      - 0
    .max_flat_workgroup_size: 256
    .name:           _ZN7rocprim17ROCPRIM_400000_NS6detail17trampoline_kernelINS0_14default_configENS1_20scan_config_selectorIdEEZZNS1_9scan_implILNS1_25lookback_scan_determinismE0ELb0ELb0ES3_PKdPddZZZN2at6native31launch_logcumsumexp_cuda_kernelERKNSB_10TensorBaseESF_lENKUlvE_clEvENKUlvE_clEvEUlddE_dEEDaPvRmT3_T4_T5_mT6_P12ihipStream_tbENKUlT_T0_E_clISt17integral_constantIbLb0EESW_EEDaSR_SS_EUlSR_E0_NS1_11comp_targetILNS1_3genE10ELNS1_11target_archE1200ELNS1_3gpuE4ELNS1_3repE0EEENS1_30default_config_static_selectorELNS0_4arch9wavefront6targetE0EEEvT1_
    .private_segment_fixed_size: 0
    .sgpr_count:     0
    .sgpr_spill_count: 0
    .symbol:         _ZN7rocprim17ROCPRIM_400000_NS6detail17trampoline_kernelINS0_14default_configENS1_20scan_config_selectorIdEEZZNS1_9scan_implILNS1_25lookback_scan_determinismE0ELb0ELb0ES3_PKdPddZZZN2at6native31launch_logcumsumexp_cuda_kernelERKNSB_10TensorBaseESF_lENKUlvE_clEvENKUlvE_clEvEUlddE_dEEDaPvRmT3_T4_T5_mT6_P12ihipStream_tbENKUlT_T0_E_clISt17integral_constantIbLb0EESW_EEDaSR_SS_EUlSR_E0_NS1_11comp_targetILNS1_3genE10ELNS1_11target_archE1200ELNS1_3gpuE4ELNS1_3repE0EEENS1_30default_config_static_selectorELNS0_4arch9wavefront6targetE0EEEvT1_.kd
    .uniform_work_group_size: 1
    .uses_dynamic_stack: false
    .vgpr_count:     0
    .vgpr_spill_count: 0
    .wavefront_size: 32
    .workgroup_processor_mode: 1
  - .args:
      - .offset:         0
        .size:           40
        .value_kind:     by_value
    .group_segment_fixed_size: 0
    .kernarg_segment_align: 8
    .kernarg_segment_size: 40
    .language:       OpenCL C
    .language_version:
      - 2
      - 0
    .max_flat_workgroup_size: 256
    .name:           _ZN7rocprim17ROCPRIM_400000_NS6detail17trampoline_kernelINS0_14default_configENS1_20scan_config_selectorIdEEZZNS1_9scan_implILNS1_25lookback_scan_determinismE0ELb0ELb0ES3_PKdPddZZZN2at6native31launch_logcumsumexp_cuda_kernelERKNSB_10TensorBaseESF_lENKUlvE_clEvENKUlvE_clEvEUlddE_dEEDaPvRmT3_T4_T5_mT6_P12ihipStream_tbENKUlT_T0_E_clISt17integral_constantIbLb0EESW_EEDaSR_SS_EUlSR_E0_NS1_11comp_targetILNS1_3genE9ELNS1_11target_archE1100ELNS1_3gpuE3ELNS1_3repE0EEENS1_30default_config_static_selectorELNS0_4arch9wavefront6targetE0EEEvT1_
    .private_segment_fixed_size: 0
    .sgpr_count:     0
    .sgpr_spill_count: 0
    .symbol:         _ZN7rocprim17ROCPRIM_400000_NS6detail17trampoline_kernelINS0_14default_configENS1_20scan_config_selectorIdEEZZNS1_9scan_implILNS1_25lookback_scan_determinismE0ELb0ELb0ES3_PKdPddZZZN2at6native31launch_logcumsumexp_cuda_kernelERKNSB_10TensorBaseESF_lENKUlvE_clEvENKUlvE_clEvEUlddE_dEEDaPvRmT3_T4_T5_mT6_P12ihipStream_tbENKUlT_T0_E_clISt17integral_constantIbLb0EESW_EEDaSR_SS_EUlSR_E0_NS1_11comp_targetILNS1_3genE9ELNS1_11target_archE1100ELNS1_3gpuE3ELNS1_3repE0EEENS1_30default_config_static_selectorELNS0_4arch9wavefront6targetE0EEEvT1_.kd
    .uniform_work_group_size: 1
    .uses_dynamic_stack: false
    .vgpr_count:     0
    .vgpr_spill_count: 0
    .wavefront_size: 32
    .workgroup_processor_mode: 1
  - .args:
      - .offset:         0
        .size:           40
        .value_kind:     by_value
    .group_segment_fixed_size: 14336
    .kernarg_segment_align: 8
    .kernarg_segment_size: 40
    .language:       OpenCL C
    .language_version:
      - 2
      - 0
    .max_flat_workgroup_size: 128
    .name:           _ZN7rocprim17ROCPRIM_400000_NS6detail17trampoline_kernelINS0_14default_configENS1_20scan_config_selectorIdEEZZNS1_9scan_implILNS1_25lookback_scan_determinismE0ELb0ELb0ES3_PKdPddZZZN2at6native31launch_logcumsumexp_cuda_kernelERKNSB_10TensorBaseESF_lENKUlvE_clEvENKUlvE_clEvEUlddE_dEEDaPvRmT3_T4_T5_mT6_P12ihipStream_tbENKUlT_T0_E_clISt17integral_constantIbLb0EESW_EEDaSR_SS_EUlSR_E0_NS1_11comp_targetILNS1_3genE8ELNS1_11target_archE1030ELNS1_3gpuE2ELNS1_3repE0EEENS1_30default_config_static_selectorELNS0_4arch9wavefront6targetE0EEEvT1_
    .private_segment_fixed_size: 0
    .sgpr_count:     46
    .sgpr_spill_count: 0
    .symbol:         _ZN7rocprim17ROCPRIM_400000_NS6detail17trampoline_kernelINS0_14default_configENS1_20scan_config_selectorIdEEZZNS1_9scan_implILNS1_25lookback_scan_determinismE0ELb0ELb0ES3_PKdPddZZZN2at6native31launch_logcumsumexp_cuda_kernelERKNSB_10TensorBaseESF_lENKUlvE_clEvENKUlvE_clEvEUlddE_dEEDaPvRmT3_T4_T5_mT6_P12ihipStream_tbENKUlT_T0_E_clISt17integral_constantIbLb0EESW_EEDaSR_SS_EUlSR_E0_NS1_11comp_targetILNS1_3genE8ELNS1_11target_archE1030ELNS1_3gpuE2ELNS1_3repE0EEENS1_30default_config_static_selectorELNS0_4arch9wavefront6targetE0EEEvT1_.kd
    .uniform_work_group_size: 1
    .uses_dynamic_stack: false
    .vgpr_count:     95
    .vgpr_spill_count: 0
    .wavefront_size: 32
    .workgroup_processor_mode: 1
  - .args:
      - .address_space:  global
        .offset:         0
        .size:           8
        .value_kind:     global_buffer
      - .offset:         8
        .size:           4
        .value_kind:     by_value
      - .address_space:  global
        .offset:         16
        .size:           8
        .value_kind:     global_buffer
      - .offset:         24
        .size:           4
        .value_kind:     by_value
      - .address_space:  global
        .offset:         32
        .size:           8
        .value_kind:     global_buffer
      - .offset:         40
        .size:           4
        .value_kind:     hidden_block_count_x
      - .offset:         44
        .size:           4
        .value_kind:     hidden_block_count_y
      - .offset:         48
        .size:           4
        .value_kind:     hidden_block_count_z
      - .offset:         52
        .size:           2
        .value_kind:     hidden_group_size_x
      - .offset:         54
        .size:           2
        .value_kind:     hidden_group_size_y
      - .offset:         56
        .size:           2
        .value_kind:     hidden_group_size_z
      - .offset:         58
        .size:           2
        .value_kind:     hidden_remainder_x
      - .offset:         60
        .size:           2
        .value_kind:     hidden_remainder_y
      - .offset:         62
        .size:           2
        .value_kind:     hidden_remainder_z
      - .offset:         80
        .size:           8
        .value_kind:     hidden_global_offset_x
      - .offset:         88
        .size:           8
        .value_kind:     hidden_global_offset_y
      - .offset:         96
        .size:           8
        .value_kind:     hidden_global_offset_z
      - .offset:         104
        .size:           2
        .value_kind:     hidden_grid_dims
    .group_segment_fixed_size: 0
    .kernarg_segment_align: 8
    .kernarg_segment_size: 296
    .language:       OpenCL C
    .language_version:
      - 2
      - 0
    .max_flat_workgroup_size: 256
    .name:           _ZN7rocprim17ROCPRIM_400000_NS6detail31init_lookback_scan_state_kernelINS1_19lookback_scan_stateIdLb1ELb1EEENS1_16block_id_wrapperIjLb1EEEEEvT_jT0_jPNS7_10value_typeE
    .private_segment_fixed_size: 0
    .sgpr_count:     14
    .sgpr_spill_count: 0
    .symbol:         _ZN7rocprim17ROCPRIM_400000_NS6detail31init_lookback_scan_state_kernelINS1_19lookback_scan_stateIdLb1ELb1EEENS1_16block_id_wrapperIjLb1EEEEEvT_jT0_jPNS7_10value_typeE.kd
    .uniform_work_group_size: 1
    .uses_dynamic_stack: false
    .vgpr_count:     8
    .vgpr_spill_count: 0
    .wavefront_size: 32
    .workgroup_processor_mode: 1
  - .args:
      - .offset:         0
        .size:           104
        .value_kind:     by_value
    .group_segment_fixed_size: 0
    .kernarg_segment_align: 8
    .kernarg_segment_size: 104
    .language:       OpenCL C
    .language_version:
      - 2
      - 0
    .max_flat_workgroup_size: 256
    .name:           _ZN7rocprim17ROCPRIM_400000_NS6detail17trampoline_kernelINS0_14default_configENS1_20scan_config_selectorIdEEZZNS1_9scan_implILNS1_25lookback_scan_determinismE0ELb0ELb0ES3_PKdPddZZZN2at6native31launch_logcumsumexp_cuda_kernelERKNSB_10TensorBaseESF_lENKUlvE_clEvENKUlvE_clEvEUlddE_dEEDaPvRmT3_T4_T5_mT6_P12ihipStream_tbENKUlT_T0_E_clISt17integral_constantIbLb1EESW_EEDaSR_SS_EUlSR_E_NS1_11comp_targetILNS1_3genE0ELNS1_11target_archE4294967295ELNS1_3gpuE0ELNS1_3repE0EEENS1_30default_config_static_selectorELNS0_4arch9wavefront6targetE0EEEvT1_
    .private_segment_fixed_size: 0
    .sgpr_count:     0
    .sgpr_spill_count: 0
    .symbol:         _ZN7rocprim17ROCPRIM_400000_NS6detail17trampoline_kernelINS0_14default_configENS1_20scan_config_selectorIdEEZZNS1_9scan_implILNS1_25lookback_scan_determinismE0ELb0ELb0ES3_PKdPddZZZN2at6native31launch_logcumsumexp_cuda_kernelERKNSB_10TensorBaseESF_lENKUlvE_clEvENKUlvE_clEvEUlddE_dEEDaPvRmT3_T4_T5_mT6_P12ihipStream_tbENKUlT_T0_E_clISt17integral_constantIbLb1EESW_EEDaSR_SS_EUlSR_E_NS1_11comp_targetILNS1_3genE0ELNS1_11target_archE4294967295ELNS1_3gpuE0ELNS1_3repE0EEENS1_30default_config_static_selectorELNS0_4arch9wavefront6targetE0EEEvT1_.kd
    .uniform_work_group_size: 1
    .uses_dynamic_stack: false
    .vgpr_count:     0
    .vgpr_spill_count: 0
    .wavefront_size: 32
    .workgroup_processor_mode: 1
  - .args:
      - .offset:         0
        .size:           104
        .value_kind:     by_value
    .group_segment_fixed_size: 0
    .kernarg_segment_align: 8
    .kernarg_segment_size: 104
    .language:       OpenCL C
    .language_version:
      - 2
      - 0
    .max_flat_workgroup_size: 256
    .name:           _ZN7rocprim17ROCPRIM_400000_NS6detail17trampoline_kernelINS0_14default_configENS1_20scan_config_selectorIdEEZZNS1_9scan_implILNS1_25lookback_scan_determinismE0ELb0ELb0ES3_PKdPddZZZN2at6native31launch_logcumsumexp_cuda_kernelERKNSB_10TensorBaseESF_lENKUlvE_clEvENKUlvE_clEvEUlddE_dEEDaPvRmT3_T4_T5_mT6_P12ihipStream_tbENKUlT_T0_E_clISt17integral_constantIbLb1EESW_EEDaSR_SS_EUlSR_E_NS1_11comp_targetILNS1_3genE5ELNS1_11target_archE942ELNS1_3gpuE9ELNS1_3repE0EEENS1_30default_config_static_selectorELNS0_4arch9wavefront6targetE0EEEvT1_
    .private_segment_fixed_size: 0
    .sgpr_count:     0
    .sgpr_spill_count: 0
    .symbol:         _ZN7rocprim17ROCPRIM_400000_NS6detail17trampoline_kernelINS0_14default_configENS1_20scan_config_selectorIdEEZZNS1_9scan_implILNS1_25lookback_scan_determinismE0ELb0ELb0ES3_PKdPddZZZN2at6native31launch_logcumsumexp_cuda_kernelERKNSB_10TensorBaseESF_lENKUlvE_clEvENKUlvE_clEvEUlddE_dEEDaPvRmT3_T4_T5_mT6_P12ihipStream_tbENKUlT_T0_E_clISt17integral_constantIbLb1EESW_EEDaSR_SS_EUlSR_E_NS1_11comp_targetILNS1_3genE5ELNS1_11target_archE942ELNS1_3gpuE9ELNS1_3repE0EEENS1_30default_config_static_selectorELNS0_4arch9wavefront6targetE0EEEvT1_.kd
    .uniform_work_group_size: 1
    .uses_dynamic_stack: false
    .vgpr_count:     0
    .vgpr_spill_count: 0
    .wavefront_size: 32
    .workgroup_processor_mode: 1
  - .args:
      - .offset:         0
        .size:           104
        .value_kind:     by_value
    .group_segment_fixed_size: 0
    .kernarg_segment_align: 8
    .kernarg_segment_size: 104
    .language:       OpenCL C
    .language_version:
      - 2
      - 0
    .max_flat_workgroup_size: 128
    .name:           _ZN7rocprim17ROCPRIM_400000_NS6detail17trampoline_kernelINS0_14default_configENS1_20scan_config_selectorIdEEZZNS1_9scan_implILNS1_25lookback_scan_determinismE0ELb0ELb0ES3_PKdPddZZZN2at6native31launch_logcumsumexp_cuda_kernelERKNSB_10TensorBaseESF_lENKUlvE_clEvENKUlvE_clEvEUlddE_dEEDaPvRmT3_T4_T5_mT6_P12ihipStream_tbENKUlT_T0_E_clISt17integral_constantIbLb1EESW_EEDaSR_SS_EUlSR_E_NS1_11comp_targetILNS1_3genE4ELNS1_11target_archE910ELNS1_3gpuE8ELNS1_3repE0EEENS1_30default_config_static_selectorELNS0_4arch9wavefront6targetE0EEEvT1_
    .private_segment_fixed_size: 0
    .sgpr_count:     0
    .sgpr_spill_count: 0
    .symbol:         _ZN7rocprim17ROCPRIM_400000_NS6detail17trampoline_kernelINS0_14default_configENS1_20scan_config_selectorIdEEZZNS1_9scan_implILNS1_25lookback_scan_determinismE0ELb0ELb0ES3_PKdPddZZZN2at6native31launch_logcumsumexp_cuda_kernelERKNSB_10TensorBaseESF_lENKUlvE_clEvENKUlvE_clEvEUlddE_dEEDaPvRmT3_T4_T5_mT6_P12ihipStream_tbENKUlT_T0_E_clISt17integral_constantIbLb1EESW_EEDaSR_SS_EUlSR_E_NS1_11comp_targetILNS1_3genE4ELNS1_11target_archE910ELNS1_3gpuE8ELNS1_3repE0EEENS1_30default_config_static_selectorELNS0_4arch9wavefront6targetE0EEEvT1_.kd
    .uniform_work_group_size: 1
    .uses_dynamic_stack: false
    .vgpr_count:     0
    .vgpr_spill_count: 0
    .wavefront_size: 32
    .workgroup_processor_mode: 1
  - .args:
      - .offset:         0
        .size:           104
        .value_kind:     by_value
    .group_segment_fixed_size: 0
    .kernarg_segment_align: 8
    .kernarg_segment_size: 104
    .language:       OpenCL C
    .language_version:
      - 2
      - 0
    .max_flat_workgroup_size: 256
    .name:           _ZN7rocprim17ROCPRIM_400000_NS6detail17trampoline_kernelINS0_14default_configENS1_20scan_config_selectorIdEEZZNS1_9scan_implILNS1_25lookback_scan_determinismE0ELb0ELb0ES3_PKdPddZZZN2at6native31launch_logcumsumexp_cuda_kernelERKNSB_10TensorBaseESF_lENKUlvE_clEvENKUlvE_clEvEUlddE_dEEDaPvRmT3_T4_T5_mT6_P12ihipStream_tbENKUlT_T0_E_clISt17integral_constantIbLb1EESW_EEDaSR_SS_EUlSR_E_NS1_11comp_targetILNS1_3genE3ELNS1_11target_archE908ELNS1_3gpuE7ELNS1_3repE0EEENS1_30default_config_static_selectorELNS0_4arch9wavefront6targetE0EEEvT1_
    .private_segment_fixed_size: 0
    .sgpr_count:     0
    .sgpr_spill_count: 0
    .symbol:         _ZN7rocprim17ROCPRIM_400000_NS6detail17trampoline_kernelINS0_14default_configENS1_20scan_config_selectorIdEEZZNS1_9scan_implILNS1_25lookback_scan_determinismE0ELb0ELb0ES3_PKdPddZZZN2at6native31launch_logcumsumexp_cuda_kernelERKNSB_10TensorBaseESF_lENKUlvE_clEvENKUlvE_clEvEUlddE_dEEDaPvRmT3_T4_T5_mT6_P12ihipStream_tbENKUlT_T0_E_clISt17integral_constantIbLb1EESW_EEDaSR_SS_EUlSR_E_NS1_11comp_targetILNS1_3genE3ELNS1_11target_archE908ELNS1_3gpuE7ELNS1_3repE0EEENS1_30default_config_static_selectorELNS0_4arch9wavefront6targetE0EEEvT1_.kd
    .uniform_work_group_size: 1
    .uses_dynamic_stack: false
    .vgpr_count:     0
    .vgpr_spill_count: 0
    .wavefront_size: 32
    .workgroup_processor_mode: 1
  - .args:
      - .offset:         0
        .size:           104
        .value_kind:     by_value
    .group_segment_fixed_size: 0
    .kernarg_segment_align: 8
    .kernarg_segment_size: 104
    .language:       OpenCL C
    .language_version:
      - 2
      - 0
    .max_flat_workgroup_size: 128
    .name:           _ZN7rocprim17ROCPRIM_400000_NS6detail17trampoline_kernelINS0_14default_configENS1_20scan_config_selectorIdEEZZNS1_9scan_implILNS1_25lookback_scan_determinismE0ELb0ELb0ES3_PKdPddZZZN2at6native31launch_logcumsumexp_cuda_kernelERKNSB_10TensorBaseESF_lENKUlvE_clEvENKUlvE_clEvEUlddE_dEEDaPvRmT3_T4_T5_mT6_P12ihipStream_tbENKUlT_T0_E_clISt17integral_constantIbLb1EESW_EEDaSR_SS_EUlSR_E_NS1_11comp_targetILNS1_3genE2ELNS1_11target_archE906ELNS1_3gpuE6ELNS1_3repE0EEENS1_30default_config_static_selectorELNS0_4arch9wavefront6targetE0EEEvT1_
    .private_segment_fixed_size: 0
    .sgpr_count:     0
    .sgpr_spill_count: 0
    .symbol:         _ZN7rocprim17ROCPRIM_400000_NS6detail17trampoline_kernelINS0_14default_configENS1_20scan_config_selectorIdEEZZNS1_9scan_implILNS1_25lookback_scan_determinismE0ELb0ELb0ES3_PKdPddZZZN2at6native31launch_logcumsumexp_cuda_kernelERKNSB_10TensorBaseESF_lENKUlvE_clEvENKUlvE_clEvEUlddE_dEEDaPvRmT3_T4_T5_mT6_P12ihipStream_tbENKUlT_T0_E_clISt17integral_constantIbLb1EESW_EEDaSR_SS_EUlSR_E_NS1_11comp_targetILNS1_3genE2ELNS1_11target_archE906ELNS1_3gpuE6ELNS1_3repE0EEENS1_30default_config_static_selectorELNS0_4arch9wavefront6targetE0EEEvT1_.kd
    .uniform_work_group_size: 1
    .uses_dynamic_stack: false
    .vgpr_count:     0
    .vgpr_spill_count: 0
    .wavefront_size: 32
    .workgroup_processor_mode: 1
  - .args:
      - .offset:         0
        .size:           104
        .value_kind:     by_value
    .group_segment_fixed_size: 0
    .kernarg_segment_align: 8
    .kernarg_segment_size: 104
    .language:       OpenCL C
    .language_version:
      - 2
      - 0
    .max_flat_workgroup_size: 256
    .name:           _ZN7rocprim17ROCPRIM_400000_NS6detail17trampoline_kernelINS0_14default_configENS1_20scan_config_selectorIdEEZZNS1_9scan_implILNS1_25lookback_scan_determinismE0ELb0ELb0ES3_PKdPddZZZN2at6native31launch_logcumsumexp_cuda_kernelERKNSB_10TensorBaseESF_lENKUlvE_clEvENKUlvE_clEvEUlddE_dEEDaPvRmT3_T4_T5_mT6_P12ihipStream_tbENKUlT_T0_E_clISt17integral_constantIbLb1EESW_EEDaSR_SS_EUlSR_E_NS1_11comp_targetILNS1_3genE10ELNS1_11target_archE1201ELNS1_3gpuE5ELNS1_3repE0EEENS1_30default_config_static_selectorELNS0_4arch9wavefront6targetE0EEEvT1_
    .private_segment_fixed_size: 0
    .sgpr_count:     0
    .sgpr_spill_count: 0
    .symbol:         _ZN7rocprim17ROCPRIM_400000_NS6detail17trampoline_kernelINS0_14default_configENS1_20scan_config_selectorIdEEZZNS1_9scan_implILNS1_25lookback_scan_determinismE0ELb0ELb0ES3_PKdPddZZZN2at6native31launch_logcumsumexp_cuda_kernelERKNSB_10TensorBaseESF_lENKUlvE_clEvENKUlvE_clEvEUlddE_dEEDaPvRmT3_T4_T5_mT6_P12ihipStream_tbENKUlT_T0_E_clISt17integral_constantIbLb1EESW_EEDaSR_SS_EUlSR_E_NS1_11comp_targetILNS1_3genE10ELNS1_11target_archE1201ELNS1_3gpuE5ELNS1_3repE0EEENS1_30default_config_static_selectorELNS0_4arch9wavefront6targetE0EEEvT1_.kd
    .uniform_work_group_size: 1
    .uses_dynamic_stack: false
    .vgpr_count:     0
    .vgpr_spill_count: 0
    .wavefront_size: 32
    .workgroup_processor_mode: 1
  - .args:
      - .offset:         0
        .size:           104
        .value_kind:     by_value
    .group_segment_fixed_size: 0
    .kernarg_segment_align: 8
    .kernarg_segment_size: 104
    .language:       OpenCL C
    .language_version:
      - 2
      - 0
    .max_flat_workgroup_size: 256
    .name:           _ZN7rocprim17ROCPRIM_400000_NS6detail17trampoline_kernelINS0_14default_configENS1_20scan_config_selectorIdEEZZNS1_9scan_implILNS1_25lookback_scan_determinismE0ELb0ELb0ES3_PKdPddZZZN2at6native31launch_logcumsumexp_cuda_kernelERKNSB_10TensorBaseESF_lENKUlvE_clEvENKUlvE_clEvEUlddE_dEEDaPvRmT3_T4_T5_mT6_P12ihipStream_tbENKUlT_T0_E_clISt17integral_constantIbLb1EESW_EEDaSR_SS_EUlSR_E_NS1_11comp_targetILNS1_3genE10ELNS1_11target_archE1200ELNS1_3gpuE4ELNS1_3repE0EEENS1_30default_config_static_selectorELNS0_4arch9wavefront6targetE0EEEvT1_
    .private_segment_fixed_size: 0
    .sgpr_count:     0
    .sgpr_spill_count: 0
    .symbol:         _ZN7rocprim17ROCPRIM_400000_NS6detail17trampoline_kernelINS0_14default_configENS1_20scan_config_selectorIdEEZZNS1_9scan_implILNS1_25lookback_scan_determinismE0ELb0ELb0ES3_PKdPddZZZN2at6native31launch_logcumsumexp_cuda_kernelERKNSB_10TensorBaseESF_lENKUlvE_clEvENKUlvE_clEvEUlddE_dEEDaPvRmT3_T4_T5_mT6_P12ihipStream_tbENKUlT_T0_E_clISt17integral_constantIbLb1EESW_EEDaSR_SS_EUlSR_E_NS1_11comp_targetILNS1_3genE10ELNS1_11target_archE1200ELNS1_3gpuE4ELNS1_3repE0EEENS1_30default_config_static_selectorELNS0_4arch9wavefront6targetE0EEEvT1_.kd
    .uniform_work_group_size: 1
    .uses_dynamic_stack: false
    .vgpr_count:     0
    .vgpr_spill_count: 0
    .wavefront_size: 32
    .workgroup_processor_mode: 1
  - .args:
      - .offset:         0
        .size:           104
        .value_kind:     by_value
    .group_segment_fixed_size: 0
    .kernarg_segment_align: 8
    .kernarg_segment_size: 104
    .language:       OpenCL C
    .language_version:
      - 2
      - 0
    .max_flat_workgroup_size: 256
    .name:           _ZN7rocprim17ROCPRIM_400000_NS6detail17trampoline_kernelINS0_14default_configENS1_20scan_config_selectorIdEEZZNS1_9scan_implILNS1_25lookback_scan_determinismE0ELb0ELb0ES3_PKdPddZZZN2at6native31launch_logcumsumexp_cuda_kernelERKNSB_10TensorBaseESF_lENKUlvE_clEvENKUlvE_clEvEUlddE_dEEDaPvRmT3_T4_T5_mT6_P12ihipStream_tbENKUlT_T0_E_clISt17integral_constantIbLb1EESW_EEDaSR_SS_EUlSR_E_NS1_11comp_targetILNS1_3genE9ELNS1_11target_archE1100ELNS1_3gpuE3ELNS1_3repE0EEENS1_30default_config_static_selectorELNS0_4arch9wavefront6targetE0EEEvT1_
    .private_segment_fixed_size: 0
    .sgpr_count:     0
    .sgpr_spill_count: 0
    .symbol:         _ZN7rocprim17ROCPRIM_400000_NS6detail17trampoline_kernelINS0_14default_configENS1_20scan_config_selectorIdEEZZNS1_9scan_implILNS1_25lookback_scan_determinismE0ELb0ELb0ES3_PKdPddZZZN2at6native31launch_logcumsumexp_cuda_kernelERKNSB_10TensorBaseESF_lENKUlvE_clEvENKUlvE_clEvEUlddE_dEEDaPvRmT3_T4_T5_mT6_P12ihipStream_tbENKUlT_T0_E_clISt17integral_constantIbLb1EESW_EEDaSR_SS_EUlSR_E_NS1_11comp_targetILNS1_3genE9ELNS1_11target_archE1100ELNS1_3gpuE3ELNS1_3repE0EEENS1_30default_config_static_selectorELNS0_4arch9wavefront6targetE0EEEvT1_.kd
    .uniform_work_group_size: 1
    .uses_dynamic_stack: false
    .vgpr_count:     0
    .vgpr_spill_count: 0
    .wavefront_size: 32
    .workgroup_processor_mode: 1
  - .args:
      - .offset:         0
        .size:           104
        .value_kind:     by_value
    .group_segment_fixed_size: 0
    .kernarg_segment_align: 8
    .kernarg_segment_size: 104
    .language:       OpenCL C
    .language_version:
      - 2
      - 0
    .max_flat_workgroup_size: 128
    .name:           _ZN7rocprim17ROCPRIM_400000_NS6detail17trampoline_kernelINS0_14default_configENS1_20scan_config_selectorIdEEZZNS1_9scan_implILNS1_25lookback_scan_determinismE0ELb0ELb0ES3_PKdPddZZZN2at6native31launch_logcumsumexp_cuda_kernelERKNSB_10TensorBaseESF_lENKUlvE_clEvENKUlvE_clEvEUlddE_dEEDaPvRmT3_T4_T5_mT6_P12ihipStream_tbENKUlT_T0_E_clISt17integral_constantIbLb1EESW_EEDaSR_SS_EUlSR_E_NS1_11comp_targetILNS1_3genE8ELNS1_11target_archE1030ELNS1_3gpuE2ELNS1_3repE0EEENS1_30default_config_static_selectorELNS0_4arch9wavefront6targetE0EEEvT1_
    .private_segment_fixed_size: 0
    .sgpr_count:     0
    .sgpr_spill_count: 0
    .symbol:         _ZN7rocprim17ROCPRIM_400000_NS6detail17trampoline_kernelINS0_14default_configENS1_20scan_config_selectorIdEEZZNS1_9scan_implILNS1_25lookback_scan_determinismE0ELb0ELb0ES3_PKdPddZZZN2at6native31launch_logcumsumexp_cuda_kernelERKNSB_10TensorBaseESF_lENKUlvE_clEvENKUlvE_clEvEUlddE_dEEDaPvRmT3_T4_T5_mT6_P12ihipStream_tbENKUlT_T0_E_clISt17integral_constantIbLb1EESW_EEDaSR_SS_EUlSR_E_NS1_11comp_targetILNS1_3genE8ELNS1_11target_archE1030ELNS1_3gpuE2ELNS1_3repE0EEENS1_30default_config_static_selectorELNS0_4arch9wavefront6targetE0EEEvT1_.kd
    .uniform_work_group_size: 1
    .uses_dynamic_stack: false
    .vgpr_count:     0
    .vgpr_spill_count: 0
    .wavefront_size: 32
    .workgroup_processor_mode: 1
  - .args:
      - .offset:         0
        .size:           40
        .value_kind:     by_value
    .group_segment_fixed_size: 0
    .kernarg_segment_align: 8
    .kernarg_segment_size: 40
    .language:       OpenCL C
    .language_version:
      - 2
      - 0
    .max_flat_workgroup_size: 256
    .name:           _ZN7rocprim17ROCPRIM_400000_NS6detail17trampoline_kernelINS0_14default_configENS1_20scan_config_selectorIdEEZZNS1_9scan_implILNS1_25lookback_scan_determinismE0ELb0ELb0ES3_PKdPddZZZN2at6native31launch_logcumsumexp_cuda_kernelERKNSB_10TensorBaseESF_lENKUlvE_clEvENKUlvE_clEvEUlddE_dEEDaPvRmT3_T4_T5_mT6_P12ihipStream_tbENKUlT_T0_E_clISt17integral_constantIbLb1EESW_EEDaSR_SS_EUlSR_E0_NS1_11comp_targetILNS1_3genE0ELNS1_11target_archE4294967295ELNS1_3gpuE0ELNS1_3repE0EEENS1_30default_config_static_selectorELNS0_4arch9wavefront6targetE0EEEvT1_
    .private_segment_fixed_size: 0
    .sgpr_count:     0
    .sgpr_spill_count: 0
    .symbol:         _ZN7rocprim17ROCPRIM_400000_NS6detail17trampoline_kernelINS0_14default_configENS1_20scan_config_selectorIdEEZZNS1_9scan_implILNS1_25lookback_scan_determinismE0ELb0ELb0ES3_PKdPddZZZN2at6native31launch_logcumsumexp_cuda_kernelERKNSB_10TensorBaseESF_lENKUlvE_clEvENKUlvE_clEvEUlddE_dEEDaPvRmT3_T4_T5_mT6_P12ihipStream_tbENKUlT_T0_E_clISt17integral_constantIbLb1EESW_EEDaSR_SS_EUlSR_E0_NS1_11comp_targetILNS1_3genE0ELNS1_11target_archE4294967295ELNS1_3gpuE0ELNS1_3repE0EEENS1_30default_config_static_selectorELNS0_4arch9wavefront6targetE0EEEvT1_.kd
    .uniform_work_group_size: 1
    .uses_dynamic_stack: false
    .vgpr_count:     0
    .vgpr_spill_count: 0
    .wavefront_size: 32
    .workgroup_processor_mode: 1
  - .args:
      - .offset:         0
        .size:           40
        .value_kind:     by_value
    .group_segment_fixed_size: 0
    .kernarg_segment_align: 8
    .kernarg_segment_size: 40
    .language:       OpenCL C
    .language_version:
      - 2
      - 0
    .max_flat_workgroup_size: 256
    .name:           _ZN7rocprim17ROCPRIM_400000_NS6detail17trampoline_kernelINS0_14default_configENS1_20scan_config_selectorIdEEZZNS1_9scan_implILNS1_25lookback_scan_determinismE0ELb0ELb0ES3_PKdPddZZZN2at6native31launch_logcumsumexp_cuda_kernelERKNSB_10TensorBaseESF_lENKUlvE_clEvENKUlvE_clEvEUlddE_dEEDaPvRmT3_T4_T5_mT6_P12ihipStream_tbENKUlT_T0_E_clISt17integral_constantIbLb1EESW_EEDaSR_SS_EUlSR_E0_NS1_11comp_targetILNS1_3genE5ELNS1_11target_archE942ELNS1_3gpuE9ELNS1_3repE0EEENS1_30default_config_static_selectorELNS0_4arch9wavefront6targetE0EEEvT1_
    .private_segment_fixed_size: 0
    .sgpr_count:     0
    .sgpr_spill_count: 0
    .symbol:         _ZN7rocprim17ROCPRIM_400000_NS6detail17trampoline_kernelINS0_14default_configENS1_20scan_config_selectorIdEEZZNS1_9scan_implILNS1_25lookback_scan_determinismE0ELb0ELb0ES3_PKdPddZZZN2at6native31launch_logcumsumexp_cuda_kernelERKNSB_10TensorBaseESF_lENKUlvE_clEvENKUlvE_clEvEUlddE_dEEDaPvRmT3_T4_T5_mT6_P12ihipStream_tbENKUlT_T0_E_clISt17integral_constantIbLb1EESW_EEDaSR_SS_EUlSR_E0_NS1_11comp_targetILNS1_3genE5ELNS1_11target_archE942ELNS1_3gpuE9ELNS1_3repE0EEENS1_30default_config_static_selectorELNS0_4arch9wavefront6targetE0EEEvT1_.kd
    .uniform_work_group_size: 1
    .uses_dynamic_stack: false
    .vgpr_count:     0
    .vgpr_spill_count: 0
    .wavefront_size: 32
    .workgroup_processor_mode: 1
  - .args:
      - .offset:         0
        .size:           40
        .value_kind:     by_value
    .group_segment_fixed_size: 0
    .kernarg_segment_align: 8
    .kernarg_segment_size: 40
    .language:       OpenCL C
    .language_version:
      - 2
      - 0
    .max_flat_workgroup_size: 128
    .name:           _ZN7rocprim17ROCPRIM_400000_NS6detail17trampoline_kernelINS0_14default_configENS1_20scan_config_selectorIdEEZZNS1_9scan_implILNS1_25lookback_scan_determinismE0ELb0ELb0ES3_PKdPddZZZN2at6native31launch_logcumsumexp_cuda_kernelERKNSB_10TensorBaseESF_lENKUlvE_clEvENKUlvE_clEvEUlddE_dEEDaPvRmT3_T4_T5_mT6_P12ihipStream_tbENKUlT_T0_E_clISt17integral_constantIbLb1EESW_EEDaSR_SS_EUlSR_E0_NS1_11comp_targetILNS1_3genE4ELNS1_11target_archE910ELNS1_3gpuE8ELNS1_3repE0EEENS1_30default_config_static_selectorELNS0_4arch9wavefront6targetE0EEEvT1_
    .private_segment_fixed_size: 0
    .sgpr_count:     0
    .sgpr_spill_count: 0
    .symbol:         _ZN7rocprim17ROCPRIM_400000_NS6detail17trampoline_kernelINS0_14default_configENS1_20scan_config_selectorIdEEZZNS1_9scan_implILNS1_25lookback_scan_determinismE0ELb0ELb0ES3_PKdPddZZZN2at6native31launch_logcumsumexp_cuda_kernelERKNSB_10TensorBaseESF_lENKUlvE_clEvENKUlvE_clEvEUlddE_dEEDaPvRmT3_T4_T5_mT6_P12ihipStream_tbENKUlT_T0_E_clISt17integral_constantIbLb1EESW_EEDaSR_SS_EUlSR_E0_NS1_11comp_targetILNS1_3genE4ELNS1_11target_archE910ELNS1_3gpuE8ELNS1_3repE0EEENS1_30default_config_static_selectorELNS0_4arch9wavefront6targetE0EEEvT1_.kd
    .uniform_work_group_size: 1
    .uses_dynamic_stack: false
    .vgpr_count:     0
    .vgpr_spill_count: 0
    .wavefront_size: 32
    .workgroup_processor_mode: 1
  - .args:
      - .offset:         0
        .size:           40
        .value_kind:     by_value
    .group_segment_fixed_size: 0
    .kernarg_segment_align: 8
    .kernarg_segment_size: 40
    .language:       OpenCL C
    .language_version:
      - 2
      - 0
    .max_flat_workgroup_size: 256
    .name:           _ZN7rocprim17ROCPRIM_400000_NS6detail17trampoline_kernelINS0_14default_configENS1_20scan_config_selectorIdEEZZNS1_9scan_implILNS1_25lookback_scan_determinismE0ELb0ELb0ES3_PKdPddZZZN2at6native31launch_logcumsumexp_cuda_kernelERKNSB_10TensorBaseESF_lENKUlvE_clEvENKUlvE_clEvEUlddE_dEEDaPvRmT3_T4_T5_mT6_P12ihipStream_tbENKUlT_T0_E_clISt17integral_constantIbLb1EESW_EEDaSR_SS_EUlSR_E0_NS1_11comp_targetILNS1_3genE3ELNS1_11target_archE908ELNS1_3gpuE7ELNS1_3repE0EEENS1_30default_config_static_selectorELNS0_4arch9wavefront6targetE0EEEvT1_
    .private_segment_fixed_size: 0
    .sgpr_count:     0
    .sgpr_spill_count: 0
    .symbol:         _ZN7rocprim17ROCPRIM_400000_NS6detail17trampoline_kernelINS0_14default_configENS1_20scan_config_selectorIdEEZZNS1_9scan_implILNS1_25lookback_scan_determinismE0ELb0ELb0ES3_PKdPddZZZN2at6native31launch_logcumsumexp_cuda_kernelERKNSB_10TensorBaseESF_lENKUlvE_clEvENKUlvE_clEvEUlddE_dEEDaPvRmT3_T4_T5_mT6_P12ihipStream_tbENKUlT_T0_E_clISt17integral_constantIbLb1EESW_EEDaSR_SS_EUlSR_E0_NS1_11comp_targetILNS1_3genE3ELNS1_11target_archE908ELNS1_3gpuE7ELNS1_3repE0EEENS1_30default_config_static_selectorELNS0_4arch9wavefront6targetE0EEEvT1_.kd
    .uniform_work_group_size: 1
    .uses_dynamic_stack: false
    .vgpr_count:     0
    .vgpr_spill_count: 0
    .wavefront_size: 32
    .workgroup_processor_mode: 1
  - .args:
      - .offset:         0
        .size:           40
        .value_kind:     by_value
    .group_segment_fixed_size: 0
    .kernarg_segment_align: 8
    .kernarg_segment_size: 40
    .language:       OpenCL C
    .language_version:
      - 2
      - 0
    .max_flat_workgroup_size: 128
    .name:           _ZN7rocprim17ROCPRIM_400000_NS6detail17trampoline_kernelINS0_14default_configENS1_20scan_config_selectorIdEEZZNS1_9scan_implILNS1_25lookback_scan_determinismE0ELb0ELb0ES3_PKdPddZZZN2at6native31launch_logcumsumexp_cuda_kernelERKNSB_10TensorBaseESF_lENKUlvE_clEvENKUlvE_clEvEUlddE_dEEDaPvRmT3_T4_T5_mT6_P12ihipStream_tbENKUlT_T0_E_clISt17integral_constantIbLb1EESW_EEDaSR_SS_EUlSR_E0_NS1_11comp_targetILNS1_3genE2ELNS1_11target_archE906ELNS1_3gpuE6ELNS1_3repE0EEENS1_30default_config_static_selectorELNS0_4arch9wavefront6targetE0EEEvT1_
    .private_segment_fixed_size: 0
    .sgpr_count:     0
    .sgpr_spill_count: 0
    .symbol:         _ZN7rocprim17ROCPRIM_400000_NS6detail17trampoline_kernelINS0_14default_configENS1_20scan_config_selectorIdEEZZNS1_9scan_implILNS1_25lookback_scan_determinismE0ELb0ELb0ES3_PKdPddZZZN2at6native31launch_logcumsumexp_cuda_kernelERKNSB_10TensorBaseESF_lENKUlvE_clEvENKUlvE_clEvEUlddE_dEEDaPvRmT3_T4_T5_mT6_P12ihipStream_tbENKUlT_T0_E_clISt17integral_constantIbLb1EESW_EEDaSR_SS_EUlSR_E0_NS1_11comp_targetILNS1_3genE2ELNS1_11target_archE906ELNS1_3gpuE6ELNS1_3repE0EEENS1_30default_config_static_selectorELNS0_4arch9wavefront6targetE0EEEvT1_.kd
    .uniform_work_group_size: 1
    .uses_dynamic_stack: false
    .vgpr_count:     0
    .vgpr_spill_count: 0
    .wavefront_size: 32
    .workgroup_processor_mode: 1
  - .args:
      - .offset:         0
        .size:           40
        .value_kind:     by_value
    .group_segment_fixed_size: 0
    .kernarg_segment_align: 8
    .kernarg_segment_size: 40
    .language:       OpenCL C
    .language_version:
      - 2
      - 0
    .max_flat_workgroup_size: 256
    .name:           _ZN7rocprim17ROCPRIM_400000_NS6detail17trampoline_kernelINS0_14default_configENS1_20scan_config_selectorIdEEZZNS1_9scan_implILNS1_25lookback_scan_determinismE0ELb0ELb0ES3_PKdPddZZZN2at6native31launch_logcumsumexp_cuda_kernelERKNSB_10TensorBaseESF_lENKUlvE_clEvENKUlvE_clEvEUlddE_dEEDaPvRmT3_T4_T5_mT6_P12ihipStream_tbENKUlT_T0_E_clISt17integral_constantIbLb1EESW_EEDaSR_SS_EUlSR_E0_NS1_11comp_targetILNS1_3genE10ELNS1_11target_archE1201ELNS1_3gpuE5ELNS1_3repE0EEENS1_30default_config_static_selectorELNS0_4arch9wavefront6targetE0EEEvT1_
    .private_segment_fixed_size: 0
    .sgpr_count:     0
    .sgpr_spill_count: 0
    .symbol:         _ZN7rocprim17ROCPRIM_400000_NS6detail17trampoline_kernelINS0_14default_configENS1_20scan_config_selectorIdEEZZNS1_9scan_implILNS1_25lookback_scan_determinismE0ELb0ELb0ES3_PKdPddZZZN2at6native31launch_logcumsumexp_cuda_kernelERKNSB_10TensorBaseESF_lENKUlvE_clEvENKUlvE_clEvEUlddE_dEEDaPvRmT3_T4_T5_mT6_P12ihipStream_tbENKUlT_T0_E_clISt17integral_constantIbLb1EESW_EEDaSR_SS_EUlSR_E0_NS1_11comp_targetILNS1_3genE10ELNS1_11target_archE1201ELNS1_3gpuE5ELNS1_3repE0EEENS1_30default_config_static_selectorELNS0_4arch9wavefront6targetE0EEEvT1_.kd
    .uniform_work_group_size: 1
    .uses_dynamic_stack: false
    .vgpr_count:     0
    .vgpr_spill_count: 0
    .wavefront_size: 32
    .workgroup_processor_mode: 1
  - .args:
      - .offset:         0
        .size:           40
        .value_kind:     by_value
    .group_segment_fixed_size: 0
    .kernarg_segment_align: 8
    .kernarg_segment_size: 40
    .language:       OpenCL C
    .language_version:
      - 2
      - 0
    .max_flat_workgroup_size: 256
    .name:           _ZN7rocprim17ROCPRIM_400000_NS6detail17trampoline_kernelINS0_14default_configENS1_20scan_config_selectorIdEEZZNS1_9scan_implILNS1_25lookback_scan_determinismE0ELb0ELb0ES3_PKdPddZZZN2at6native31launch_logcumsumexp_cuda_kernelERKNSB_10TensorBaseESF_lENKUlvE_clEvENKUlvE_clEvEUlddE_dEEDaPvRmT3_T4_T5_mT6_P12ihipStream_tbENKUlT_T0_E_clISt17integral_constantIbLb1EESW_EEDaSR_SS_EUlSR_E0_NS1_11comp_targetILNS1_3genE10ELNS1_11target_archE1200ELNS1_3gpuE4ELNS1_3repE0EEENS1_30default_config_static_selectorELNS0_4arch9wavefront6targetE0EEEvT1_
    .private_segment_fixed_size: 0
    .sgpr_count:     0
    .sgpr_spill_count: 0
    .symbol:         _ZN7rocprim17ROCPRIM_400000_NS6detail17trampoline_kernelINS0_14default_configENS1_20scan_config_selectorIdEEZZNS1_9scan_implILNS1_25lookback_scan_determinismE0ELb0ELb0ES3_PKdPddZZZN2at6native31launch_logcumsumexp_cuda_kernelERKNSB_10TensorBaseESF_lENKUlvE_clEvENKUlvE_clEvEUlddE_dEEDaPvRmT3_T4_T5_mT6_P12ihipStream_tbENKUlT_T0_E_clISt17integral_constantIbLb1EESW_EEDaSR_SS_EUlSR_E0_NS1_11comp_targetILNS1_3genE10ELNS1_11target_archE1200ELNS1_3gpuE4ELNS1_3repE0EEENS1_30default_config_static_selectorELNS0_4arch9wavefront6targetE0EEEvT1_.kd
    .uniform_work_group_size: 1
    .uses_dynamic_stack: false
    .vgpr_count:     0
    .vgpr_spill_count: 0
    .wavefront_size: 32
    .workgroup_processor_mode: 1
  - .args:
      - .offset:         0
        .size:           40
        .value_kind:     by_value
    .group_segment_fixed_size: 0
    .kernarg_segment_align: 8
    .kernarg_segment_size: 40
    .language:       OpenCL C
    .language_version:
      - 2
      - 0
    .max_flat_workgroup_size: 256
    .name:           _ZN7rocprim17ROCPRIM_400000_NS6detail17trampoline_kernelINS0_14default_configENS1_20scan_config_selectorIdEEZZNS1_9scan_implILNS1_25lookback_scan_determinismE0ELb0ELb0ES3_PKdPddZZZN2at6native31launch_logcumsumexp_cuda_kernelERKNSB_10TensorBaseESF_lENKUlvE_clEvENKUlvE_clEvEUlddE_dEEDaPvRmT3_T4_T5_mT6_P12ihipStream_tbENKUlT_T0_E_clISt17integral_constantIbLb1EESW_EEDaSR_SS_EUlSR_E0_NS1_11comp_targetILNS1_3genE9ELNS1_11target_archE1100ELNS1_3gpuE3ELNS1_3repE0EEENS1_30default_config_static_selectorELNS0_4arch9wavefront6targetE0EEEvT1_
    .private_segment_fixed_size: 0
    .sgpr_count:     0
    .sgpr_spill_count: 0
    .symbol:         _ZN7rocprim17ROCPRIM_400000_NS6detail17trampoline_kernelINS0_14default_configENS1_20scan_config_selectorIdEEZZNS1_9scan_implILNS1_25lookback_scan_determinismE0ELb0ELb0ES3_PKdPddZZZN2at6native31launch_logcumsumexp_cuda_kernelERKNSB_10TensorBaseESF_lENKUlvE_clEvENKUlvE_clEvEUlddE_dEEDaPvRmT3_T4_T5_mT6_P12ihipStream_tbENKUlT_T0_E_clISt17integral_constantIbLb1EESW_EEDaSR_SS_EUlSR_E0_NS1_11comp_targetILNS1_3genE9ELNS1_11target_archE1100ELNS1_3gpuE3ELNS1_3repE0EEENS1_30default_config_static_selectorELNS0_4arch9wavefront6targetE0EEEvT1_.kd
    .uniform_work_group_size: 1
    .uses_dynamic_stack: false
    .vgpr_count:     0
    .vgpr_spill_count: 0
    .wavefront_size: 32
    .workgroup_processor_mode: 1
  - .args:
      - .offset:         0
        .size:           40
        .value_kind:     by_value
    .group_segment_fixed_size: 14336
    .kernarg_segment_align: 8
    .kernarg_segment_size: 40
    .language:       OpenCL C
    .language_version:
      - 2
      - 0
    .max_flat_workgroup_size: 128
    .name:           _ZN7rocprim17ROCPRIM_400000_NS6detail17trampoline_kernelINS0_14default_configENS1_20scan_config_selectorIdEEZZNS1_9scan_implILNS1_25lookback_scan_determinismE0ELb0ELb0ES3_PKdPddZZZN2at6native31launch_logcumsumexp_cuda_kernelERKNSB_10TensorBaseESF_lENKUlvE_clEvENKUlvE_clEvEUlddE_dEEDaPvRmT3_T4_T5_mT6_P12ihipStream_tbENKUlT_T0_E_clISt17integral_constantIbLb1EESW_EEDaSR_SS_EUlSR_E0_NS1_11comp_targetILNS1_3genE8ELNS1_11target_archE1030ELNS1_3gpuE2ELNS1_3repE0EEENS1_30default_config_static_selectorELNS0_4arch9wavefront6targetE0EEEvT1_
    .private_segment_fixed_size: 0
    .sgpr_count:     46
    .sgpr_spill_count: 0
    .symbol:         _ZN7rocprim17ROCPRIM_400000_NS6detail17trampoline_kernelINS0_14default_configENS1_20scan_config_selectorIdEEZZNS1_9scan_implILNS1_25lookback_scan_determinismE0ELb0ELb0ES3_PKdPddZZZN2at6native31launch_logcumsumexp_cuda_kernelERKNSB_10TensorBaseESF_lENKUlvE_clEvENKUlvE_clEvEUlddE_dEEDaPvRmT3_T4_T5_mT6_P12ihipStream_tbENKUlT_T0_E_clISt17integral_constantIbLb1EESW_EEDaSR_SS_EUlSR_E0_NS1_11comp_targetILNS1_3genE8ELNS1_11target_archE1030ELNS1_3gpuE2ELNS1_3repE0EEENS1_30default_config_static_selectorELNS0_4arch9wavefront6targetE0EEEvT1_.kd
    .uniform_work_group_size: 1
    .uses_dynamic_stack: false
    .vgpr_count:     95
    .vgpr_spill_count: 0
    .wavefront_size: 32
    .workgroup_processor_mode: 1
  - .args:
      - .address_space:  global
        .offset:         0
        .size:           8
        .value_kind:     global_buffer
      - .offset:         8
        .size:           4
        .value_kind:     by_value
      - .offset:         12
        .size:           1
        .value_kind:     by_value
      - .offset:         16
        .size:           4
        .value_kind:     by_value
      - .address_space:  global
        .offset:         24
        .size:           8
        .value_kind:     global_buffer
      - .offset:         32
        .size:           4
        .value_kind:     hidden_block_count_x
      - .offset:         36
        .size:           4
        .value_kind:     hidden_block_count_y
      - .offset:         40
        .size:           4
        .value_kind:     hidden_block_count_z
      - .offset:         44
        .size:           2
        .value_kind:     hidden_group_size_x
      - .offset:         46
        .size:           2
        .value_kind:     hidden_group_size_y
      - .offset:         48
        .size:           2
        .value_kind:     hidden_group_size_z
      - .offset:         50
        .size:           2
        .value_kind:     hidden_remainder_x
      - .offset:         52
        .size:           2
        .value_kind:     hidden_remainder_y
      - .offset:         54
        .size:           2
        .value_kind:     hidden_remainder_z
      - .offset:         72
        .size:           8
        .value_kind:     hidden_global_offset_x
      - .offset:         80
        .size:           8
        .value_kind:     hidden_global_offset_y
      - .offset:         88
        .size:           8
        .value_kind:     hidden_global_offset_z
      - .offset:         96
        .size:           2
        .value_kind:     hidden_grid_dims
    .group_segment_fixed_size: 0
    .kernarg_segment_align: 8
    .kernarg_segment_size: 288
    .language:       OpenCL C
    .language_version:
      - 2
      - 0
    .max_flat_workgroup_size: 256
    .name:           _ZN7rocprim17ROCPRIM_400000_NS6detail31init_lookback_scan_state_kernelINS1_19lookback_scan_stateIdLb1ELb1EEENS1_16block_id_wrapperIjLb0EEEEEvT_jT0_jPNS7_10value_typeE
    .private_segment_fixed_size: 0
    .sgpr_count:     12
    .sgpr_spill_count: 0
    .symbol:         _ZN7rocprim17ROCPRIM_400000_NS6detail31init_lookback_scan_state_kernelINS1_19lookback_scan_stateIdLb1ELb1EEENS1_16block_id_wrapperIjLb0EEEEEvT_jT0_jPNS7_10value_typeE.kd
    .uniform_work_group_size: 1
    .uses_dynamic_stack: false
    .vgpr_count:     8
    .vgpr_spill_count: 0
    .wavefront_size: 32
    .workgroup_processor_mode: 1
  - .args:
      - .offset:         0
        .size:           104
        .value_kind:     by_value
    .group_segment_fixed_size: 0
    .kernarg_segment_align: 8
    .kernarg_segment_size: 104
    .language:       OpenCL C
    .language_version:
      - 2
      - 0
    .max_flat_workgroup_size: 256
    .name:           _ZN7rocprim17ROCPRIM_400000_NS6detail17trampoline_kernelINS0_14default_configENS1_20scan_config_selectorIdEEZZNS1_9scan_implILNS1_25lookback_scan_determinismE0ELb0ELb0ES3_PKdPddZZZN2at6native31launch_logcumsumexp_cuda_kernelERKNSB_10TensorBaseESF_lENKUlvE_clEvENKUlvE_clEvEUlddE_dEEDaPvRmT3_T4_T5_mT6_P12ihipStream_tbENKUlT_T0_E_clISt17integral_constantIbLb1EESV_IbLb0EEEEDaSR_SS_EUlSR_E_NS1_11comp_targetILNS1_3genE0ELNS1_11target_archE4294967295ELNS1_3gpuE0ELNS1_3repE0EEENS1_30default_config_static_selectorELNS0_4arch9wavefront6targetE0EEEvT1_
    .private_segment_fixed_size: 0
    .sgpr_count:     0
    .sgpr_spill_count: 0
    .symbol:         _ZN7rocprim17ROCPRIM_400000_NS6detail17trampoline_kernelINS0_14default_configENS1_20scan_config_selectorIdEEZZNS1_9scan_implILNS1_25lookback_scan_determinismE0ELb0ELb0ES3_PKdPddZZZN2at6native31launch_logcumsumexp_cuda_kernelERKNSB_10TensorBaseESF_lENKUlvE_clEvENKUlvE_clEvEUlddE_dEEDaPvRmT3_T4_T5_mT6_P12ihipStream_tbENKUlT_T0_E_clISt17integral_constantIbLb1EESV_IbLb0EEEEDaSR_SS_EUlSR_E_NS1_11comp_targetILNS1_3genE0ELNS1_11target_archE4294967295ELNS1_3gpuE0ELNS1_3repE0EEENS1_30default_config_static_selectorELNS0_4arch9wavefront6targetE0EEEvT1_.kd
    .uniform_work_group_size: 1
    .uses_dynamic_stack: false
    .vgpr_count:     0
    .vgpr_spill_count: 0
    .wavefront_size: 32
    .workgroup_processor_mode: 1
  - .args:
      - .offset:         0
        .size:           104
        .value_kind:     by_value
    .group_segment_fixed_size: 0
    .kernarg_segment_align: 8
    .kernarg_segment_size: 104
    .language:       OpenCL C
    .language_version:
      - 2
      - 0
    .max_flat_workgroup_size: 256
    .name:           _ZN7rocprim17ROCPRIM_400000_NS6detail17trampoline_kernelINS0_14default_configENS1_20scan_config_selectorIdEEZZNS1_9scan_implILNS1_25lookback_scan_determinismE0ELb0ELb0ES3_PKdPddZZZN2at6native31launch_logcumsumexp_cuda_kernelERKNSB_10TensorBaseESF_lENKUlvE_clEvENKUlvE_clEvEUlddE_dEEDaPvRmT3_T4_T5_mT6_P12ihipStream_tbENKUlT_T0_E_clISt17integral_constantIbLb1EESV_IbLb0EEEEDaSR_SS_EUlSR_E_NS1_11comp_targetILNS1_3genE5ELNS1_11target_archE942ELNS1_3gpuE9ELNS1_3repE0EEENS1_30default_config_static_selectorELNS0_4arch9wavefront6targetE0EEEvT1_
    .private_segment_fixed_size: 0
    .sgpr_count:     0
    .sgpr_spill_count: 0
    .symbol:         _ZN7rocprim17ROCPRIM_400000_NS6detail17trampoline_kernelINS0_14default_configENS1_20scan_config_selectorIdEEZZNS1_9scan_implILNS1_25lookback_scan_determinismE0ELb0ELb0ES3_PKdPddZZZN2at6native31launch_logcumsumexp_cuda_kernelERKNSB_10TensorBaseESF_lENKUlvE_clEvENKUlvE_clEvEUlddE_dEEDaPvRmT3_T4_T5_mT6_P12ihipStream_tbENKUlT_T0_E_clISt17integral_constantIbLb1EESV_IbLb0EEEEDaSR_SS_EUlSR_E_NS1_11comp_targetILNS1_3genE5ELNS1_11target_archE942ELNS1_3gpuE9ELNS1_3repE0EEENS1_30default_config_static_selectorELNS0_4arch9wavefront6targetE0EEEvT1_.kd
    .uniform_work_group_size: 1
    .uses_dynamic_stack: false
    .vgpr_count:     0
    .vgpr_spill_count: 0
    .wavefront_size: 32
    .workgroup_processor_mode: 1
  - .args:
      - .offset:         0
        .size:           104
        .value_kind:     by_value
    .group_segment_fixed_size: 0
    .kernarg_segment_align: 8
    .kernarg_segment_size: 104
    .language:       OpenCL C
    .language_version:
      - 2
      - 0
    .max_flat_workgroup_size: 128
    .name:           _ZN7rocprim17ROCPRIM_400000_NS6detail17trampoline_kernelINS0_14default_configENS1_20scan_config_selectorIdEEZZNS1_9scan_implILNS1_25lookback_scan_determinismE0ELb0ELb0ES3_PKdPddZZZN2at6native31launch_logcumsumexp_cuda_kernelERKNSB_10TensorBaseESF_lENKUlvE_clEvENKUlvE_clEvEUlddE_dEEDaPvRmT3_T4_T5_mT6_P12ihipStream_tbENKUlT_T0_E_clISt17integral_constantIbLb1EESV_IbLb0EEEEDaSR_SS_EUlSR_E_NS1_11comp_targetILNS1_3genE4ELNS1_11target_archE910ELNS1_3gpuE8ELNS1_3repE0EEENS1_30default_config_static_selectorELNS0_4arch9wavefront6targetE0EEEvT1_
    .private_segment_fixed_size: 0
    .sgpr_count:     0
    .sgpr_spill_count: 0
    .symbol:         _ZN7rocprim17ROCPRIM_400000_NS6detail17trampoline_kernelINS0_14default_configENS1_20scan_config_selectorIdEEZZNS1_9scan_implILNS1_25lookback_scan_determinismE0ELb0ELb0ES3_PKdPddZZZN2at6native31launch_logcumsumexp_cuda_kernelERKNSB_10TensorBaseESF_lENKUlvE_clEvENKUlvE_clEvEUlddE_dEEDaPvRmT3_T4_T5_mT6_P12ihipStream_tbENKUlT_T0_E_clISt17integral_constantIbLb1EESV_IbLb0EEEEDaSR_SS_EUlSR_E_NS1_11comp_targetILNS1_3genE4ELNS1_11target_archE910ELNS1_3gpuE8ELNS1_3repE0EEENS1_30default_config_static_selectorELNS0_4arch9wavefront6targetE0EEEvT1_.kd
    .uniform_work_group_size: 1
    .uses_dynamic_stack: false
    .vgpr_count:     0
    .vgpr_spill_count: 0
    .wavefront_size: 32
    .workgroup_processor_mode: 1
  - .args:
      - .offset:         0
        .size:           104
        .value_kind:     by_value
    .group_segment_fixed_size: 0
    .kernarg_segment_align: 8
    .kernarg_segment_size: 104
    .language:       OpenCL C
    .language_version:
      - 2
      - 0
    .max_flat_workgroup_size: 256
    .name:           _ZN7rocprim17ROCPRIM_400000_NS6detail17trampoline_kernelINS0_14default_configENS1_20scan_config_selectorIdEEZZNS1_9scan_implILNS1_25lookback_scan_determinismE0ELb0ELb0ES3_PKdPddZZZN2at6native31launch_logcumsumexp_cuda_kernelERKNSB_10TensorBaseESF_lENKUlvE_clEvENKUlvE_clEvEUlddE_dEEDaPvRmT3_T4_T5_mT6_P12ihipStream_tbENKUlT_T0_E_clISt17integral_constantIbLb1EESV_IbLb0EEEEDaSR_SS_EUlSR_E_NS1_11comp_targetILNS1_3genE3ELNS1_11target_archE908ELNS1_3gpuE7ELNS1_3repE0EEENS1_30default_config_static_selectorELNS0_4arch9wavefront6targetE0EEEvT1_
    .private_segment_fixed_size: 0
    .sgpr_count:     0
    .sgpr_spill_count: 0
    .symbol:         _ZN7rocprim17ROCPRIM_400000_NS6detail17trampoline_kernelINS0_14default_configENS1_20scan_config_selectorIdEEZZNS1_9scan_implILNS1_25lookback_scan_determinismE0ELb0ELb0ES3_PKdPddZZZN2at6native31launch_logcumsumexp_cuda_kernelERKNSB_10TensorBaseESF_lENKUlvE_clEvENKUlvE_clEvEUlddE_dEEDaPvRmT3_T4_T5_mT6_P12ihipStream_tbENKUlT_T0_E_clISt17integral_constantIbLb1EESV_IbLb0EEEEDaSR_SS_EUlSR_E_NS1_11comp_targetILNS1_3genE3ELNS1_11target_archE908ELNS1_3gpuE7ELNS1_3repE0EEENS1_30default_config_static_selectorELNS0_4arch9wavefront6targetE0EEEvT1_.kd
    .uniform_work_group_size: 1
    .uses_dynamic_stack: false
    .vgpr_count:     0
    .vgpr_spill_count: 0
    .wavefront_size: 32
    .workgroup_processor_mode: 1
  - .args:
      - .offset:         0
        .size:           104
        .value_kind:     by_value
    .group_segment_fixed_size: 0
    .kernarg_segment_align: 8
    .kernarg_segment_size: 104
    .language:       OpenCL C
    .language_version:
      - 2
      - 0
    .max_flat_workgroup_size: 128
    .name:           _ZN7rocprim17ROCPRIM_400000_NS6detail17trampoline_kernelINS0_14default_configENS1_20scan_config_selectorIdEEZZNS1_9scan_implILNS1_25lookback_scan_determinismE0ELb0ELb0ES3_PKdPddZZZN2at6native31launch_logcumsumexp_cuda_kernelERKNSB_10TensorBaseESF_lENKUlvE_clEvENKUlvE_clEvEUlddE_dEEDaPvRmT3_T4_T5_mT6_P12ihipStream_tbENKUlT_T0_E_clISt17integral_constantIbLb1EESV_IbLb0EEEEDaSR_SS_EUlSR_E_NS1_11comp_targetILNS1_3genE2ELNS1_11target_archE906ELNS1_3gpuE6ELNS1_3repE0EEENS1_30default_config_static_selectorELNS0_4arch9wavefront6targetE0EEEvT1_
    .private_segment_fixed_size: 0
    .sgpr_count:     0
    .sgpr_spill_count: 0
    .symbol:         _ZN7rocprim17ROCPRIM_400000_NS6detail17trampoline_kernelINS0_14default_configENS1_20scan_config_selectorIdEEZZNS1_9scan_implILNS1_25lookback_scan_determinismE0ELb0ELb0ES3_PKdPddZZZN2at6native31launch_logcumsumexp_cuda_kernelERKNSB_10TensorBaseESF_lENKUlvE_clEvENKUlvE_clEvEUlddE_dEEDaPvRmT3_T4_T5_mT6_P12ihipStream_tbENKUlT_T0_E_clISt17integral_constantIbLb1EESV_IbLb0EEEEDaSR_SS_EUlSR_E_NS1_11comp_targetILNS1_3genE2ELNS1_11target_archE906ELNS1_3gpuE6ELNS1_3repE0EEENS1_30default_config_static_selectorELNS0_4arch9wavefront6targetE0EEEvT1_.kd
    .uniform_work_group_size: 1
    .uses_dynamic_stack: false
    .vgpr_count:     0
    .vgpr_spill_count: 0
    .wavefront_size: 32
    .workgroup_processor_mode: 1
  - .args:
      - .offset:         0
        .size:           104
        .value_kind:     by_value
    .group_segment_fixed_size: 0
    .kernarg_segment_align: 8
    .kernarg_segment_size: 104
    .language:       OpenCL C
    .language_version:
      - 2
      - 0
    .max_flat_workgroup_size: 256
    .name:           _ZN7rocprim17ROCPRIM_400000_NS6detail17trampoline_kernelINS0_14default_configENS1_20scan_config_selectorIdEEZZNS1_9scan_implILNS1_25lookback_scan_determinismE0ELb0ELb0ES3_PKdPddZZZN2at6native31launch_logcumsumexp_cuda_kernelERKNSB_10TensorBaseESF_lENKUlvE_clEvENKUlvE_clEvEUlddE_dEEDaPvRmT3_T4_T5_mT6_P12ihipStream_tbENKUlT_T0_E_clISt17integral_constantIbLb1EESV_IbLb0EEEEDaSR_SS_EUlSR_E_NS1_11comp_targetILNS1_3genE10ELNS1_11target_archE1201ELNS1_3gpuE5ELNS1_3repE0EEENS1_30default_config_static_selectorELNS0_4arch9wavefront6targetE0EEEvT1_
    .private_segment_fixed_size: 0
    .sgpr_count:     0
    .sgpr_spill_count: 0
    .symbol:         _ZN7rocprim17ROCPRIM_400000_NS6detail17trampoline_kernelINS0_14default_configENS1_20scan_config_selectorIdEEZZNS1_9scan_implILNS1_25lookback_scan_determinismE0ELb0ELb0ES3_PKdPddZZZN2at6native31launch_logcumsumexp_cuda_kernelERKNSB_10TensorBaseESF_lENKUlvE_clEvENKUlvE_clEvEUlddE_dEEDaPvRmT3_T4_T5_mT6_P12ihipStream_tbENKUlT_T0_E_clISt17integral_constantIbLb1EESV_IbLb0EEEEDaSR_SS_EUlSR_E_NS1_11comp_targetILNS1_3genE10ELNS1_11target_archE1201ELNS1_3gpuE5ELNS1_3repE0EEENS1_30default_config_static_selectorELNS0_4arch9wavefront6targetE0EEEvT1_.kd
    .uniform_work_group_size: 1
    .uses_dynamic_stack: false
    .vgpr_count:     0
    .vgpr_spill_count: 0
    .wavefront_size: 32
    .workgroup_processor_mode: 1
  - .args:
      - .offset:         0
        .size:           104
        .value_kind:     by_value
    .group_segment_fixed_size: 0
    .kernarg_segment_align: 8
    .kernarg_segment_size: 104
    .language:       OpenCL C
    .language_version:
      - 2
      - 0
    .max_flat_workgroup_size: 256
    .name:           _ZN7rocprim17ROCPRIM_400000_NS6detail17trampoline_kernelINS0_14default_configENS1_20scan_config_selectorIdEEZZNS1_9scan_implILNS1_25lookback_scan_determinismE0ELb0ELb0ES3_PKdPddZZZN2at6native31launch_logcumsumexp_cuda_kernelERKNSB_10TensorBaseESF_lENKUlvE_clEvENKUlvE_clEvEUlddE_dEEDaPvRmT3_T4_T5_mT6_P12ihipStream_tbENKUlT_T0_E_clISt17integral_constantIbLb1EESV_IbLb0EEEEDaSR_SS_EUlSR_E_NS1_11comp_targetILNS1_3genE10ELNS1_11target_archE1200ELNS1_3gpuE4ELNS1_3repE0EEENS1_30default_config_static_selectorELNS0_4arch9wavefront6targetE0EEEvT1_
    .private_segment_fixed_size: 0
    .sgpr_count:     0
    .sgpr_spill_count: 0
    .symbol:         _ZN7rocprim17ROCPRIM_400000_NS6detail17trampoline_kernelINS0_14default_configENS1_20scan_config_selectorIdEEZZNS1_9scan_implILNS1_25lookback_scan_determinismE0ELb0ELb0ES3_PKdPddZZZN2at6native31launch_logcumsumexp_cuda_kernelERKNSB_10TensorBaseESF_lENKUlvE_clEvENKUlvE_clEvEUlddE_dEEDaPvRmT3_T4_T5_mT6_P12ihipStream_tbENKUlT_T0_E_clISt17integral_constantIbLb1EESV_IbLb0EEEEDaSR_SS_EUlSR_E_NS1_11comp_targetILNS1_3genE10ELNS1_11target_archE1200ELNS1_3gpuE4ELNS1_3repE0EEENS1_30default_config_static_selectorELNS0_4arch9wavefront6targetE0EEEvT1_.kd
    .uniform_work_group_size: 1
    .uses_dynamic_stack: false
    .vgpr_count:     0
    .vgpr_spill_count: 0
    .wavefront_size: 32
    .workgroup_processor_mode: 1
  - .args:
      - .offset:         0
        .size:           104
        .value_kind:     by_value
    .group_segment_fixed_size: 0
    .kernarg_segment_align: 8
    .kernarg_segment_size: 104
    .language:       OpenCL C
    .language_version:
      - 2
      - 0
    .max_flat_workgroup_size: 256
    .name:           _ZN7rocprim17ROCPRIM_400000_NS6detail17trampoline_kernelINS0_14default_configENS1_20scan_config_selectorIdEEZZNS1_9scan_implILNS1_25lookback_scan_determinismE0ELb0ELb0ES3_PKdPddZZZN2at6native31launch_logcumsumexp_cuda_kernelERKNSB_10TensorBaseESF_lENKUlvE_clEvENKUlvE_clEvEUlddE_dEEDaPvRmT3_T4_T5_mT6_P12ihipStream_tbENKUlT_T0_E_clISt17integral_constantIbLb1EESV_IbLb0EEEEDaSR_SS_EUlSR_E_NS1_11comp_targetILNS1_3genE9ELNS1_11target_archE1100ELNS1_3gpuE3ELNS1_3repE0EEENS1_30default_config_static_selectorELNS0_4arch9wavefront6targetE0EEEvT1_
    .private_segment_fixed_size: 0
    .sgpr_count:     0
    .sgpr_spill_count: 0
    .symbol:         _ZN7rocprim17ROCPRIM_400000_NS6detail17trampoline_kernelINS0_14default_configENS1_20scan_config_selectorIdEEZZNS1_9scan_implILNS1_25lookback_scan_determinismE0ELb0ELb0ES3_PKdPddZZZN2at6native31launch_logcumsumexp_cuda_kernelERKNSB_10TensorBaseESF_lENKUlvE_clEvENKUlvE_clEvEUlddE_dEEDaPvRmT3_T4_T5_mT6_P12ihipStream_tbENKUlT_T0_E_clISt17integral_constantIbLb1EESV_IbLb0EEEEDaSR_SS_EUlSR_E_NS1_11comp_targetILNS1_3genE9ELNS1_11target_archE1100ELNS1_3gpuE3ELNS1_3repE0EEENS1_30default_config_static_selectorELNS0_4arch9wavefront6targetE0EEEvT1_.kd
    .uniform_work_group_size: 1
    .uses_dynamic_stack: false
    .vgpr_count:     0
    .vgpr_spill_count: 0
    .wavefront_size: 32
    .workgroup_processor_mode: 1
  - .args:
      - .offset:         0
        .size:           104
        .value_kind:     by_value
    .group_segment_fixed_size: 0
    .kernarg_segment_align: 8
    .kernarg_segment_size: 104
    .language:       OpenCL C
    .language_version:
      - 2
      - 0
    .max_flat_workgroup_size: 128
    .name:           _ZN7rocprim17ROCPRIM_400000_NS6detail17trampoline_kernelINS0_14default_configENS1_20scan_config_selectorIdEEZZNS1_9scan_implILNS1_25lookback_scan_determinismE0ELb0ELb0ES3_PKdPddZZZN2at6native31launch_logcumsumexp_cuda_kernelERKNSB_10TensorBaseESF_lENKUlvE_clEvENKUlvE_clEvEUlddE_dEEDaPvRmT3_T4_T5_mT6_P12ihipStream_tbENKUlT_T0_E_clISt17integral_constantIbLb1EESV_IbLb0EEEEDaSR_SS_EUlSR_E_NS1_11comp_targetILNS1_3genE8ELNS1_11target_archE1030ELNS1_3gpuE2ELNS1_3repE0EEENS1_30default_config_static_selectorELNS0_4arch9wavefront6targetE0EEEvT1_
    .private_segment_fixed_size: 0
    .sgpr_count:     0
    .sgpr_spill_count: 0
    .symbol:         _ZN7rocprim17ROCPRIM_400000_NS6detail17trampoline_kernelINS0_14default_configENS1_20scan_config_selectorIdEEZZNS1_9scan_implILNS1_25lookback_scan_determinismE0ELb0ELb0ES3_PKdPddZZZN2at6native31launch_logcumsumexp_cuda_kernelERKNSB_10TensorBaseESF_lENKUlvE_clEvENKUlvE_clEvEUlddE_dEEDaPvRmT3_T4_T5_mT6_P12ihipStream_tbENKUlT_T0_E_clISt17integral_constantIbLb1EESV_IbLb0EEEEDaSR_SS_EUlSR_E_NS1_11comp_targetILNS1_3genE8ELNS1_11target_archE1030ELNS1_3gpuE2ELNS1_3repE0EEENS1_30default_config_static_selectorELNS0_4arch9wavefront6targetE0EEEvT1_.kd
    .uniform_work_group_size: 1
    .uses_dynamic_stack: false
    .vgpr_count:     0
    .vgpr_spill_count: 0
    .wavefront_size: 32
    .workgroup_processor_mode: 1
  - .args:
      - .offset:         0
        .size:           40
        .value_kind:     by_value
    .group_segment_fixed_size: 0
    .kernarg_segment_align: 8
    .kernarg_segment_size: 40
    .language:       OpenCL C
    .language_version:
      - 2
      - 0
    .max_flat_workgroup_size: 256
    .name:           _ZN7rocprim17ROCPRIM_400000_NS6detail17trampoline_kernelINS0_14default_configENS1_20scan_config_selectorIdEEZZNS1_9scan_implILNS1_25lookback_scan_determinismE0ELb0ELb0ES3_PKdPddZZZN2at6native31launch_logcumsumexp_cuda_kernelERKNSB_10TensorBaseESF_lENKUlvE_clEvENKUlvE_clEvEUlddE_dEEDaPvRmT3_T4_T5_mT6_P12ihipStream_tbENKUlT_T0_E_clISt17integral_constantIbLb1EESV_IbLb0EEEEDaSR_SS_EUlSR_E0_NS1_11comp_targetILNS1_3genE0ELNS1_11target_archE4294967295ELNS1_3gpuE0ELNS1_3repE0EEENS1_30default_config_static_selectorELNS0_4arch9wavefront6targetE0EEEvT1_
    .private_segment_fixed_size: 0
    .sgpr_count:     0
    .sgpr_spill_count: 0
    .symbol:         _ZN7rocprim17ROCPRIM_400000_NS6detail17trampoline_kernelINS0_14default_configENS1_20scan_config_selectorIdEEZZNS1_9scan_implILNS1_25lookback_scan_determinismE0ELb0ELb0ES3_PKdPddZZZN2at6native31launch_logcumsumexp_cuda_kernelERKNSB_10TensorBaseESF_lENKUlvE_clEvENKUlvE_clEvEUlddE_dEEDaPvRmT3_T4_T5_mT6_P12ihipStream_tbENKUlT_T0_E_clISt17integral_constantIbLb1EESV_IbLb0EEEEDaSR_SS_EUlSR_E0_NS1_11comp_targetILNS1_3genE0ELNS1_11target_archE4294967295ELNS1_3gpuE0ELNS1_3repE0EEENS1_30default_config_static_selectorELNS0_4arch9wavefront6targetE0EEEvT1_.kd
    .uniform_work_group_size: 1
    .uses_dynamic_stack: false
    .vgpr_count:     0
    .vgpr_spill_count: 0
    .wavefront_size: 32
    .workgroup_processor_mode: 1
  - .args:
      - .offset:         0
        .size:           40
        .value_kind:     by_value
    .group_segment_fixed_size: 0
    .kernarg_segment_align: 8
    .kernarg_segment_size: 40
    .language:       OpenCL C
    .language_version:
      - 2
      - 0
    .max_flat_workgroup_size: 256
    .name:           _ZN7rocprim17ROCPRIM_400000_NS6detail17trampoline_kernelINS0_14default_configENS1_20scan_config_selectorIdEEZZNS1_9scan_implILNS1_25lookback_scan_determinismE0ELb0ELb0ES3_PKdPddZZZN2at6native31launch_logcumsumexp_cuda_kernelERKNSB_10TensorBaseESF_lENKUlvE_clEvENKUlvE_clEvEUlddE_dEEDaPvRmT3_T4_T5_mT6_P12ihipStream_tbENKUlT_T0_E_clISt17integral_constantIbLb1EESV_IbLb0EEEEDaSR_SS_EUlSR_E0_NS1_11comp_targetILNS1_3genE5ELNS1_11target_archE942ELNS1_3gpuE9ELNS1_3repE0EEENS1_30default_config_static_selectorELNS0_4arch9wavefront6targetE0EEEvT1_
    .private_segment_fixed_size: 0
    .sgpr_count:     0
    .sgpr_spill_count: 0
    .symbol:         _ZN7rocprim17ROCPRIM_400000_NS6detail17trampoline_kernelINS0_14default_configENS1_20scan_config_selectorIdEEZZNS1_9scan_implILNS1_25lookback_scan_determinismE0ELb0ELb0ES3_PKdPddZZZN2at6native31launch_logcumsumexp_cuda_kernelERKNSB_10TensorBaseESF_lENKUlvE_clEvENKUlvE_clEvEUlddE_dEEDaPvRmT3_T4_T5_mT6_P12ihipStream_tbENKUlT_T0_E_clISt17integral_constantIbLb1EESV_IbLb0EEEEDaSR_SS_EUlSR_E0_NS1_11comp_targetILNS1_3genE5ELNS1_11target_archE942ELNS1_3gpuE9ELNS1_3repE0EEENS1_30default_config_static_selectorELNS0_4arch9wavefront6targetE0EEEvT1_.kd
    .uniform_work_group_size: 1
    .uses_dynamic_stack: false
    .vgpr_count:     0
    .vgpr_spill_count: 0
    .wavefront_size: 32
    .workgroup_processor_mode: 1
  - .args:
      - .offset:         0
        .size:           40
        .value_kind:     by_value
    .group_segment_fixed_size: 0
    .kernarg_segment_align: 8
    .kernarg_segment_size: 40
    .language:       OpenCL C
    .language_version:
      - 2
      - 0
    .max_flat_workgroup_size: 128
    .name:           _ZN7rocprim17ROCPRIM_400000_NS6detail17trampoline_kernelINS0_14default_configENS1_20scan_config_selectorIdEEZZNS1_9scan_implILNS1_25lookback_scan_determinismE0ELb0ELb0ES3_PKdPddZZZN2at6native31launch_logcumsumexp_cuda_kernelERKNSB_10TensorBaseESF_lENKUlvE_clEvENKUlvE_clEvEUlddE_dEEDaPvRmT3_T4_T5_mT6_P12ihipStream_tbENKUlT_T0_E_clISt17integral_constantIbLb1EESV_IbLb0EEEEDaSR_SS_EUlSR_E0_NS1_11comp_targetILNS1_3genE4ELNS1_11target_archE910ELNS1_3gpuE8ELNS1_3repE0EEENS1_30default_config_static_selectorELNS0_4arch9wavefront6targetE0EEEvT1_
    .private_segment_fixed_size: 0
    .sgpr_count:     0
    .sgpr_spill_count: 0
    .symbol:         _ZN7rocprim17ROCPRIM_400000_NS6detail17trampoline_kernelINS0_14default_configENS1_20scan_config_selectorIdEEZZNS1_9scan_implILNS1_25lookback_scan_determinismE0ELb0ELb0ES3_PKdPddZZZN2at6native31launch_logcumsumexp_cuda_kernelERKNSB_10TensorBaseESF_lENKUlvE_clEvENKUlvE_clEvEUlddE_dEEDaPvRmT3_T4_T5_mT6_P12ihipStream_tbENKUlT_T0_E_clISt17integral_constantIbLb1EESV_IbLb0EEEEDaSR_SS_EUlSR_E0_NS1_11comp_targetILNS1_3genE4ELNS1_11target_archE910ELNS1_3gpuE8ELNS1_3repE0EEENS1_30default_config_static_selectorELNS0_4arch9wavefront6targetE0EEEvT1_.kd
    .uniform_work_group_size: 1
    .uses_dynamic_stack: false
    .vgpr_count:     0
    .vgpr_spill_count: 0
    .wavefront_size: 32
    .workgroup_processor_mode: 1
  - .args:
      - .offset:         0
        .size:           40
        .value_kind:     by_value
    .group_segment_fixed_size: 0
    .kernarg_segment_align: 8
    .kernarg_segment_size: 40
    .language:       OpenCL C
    .language_version:
      - 2
      - 0
    .max_flat_workgroup_size: 256
    .name:           _ZN7rocprim17ROCPRIM_400000_NS6detail17trampoline_kernelINS0_14default_configENS1_20scan_config_selectorIdEEZZNS1_9scan_implILNS1_25lookback_scan_determinismE0ELb0ELb0ES3_PKdPddZZZN2at6native31launch_logcumsumexp_cuda_kernelERKNSB_10TensorBaseESF_lENKUlvE_clEvENKUlvE_clEvEUlddE_dEEDaPvRmT3_T4_T5_mT6_P12ihipStream_tbENKUlT_T0_E_clISt17integral_constantIbLb1EESV_IbLb0EEEEDaSR_SS_EUlSR_E0_NS1_11comp_targetILNS1_3genE3ELNS1_11target_archE908ELNS1_3gpuE7ELNS1_3repE0EEENS1_30default_config_static_selectorELNS0_4arch9wavefront6targetE0EEEvT1_
    .private_segment_fixed_size: 0
    .sgpr_count:     0
    .sgpr_spill_count: 0
    .symbol:         _ZN7rocprim17ROCPRIM_400000_NS6detail17trampoline_kernelINS0_14default_configENS1_20scan_config_selectorIdEEZZNS1_9scan_implILNS1_25lookback_scan_determinismE0ELb0ELb0ES3_PKdPddZZZN2at6native31launch_logcumsumexp_cuda_kernelERKNSB_10TensorBaseESF_lENKUlvE_clEvENKUlvE_clEvEUlddE_dEEDaPvRmT3_T4_T5_mT6_P12ihipStream_tbENKUlT_T0_E_clISt17integral_constantIbLb1EESV_IbLb0EEEEDaSR_SS_EUlSR_E0_NS1_11comp_targetILNS1_3genE3ELNS1_11target_archE908ELNS1_3gpuE7ELNS1_3repE0EEENS1_30default_config_static_selectorELNS0_4arch9wavefront6targetE0EEEvT1_.kd
    .uniform_work_group_size: 1
    .uses_dynamic_stack: false
    .vgpr_count:     0
    .vgpr_spill_count: 0
    .wavefront_size: 32
    .workgroup_processor_mode: 1
  - .args:
      - .offset:         0
        .size:           40
        .value_kind:     by_value
    .group_segment_fixed_size: 0
    .kernarg_segment_align: 8
    .kernarg_segment_size: 40
    .language:       OpenCL C
    .language_version:
      - 2
      - 0
    .max_flat_workgroup_size: 128
    .name:           _ZN7rocprim17ROCPRIM_400000_NS6detail17trampoline_kernelINS0_14default_configENS1_20scan_config_selectorIdEEZZNS1_9scan_implILNS1_25lookback_scan_determinismE0ELb0ELb0ES3_PKdPddZZZN2at6native31launch_logcumsumexp_cuda_kernelERKNSB_10TensorBaseESF_lENKUlvE_clEvENKUlvE_clEvEUlddE_dEEDaPvRmT3_T4_T5_mT6_P12ihipStream_tbENKUlT_T0_E_clISt17integral_constantIbLb1EESV_IbLb0EEEEDaSR_SS_EUlSR_E0_NS1_11comp_targetILNS1_3genE2ELNS1_11target_archE906ELNS1_3gpuE6ELNS1_3repE0EEENS1_30default_config_static_selectorELNS0_4arch9wavefront6targetE0EEEvT1_
    .private_segment_fixed_size: 0
    .sgpr_count:     0
    .sgpr_spill_count: 0
    .symbol:         _ZN7rocprim17ROCPRIM_400000_NS6detail17trampoline_kernelINS0_14default_configENS1_20scan_config_selectorIdEEZZNS1_9scan_implILNS1_25lookback_scan_determinismE0ELb0ELb0ES3_PKdPddZZZN2at6native31launch_logcumsumexp_cuda_kernelERKNSB_10TensorBaseESF_lENKUlvE_clEvENKUlvE_clEvEUlddE_dEEDaPvRmT3_T4_T5_mT6_P12ihipStream_tbENKUlT_T0_E_clISt17integral_constantIbLb1EESV_IbLb0EEEEDaSR_SS_EUlSR_E0_NS1_11comp_targetILNS1_3genE2ELNS1_11target_archE906ELNS1_3gpuE6ELNS1_3repE0EEENS1_30default_config_static_selectorELNS0_4arch9wavefront6targetE0EEEvT1_.kd
    .uniform_work_group_size: 1
    .uses_dynamic_stack: false
    .vgpr_count:     0
    .vgpr_spill_count: 0
    .wavefront_size: 32
    .workgroup_processor_mode: 1
  - .args:
      - .offset:         0
        .size:           40
        .value_kind:     by_value
    .group_segment_fixed_size: 0
    .kernarg_segment_align: 8
    .kernarg_segment_size: 40
    .language:       OpenCL C
    .language_version:
      - 2
      - 0
    .max_flat_workgroup_size: 256
    .name:           _ZN7rocprim17ROCPRIM_400000_NS6detail17trampoline_kernelINS0_14default_configENS1_20scan_config_selectorIdEEZZNS1_9scan_implILNS1_25lookback_scan_determinismE0ELb0ELb0ES3_PKdPddZZZN2at6native31launch_logcumsumexp_cuda_kernelERKNSB_10TensorBaseESF_lENKUlvE_clEvENKUlvE_clEvEUlddE_dEEDaPvRmT3_T4_T5_mT6_P12ihipStream_tbENKUlT_T0_E_clISt17integral_constantIbLb1EESV_IbLb0EEEEDaSR_SS_EUlSR_E0_NS1_11comp_targetILNS1_3genE10ELNS1_11target_archE1201ELNS1_3gpuE5ELNS1_3repE0EEENS1_30default_config_static_selectorELNS0_4arch9wavefront6targetE0EEEvT1_
    .private_segment_fixed_size: 0
    .sgpr_count:     0
    .sgpr_spill_count: 0
    .symbol:         _ZN7rocprim17ROCPRIM_400000_NS6detail17trampoline_kernelINS0_14default_configENS1_20scan_config_selectorIdEEZZNS1_9scan_implILNS1_25lookback_scan_determinismE0ELb0ELb0ES3_PKdPddZZZN2at6native31launch_logcumsumexp_cuda_kernelERKNSB_10TensorBaseESF_lENKUlvE_clEvENKUlvE_clEvEUlddE_dEEDaPvRmT3_T4_T5_mT6_P12ihipStream_tbENKUlT_T0_E_clISt17integral_constantIbLb1EESV_IbLb0EEEEDaSR_SS_EUlSR_E0_NS1_11comp_targetILNS1_3genE10ELNS1_11target_archE1201ELNS1_3gpuE5ELNS1_3repE0EEENS1_30default_config_static_selectorELNS0_4arch9wavefront6targetE0EEEvT1_.kd
    .uniform_work_group_size: 1
    .uses_dynamic_stack: false
    .vgpr_count:     0
    .vgpr_spill_count: 0
    .wavefront_size: 32
    .workgroup_processor_mode: 1
  - .args:
      - .offset:         0
        .size:           40
        .value_kind:     by_value
    .group_segment_fixed_size: 0
    .kernarg_segment_align: 8
    .kernarg_segment_size: 40
    .language:       OpenCL C
    .language_version:
      - 2
      - 0
    .max_flat_workgroup_size: 256
    .name:           _ZN7rocprim17ROCPRIM_400000_NS6detail17trampoline_kernelINS0_14default_configENS1_20scan_config_selectorIdEEZZNS1_9scan_implILNS1_25lookback_scan_determinismE0ELb0ELb0ES3_PKdPddZZZN2at6native31launch_logcumsumexp_cuda_kernelERKNSB_10TensorBaseESF_lENKUlvE_clEvENKUlvE_clEvEUlddE_dEEDaPvRmT3_T4_T5_mT6_P12ihipStream_tbENKUlT_T0_E_clISt17integral_constantIbLb1EESV_IbLb0EEEEDaSR_SS_EUlSR_E0_NS1_11comp_targetILNS1_3genE10ELNS1_11target_archE1200ELNS1_3gpuE4ELNS1_3repE0EEENS1_30default_config_static_selectorELNS0_4arch9wavefront6targetE0EEEvT1_
    .private_segment_fixed_size: 0
    .sgpr_count:     0
    .sgpr_spill_count: 0
    .symbol:         _ZN7rocprim17ROCPRIM_400000_NS6detail17trampoline_kernelINS0_14default_configENS1_20scan_config_selectorIdEEZZNS1_9scan_implILNS1_25lookback_scan_determinismE0ELb0ELb0ES3_PKdPddZZZN2at6native31launch_logcumsumexp_cuda_kernelERKNSB_10TensorBaseESF_lENKUlvE_clEvENKUlvE_clEvEUlddE_dEEDaPvRmT3_T4_T5_mT6_P12ihipStream_tbENKUlT_T0_E_clISt17integral_constantIbLb1EESV_IbLb0EEEEDaSR_SS_EUlSR_E0_NS1_11comp_targetILNS1_3genE10ELNS1_11target_archE1200ELNS1_3gpuE4ELNS1_3repE0EEENS1_30default_config_static_selectorELNS0_4arch9wavefront6targetE0EEEvT1_.kd
    .uniform_work_group_size: 1
    .uses_dynamic_stack: false
    .vgpr_count:     0
    .vgpr_spill_count: 0
    .wavefront_size: 32
    .workgroup_processor_mode: 1
  - .args:
      - .offset:         0
        .size:           40
        .value_kind:     by_value
    .group_segment_fixed_size: 0
    .kernarg_segment_align: 8
    .kernarg_segment_size: 40
    .language:       OpenCL C
    .language_version:
      - 2
      - 0
    .max_flat_workgroup_size: 256
    .name:           _ZN7rocprim17ROCPRIM_400000_NS6detail17trampoline_kernelINS0_14default_configENS1_20scan_config_selectorIdEEZZNS1_9scan_implILNS1_25lookback_scan_determinismE0ELb0ELb0ES3_PKdPddZZZN2at6native31launch_logcumsumexp_cuda_kernelERKNSB_10TensorBaseESF_lENKUlvE_clEvENKUlvE_clEvEUlddE_dEEDaPvRmT3_T4_T5_mT6_P12ihipStream_tbENKUlT_T0_E_clISt17integral_constantIbLb1EESV_IbLb0EEEEDaSR_SS_EUlSR_E0_NS1_11comp_targetILNS1_3genE9ELNS1_11target_archE1100ELNS1_3gpuE3ELNS1_3repE0EEENS1_30default_config_static_selectorELNS0_4arch9wavefront6targetE0EEEvT1_
    .private_segment_fixed_size: 0
    .sgpr_count:     0
    .sgpr_spill_count: 0
    .symbol:         _ZN7rocprim17ROCPRIM_400000_NS6detail17trampoline_kernelINS0_14default_configENS1_20scan_config_selectorIdEEZZNS1_9scan_implILNS1_25lookback_scan_determinismE0ELb0ELb0ES3_PKdPddZZZN2at6native31launch_logcumsumexp_cuda_kernelERKNSB_10TensorBaseESF_lENKUlvE_clEvENKUlvE_clEvEUlddE_dEEDaPvRmT3_T4_T5_mT6_P12ihipStream_tbENKUlT_T0_E_clISt17integral_constantIbLb1EESV_IbLb0EEEEDaSR_SS_EUlSR_E0_NS1_11comp_targetILNS1_3genE9ELNS1_11target_archE1100ELNS1_3gpuE3ELNS1_3repE0EEENS1_30default_config_static_selectorELNS0_4arch9wavefront6targetE0EEEvT1_.kd
    .uniform_work_group_size: 1
    .uses_dynamic_stack: false
    .vgpr_count:     0
    .vgpr_spill_count: 0
    .wavefront_size: 32
    .workgroup_processor_mode: 1
  - .args:
      - .offset:         0
        .size:           40
        .value_kind:     by_value
    .group_segment_fixed_size: 14336
    .kernarg_segment_align: 8
    .kernarg_segment_size: 40
    .language:       OpenCL C
    .language_version:
      - 2
      - 0
    .max_flat_workgroup_size: 128
    .name:           _ZN7rocprim17ROCPRIM_400000_NS6detail17trampoline_kernelINS0_14default_configENS1_20scan_config_selectorIdEEZZNS1_9scan_implILNS1_25lookback_scan_determinismE0ELb0ELb0ES3_PKdPddZZZN2at6native31launch_logcumsumexp_cuda_kernelERKNSB_10TensorBaseESF_lENKUlvE_clEvENKUlvE_clEvEUlddE_dEEDaPvRmT3_T4_T5_mT6_P12ihipStream_tbENKUlT_T0_E_clISt17integral_constantIbLb1EESV_IbLb0EEEEDaSR_SS_EUlSR_E0_NS1_11comp_targetILNS1_3genE8ELNS1_11target_archE1030ELNS1_3gpuE2ELNS1_3repE0EEENS1_30default_config_static_selectorELNS0_4arch9wavefront6targetE0EEEvT1_
    .private_segment_fixed_size: 0
    .sgpr_count:     46
    .sgpr_spill_count: 0
    .symbol:         _ZN7rocprim17ROCPRIM_400000_NS6detail17trampoline_kernelINS0_14default_configENS1_20scan_config_selectorIdEEZZNS1_9scan_implILNS1_25lookback_scan_determinismE0ELb0ELb0ES3_PKdPddZZZN2at6native31launch_logcumsumexp_cuda_kernelERKNSB_10TensorBaseESF_lENKUlvE_clEvENKUlvE_clEvEUlddE_dEEDaPvRmT3_T4_T5_mT6_P12ihipStream_tbENKUlT_T0_E_clISt17integral_constantIbLb1EESV_IbLb0EEEEDaSR_SS_EUlSR_E0_NS1_11comp_targetILNS1_3genE8ELNS1_11target_archE1030ELNS1_3gpuE2ELNS1_3repE0EEENS1_30default_config_static_selectorELNS0_4arch9wavefront6targetE0EEEvT1_.kd
    .uniform_work_group_size: 1
    .uses_dynamic_stack: false
    .vgpr_count:     95
    .vgpr_spill_count: 0
    .wavefront_size: 32
    .workgroup_processor_mode: 1
  - .args:
      - .address_space:  global
        .offset:         0
        .size:           8
        .value_kind:     global_buffer
      - .offset:         8
        .size:           4
        .value_kind:     by_value
      - .address_space:  global
        .offset:         16
        .size:           8
        .value_kind:     global_buffer
      - .offset:         24
        .size:           4
        .value_kind:     by_value
      - .address_space:  global
        .offset:         32
        .size:           8
        .value_kind:     global_buffer
      - .offset:         40
        .size:           4
        .value_kind:     hidden_block_count_x
      - .offset:         44
        .size:           4
        .value_kind:     hidden_block_count_y
      - .offset:         48
        .size:           4
        .value_kind:     hidden_block_count_z
      - .offset:         52
        .size:           2
        .value_kind:     hidden_group_size_x
      - .offset:         54
        .size:           2
        .value_kind:     hidden_group_size_y
      - .offset:         56
        .size:           2
        .value_kind:     hidden_group_size_z
      - .offset:         58
        .size:           2
        .value_kind:     hidden_remainder_x
      - .offset:         60
        .size:           2
        .value_kind:     hidden_remainder_y
      - .offset:         62
        .size:           2
        .value_kind:     hidden_remainder_z
      - .offset:         80
        .size:           8
        .value_kind:     hidden_global_offset_x
      - .offset:         88
        .size:           8
        .value_kind:     hidden_global_offset_y
      - .offset:         96
        .size:           8
        .value_kind:     hidden_global_offset_z
      - .offset:         104
        .size:           2
        .value_kind:     hidden_grid_dims
    .group_segment_fixed_size: 0
    .kernarg_segment_align: 8
    .kernarg_segment_size: 296
    .language:       OpenCL C
    .language_version:
      - 2
      - 0
    .max_flat_workgroup_size: 256
    .name:           _ZN7rocprim17ROCPRIM_400000_NS6detail31init_lookback_scan_state_kernelINS1_19lookback_scan_stateIdLb0ELb1EEENS1_16block_id_wrapperIjLb1EEEEEvT_jT0_jPNS7_10value_typeE
    .private_segment_fixed_size: 0
    .sgpr_count:     13
    .sgpr_spill_count: 0
    .symbol:         _ZN7rocprim17ROCPRIM_400000_NS6detail31init_lookback_scan_state_kernelINS1_19lookback_scan_stateIdLb0ELb1EEENS1_16block_id_wrapperIjLb1EEEEEvT_jT0_jPNS7_10value_typeE.kd
    .uniform_work_group_size: 1
    .uses_dynamic_stack: false
    .vgpr_count:     8
    .vgpr_spill_count: 0
    .wavefront_size: 32
    .workgroup_processor_mode: 1
  - .args:
      - .offset:         0
        .size:           104
        .value_kind:     by_value
    .group_segment_fixed_size: 0
    .kernarg_segment_align: 8
    .kernarg_segment_size: 104
    .language:       OpenCL C
    .language_version:
      - 2
      - 0
    .max_flat_workgroup_size: 256
    .name:           _ZN7rocprim17ROCPRIM_400000_NS6detail17trampoline_kernelINS0_14default_configENS1_20scan_config_selectorIdEEZZNS1_9scan_implILNS1_25lookback_scan_determinismE0ELb0ELb0ES3_PKdPddZZZN2at6native31launch_logcumsumexp_cuda_kernelERKNSB_10TensorBaseESF_lENKUlvE_clEvENKUlvE_clEvEUlddE_dEEDaPvRmT3_T4_T5_mT6_P12ihipStream_tbENKUlT_T0_E_clISt17integral_constantIbLb0EESV_IbLb1EEEEDaSR_SS_EUlSR_E_NS1_11comp_targetILNS1_3genE0ELNS1_11target_archE4294967295ELNS1_3gpuE0ELNS1_3repE0EEENS1_30default_config_static_selectorELNS0_4arch9wavefront6targetE0EEEvT1_
    .private_segment_fixed_size: 0
    .sgpr_count:     0
    .sgpr_spill_count: 0
    .symbol:         _ZN7rocprim17ROCPRIM_400000_NS6detail17trampoline_kernelINS0_14default_configENS1_20scan_config_selectorIdEEZZNS1_9scan_implILNS1_25lookback_scan_determinismE0ELb0ELb0ES3_PKdPddZZZN2at6native31launch_logcumsumexp_cuda_kernelERKNSB_10TensorBaseESF_lENKUlvE_clEvENKUlvE_clEvEUlddE_dEEDaPvRmT3_T4_T5_mT6_P12ihipStream_tbENKUlT_T0_E_clISt17integral_constantIbLb0EESV_IbLb1EEEEDaSR_SS_EUlSR_E_NS1_11comp_targetILNS1_3genE0ELNS1_11target_archE4294967295ELNS1_3gpuE0ELNS1_3repE0EEENS1_30default_config_static_selectorELNS0_4arch9wavefront6targetE0EEEvT1_.kd
    .uniform_work_group_size: 1
    .uses_dynamic_stack: false
    .vgpr_count:     0
    .vgpr_spill_count: 0
    .wavefront_size: 32
    .workgroup_processor_mode: 1
  - .args:
      - .offset:         0
        .size:           104
        .value_kind:     by_value
    .group_segment_fixed_size: 0
    .kernarg_segment_align: 8
    .kernarg_segment_size: 104
    .language:       OpenCL C
    .language_version:
      - 2
      - 0
    .max_flat_workgroup_size: 256
    .name:           _ZN7rocprim17ROCPRIM_400000_NS6detail17trampoline_kernelINS0_14default_configENS1_20scan_config_selectorIdEEZZNS1_9scan_implILNS1_25lookback_scan_determinismE0ELb0ELb0ES3_PKdPddZZZN2at6native31launch_logcumsumexp_cuda_kernelERKNSB_10TensorBaseESF_lENKUlvE_clEvENKUlvE_clEvEUlddE_dEEDaPvRmT3_T4_T5_mT6_P12ihipStream_tbENKUlT_T0_E_clISt17integral_constantIbLb0EESV_IbLb1EEEEDaSR_SS_EUlSR_E_NS1_11comp_targetILNS1_3genE5ELNS1_11target_archE942ELNS1_3gpuE9ELNS1_3repE0EEENS1_30default_config_static_selectorELNS0_4arch9wavefront6targetE0EEEvT1_
    .private_segment_fixed_size: 0
    .sgpr_count:     0
    .sgpr_spill_count: 0
    .symbol:         _ZN7rocprim17ROCPRIM_400000_NS6detail17trampoline_kernelINS0_14default_configENS1_20scan_config_selectorIdEEZZNS1_9scan_implILNS1_25lookback_scan_determinismE0ELb0ELb0ES3_PKdPddZZZN2at6native31launch_logcumsumexp_cuda_kernelERKNSB_10TensorBaseESF_lENKUlvE_clEvENKUlvE_clEvEUlddE_dEEDaPvRmT3_T4_T5_mT6_P12ihipStream_tbENKUlT_T0_E_clISt17integral_constantIbLb0EESV_IbLb1EEEEDaSR_SS_EUlSR_E_NS1_11comp_targetILNS1_3genE5ELNS1_11target_archE942ELNS1_3gpuE9ELNS1_3repE0EEENS1_30default_config_static_selectorELNS0_4arch9wavefront6targetE0EEEvT1_.kd
    .uniform_work_group_size: 1
    .uses_dynamic_stack: false
    .vgpr_count:     0
    .vgpr_spill_count: 0
    .wavefront_size: 32
    .workgroup_processor_mode: 1
  - .args:
      - .offset:         0
        .size:           104
        .value_kind:     by_value
    .group_segment_fixed_size: 0
    .kernarg_segment_align: 8
    .kernarg_segment_size: 104
    .language:       OpenCL C
    .language_version:
      - 2
      - 0
    .max_flat_workgroup_size: 128
    .name:           _ZN7rocprim17ROCPRIM_400000_NS6detail17trampoline_kernelINS0_14default_configENS1_20scan_config_selectorIdEEZZNS1_9scan_implILNS1_25lookback_scan_determinismE0ELb0ELb0ES3_PKdPddZZZN2at6native31launch_logcumsumexp_cuda_kernelERKNSB_10TensorBaseESF_lENKUlvE_clEvENKUlvE_clEvEUlddE_dEEDaPvRmT3_T4_T5_mT6_P12ihipStream_tbENKUlT_T0_E_clISt17integral_constantIbLb0EESV_IbLb1EEEEDaSR_SS_EUlSR_E_NS1_11comp_targetILNS1_3genE4ELNS1_11target_archE910ELNS1_3gpuE8ELNS1_3repE0EEENS1_30default_config_static_selectorELNS0_4arch9wavefront6targetE0EEEvT1_
    .private_segment_fixed_size: 0
    .sgpr_count:     0
    .sgpr_spill_count: 0
    .symbol:         _ZN7rocprim17ROCPRIM_400000_NS6detail17trampoline_kernelINS0_14default_configENS1_20scan_config_selectorIdEEZZNS1_9scan_implILNS1_25lookback_scan_determinismE0ELb0ELb0ES3_PKdPddZZZN2at6native31launch_logcumsumexp_cuda_kernelERKNSB_10TensorBaseESF_lENKUlvE_clEvENKUlvE_clEvEUlddE_dEEDaPvRmT3_T4_T5_mT6_P12ihipStream_tbENKUlT_T0_E_clISt17integral_constantIbLb0EESV_IbLb1EEEEDaSR_SS_EUlSR_E_NS1_11comp_targetILNS1_3genE4ELNS1_11target_archE910ELNS1_3gpuE8ELNS1_3repE0EEENS1_30default_config_static_selectorELNS0_4arch9wavefront6targetE0EEEvT1_.kd
    .uniform_work_group_size: 1
    .uses_dynamic_stack: false
    .vgpr_count:     0
    .vgpr_spill_count: 0
    .wavefront_size: 32
    .workgroup_processor_mode: 1
  - .args:
      - .offset:         0
        .size:           104
        .value_kind:     by_value
    .group_segment_fixed_size: 0
    .kernarg_segment_align: 8
    .kernarg_segment_size: 104
    .language:       OpenCL C
    .language_version:
      - 2
      - 0
    .max_flat_workgroup_size: 256
    .name:           _ZN7rocprim17ROCPRIM_400000_NS6detail17trampoline_kernelINS0_14default_configENS1_20scan_config_selectorIdEEZZNS1_9scan_implILNS1_25lookback_scan_determinismE0ELb0ELb0ES3_PKdPddZZZN2at6native31launch_logcumsumexp_cuda_kernelERKNSB_10TensorBaseESF_lENKUlvE_clEvENKUlvE_clEvEUlddE_dEEDaPvRmT3_T4_T5_mT6_P12ihipStream_tbENKUlT_T0_E_clISt17integral_constantIbLb0EESV_IbLb1EEEEDaSR_SS_EUlSR_E_NS1_11comp_targetILNS1_3genE3ELNS1_11target_archE908ELNS1_3gpuE7ELNS1_3repE0EEENS1_30default_config_static_selectorELNS0_4arch9wavefront6targetE0EEEvT1_
    .private_segment_fixed_size: 0
    .sgpr_count:     0
    .sgpr_spill_count: 0
    .symbol:         _ZN7rocprim17ROCPRIM_400000_NS6detail17trampoline_kernelINS0_14default_configENS1_20scan_config_selectorIdEEZZNS1_9scan_implILNS1_25lookback_scan_determinismE0ELb0ELb0ES3_PKdPddZZZN2at6native31launch_logcumsumexp_cuda_kernelERKNSB_10TensorBaseESF_lENKUlvE_clEvENKUlvE_clEvEUlddE_dEEDaPvRmT3_T4_T5_mT6_P12ihipStream_tbENKUlT_T0_E_clISt17integral_constantIbLb0EESV_IbLb1EEEEDaSR_SS_EUlSR_E_NS1_11comp_targetILNS1_3genE3ELNS1_11target_archE908ELNS1_3gpuE7ELNS1_3repE0EEENS1_30default_config_static_selectorELNS0_4arch9wavefront6targetE0EEEvT1_.kd
    .uniform_work_group_size: 1
    .uses_dynamic_stack: false
    .vgpr_count:     0
    .vgpr_spill_count: 0
    .wavefront_size: 32
    .workgroup_processor_mode: 1
  - .args:
      - .offset:         0
        .size:           104
        .value_kind:     by_value
    .group_segment_fixed_size: 0
    .kernarg_segment_align: 8
    .kernarg_segment_size: 104
    .language:       OpenCL C
    .language_version:
      - 2
      - 0
    .max_flat_workgroup_size: 128
    .name:           _ZN7rocprim17ROCPRIM_400000_NS6detail17trampoline_kernelINS0_14default_configENS1_20scan_config_selectorIdEEZZNS1_9scan_implILNS1_25lookback_scan_determinismE0ELb0ELb0ES3_PKdPddZZZN2at6native31launch_logcumsumexp_cuda_kernelERKNSB_10TensorBaseESF_lENKUlvE_clEvENKUlvE_clEvEUlddE_dEEDaPvRmT3_T4_T5_mT6_P12ihipStream_tbENKUlT_T0_E_clISt17integral_constantIbLb0EESV_IbLb1EEEEDaSR_SS_EUlSR_E_NS1_11comp_targetILNS1_3genE2ELNS1_11target_archE906ELNS1_3gpuE6ELNS1_3repE0EEENS1_30default_config_static_selectorELNS0_4arch9wavefront6targetE0EEEvT1_
    .private_segment_fixed_size: 0
    .sgpr_count:     0
    .sgpr_spill_count: 0
    .symbol:         _ZN7rocprim17ROCPRIM_400000_NS6detail17trampoline_kernelINS0_14default_configENS1_20scan_config_selectorIdEEZZNS1_9scan_implILNS1_25lookback_scan_determinismE0ELb0ELb0ES3_PKdPddZZZN2at6native31launch_logcumsumexp_cuda_kernelERKNSB_10TensorBaseESF_lENKUlvE_clEvENKUlvE_clEvEUlddE_dEEDaPvRmT3_T4_T5_mT6_P12ihipStream_tbENKUlT_T0_E_clISt17integral_constantIbLb0EESV_IbLb1EEEEDaSR_SS_EUlSR_E_NS1_11comp_targetILNS1_3genE2ELNS1_11target_archE906ELNS1_3gpuE6ELNS1_3repE0EEENS1_30default_config_static_selectorELNS0_4arch9wavefront6targetE0EEEvT1_.kd
    .uniform_work_group_size: 1
    .uses_dynamic_stack: false
    .vgpr_count:     0
    .vgpr_spill_count: 0
    .wavefront_size: 32
    .workgroup_processor_mode: 1
  - .args:
      - .offset:         0
        .size:           104
        .value_kind:     by_value
    .group_segment_fixed_size: 0
    .kernarg_segment_align: 8
    .kernarg_segment_size: 104
    .language:       OpenCL C
    .language_version:
      - 2
      - 0
    .max_flat_workgroup_size: 256
    .name:           _ZN7rocprim17ROCPRIM_400000_NS6detail17trampoline_kernelINS0_14default_configENS1_20scan_config_selectorIdEEZZNS1_9scan_implILNS1_25lookback_scan_determinismE0ELb0ELb0ES3_PKdPddZZZN2at6native31launch_logcumsumexp_cuda_kernelERKNSB_10TensorBaseESF_lENKUlvE_clEvENKUlvE_clEvEUlddE_dEEDaPvRmT3_T4_T5_mT6_P12ihipStream_tbENKUlT_T0_E_clISt17integral_constantIbLb0EESV_IbLb1EEEEDaSR_SS_EUlSR_E_NS1_11comp_targetILNS1_3genE10ELNS1_11target_archE1201ELNS1_3gpuE5ELNS1_3repE0EEENS1_30default_config_static_selectorELNS0_4arch9wavefront6targetE0EEEvT1_
    .private_segment_fixed_size: 0
    .sgpr_count:     0
    .sgpr_spill_count: 0
    .symbol:         _ZN7rocprim17ROCPRIM_400000_NS6detail17trampoline_kernelINS0_14default_configENS1_20scan_config_selectorIdEEZZNS1_9scan_implILNS1_25lookback_scan_determinismE0ELb0ELb0ES3_PKdPddZZZN2at6native31launch_logcumsumexp_cuda_kernelERKNSB_10TensorBaseESF_lENKUlvE_clEvENKUlvE_clEvEUlddE_dEEDaPvRmT3_T4_T5_mT6_P12ihipStream_tbENKUlT_T0_E_clISt17integral_constantIbLb0EESV_IbLb1EEEEDaSR_SS_EUlSR_E_NS1_11comp_targetILNS1_3genE10ELNS1_11target_archE1201ELNS1_3gpuE5ELNS1_3repE0EEENS1_30default_config_static_selectorELNS0_4arch9wavefront6targetE0EEEvT1_.kd
    .uniform_work_group_size: 1
    .uses_dynamic_stack: false
    .vgpr_count:     0
    .vgpr_spill_count: 0
    .wavefront_size: 32
    .workgroup_processor_mode: 1
  - .args:
      - .offset:         0
        .size:           104
        .value_kind:     by_value
    .group_segment_fixed_size: 0
    .kernarg_segment_align: 8
    .kernarg_segment_size: 104
    .language:       OpenCL C
    .language_version:
      - 2
      - 0
    .max_flat_workgroup_size: 256
    .name:           _ZN7rocprim17ROCPRIM_400000_NS6detail17trampoline_kernelINS0_14default_configENS1_20scan_config_selectorIdEEZZNS1_9scan_implILNS1_25lookback_scan_determinismE0ELb0ELb0ES3_PKdPddZZZN2at6native31launch_logcumsumexp_cuda_kernelERKNSB_10TensorBaseESF_lENKUlvE_clEvENKUlvE_clEvEUlddE_dEEDaPvRmT3_T4_T5_mT6_P12ihipStream_tbENKUlT_T0_E_clISt17integral_constantIbLb0EESV_IbLb1EEEEDaSR_SS_EUlSR_E_NS1_11comp_targetILNS1_3genE10ELNS1_11target_archE1200ELNS1_3gpuE4ELNS1_3repE0EEENS1_30default_config_static_selectorELNS0_4arch9wavefront6targetE0EEEvT1_
    .private_segment_fixed_size: 0
    .sgpr_count:     0
    .sgpr_spill_count: 0
    .symbol:         _ZN7rocprim17ROCPRIM_400000_NS6detail17trampoline_kernelINS0_14default_configENS1_20scan_config_selectorIdEEZZNS1_9scan_implILNS1_25lookback_scan_determinismE0ELb0ELb0ES3_PKdPddZZZN2at6native31launch_logcumsumexp_cuda_kernelERKNSB_10TensorBaseESF_lENKUlvE_clEvENKUlvE_clEvEUlddE_dEEDaPvRmT3_T4_T5_mT6_P12ihipStream_tbENKUlT_T0_E_clISt17integral_constantIbLb0EESV_IbLb1EEEEDaSR_SS_EUlSR_E_NS1_11comp_targetILNS1_3genE10ELNS1_11target_archE1200ELNS1_3gpuE4ELNS1_3repE0EEENS1_30default_config_static_selectorELNS0_4arch9wavefront6targetE0EEEvT1_.kd
    .uniform_work_group_size: 1
    .uses_dynamic_stack: false
    .vgpr_count:     0
    .vgpr_spill_count: 0
    .wavefront_size: 32
    .workgroup_processor_mode: 1
  - .args:
      - .offset:         0
        .size:           104
        .value_kind:     by_value
    .group_segment_fixed_size: 0
    .kernarg_segment_align: 8
    .kernarg_segment_size: 104
    .language:       OpenCL C
    .language_version:
      - 2
      - 0
    .max_flat_workgroup_size: 256
    .name:           _ZN7rocprim17ROCPRIM_400000_NS6detail17trampoline_kernelINS0_14default_configENS1_20scan_config_selectorIdEEZZNS1_9scan_implILNS1_25lookback_scan_determinismE0ELb0ELb0ES3_PKdPddZZZN2at6native31launch_logcumsumexp_cuda_kernelERKNSB_10TensorBaseESF_lENKUlvE_clEvENKUlvE_clEvEUlddE_dEEDaPvRmT3_T4_T5_mT6_P12ihipStream_tbENKUlT_T0_E_clISt17integral_constantIbLb0EESV_IbLb1EEEEDaSR_SS_EUlSR_E_NS1_11comp_targetILNS1_3genE9ELNS1_11target_archE1100ELNS1_3gpuE3ELNS1_3repE0EEENS1_30default_config_static_selectorELNS0_4arch9wavefront6targetE0EEEvT1_
    .private_segment_fixed_size: 0
    .sgpr_count:     0
    .sgpr_spill_count: 0
    .symbol:         _ZN7rocprim17ROCPRIM_400000_NS6detail17trampoline_kernelINS0_14default_configENS1_20scan_config_selectorIdEEZZNS1_9scan_implILNS1_25lookback_scan_determinismE0ELb0ELb0ES3_PKdPddZZZN2at6native31launch_logcumsumexp_cuda_kernelERKNSB_10TensorBaseESF_lENKUlvE_clEvENKUlvE_clEvEUlddE_dEEDaPvRmT3_T4_T5_mT6_P12ihipStream_tbENKUlT_T0_E_clISt17integral_constantIbLb0EESV_IbLb1EEEEDaSR_SS_EUlSR_E_NS1_11comp_targetILNS1_3genE9ELNS1_11target_archE1100ELNS1_3gpuE3ELNS1_3repE0EEENS1_30default_config_static_selectorELNS0_4arch9wavefront6targetE0EEEvT1_.kd
    .uniform_work_group_size: 1
    .uses_dynamic_stack: false
    .vgpr_count:     0
    .vgpr_spill_count: 0
    .wavefront_size: 32
    .workgroup_processor_mode: 1
  - .args:
      - .offset:         0
        .size:           104
        .value_kind:     by_value
    .group_segment_fixed_size: 14336
    .kernarg_segment_align: 8
    .kernarg_segment_size: 104
    .language:       OpenCL C
    .language_version:
      - 2
      - 0
    .max_flat_workgroup_size: 128
    .name:           _ZN7rocprim17ROCPRIM_400000_NS6detail17trampoline_kernelINS0_14default_configENS1_20scan_config_selectorIdEEZZNS1_9scan_implILNS1_25lookback_scan_determinismE0ELb0ELb0ES3_PKdPddZZZN2at6native31launch_logcumsumexp_cuda_kernelERKNSB_10TensorBaseESF_lENKUlvE_clEvENKUlvE_clEvEUlddE_dEEDaPvRmT3_T4_T5_mT6_P12ihipStream_tbENKUlT_T0_E_clISt17integral_constantIbLb0EESV_IbLb1EEEEDaSR_SS_EUlSR_E_NS1_11comp_targetILNS1_3genE8ELNS1_11target_archE1030ELNS1_3gpuE2ELNS1_3repE0EEENS1_30default_config_static_selectorELNS0_4arch9wavefront6targetE0EEEvT1_
    .private_segment_fixed_size: 0
    .sgpr_count:     91
    .sgpr_spill_count: 0
    .symbol:         _ZN7rocprim17ROCPRIM_400000_NS6detail17trampoline_kernelINS0_14default_configENS1_20scan_config_selectorIdEEZZNS1_9scan_implILNS1_25lookback_scan_determinismE0ELb0ELb0ES3_PKdPddZZZN2at6native31launch_logcumsumexp_cuda_kernelERKNSB_10TensorBaseESF_lENKUlvE_clEvENKUlvE_clEvEUlddE_dEEDaPvRmT3_T4_T5_mT6_P12ihipStream_tbENKUlT_T0_E_clISt17integral_constantIbLb0EESV_IbLb1EEEEDaSR_SS_EUlSR_E_NS1_11comp_targetILNS1_3genE8ELNS1_11target_archE1030ELNS1_3gpuE2ELNS1_3repE0EEENS1_30default_config_static_selectorELNS0_4arch9wavefront6targetE0EEEvT1_.kd
    .uniform_work_group_size: 1
    .uses_dynamic_stack: false
    .vgpr_count:     110
    .vgpr_spill_count: 0
    .wavefront_size: 32
    .workgroup_processor_mode: 1
  - .args:
      - .offset:         0
        .size:           40
        .value_kind:     by_value
    .group_segment_fixed_size: 0
    .kernarg_segment_align: 8
    .kernarg_segment_size: 40
    .language:       OpenCL C
    .language_version:
      - 2
      - 0
    .max_flat_workgroup_size: 256
    .name:           _ZN7rocprim17ROCPRIM_400000_NS6detail17trampoline_kernelINS0_14default_configENS1_20scan_config_selectorIdEEZZNS1_9scan_implILNS1_25lookback_scan_determinismE0ELb0ELb0ES3_PKdPddZZZN2at6native31launch_logcumsumexp_cuda_kernelERKNSB_10TensorBaseESF_lENKUlvE_clEvENKUlvE_clEvEUlddE_dEEDaPvRmT3_T4_T5_mT6_P12ihipStream_tbENKUlT_T0_E_clISt17integral_constantIbLb0EESV_IbLb1EEEEDaSR_SS_EUlSR_E0_NS1_11comp_targetILNS1_3genE0ELNS1_11target_archE4294967295ELNS1_3gpuE0ELNS1_3repE0EEENS1_30default_config_static_selectorELNS0_4arch9wavefront6targetE0EEEvT1_
    .private_segment_fixed_size: 0
    .sgpr_count:     0
    .sgpr_spill_count: 0
    .symbol:         _ZN7rocprim17ROCPRIM_400000_NS6detail17trampoline_kernelINS0_14default_configENS1_20scan_config_selectorIdEEZZNS1_9scan_implILNS1_25lookback_scan_determinismE0ELb0ELb0ES3_PKdPddZZZN2at6native31launch_logcumsumexp_cuda_kernelERKNSB_10TensorBaseESF_lENKUlvE_clEvENKUlvE_clEvEUlddE_dEEDaPvRmT3_T4_T5_mT6_P12ihipStream_tbENKUlT_T0_E_clISt17integral_constantIbLb0EESV_IbLb1EEEEDaSR_SS_EUlSR_E0_NS1_11comp_targetILNS1_3genE0ELNS1_11target_archE4294967295ELNS1_3gpuE0ELNS1_3repE0EEENS1_30default_config_static_selectorELNS0_4arch9wavefront6targetE0EEEvT1_.kd
    .uniform_work_group_size: 1
    .uses_dynamic_stack: false
    .vgpr_count:     0
    .vgpr_spill_count: 0
    .wavefront_size: 32
    .workgroup_processor_mode: 1
  - .args:
      - .offset:         0
        .size:           40
        .value_kind:     by_value
    .group_segment_fixed_size: 0
    .kernarg_segment_align: 8
    .kernarg_segment_size: 40
    .language:       OpenCL C
    .language_version:
      - 2
      - 0
    .max_flat_workgroup_size: 256
    .name:           _ZN7rocprim17ROCPRIM_400000_NS6detail17trampoline_kernelINS0_14default_configENS1_20scan_config_selectorIdEEZZNS1_9scan_implILNS1_25lookback_scan_determinismE0ELb0ELb0ES3_PKdPddZZZN2at6native31launch_logcumsumexp_cuda_kernelERKNSB_10TensorBaseESF_lENKUlvE_clEvENKUlvE_clEvEUlddE_dEEDaPvRmT3_T4_T5_mT6_P12ihipStream_tbENKUlT_T0_E_clISt17integral_constantIbLb0EESV_IbLb1EEEEDaSR_SS_EUlSR_E0_NS1_11comp_targetILNS1_3genE5ELNS1_11target_archE942ELNS1_3gpuE9ELNS1_3repE0EEENS1_30default_config_static_selectorELNS0_4arch9wavefront6targetE0EEEvT1_
    .private_segment_fixed_size: 0
    .sgpr_count:     0
    .sgpr_spill_count: 0
    .symbol:         _ZN7rocprim17ROCPRIM_400000_NS6detail17trampoline_kernelINS0_14default_configENS1_20scan_config_selectorIdEEZZNS1_9scan_implILNS1_25lookback_scan_determinismE0ELb0ELb0ES3_PKdPddZZZN2at6native31launch_logcumsumexp_cuda_kernelERKNSB_10TensorBaseESF_lENKUlvE_clEvENKUlvE_clEvEUlddE_dEEDaPvRmT3_T4_T5_mT6_P12ihipStream_tbENKUlT_T0_E_clISt17integral_constantIbLb0EESV_IbLb1EEEEDaSR_SS_EUlSR_E0_NS1_11comp_targetILNS1_3genE5ELNS1_11target_archE942ELNS1_3gpuE9ELNS1_3repE0EEENS1_30default_config_static_selectorELNS0_4arch9wavefront6targetE0EEEvT1_.kd
    .uniform_work_group_size: 1
    .uses_dynamic_stack: false
    .vgpr_count:     0
    .vgpr_spill_count: 0
    .wavefront_size: 32
    .workgroup_processor_mode: 1
  - .args:
      - .offset:         0
        .size:           40
        .value_kind:     by_value
    .group_segment_fixed_size: 0
    .kernarg_segment_align: 8
    .kernarg_segment_size: 40
    .language:       OpenCL C
    .language_version:
      - 2
      - 0
    .max_flat_workgroup_size: 128
    .name:           _ZN7rocprim17ROCPRIM_400000_NS6detail17trampoline_kernelINS0_14default_configENS1_20scan_config_selectorIdEEZZNS1_9scan_implILNS1_25lookback_scan_determinismE0ELb0ELb0ES3_PKdPddZZZN2at6native31launch_logcumsumexp_cuda_kernelERKNSB_10TensorBaseESF_lENKUlvE_clEvENKUlvE_clEvEUlddE_dEEDaPvRmT3_T4_T5_mT6_P12ihipStream_tbENKUlT_T0_E_clISt17integral_constantIbLb0EESV_IbLb1EEEEDaSR_SS_EUlSR_E0_NS1_11comp_targetILNS1_3genE4ELNS1_11target_archE910ELNS1_3gpuE8ELNS1_3repE0EEENS1_30default_config_static_selectorELNS0_4arch9wavefront6targetE0EEEvT1_
    .private_segment_fixed_size: 0
    .sgpr_count:     0
    .sgpr_spill_count: 0
    .symbol:         _ZN7rocprim17ROCPRIM_400000_NS6detail17trampoline_kernelINS0_14default_configENS1_20scan_config_selectorIdEEZZNS1_9scan_implILNS1_25lookback_scan_determinismE0ELb0ELb0ES3_PKdPddZZZN2at6native31launch_logcumsumexp_cuda_kernelERKNSB_10TensorBaseESF_lENKUlvE_clEvENKUlvE_clEvEUlddE_dEEDaPvRmT3_T4_T5_mT6_P12ihipStream_tbENKUlT_T0_E_clISt17integral_constantIbLb0EESV_IbLb1EEEEDaSR_SS_EUlSR_E0_NS1_11comp_targetILNS1_3genE4ELNS1_11target_archE910ELNS1_3gpuE8ELNS1_3repE0EEENS1_30default_config_static_selectorELNS0_4arch9wavefront6targetE0EEEvT1_.kd
    .uniform_work_group_size: 1
    .uses_dynamic_stack: false
    .vgpr_count:     0
    .vgpr_spill_count: 0
    .wavefront_size: 32
    .workgroup_processor_mode: 1
  - .args:
      - .offset:         0
        .size:           40
        .value_kind:     by_value
    .group_segment_fixed_size: 0
    .kernarg_segment_align: 8
    .kernarg_segment_size: 40
    .language:       OpenCL C
    .language_version:
      - 2
      - 0
    .max_flat_workgroup_size: 256
    .name:           _ZN7rocprim17ROCPRIM_400000_NS6detail17trampoline_kernelINS0_14default_configENS1_20scan_config_selectorIdEEZZNS1_9scan_implILNS1_25lookback_scan_determinismE0ELb0ELb0ES3_PKdPddZZZN2at6native31launch_logcumsumexp_cuda_kernelERKNSB_10TensorBaseESF_lENKUlvE_clEvENKUlvE_clEvEUlddE_dEEDaPvRmT3_T4_T5_mT6_P12ihipStream_tbENKUlT_T0_E_clISt17integral_constantIbLb0EESV_IbLb1EEEEDaSR_SS_EUlSR_E0_NS1_11comp_targetILNS1_3genE3ELNS1_11target_archE908ELNS1_3gpuE7ELNS1_3repE0EEENS1_30default_config_static_selectorELNS0_4arch9wavefront6targetE0EEEvT1_
    .private_segment_fixed_size: 0
    .sgpr_count:     0
    .sgpr_spill_count: 0
    .symbol:         _ZN7rocprim17ROCPRIM_400000_NS6detail17trampoline_kernelINS0_14default_configENS1_20scan_config_selectorIdEEZZNS1_9scan_implILNS1_25lookback_scan_determinismE0ELb0ELb0ES3_PKdPddZZZN2at6native31launch_logcumsumexp_cuda_kernelERKNSB_10TensorBaseESF_lENKUlvE_clEvENKUlvE_clEvEUlddE_dEEDaPvRmT3_T4_T5_mT6_P12ihipStream_tbENKUlT_T0_E_clISt17integral_constantIbLb0EESV_IbLb1EEEEDaSR_SS_EUlSR_E0_NS1_11comp_targetILNS1_3genE3ELNS1_11target_archE908ELNS1_3gpuE7ELNS1_3repE0EEENS1_30default_config_static_selectorELNS0_4arch9wavefront6targetE0EEEvT1_.kd
    .uniform_work_group_size: 1
    .uses_dynamic_stack: false
    .vgpr_count:     0
    .vgpr_spill_count: 0
    .wavefront_size: 32
    .workgroup_processor_mode: 1
  - .args:
      - .offset:         0
        .size:           40
        .value_kind:     by_value
    .group_segment_fixed_size: 0
    .kernarg_segment_align: 8
    .kernarg_segment_size: 40
    .language:       OpenCL C
    .language_version:
      - 2
      - 0
    .max_flat_workgroup_size: 128
    .name:           _ZN7rocprim17ROCPRIM_400000_NS6detail17trampoline_kernelINS0_14default_configENS1_20scan_config_selectorIdEEZZNS1_9scan_implILNS1_25lookback_scan_determinismE0ELb0ELb0ES3_PKdPddZZZN2at6native31launch_logcumsumexp_cuda_kernelERKNSB_10TensorBaseESF_lENKUlvE_clEvENKUlvE_clEvEUlddE_dEEDaPvRmT3_T4_T5_mT6_P12ihipStream_tbENKUlT_T0_E_clISt17integral_constantIbLb0EESV_IbLb1EEEEDaSR_SS_EUlSR_E0_NS1_11comp_targetILNS1_3genE2ELNS1_11target_archE906ELNS1_3gpuE6ELNS1_3repE0EEENS1_30default_config_static_selectorELNS0_4arch9wavefront6targetE0EEEvT1_
    .private_segment_fixed_size: 0
    .sgpr_count:     0
    .sgpr_spill_count: 0
    .symbol:         _ZN7rocprim17ROCPRIM_400000_NS6detail17trampoline_kernelINS0_14default_configENS1_20scan_config_selectorIdEEZZNS1_9scan_implILNS1_25lookback_scan_determinismE0ELb0ELb0ES3_PKdPddZZZN2at6native31launch_logcumsumexp_cuda_kernelERKNSB_10TensorBaseESF_lENKUlvE_clEvENKUlvE_clEvEUlddE_dEEDaPvRmT3_T4_T5_mT6_P12ihipStream_tbENKUlT_T0_E_clISt17integral_constantIbLb0EESV_IbLb1EEEEDaSR_SS_EUlSR_E0_NS1_11comp_targetILNS1_3genE2ELNS1_11target_archE906ELNS1_3gpuE6ELNS1_3repE0EEENS1_30default_config_static_selectorELNS0_4arch9wavefront6targetE0EEEvT1_.kd
    .uniform_work_group_size: 1
    .uses_dynamic_stack: false
    .vgpr_count:     0
    .vgpr_spill_count: 0
    .wavefront_size: 32
    .workgroup_processor_mode: 1
  - .args:
      - .offset:         0
        .size:           40
        .value_kind:     by_value
    .group_segment_fixed_size: 0
    .kernarg_segment_align: 8
    .kernarg_segment_size: 40
    .language:       OpenCL C
    .language_version:
      - 2
      - 0
    .max_flat_workgroup_size: 256
    .name:           _ZN7rocprim17ROCPRIM_400000_NS6detail17trampoline_kernelINS0_14default_configENS1_20scan_config_selectorIdEEZZNS1_9scan_implILNS1_25lookback_scan_determinismE0ELb0ELb0ES3_PKdPddZZZN2at6native31launch_logcumsumexp_cuda_kernelERKNSB_10TensorBaseESF_lENKUlvE_clEvENKUlvE_clEvEUlddE_dEEDaPvRmT3_T4_T5_mT6_P12ihipStream_tbENKUlT_T0_E_clISt17integral_constantIbLb0EESV_IbLb1EEEEDaSR_SS_EUlSR_E0_NS1_11comp_targetILNS1_3genE10ELNS1_11target_archE1201ELNS1_3gpuE5ELNS1_3repE0EEENS1_30default_config_static_selectorELNS0_4arch9wavefront6targetE0EEEvT1_
    .private_segment_fixed_size: 0
    .sgpr_count:     0
    .sgpr_spill_count: 0
    .symbol:         _ZN7rocprim17ROCPRIM_400000_NS6detail17trampoline_kernelINS0_14default_configENS1_20scan_config_selectorIdEEZZNS1_9scan_implILNS1_25lookback_scan_determinismE0ELb0ELb0ES3_PKdPddZZZN2at6native31launch_logcumsumexp_cuda_kernelERKNSB_10TensorBaseESF_lENKUlvE_clEvENKUlvE_clEvEUlddE_dEEDaPvRmT3_T4_T5_mT6_P12ihipStream_tbENKUlT_T0_E_clISt17integral_constantIbLb0EESV_IbLb1EEEEDaSR_SS_EUlSR_E0_NS1_11comp_targetILNS1_3genE10ELNS1_11target_archE1201ELNS1_3gpuE5ELNS1_3repE0EEENS1_30default_config_static_selectorELNS0_4arch9wavefront6targetE0EEEvT1_.kd
    .uniform_work_group_size: 1
    .uses_dynamic_stack: false
    .vgpr_count:     0
    .vgpr_spill_count: 0
    .wavefront_size: 32
    .workgroup_processor_mode: 1
  - .args:
      - .offset:         0
        .size:           40
        .value_kind:     by_value
    .group_segment_fixed_size: 0
    .kernarg_segment_align: 8
    .kernarg_segment_size: 40
    .language:       OpenCL C
    .language_version:
      - 2
      - 0
    .max_flat_workgroup_size: 256
    .name:           _ZN7rocprim17ROCPRIM_400000_NS6detail17trampoline_kernelINS0_14default_configENS1_20scan_config_selectorIdEEZZNS1_9scan_implILNS1_25lookback_scan_determinismE0ELb0ELb0ES3_PKdPddZZZN2at6native31launch_logcumsumexp_cuda_kernelERKNSB_10TensorBaseESF_lENKUlvE_clEvENKUlvE_clEvEUlddE_dEEDaPvRmT3_T4_T5_mT6_P12ihipStream_tbENKUlT_T0_E_clISt17integral_constantIbLb0EESV_IbLb1EEEEDaSR_SS_EUlSR_E0_NS1_11comp_targetILNS1_3genE10ELNS1_11target_archE1200ELNS1_3gpuE4ELNS1_3repE0EEENS1_30default_config_static_selectorELNS0_4arch9wavefront6targetE0EEEvT1_
    .private_segment_fixed_size: 0
    .sgpr_count:     0
    .sgpr_spill_count: 0
    .symbol:         _ZN7rocprim17ROCPRIM_400000_NS6detail17trampoline_kernelINS0_14default_configENS1_20scan_config_selectorIdEEZZNS1_9scan_implILNS1_25lookback_scan_determinismE0ELb0ELb0ES3_PKdPddZZZN2at6native31launch_logcumsumexp_cuda_kernelERKNSB_10TensorBaseESF_lENKUlvE_clEvENKUlvE_clEvEUlddE_dEEDaPvRmT3_T4_T5_mT6_P12ihipStream_tbENKUlT_T0_E_clISt17integral_constantIbLb0EESV_IbLb1EEEEDaSR_SS_EUlSR_E0_NS1_11comp_targetILNS1_3genE10ELNS1_11target_archE1200ELNS1_3gpuE4ELNS1_3repE0EEENS1_30default_config_static_selectorELNS0_4arch9wavefront6targetE0EEEvT1_.kd
    .uniform_work_group_size: 1
    .uses_dynamic_stack: false
    .vgpr_count:     0
    .vgpr_spill_count: 0
    .wavefront_size: 32
    .workgroup_processor_mode: 1
  - .args:
      - .offset:         0
        .size:           40
        .value_kind:     by_value
    .group_segment_fixed_size: 0
    .kernarg_segment_align: 8
    .kernarg_segment_size: 40
    .language:       OpenCL C
    .language_version:
      - 2
      - 0
    .max_flat_workgroup_size: 256
    .name:           _ZN7rocprim17ROCPRIM_400000_NS6detail17trampoline_kernelINS0_14default_configENS1_20scan_config_selectorIdEEZZNS1_9scan_implILNS1_25lookback_scan_determinismE0ELb0ELb0ES3_PKdPddZZZN2at6native31launch_logcumsumexp_cuda_kernelERKNSB_10TensorBaseESF_lENKUlvE_clEvENKUlvE_clEvEUlddE_dEEDaPvRmT3_T4_T5_mT6_P12ihipStream_tbENKUlT_T0_E_clISt17integral_constantIbLb0EESV_IbLb1EEEEDaSR_SS_EUlSR_E0_NS1_11comp_targetILNS1_3genE9ELNS1_11target_archE1100ELNS1_3gpuE3ELNS1_3repE0EEENS1_30default_config_static_selectorELNS0_4arch9wavefront6targetE0EEEvT1_
    .private_segment_fixed_size: 0
    .sgpr_count:     0
    .sgpr_spill_count: 0
    .symbol:         _ZN7rocprim17ROCPRIM_400000_NS6detail17trampoline_kernelINS0_14default_configENS1_20scan_config_selectorIdEEZZNS1_9scan_implILNS1_25lookback_scan_determinismE0ELb0ELb0ES3_PKdPddZZZN2at6native31launch_logcumsumexp_cuda_kernelERKNSB_10TensorBaseESF_lENKUlvE_clEvENKUlvE_clEvEUlddE_dEEDaPvRmT3_T4_T5_mT6_P12ihipStream_tbENKUlT_T0_E_clISt17integral_constantIbLb0EESV_IbLb1EEEEDaSR_SS_EUlSR_E0_NS1_11comp_targetILNS1_3genE9ELNS1_11target_archE1100ELNS1_3gpuE3ELNS1_3repE0EEENS1_30default_config_static_selectorELNS0_4arch9wavefront6targetE0EEEvT1_.kd
    .uniform_work_group_size: 1
    .uses_dynamic_stack: false
    .vgpr_count:     0
    .vgpr_spill_count: 0
    .wavefront_size: 32
    .workgroup_processor_mode: 1
  - .args:
      - .offset:         0
        .size:           40
        .value_kind:     by_value
    .group_segment_fixed_size: 14336
    .kernarg_segment_align: 8
    .kernarg_segment_size: 40
    .language:       OpenCL C
    .language_version:
      - 2
      - 0
    .max_flat_workgroup_size: 128
    .name:           _ZN7rocprim17ROCPRIM_400000_NS6detail17trampoline_kernelINS0_14default_configENS1_20scan_config_selectorIdEEZZNS1_9scan_implILNS1_25lookback_scan_determinismE0ELb0ELb0ES3_PKdPddZZZN2at6native31launch_logcumsumexp_cuda_kernelERKNSB_10TensorBaseESF_lENKUlvE_clEvENKUlvE_clEvEUlddE_dEEDaPvRmT3_T4_T5_mT6_P12ihipStream_tbENKUlT_T0_E_clISt17integral_constantIbLb0EESV_IbLb1EEEEDaSR_SS_EUlSR_E0_NS1_11comp_targetILNS1_3genE8ELNS1_11target_archE1030ELNS1_3gpuE2ELNS1_3repE0EEENS1_30default_config_static_selectorELNS0_4arch9wavefront6targetE0EEEvT1_
    .private_segment_fixed_size: 0
    .sgpr_count:     46
    .sgpr_spill_count: 0
    .symbol:         _ZN7rocprim17ROCPRIM_400000_NS6detail17trampoline_kernelINS0_14default_configENS1_20scan_config_selectorIdEEZZNS1_9scan_implILNS1_25lookback_scan_determinismE0ELb0ELb0ES3_PKdPddZZZN2at6native31launch_logcumsumexp_cuda_kernelERKNSB_10TensorBaseESF_lENKUlvE_clEvENKUlvE_clEvEUlddE_dEEDaPvRmT3_T4_T5_mT6_P12ihipStream_tbENKUlT_T0_E_clISt17integral_constantIbLb0EESV_IbLb1EEEEDaSR_SS_EUlSR_E0_NS1_11comp_targetILNS1_3genE8ELNS1_11target_archE1030ELNS1_3gpuE2ELNS1_3repE0EEENS1_30default_config_static_selectorELNS0_4arch9wavefront6targetE0EEEvT1_.kd
    .uniform_work_group_size: 1
    .uses_dynamic_stack: false
    .vgpr_count:     95
    .vgpr_spill_count: 0
    .wavefront_size: 32
    .workgroup_processor_mode: 1
  - .args:
      - .address_space:  global
        .offset:         0
        .size:           8
        .value_kind:     global_buffer
      - .address_space:  global
        .offset:         8
        .size:           8
        .value_kind:     global_buffer
      - .offset:         16
        .size:           4
        .value_kind:     by_value
      - .offset:         20
        .size:           4
        .value_kind:     by_value
      - .offset:         24
        .size:           4
        .value_kind:     by_value
      - .offset:         32
        .size:           8
        .value_kind:     by_value
      - .offset:         40
        .size:           1
        .value_kind:     by_value
      - .offset:         48
        .size:           4
        .value_kind:     hidden_block_count_x
      - .offset:         52
        .size:           4
        .value_kind:     hidden_block_count_y
      - .offset:         56
        .size:           4
        .value_kind:     hidden_block_count_z
      - .offset:         60
        .size:           2
        .value_kind:     hidden_group_size_x
      - .offset:         62
        .size:           2
        .value_kind:     hidden_group_size_y
      - .offset:         64
        .size:           2
        .value_kind:     hidden_group_size_z
      - .offset:         66
        .size:           2
        .value_kind:     hidden_remainder_x
      - .offset:         68
        .size:           2
        .value_kind:     hidden_remainder_y
      - .offset:         70
        .size:           2
        .value_kind:     hidden_remainder_z
      - .offset:         88
        .size:           8
        .value_kind:     hidden_global_offset_x
      - .offset:         96
        .size:           8
        .value_kind:     hidden_global_offset_y
      - .offset:         104
        .size:           8
        .value_kind:     hidden_global_offset_z
      - .offset:         112
        .size:           2
        .value_kind:     hidden_grid_dims
      - .offset:         168
        .size:           4
        .value_kind:     hidden_dynamic_lds_size
    .group_segment_fixed_size: 0
    .kernarg_segment_align: 8
    .kernarg_segment_size: 304
    .language:       OpenCL C
    .language_version:
      - 2
      - 0
    .max_flat_workgroup_size: 1024
    .name:           _ZN2at6native32tensor_kernel_scan_innermost_dimIdZZZNS0_31launch_logcumsumexp_cuda_kernelERKNS_10TensorBaseES4_lENKUlvE_clEvENKUlvE_clEvEUlddE_EEvPT_PKS8_jjjS8_T0_
    .private_segment_fixed_size: 0
    .sgpr_count:     77
    .sgpr_spill_count: 0
    .symbol:         _ZN2at6native32tensor_kernel_scan_innermost_dimIdZZZNS0_31launch_logcumsumexp_cuda_kernelERKNS_10TensorBaseES4_lENKUlvE_clEvENKUlvE_clEvEUlddE_EEvPT_PKS8_jjjS8_T0_.kd
    .uniform_work_group_size: 1
    .uses_dynamic_stack: false
    .vgpr_count:     44
    .vgpr_spill_count: 0
    .wavefront_size: 32
    .workgroup_processor_mode: 1
  - .args:
      - .address_space:  global
        .offset:         0
        .size:           8
        .value_kind:     global_buffer
      - .address_space:  global
        .offset:         8
        .size:           8
        .value_kind:     global_buffer
      - .offset:         16
        .size:           4
        .value_kind:     by_value
      - .offset:         20
        .size:           4
        .value_kind:     by_value
      - .offset:         24
        .size:           4
        .value_kind:     by_value
      - .offset:         32
        .size:           8
        .value_kind:     by_value
      - .offset:         40
        .size:           1
        .value_kind:     by_value
      - .offset:         48
        .size:           4
        .value_kind:     hidden_block_count_x
      - .offset:         52
        .size:           4
        .value_kind:     hidden_block_count_y
      - .offset:         56
        .size:           4
        .value_kind:     hidden_block_count_z
      - .offset:         60
        .size:           2
        .value_kind:     hidden_group_size_x
      - .offset:         62
        .size:           2
        .value_kind:     hidden_group_size_y
      - .offset:         64
        .size:           2
        .value_kind:     hidden_group_size_z
      - .offset:         66
        .size:           2
        .value_kind:     hidden_remainder_x
      - .offset:         68
        .size:           2
        .value_kind:     hidden_remainder_y
      - .offset:         70
        .size:           2
        .value_kind:     hidden_remainder_z
      - .offset:         88
        .size:           8
        .value_kind:     hidden_global_offset_x
      - .offset:         96
        .size:           8
        .value_kind:     hidden_global_offset_y
      - .offset:         104
        .size:           8
        .value_kind:     hidden_global_offset_z
      - .offset:         112
        .size:           2
        .value_kind:     hidden_grid_dims
    .group_segment_fixed_size: 0
    .kernarg_segment_align: 8
    .kernarg_segment_size: 304
    .language:       OpenCL C
    .language_version:
      - 2
      - 0
    .max_flat_workgroup_size: 1024
    .name:           _ZN2at6native28tensor_kernel_scan_outer_dimIdjZZZNS0_31launch_logcumsumexp_cuda_kernelERKNS_10TensorBaseES4_lENKUlvE_clEvENKUlvE_clEvEUlddE_EEvPT_PKS8_jjjS8_T1_
    .private_segment_fixed_size: 0
    .sgpr_count:     78
    .sgpr_spill_count: 0
    .symbol:         _ZN2at6native28tensor_kernel_scan_outer_dimIdjZZZNS0_31launch_logcumsumexp_cuda_kernelERKNS_10TensorBaseES4_lENKUlvE_clEvENKUlvE_clEvEUlddE_EEvPT_PKS8_jjjS8_T1_.kd
    .uniform_work_group_size: 1
    .uses_dynamic_stack: false
    .vgpr_count:     32
    .vgpr_spill_count: 0
    .wavefront_size: 32
    .workgroup_processor_mode: 1
  - .args:
      - .address_space:  global
        .offset:         0
        .size:           8
        .value_kind:     global_buffer
      - .address_space:  global
        .offset:         8
        .size:           8
        .value_kind:     global_buffer
      - .offset:         16
        .size:           4
        .value_kind:     by_value
      - .offset:         20
        .size:           4
        .value_kind:     by_value
      - .offset:         24
        .size:           4
        .value_kind:     by_value
      - .offset:         32
        .size:           8
        .value_kind:     by_value
      - .offset:         40
        .size:           1
        .value_kind:     by_value
      - .offset:         48
        .size:           4
        .value_kind:     hidden_block_count_x
      - .offset:         52
        .size:           4
        .value_kind:     hidden_block_count_y
      - .offset:         56
        .size:           4
        .value_kind:     hidden_block_count_z
      - .offset:         60
        .size:           2
        .value_kind:     hidden_group_size_x
      - .offset:         62
        .size:           2
        .value_kind:     hidden_group_size_y
      - .offset:         64
        .size:           2
        .value_kind:     hidden_group_size_z
      - .offset:         66
        .size:           2
        .value_kind:     hidden_remainder_x
      - .offset:         68
        .size:           2
        .value_kind:     hidden_remainder_y
      - .offset:         70
        .size:           2
        .value_kind:     hidden_remainder_z
      - .offset:         88
        .size:           8
        .value_kind:     hidden_global_offset_x
      - .offset:         96
        .size:           8
        .value_kind:     hidden_global_offset_y
      - .offset:         104
        .size:           8
        .value_kind:     hidden_global_offset_z
      - .offset:         112
        .size:           2
        .value_kind:     hidden_grid_dims
    .group_segment_fixed_size: 0
    .kernarg_segment_align: 8
    .kernarg_segment_size: 304
    .language:       OpenCL C
    .language_version:
      - 2
      - 0
    .max_flat_workgroup_size: 1024
    .name:           _ZN2at6native28tensor_kernel_scan_outer_dimIdmZZZNS0_31launch_logcumsumexp_cuda_kernelERKNS_10TensorBaseES4_lENKUlvE_clEvENKUlvE_clEvEUlddE_EEvPT_PKS8_jjjS8_T1_
    .private_segment_fixed_size: 0
    .sgpr_count:     77
    .sgpr_spill_count: 0
    .symbol:         _ZN2at6native28tensor_kernel_scan_outer_dimIdmZZZNS0_31launch_logcumsumexp_cuda_kernelERKNS_10TensorBaseES4_lENKUlvE_clEvENKUlvE_clEvEUlddE_EEvPT_PKS8_jjjS8_T1_.kd
    .uniform_work_group_size: 1
    .uses_dynamic_stack: false
    .vgpr_count:     32
    .vgpr_spill_count: 0
    .wavefront_size: 32
    .workgroup_processor_mode: 1
  - .args:
      - .address_space:  global
        .offset:         0
        .size:           8
        .value_kind:     global_buffer
      - .offset:         8
        .size:           4
        .value_kind:     by_value
      - .offset:         12
        .size:           1
        .value_kind:     by_value
      - .offset:         16
        .size:           4
        .value_kind:     by_value
      - .address_space:  global
        .offset:         24
        .size:           8
        .value_kind:     global_buffer
      - .offset:         32
        .size:           4
        .value_kind:     hidden_block_count_x
      - .offset:         36
        .size:           4
        .value_kind:     hidden_block_count_y
      - .offset:         40
        .size:           4
        .value_kind:     hidden_block_count_z
      - .offset:         44
        .size:           2
        .value_kind:     hidden_group_size_x
      - .offset:         46
        .size:           2
        .value_kind:     hidden_group_size_y
      - .offset:         48
        .size:           2
        .value_kind:     hidden_group_size_z
      - .offset:         50
        .size:           2
        .value_kind:     hidden_remainder_x
      - .offset:         52
        .size:           2
        .value_kind:     hidden_remainder_y
      - .offset:         54
        .size:           2
        .value_kind:     hidden_remainder_z
      - .offset:         72
        .size:           8
        .value_kind:     hidden_global_offset_x
      - .offset:         80
        .size:           8
        .value_kind:     hidden_global_offset_y
      - .offset:         88
        .size:           8
        .value_kind:     hidden_global_offset_z
      - .offset:         96
        .size:           2
        .value_kind:     hidden_grid_dims
    .group_segment_fixed_size: 0
    .kernarg_segment_align: 8
    .kernarg_segment_size: 288
    .language:       OpenCL C
    .language_version:
      - 2
      - 0
    .max_flat_workgroup_size: 256
    .name:           _ZN7rocprim17ROCPRIM_400000_NS6detail31init_lookback_scan_state_kernelINS1_19lookback_scan_stateIfLb0ELb1EEENS1_16block_id_wrapperIjLb0EEEEEvT_jT0_jPNS7_10value_typeE
    .private_segment_fixed_size: 0
    .sgpr_count:     11
    .sgpr_spill_count: 0
    .symbol:         _ZN7rocprim17ROCPRIM_400000_NS6detail31init_lookback_scan_state_kernelINS1_19lookback_scan_stateIfLb0ELb1EEENS1_16block_id_wrapperIjLb0EEEEEvT_jT0_jPNS7_10value_typeE.kd
    .uniform_work_group_size: 1
    .uses_dynamic_stack: false
    .vgpr_count:     7
    .vgpr_spill_count: 0
    .wavefront_size: 32
    .workgroup_processor_mode: 1
  - .args:
      - .offset:         0
        .size:           96
        .value_kind:     by_value
    .group_segment_fixed_size: 0
    .kernarg_segment_align: 8
    .kernarg_segment_size: 96
    .language:       OpenCL C
    .language_version:
      - 2
      - 0
    .max_flat_workgroup_size: 256
    .name:           _ZN7rocprim17ROCPRIM_400000_NS6detail17trampoline_kernelINS0_14default_configENS1_20scan_config_selectorIfEEZZNS1_9scan_implILNS1_25lookback_scan_determinismE0ELb0ELb0ES3_PKfPffZZZN2at6native31launch_logcumsumexp_cuda_kernelERKNSB_10TensorBaseESF_lENKUlvE_clEvENKUlvE0_clEvEUlffE_fEEDaPvRmT3_T4_T5_mT6_P12ihipStream_tbENKUlT_T0_E_clISt17integral_constantIbLb0EESW_EEDaSR_SS_EUlSR_E_NS1_11comp_targetILNS1_3genE0ELNS1_11target_archE4294967295ELNS1_3gpuE0ELNS1_3repE0EEENS1_30default_config_static_selectorELNS0_4arch9wavefront6targetE0EEEvT1_
    .private_segment_fixed_size: 0
    .sgpr_count:     0
    .sgpr_spill_count: 0
    .symbol:         _ZN7rocprim17ROCPRIM_400000_NS6detail17trampoline_kernelINS0_14default_configENS1_20scan_config_selectorIfEEZZNS1_9scan_implILNS1_25lookback_scan_determinismE0ELb0ELb0ES3_PKfPffZZZN2at6native31launch_logcumsumexp_cuda_kernelERKNSB_10TensorBaseESF_lENKUlvE_clEvENKUlvE0_clEvEUlffE_fEEDaPvRmT3_T4_T5_mT6_P12ihipStream_tbENKUlT_T0_E_clISt17integral_constantIbLb0EESW_EEDaSR_SS_EUlSR_E_NS1_11comp_targetILNS1_3genE0ELNS1_11target_archE4294967295ELNS1_3gpuE0ELNS1_3repE0EEENS1_30default_config_static_selectorELNS0_4arch9wavefront6targetE0EEEvT1_.kd
    .uniform_work_group_size: 1
    .uses_dynamic_stack: false
    .vgpr_count:     0
    .vgpr_spill_count: 0
    .wavefront_size: 32
    .workgroup_processor_mode: 1
  - .args:
      - .offset:         0
        .size:           96
        .value_kind:     by_value
    .group_segment_fixed_size: 0
    .kernarg_segment_align: 8
    .kernarg_segment_size: 96
    .language:       OpenCL C
    .language_version:
      - 2
      - 0
    .max_flat_workgroup_size: 256
    .name:           _ZN7rocprim17ROCPRIM_400000_NS6detail17trampoline_kernelINS0_14default_configENS1_20scan_config_selectorIfEEZZNS1_9scan_implILNS1_25lookback_scan_determinismE0ELb0ELb0ES3_PKfPffZZZN2at6native31launch_logcumsumexp_cuda_kernelERKNSB_10TensorBaseESF_lENKUlvE_clEvENKUlvE0_clEvEUlffE_fEEDaPvRmT3_T4_T5_mT6_P12ihipStream_tbENKUlT_T0_E_clISt17integral_constantIbLb0EESW_EEDaSR_SS_EUlSR_E_NS1_11comp_targetILNS1_3genE5ELNS1_11target_archE942ELNS1_3gpuE9ELNS1_3repE0EEENS1_30default_config_static_selectorELNS0_4arch9wavefront6targetE0EEEvT1_
    .private_segment_fixed_size: 0
    .sgpr_count:     0
    .sgpr_spill_count: 0
    .symbol:         _ZN7rocprim17ROCPRIM_400000_NS6detail17trampoline_kernelINS0_14default_configENS1_20scan_config_selectorIfEEZZNS1_9scan_implILNS1_25lookback_scan_determinismE0ELb0ELb0ES3_PKfPffZZZN2at6native31launch_logcumsumexp_cuda_kernelERKNSB_10TensorBaseESF_lENKUlvE_clEvENKUlvE0_clEvEUlffE_fEEDaPvRmT3_T4_T5_mT6_P12ihipStream_tbENKUlT_T0_E_clISt17integral_constantIbLb0EESW_EEDaSR_SS_EUlSR_E_NS1_11comp_targetILNS1_3genE5ELNS1_11target_archE942ELNS1_3gpuE9ELNS1_3repE0EEENS1_30default_config_static_selectorELNS0_4arch9wavefront6targetE0EEEvT1_.kd
    .uniform_work_group_size: 1
    .uses_dynamic_stack: false
    .vgpr_count:     0
    .vgpr_spill_count: 0
    .wavefront_size: 32
    .workgroup_processor_mode: 1
  - .args:
      - .offset:         0
        .size:           96
        .value_kind:     by_value
    .group_segment_fixed_size: 0
    .kernarg_segment_align: 8
    .kernarg_segment_size: 96
    .language:       OpenCL C
    .language_version:
      - 2
      - 0
    .max_flat_workgroup_size: 128
    .name:           _ZN7rocprim17ROCPRIM_400000_NS6detail17trampoline_kernelINS0_14default_configENS1_20scan_config_selectorIfEEZZNS1_9scan_implILNS1_25lookback_scan_determinismE0ELb0ELb0ES3_PKfPffZZZN2at6native31launch_logcumsumexp_cuda_kernelERKNSB_10TensorBaseESF_lENKUlvE_clEvENKUlvE0_clEvEUlffE_fEEDaPvRmT3_T4_T5_mT6_P12ihipStream_tbENKUlT_T0_E_clISt17integral_constantIbLb0EESW_EEDaSR_SS_EUlSR_E_NS1_11comp_targetILNS1_3genE4ELNS1_11target_archE910ELNS1_3gpuE8ELNS1_3repE0EEENS1_30default_config_static_selectorELNS0_4arch9wavefront6targetE0EEEvT1_
    .private_segment_fixed_size: 0
    .sgpr_count:     0
    .sgpr_spill_count: 0
    .symbol:         _ZN7rocprim17ROCPRIM_400000_NS6detail17trampoline_kernelINS0_14default_configENS1_20scan_config_selectorIfEEZZNS1_9scan_implILNS1_25lookback_scan_determinismE0ELb0ELb0ES3_PKfPffZZZN2at6native31launch_logcumsumexp_cuda_kernelERKNSB_10TensorBaseESF_lENKUlvE_clEvENKUlvE0_clEvEUlffE_fEEDaPvRmT3_T4_T5_mT6_P12ihipStream_tbENKUlT_T0_E_clISt17integral_constantIbLb0EESW_EEDaSR_SS_EUlSR_E_NS1_11comp_targetILNS1_3genE4ELNS1_11target_archE910ELNS1_3gpuE8ELNS1_3repE0EEENS1_30default_config_static_selectorELNS0_4arch9wavefront6targetE0EEEvT1_.kd
    .uniform_work_group_size: 1
    .uses_dynamic_stack: false
    .vgpr_count:     0
    .vgpr_spill_count: 0
    .wavefront_size: 32
    .workgroup_processor_mode: 1
  - .args:
      - .offset:         0
        .size:           96
        .value_kind:     by_value
    .group_segment_fixed_size: 0
    .kernarg_segment_align: 8
    .kernarg_segment_size: 96
    .language:       OpenCL C
    .language_version:
      - 2
      - 0
    .max_flat_workgroup_size: 256
    .name:           _ZN7rocprim17ROCPRIM_400000_NS6detail17trampoline_kernelINS0_14default_configENS1_20scan_config_selectorIfEEZZNS1_9scan_implILNS1_25lookback_scan_determinismE0ELb0ELb0ES3_PKfPffZZZN2at6native31launch_logcumsumexp_cuda_kernelERKNSB_10TensorBaseESF_lENKUlvE_clEvENKUlvE0_clEvEUlffE_fEEDaPvRmT3_T4_T5_mT6_P12ihipStream_tbENKUlT_T0_E_clISt17integral_constantIbLb0EESW_EEDaSR_SS_EUlSR_E_NS1_11comp_targetILNS1_3genE3ELNS1_11target_archE908ELNS1_3gpuE7ELNS1_3repE0EEENS1_30default_config_static_selectorELNS0_4arch9wavefront6targetE0EEEvT1_
    .private_segment_fixed_size: 0
    .sgpr_count:     0
    .sgpr_spill_count: 0
    .symbol:         _ZN7rocprim17ROCPRIM_400000_NS6detail17trampoline_kernelINS0_14default_configENS1_20scan_config_selectorIfEEZZNS1_9scan_implILNS1_25lookback_scan_determinismE0ELb0ELb0ES3_PKfPffZZZN2at6native31launch_logcumsumexp_cuda_kernelERKNSB_10TensorBaseESF_lENKUlvE_clEvENKUlvE0_clEvEUlffE_fEEDaPvRmT3_T4_T5_mT6_P12ihipStream_tbENKUlT_T0_E_clISt17integral_constantIbLb0EESW_EEDaSR_SS_EUlSR_E_NS1_11comp_targetILNS1_3genE3ELNS1_11target_archE908ELNS1_3gpuE7ELNS1_3repE0EEENS1_30default_config_static_selectorELNS0_4arch9wavefront6targetE0EEEvT1_.kd
    .uniform_work_group_size: 1
    .uses_dynamic_stack: false
    .vgpr_count:     0
    .vgpr_spill_count: 0
    .wavefront_size: 32
    .workgroup_processor_mode: 1
  - .args:
      - .offset:         0
        .size:           96
        .value_kind:     by_value
    .group_segment_fixed_size: 0
    .kernarg_segment_align: 8
    .kernarg_segment_size: 96
    .language:       OpenCL C
    .language_version:
      - 2
      - 0
    .max_flat_workgroup_size: 256
    .name:           _ZN7rocprim17ROCPRIM_400000_NS6detail17trampoline_kernelINS0_14default_configENS1_20scan_config_selectorIfEEZZNS1_9scan_implILNS1_25lookback_scan_determinismE0ELb0ELb0ES3_PKfPffZZZN2at6native31launch_logcumsumexp_cuda_kernelERKNSB_10TensorBaseESF_lENKUlvE_clEvENKUlvE0_clEvEUlffE_fEEDaPvRmT3_T4_T5_mT6_P12ihipStream_tbENKUlT_T0_E_clISt17integral_constantIbLb0EESW_EEDaSR_SS_EUlSR_E_NS1_11comp_targetILNS1_3genE2ELNS1_11target_archE906ELNS1_3gpuE6ELNS1_3repE0EEENS1_30default_config_static_selectorELNS0_4arch9wavefront6targetE0EEEvT1_
    .private_segment_fixed_size: 0
    .sgpr_count:     0
    .sgpr_spill_count: 0
    .symbol:         _ZN7rocprim17ROCPRIM_400000_NS6detail17trampoline_kernelINS0_14default_configENS1_20scan_config_selectorIfEEZZNS1_9scan_implILNS1_25lookback_scan_determinismE0ELb0ELb0ES3_PKfPffZZZN2at6native31launch_logcumsumexp_cuda_kernelERKNSB_10TensorBaseESF_lENKUlvE_clEvENKUlvE0_clEvEUlffE_fEEDaPvRmT3_T4_T5_mT6_P12ihipStream_tbENKUlT_T0_E_clISt17integral_constantIbLb0EESW_EEDaSR_SS_EUlSR_E_NS1_11comp_targetILNS1_3genE2ELNS1_11target_archE906ELNS1_3gpuE6ELNS1_3repE0EEENS1_30default_config_static_selectorELNS0_4arch9wavefront6targetE0EEEvT1_.kd
    .uniform_work_group_size: 1
    .uses_dynamic_stack: false
    .vgpr_count:     0
    .vgpr_spill_count: 0
    .wavefront_size: 32
    .workgroup_processor_mode: 1
  - .args:
      - .offset:         0
        .size:           96
        .value_kind:     by_value
    .group_segment_fixed_size: 0
    .kernarg_segment_align: 8
    .kernarg_segment_size: 96
    .language:       OpenCL C
    .language_version:
      - 2
      - 0
    .max_flat_workgroup_size: 256
    .name:           _ZN7rocprim17ROCPRIM_400000_NS6detail17trampoline_kernelINS0_14default_configENS1_20scan_config_selectorIfEEZZNS1_9scan_implILNS1_25lookback_scan_determinismE0ELb0ELb0ES3_PKfPffZZZN2at6native31launch_logcumsumexp_cuda_kernelERKNSB_10TensorBaseESF_lENKUlvE_clEvENKUlvE0_clEvEUlffE_fEEDaPvRmT3_T4_T5_mT6_P12ihipStream_tbENKUlT_T0_E_clISt17integral_constantIbLb0EESW_EEDaSR_SS_EUlSR_E_NS1_11comp_targetILNS1_3genE10ELNS1_11target_archE1201ELNS1_3gpuE5ELNS1_3repE0EEENS1_30default_config_static_selectorELNS0_4arch9wavefront6targetE0EEEvT1_
    .private_segment_fixed_size: 0
    .sgpr_count:     0
    .sgpr_spill_count: 0
    .symbol:         _ZN7rocprim17ROCPRIM_400000_NS6detail17trampoline_kernelINS0_14default_configENS1_20scan_config_selectorIfEEZZNS1_9scan_implILNS1_25lookback_scan_determinismE0ELb0ELb0ES3_PKfPffZZZN2at6native31launch_logcumsumexp_cuda_kernelERKNSB_10TensorBaseESF_lENKUlvE_clEvENKUlvE0_clEvEUlffE_fEEDaPvRmT3_T4_T5_mT6_P12ihipStream_tbENKUlT_T0_E_clISt17integral_constantIbLb0EESW_EEDaSR_SS_EUlSR_E_NS1_11comp_targetILNS1_3genE10ELNS1_11target_archE1201ELNS1_3gpuE5ELNS1_3repE0EEENS1_30default_config_static_selectorELNS0_4arch9wavefront6targetE0EEEvT1_.kd
    .uniform_work_group_size: 1
    .uses_dynamic_stack: false
    .vgpr_count:     0
    .vgpr_spill_count: 0
    .wavefront_size: 32
    .workgroup_processor_mode: 1
  - .args:
      - .offset:         0
        .size:           96
        .value_kind:     by_value
    .group_segment_fixed_size: 0
    .kernarg_segment_align: 8
    .kernarg_segment_size: 96
    .language:       OpenCL C
    .language_version:
      - 2
      - 0
    .max_flat_workgroup_size: 256
    .name:           _ZN7rocprim17ROCPRIM_400000_NS6detail17trampoline_kernelINS0_14default_configENS1_20scan_config_selectorIfEEZZNS1_9scan_implILNS1_25lookback_scan_determinismE0ELb0ELb0ES3_PKfPffZZZN2at6native31launch_logcumsumexp_cuda_kernelERKNSB_10TensorBaseESF_lENKUlvE_clEvENKUlvE0_clEvEUlffE_fEEDaPvRmT3_T4_T5_mT6_P12ihipStream_tbENKUlT_T0_E_clISt17integral_constantIbLb0EESW_EEDaSR_SS_EUlSR_E_NS1_11comp_targetILNS1_3genE10ELNS1_11target_archE1200ELNS1_3gpuE4ELNS1_3repE0EEENS1_30default_config_static_selectorELNS0_4arch9wavefront6targetE0EEEvT1_
    .private_segment_fixed_size: 0
    .sgpr_count:     0
    .sgpr_spill_count: 0
    .symbol:         _ZN7rocprim17ROCPRIM_400000_NS6detail17trampoline_kernelINS0_14default_configENS1_20scan_config_selectorIfEEZZNS1_9scan_implILNS1_25lookback_scan_determinismE0ELb0ELb0ES3_PKfPffZZZN2at6native31launch_logcumsumexp_cuda_kernelERKNSB_10TensorBaseESF_lENKUlvE_clEvENKUlvE0_clEvEUlffE_fEEDaPvRmT3_T4_T5_mT6_P12ihipStream_tbENKUlT_T0_E_clISt17integral_constantIbLb0EESW_EEDaSR_SS_EUlSR_E_NS1_11comp_targetILNS1_3genE10ELNS1_11target_archE1200ELNS1_3gpuE4ELNS1_3repE0EEENS1_30default_config_static_selectorELNS0_4arch9wavefront6targetE0EEEvT1_.kd
    .uniform_work_group_size: 1
    .uses_dynamic_stack: false
    .vgpr_count:     0
    .vgpr_spill_count: 0
    .wavefront_size: 32
    .workgroup_processor_mode: 1
  - .args:
      - .offset:         0
        .size:           96
        .value_kind:     by_value
    .group_segment_fixed_size: 0
    .kernarg_segment_align: 8
    .kernarg_segment_size: 96
    .language:       OpenCL C
    .language_version:
      - 2
      - 0
    .max_flat_workgroup_size: 256
    .name:           _ZN7rocprim17ROCPRIM_400000_NS6detail17trampoline_kernelINS0_14default_configENS1_20scan_config_selectorIfEEZZNS1_9scan_implILNS1_25lookback_scan_determinismE0ELb0ELb0ES3_PKfPffZZZN2at6native31launch_logcumsumexp_cuda_kernelERKNSB_10TensorBaseESF_lENKUlvE_clEvENKUlvE0_clEvEUlffE_fEEDaPvRmT3_T4_T5_mT6_P12ihipStream_tbENKUlT_T0_E_clISt17integral_constantIbLb0EESW_EEDaSR_SS_EUlSR_E_NS1_11comp_targetILNS1_3genE9ELNS1_11target_archE1100ELNS1_3gpuE3ELNS1_3repE0EEENS1_30default_config_static_selectorELNS0_4arch9wavefront6targetE0EEEvT1_
    .private_segment_fixed_size: 0
    .sgpr_count:     0
    .sgpr_spill_count: 0
    .symbol:         _ZN7rocprim17ROCPRIM_400000_NS6detail17trampoline_kernelINS0_14default_configENS1_20scan_config_selectorIfEEZZNS1_9scan_implILNS1_25lookback_scan_determinismE0ELb0ELb0ES3_PKfPffZZZN2at6native31launch_logcumsumexp_cuda_kernelERKNSB_10TensorBaseESF_lENKUlvE_clEvENKUlvE0_clEvEUlffE_fEEDaPvRmT3_T4_T5_mT6_P12ihipStream_tbENKUlT_T0_E_clISt17integral_constantIbLb0EESW_EEDaSR_SS_EUlSR_E_NS1_11comp_targetILNS1_3genE9ELNS1_11target_archE1100ELNS1_3gpuE3ELNS1_3repE0EEENS1_30default_config_static_selectorELNS0_4arch9wavefront6targetE0EEEvT1_.kd
    .uniform_work_group_size: 1
    .uses_dynamic_stack: false
    .vgpr_count:     0
    .vgpr_spill_count: 0
    .wavefront_size: 32
    .workgroup_processor_mode: 1
  - .args:
      - .offset:         0
        .size:           96
        .value_kind:     by_value
    .group_segment_fixed_size: 1280
    .kernarg_segment_align: 8
    .kernarg_segment_size: 96
    .language:       OpenCL C
    .language_version:
      - 2
      - 0
    .max_flat_workgroup_size: 64
    .name:           _ZN7rocprim17ROCPRIM_400000_NS6detail17trampoline_kernelINS0_14default_configENS1_20scan_config_selectorIfEEZZNS1_9scan_implILNS1_25lookback_scan_determinismE0ELb0ELb0ES3_PKfPffZZZN2at6native31launch_logcumsumexp_cuda_kernelERKNSB_10TensorBaseESF_lENKUlvE_clEvENKUlvE0_clEvEUlffE_fEEDaPvRmT3_T4_T5_mT6_P12ihipStream_tbENKUlT_T0_E_clISt17integral_constantIbLb0EESW_EEDaSR_SS_EUlSR_E_NS1_11comp_targetILNS1_3genE8ELNS1_11target_archE1030ELNS1_3gpuE2ELNS1_3repE0EEENS1_30default_config_static_selectorELNS0_4arch9wavefront6targetE0EEEvT1_
    .private_segment_fixed_size: 0
    .sgpr_count:     32
    .sgpr_spill_count: 0
    .symbol:         _ZN7rocprim17ROCPRIM_400000_NS6detail17trampoline_kernelINS0_14default_configENS1_20scan_config_selectorIfEEZZNS1_9scan_implILNS1_25lookback_scan_determinismE0ELb0ELb0ES3_PKfPffZZZN2at6native31launch_logcumsumexp_cuda_kernelERKNSB_10TensorBaseESF_lENKUlvE_clEvENKUlvE0_clEvEUlffE_fEEDaPvRmT3_T4_T5_mT6_P12ihipStream_tbENKUlT_T0_E_clISt17integral_constantIbLb0EESW_EEDaSR_SS_EUlSR_E_NS1_11comp_targetILNS1_3genE8ELNS1_11target_archE1030ELNS1_3gpuE2ELNS1_3repE0EEENS1_30default_config_static_selectorELNS0_4arch9wavefront6targetE0EEEvT1_.kd
    .uniform_work_group_size: 1
    .uses_dynamic_stack: false
    .vgpr_count:     46
    .vgpr_spill_count: 0
    .wavefront_size: 32
    .workgroup_processor_mode: 1
  - .args:
      - .offset:         0
        .size:           40
        .value_kind:     by_value
    .group_segment_fixed_size: 0
    .kernarg_segment_align: 8
    .kernarg_segment_size: 40
    .language:       OpenCL C
    .language_version:
      - 2
      - 0
    .max_flat_workgroup_size: 128
    .name:           _ZN7rocprim17ROCPRIM_400000_NS6detail17trampoline_kernelINS0_14default_configENS1_25transform_config_selectorIfLb1EEEZNS1_14transform_implILb1ES3_S5_PfS7_NS0_8identityIfEEEE10hipError_tT2_T3_mT4_P12ihipStream_tbEUlT_E_NS1_11comp_targetILNS1_3genE0ELNS1_11target_archE4294967295ELNS1_3gpuE0ELNS1_3repE0EEENS1_30default_config_static_selectorELNS0_4arch9wavefront6targetE0EEEvT1_
    .private_segment_fixed_size: 0
    .sgpr_count:     0
    .sgpr_spill_count: 0
    .symbol:         _ZN7rocprim17ROCPRIM_400000_NS6detail17trampoline_kernelINS0_14default_configENS1_25transform_config_selectorIfLb1EEEZNS1_14transform_implILb1ES3_S5_PfS7_NS0_8identityIfEEEE10hipError_tT2_T3_mT4_P12ihipStream_tbEUlT_E_NS1_11comp_targetILNS1_3genE0ELNS1_11target_archE4294967295ELNS1_3gpuE0ELNS1_3repE0EEENS1_30default_config_static_selectorELNS0_4arch9wavefront6targetE0EEEvT1_.kd
    .uniform_work_group_size: 1
    .uses_dynamic_stack: false
    .vgpr_count:     0
    .vgpr_spill_count: 0
    .wavefront_size: 32
    .workgroup_processor_mode: 1
  - .args:
      - .offset:         0
        .size:           40
        .value_kind:     by_value
    .group_segment_fixed_size: 0
    .kernarg_segment_align: 8
    .kernarg_segment_size: 40
    .language:       OpenCL C
    .language_version:
      - 2
      - 0
    .max_flat_workgroup_size: 1024
    .name:           _ZN7rocprim17ROCPRIM_400000_NS6detail17trampoline_kernelINS0_14default_configENS1_25transform_config_selectorIfLb1EEEZNS1_14transform_implILb1ES3_S5_PfS7_NS0_8identityIfEEEE10hipError_tT2_T3_mT4_P12ihipStream_tbEUlT_E_NS1_11comp_targetILNS1_3genE10ELNS1_11target_archE1201ELNS1_3gpuE5ELNS1_3repE0EEENS1_30default_config_static_selectorELNS0_4arch9wavefront6targetE0EEEvT1_
    .private_segment_fixed_size: 0
    .sgpr_count:     0
    .sgpr_spill_count: 0
    .symbol:         _ZN7rocprim17ROCPRIM_400000_NS6detail17trampoline_kernelINS0_14default_configENS1_25transform_config_selectorIfLb1EEEZNS1_14transform_implILb1ES3_S5_PfS7_NS0_8identityIfEEEE10hipError_tT2_T3_mT4_P12ihipStream_tbEUlT_E_NS1_11comp_targetILNS1_3genE10ELNS1_11target_archE1201ELNS1_3gpuE5ELNS1_3repE0EEENS1_30default_config_static_selectorELNS0_4arch9wavefront6targetE0EEEvT1_.kd
    .uniform_work_group_size: 1
    .uses_dynamic_stack: false
    .vgpr_count:     0
    .vgpr_spill_count: 0
    .wavefront_size: 32
    .workgroup_processor_mode: 1
  - .args:
      - .offset:         0
        .size:           40
        .value_kind:     by_value
    .group_segment_fixed_size: 0
    .kernarg_segment_align: 8
    .kernarg_segment_size: 40
    .language:       OpenCL C
    .language_version:
      - 2
      - 0
    .max_flat_workgroup_size: 256
    .name:           _ZN7rocprim17ROCPRIM_400000_NS6detail17trampoline_kernelINS0_14default_configENS1_25transform_config_selectorIfLb1EEEZNS1_14transform_implILb1ES3_S5_PfS7_NS0_8identityIfEEEE10hipError_tT2_T3_mT4_P12ihipStream_tbEUlT_E_NS1_11comp_targetILNS1_3genE5ELNS1_11target_archE942ELNS1_3gpuE9ELNS1_3repE0EEENS1_30default_config_static_selectorELNS0_4arch9wavefront6targetE0EEEvT1_
    .private_segment_fixed_size: 0
    .sgpr_count:     0
    .sgpr_spill_count: 0
    .symbol:         _ZN7rocprim17ROCPRIM_400000_NS6detail17trampoline_kernelINS0_14default_configENS1_25transform_config_selectorIfLb1EEEZNS1_14transform_implILb1ES3_S5_PfS7_NS0_8identityIfEEEE10hipError_tT2_T3_mT4_P12ihipStream_tbEUlT_E_NS1_11comp_targetILNS1_3genE5ELNS1_11target_archE942ELNS1_3gpuE9ELNS1_3repE0EEENS1_30default_config_static_selectorELNS0_4arch9wavefront6targetE0EEEvT1_.kd
    .uniform_work_group_size: 1
    .uses_dynamic_stack: false
    .vgpr_count:     0
    .vgpr_spill_count: 0
    .wavefront_size: 32
    .workgroup_processor_mode: 1
  - .args:
      - .offset:         0
        .size:           40
        .value_kind:     by_value
    .group_segment_fixed_size: 0
    .kernarg_segment_align: 8
    .kernarg_segment_size: 40
    .language:       OpenCL C
    .language_version:
      - 2
      - 0
    .max_flat_workgroup_size: 1024
    .name:           _ZN7rocprim17ROCPRIM_400000_NS6detail17trampoline_kernelINS0_14default_configENS1_25transform_config_selectorIfLb1EEEZNS1_14transform_implILb1ES3_S5_PfS7_NS0_8identityIfEEEE10hipError_tT2_T3_mT4_P12ihipStream_tbEUlT_E_NS1_11comp_targetILNS1_3genE4ELNS1_11target_archE910ELNS1_3gpuE8ELNS1_3repE0EEENS1_30default_config_static_selectorELNS0_4arch9wavefront6targetE0EEEvT1_
    .private_segment_fixed_size: 0
    .sgpr_count:     0
    .sgpr_spill_count: 0
    .symbol:         _ZN7rocprim17ROCPRIM_400000_NS6detail17trampoline_kernelINS0_14default_configENS1_25transform_config_selectorIfLb1EEEZNS1_14transform_implILb1ES3_S5_PfS7_NS0_8identityIfEEEE10hipError_tT2_T3_mT4_P12ihipStream_tbEUlT_E_NS1_11comp_targetILNS1_3genE4ELNS1_11target_archE910ELNS1_3gpuE8ELNS1_3repE0EEENS1_30default_config_static_selectorELNS0_4arch9wavefront6targetE0EEEvT1_.kd
    .uniform_work_group_size: 1
    .uses_dynamic_stack: false
    .vgpr_count:     0
    .vgpr_spill_count: 0
    .wavefront_size: 32
    .workgroup_processor_mode: 1
  - .args:
      - .offset:         0
        .size:           40
        .value_kind:     by_value
    .group_segment_fixed_size: 0
    .kernarg_segment_align: 8
    .kernarg_segment_size: 40
    .language:       OpenCL C
    .language_version:
      - 2
      - 0
    .max_flat_workgroup_size: 128
    .name:           _ZN7rocprim17ROCPRIM_400000_NS6detail17trampoline_kernelINS0_14default_configENS1_25transform_config_selectorIfLb1EEEZNS1_14transform_implILb1ES3_S5_PfS7_NS0_8identityIfEEEE10hipError_tT2_T3_mT4_P12ihipStream_tbEUlT_E_NS1_11comp_targetILNS1_3genE3ELNS1_11target_archE908ELNS1_3gpuE7ELNS1_3repE0EEENS1_30default_config_static_selectorELNS0_4arch9wavefront6targetE0EEEvT1_
    .private_segment_fixed_size: 0
    .sgpr_count:     0
    .sgpr_spill_count: 0
    .symbol:         _ZN7rocprim17ROCPRIM_400000_NS6detail17trampoline_kernelINS0_14default_configENS1_25transform_config_selectorIfLb1EEEZNS1_14transform_implILb1ES3_S5_PfS7_NS0_8identityIfEEEE10hipError_tT2_T3_mT4_P12ihipStream_tbEUlT_E_NS1_11comp_targetILNS1_3genE3ELNS1_11target_archE908ELNS1_3gpuE7ELNS1_3repE0EEENS1_30default_config_static_selectorELNS0_4arch9wavefront6targetE0EEEvT1_.kd
    .uniform_work_group_size: 1
    .uses_dynamic_stack: false
    .vgpr_count:     0
    .vgpr_spill_count: 0
    .wavefront_size: 32
    .workgroup_processor_mode: 1
  - .args:
      - .offset:         0
        .size:           40
        .value_kind:     by_value
    .group_segment_fixed_size: 0
    .kernarg_segment_align: 8
    .kernarg_segment_size: 40
    .language:       OpenCL C
    .language_version:
      - 2
      - 0
    .max_flat_workgroup_size: 1024
    .name:           _ZN7rocprim17ROCPRIM_400000_NS6detail17trampoline_kernelINS0_14default_configENS1_25transform_config_selectorIfLb1EEEZNS1_14transform_implILb1ES3_S5_PfS7_NS0_8identityIfEEEE10hipError_tT2_T3_mT4_P12ihipStream_tbEUlT_E_NS1_11comp_targetILNS1_3genE2ELNS1_11target_archE906ELNS1_3gpuE6ELNS1_3repE0EEENS1_30default_config_static_selectorELNS0_4arch9wavefront6targetE0EEEvT1_
    .private_segment_fixed_size: 0
    .sgpr_count:     0
    .sgpr_spill_count: 0
    .symbol:         _ZN7rocprim17ROCPRIM_400000_NS6detail17trampoline_kernelINS0_14default_configENS1_25transform_config_selectorIfLb1EEEZNS1_14transform_implILb1ES3_S5_PfS7_NS0_8identityIfEEEE10hipError_tT2_T3_mT4_P12ihipStream_tbEUlT_E_NS1_11comp_targetILNS1_3genE2ELNS1_11target_archE906ELNS1_3gpuE6ELNS1_3repE0EEENS1_30default_config_static_selectorELNS0_4arch9wavefront6targetE0EEEvT1_.kd
    .uniform_work_group_size: 1
    .uses_dynamic_stack: false
    .vgpr_count:     0
    .vgpr_spill_count: 0
    .wavefront_size: 32
    .workgroup_processor_mode: 1
  - .args:
      - .offset:         0
        .size:           40
        .value_kind:     by_value
    .group_segment_fixed_size: 0
    .kernarg_segment_align: 8
    .kernarg_segment_size: 40
    .language:       OpenCL C
    .language_version:
      - 2
      - 0
    .max_flat_workgroup_size: 1024
    .name:           _ZN7rocprim17ROCPRIM_400000_NS6detail17trampoline_kernelINS0_14default_configENS1_25transform_config_selectorIfLb1EEEZNS1_14transform_implILb1ES3_S5_PfS7_NS0_8identityIfEEEE10hipError_tT2_T3_mT4_P12ihipStream_tbEUlT_E_NS1_11comp_targetILNS1_3genE9ELNS1_11target_archE1100ELNS1_3gpuE3ELNS1_3repE0EEENS1_30default_config_static_selectorELNS0_4arch9wavefront6targetE0EEEvT1_
    .private_segment_fixed_size: 0
    .sgpr_count:     0
    .sgpr_spill_count: 0
    .symbol:         _ZN7rocprim17ROCPRIM_400000_NS6detail17trampoline_kernelINS0_14default_configENS1_25transform_config_selectorIfLb1EEEZNS1_14transform_implILb1ES3_S5_PfS7_NS0_8identityIfEEEE10hipError_tT2_T3_mT4_P12ihipStream_tbEUlT_E_NS1_11comp_targetILNS1_3genE9ELNS1_11target_archE1100ELNS1_3gpuE3ELNS1_3repE0EEENS1_30default_config_static_selectorELNS0_4arch9wavefront6targetE0EEEvT1_.kd
    .uniform_work_group_size: 1
    .uses_dynamic_stack: false
    .vgpr_count:     0
    .vgpr_spill_count: 0
    .wavefront_size: 32
    .workgroup_processor_mode: 1
  - .args:
      - .offset:         0
        .size:           40
        .value_kind:     by_value
      - .offset:         40
        .size:           4
        .value_kind:     hidden_block_count_x
      - .offset:         44
        .size:           4
        .value_kind:     hidden_block_count_y
      - .offset:         48
        .size:           4
        .value_kind:     hidden_block_count_z
      - .offset:         52
        .size:           2
        .value_kind:     hidden_group_size_x
      - .offset:         54
        .size:           2
        .value_kind:     hidden_group_size_y
      - .offset:         56
        .size:           2
        .value_kind:     hidden_group_size_z
      - .offset:         58
        .size:           2
        .value_kind:     hidden_remainder_x
      - .offset:         60
        .size:           2
        .value_kind:     hidden_remainder_y
      - .offset:         62
        .size:           2
        .value_kind:     hidden_remainder_z
      - .offset:         80
        .size:           8
        .value_kind:     hidden_global_offset_x
      - .offset:         88
        .size:           8
        .value_kind:     hidden_global_offset_y
      - .offset:         96
        .size:           8
        .value_kind:     hidden_global_offset_z
      - .offset:         104
        .size:           2
        .value_kind:     hidden_grid_dims
    .group_segment_fixed_size: 0
    .kernarg_segment_align: 8
    .kernarg_segment_size: 296
    .language:       OpenCL C
    .language_version:
      - 2
      - 0
    .max_flat_workgroup_size: 1024
    .name:           _ZN7rocprim17ROCPRIM_400000_NS6detail17trampoline_kernelINS0_14default_configENS1_25transform_config_selectorIfLb1EEEZNS1_14transform_implILb1ES3_S5_PfS7_NS0_8identityIfEEEE10hipError_tT2_T3_mT4_P12ihipStream_tbEUlT_E_NS1_11comp_targetILNS1_3genE8ELNS1_11target_archE1030ELNS1_3gpuE2ELNS1_3repE0EEENS1_30default_config_static_selectorELNS0_4arch9wavefront6targetE0EEEvT1_
    .private_segment_fixed_size: 0
    .sgpr_count:     14
    .sgpr_spill_count: 0
    .symbol:         _ZN7rocprim17ROCPRIM_400000_NS6detail17trampoline_kernelINS0_14default_configENS1_25transform_config_selectorIfLb1EEEZNS1_14transform_implILb1ES3_S5_PfS7_NS0_8identityIfEEEE10hipError_tT2_T3_mT4_P12ihipStream_tbEUlT_E_NS1_11comp_targetILNS1_3genE8ELNS1_11target_archE1030ELNS1_3gpuE2ELNS1_3repE0EEENS1_30default_config_static_selectorELNS0_4arch9wavefront6targetE0EEEvT1_.kd
    .uniform_work_group_size: 1
    .uses_dynamic_stack: false
    .vgpr_count:     2
    .vgpr_spill_count: 0
    .wavefront_size: 32
    .workgroup_processor_mode: 1
  - .args:
      - .offset:         0
        .size:           32
        .value_kind:     by_value
    .group_segment_fixed_size: 0
    .kernarg_segment_align: 8
    .kernarg_segment_size: 32
    .language:       OpenCL C
    .language_version:
      - 2
      - 0
    .max_flat_workgroup_size: 256
    .name:           _ZN7rocprim17ROCPRIM_400000_NS6detail17trampoline_kernelINS0_14default_configENS1_20scan_config_selectorIfEEZZNS1_9scan_implILNS1_25lookback_scan_determinismE0ELb0ELb0ES3_PKfPffZZZN2at6native31launch_logcumsumexp_cuda_kernelERKNSB_10TensorBaseESF_lENKUlvE_clEvENKUlvE0_clEvEUlffE_fEEDaPvRmT3_T4_T5_mT6_P12ihipStream_tbENKUlT_T0_E_clISt17integral_constantIbLb0EESW_EEDaSR_SS_EUlSR_E0_NS1_11comp_targetILNS1_3genE0ELNS1_11target_archE4294967295ELNS1_3gpuE0ELNS1_3repE0EEENS1_30default_config_static_selectorELNS0_4arch9wavefront6targetE0EEEvT1_
    .private_segment_fixed_size: 0
    .sgpr_count:     0
    .sgpr_spill_count: 0
    .symbol:         _ZN7rocprim17ROCPRIM_400000_NS6detail17trampoline_kernelINS0_14default_configENS1_20scan_config_selectorIfEEZZNS1_9scan_implILNS1_25lookback_scan_determinismE0ELb0ELb0ES3_PKfPffZZZN2at6native31launch_logcumsumexp_cuda_kernelERKNSB_10TensorBaseESF_lENKUlvE_clEvENKUlvE0_clEvEUlffE_fEEDaPvRmT3_T4_T5_mT6_P12ihipStream_tbENKUlT_T0_E_clISt17integral_constantIbLb0EESW_EEDaSR_SS_EUlSR_E0_NS1_11comp_targetILNS1_3genE0ELNS1_11target_archE4294967295ELNS1_3gpuE0ELNS1_3repE0EEENS1_30default_config_static_selectorELNS0_4arch9wavefront6targetE0EEEvT1_.kd
    .uniform_work_group_size: 1
    .uses_dynamic_stack: false
    .vgpr_count:     0
    .vgpr_spill_count: 0
    .wavefront_size: 32
    .workgroup_processor_mode: 1
  - .args:
      - .offset:         0
        .size:           32
        .value_kind:     by_value
    .group_segment_fixed_size: 0
    .kernarg_segment_align: 8
    .kernarg_segment_size: 32
    .language:       OpenCL C
    .language_version:
      - 2
      - 0
    .max_flat_workgroup_size: 256
    .name:           _ZN7rocprim17ROCPRIM_400000_NS6detail17trampoline_kernelINS0_14default_configENS1_20scan_config_selectorIfEEZZNS1_9scan_implILNS1_25lookback_scan_determinismE0ELb0ELb0ES3_PKfPffZZZN2at6native31launch_logcumsumexp_cuda_kernelERKNSB_10TensorBaseESF_lENKUlvE_clEvENKUlvE0_clEvEUlffE_fEEDaPvRmT3_T4_T5_mT6_P12ihipStream_tbENKUlT_T0_E_clISt17integral_constantIbLb0EESW_EEDaSR_SS_EUlSR_E0_NS1_11comp_targetILNS1_3genE5ELNS1_11target_archE942ELNS1_3gpuE9ELNS1_3repE0EEENS1_30default_config_static_selectorELNS0_4arch9wavefront6targetE0EEEvT1_
    .private_segment_fixed_size: 0
    .sgpr_count:     0
    .sgpr_spill_count: 0
    .symbol:         _ZN7rocprim17ROCPRIM_400000_NS6detail17trampoline_kernelINS0_14default_configENS1_20scan_config_selectorIfEEZZNS1_9scan_implILNS1_25lookback_scan_determinismE0ELb0ELb0ES3_PKfPffZZZN2at6native31launch_logcumsumexp_cuda_kernelERKNSB_10TensorBaseESF_lENKUlvE_clEvENKUlvE0_clEvEUlffE_fEEDaPvRmT3_T4_T5_mT6_P12ihipStream_tbENKUlT_T0_E_clISt17integral_constantIbLb0EESW_EEDaSR_SS_EUlSR_E0_NS1_11comp_targetILNS1_3genE5ELNS1_11target_archE942ELNS1_3gpuE9ELNS1_3repE0EEENS1_30default_config_static_selectorELNS0_4arch9wavefront6targetE0EEEvT1_.kd
    .uniform_work_group_size: 1
    .uses_dynamic_stack: false
    .vgpr_count:     0
    .vgpr_spill_count: 0
    .wavefront_size: 32
    .workgroup_processor_mode: 1
  - .args:
      - .offset:         0
        .size:           32
        .value_kind:     by_value
    .group_segment_fixed_size: 0
    .kernarg_segment_align: 8
    .kernarg_segment_size: 32
    .language:       OpenCL C
    .language_version:
      - 2
      - 0
    .max_flat_workgroup_size: 128
    .name:           _ZN7rocprim17ROCPRIM_400000_NS6detail17trampoline_kernelINS0_14default_configENS1_20scan_config_selectorIfEEZZNS1_9scan_implILNS1_25lookback_scan_determinismE0ELb0ELb0ES3_PKfPffZZZN2at6native31launch_logcumsumexp_cuda_kernelERKNSB_10TensorBaseESF_lENKUlvE_clEvENKUlvE0_clEvEUlffE_fEEDaPvRmT3_T4_T5_mT6_P12ihipStream_tbENKUlT_T0_E_clISt17integral_constantIbLb0EESW_EEDaSR_SS_EUlSR_E0_NS1_11comp_targetILNS1_3genE4ELNS1_11target_archE910ELNS1_3gpuE8ELNS1_3repE0EEENS1_30default_config_static_selectorELNS0_4arch9wavefront6targetE0EEEvT1_
    .private_segment_fixed_size: 0
    .sgpr_count:     0
    .sgpr_spill_count: 0
    .symbol:         _ZN7rocprim17ROCPRIM_400000_NS6detail17trampoline_kernelINS0_14default_configENS1_20scan_config_selectorIfEEZZNS1_9scan_implILNS1_25lookback_scan_determinismE0ELb0ELb0ES3_PKfPffZZZN2at6native31launch_logcumsumexp_cuda_kernelERKNSB_10TensorBaseESF_lENKUlvE_clEvENKUlvE0_clEvEUlffE_fEEDaPvRmT3_T4_T5_mT6_P12ihipStream_tbENKUlT_T0_E_clISt17integral_constantIbLb0EESW_EEDaSR_SS_EUlSR_E0_NS1_11comp_targetILNS1_3genE4ELNS1_11target_archE910ELNS1_3gpuE8ELNS1_3repE0EEENS1_30default_config_static_selectorELNS0_4arch9wavefront6targetE0EEEvT1_.kd
    .uniform_work_group_size: 1
    .uses_dynamic_stack: false
    .vgpr_count:     0
    .vgpr_spill_count: 0
    .wavefront_size: 32
    .workgroup_processor_mode: 1
  - .args:
      - .offset:         0
        .size:           32
        .value_kind:     by_value
    .group_segment_fixed_size: 0
    .kernarg_segment_align: 8
    .kernarg_segment_size: 32
    .language:       OpenCL C
    .language_version:
      - 2
      - 0
    .max_flat_workgroup_size: 256
    .name:           _ZN7rocprim17ROCPRIM_400000_NS6detail17trampoline_kernelINS0_14default_configENS1_20scan_config_selectorIfEEZZNS1_9scan_implILNS1_25lookback_scan_determinismE0ELb0ELb0ES3_PKfPffZZZN2at6native31launch_logcumsumexp_cuda_kernelERKNSB_10TensorBaseESF_lENKUlvE_clEvENKUlvE0_clEvEUlffE_fEEDaPvRmT3_T4_T5_mT6_P12ihipStream_tbENKUlT_T0_E_clISt17integral_constantIbLb0EESW_EEDaSR_SS_EUlSR_E0_NS1_11comp_targetILNS1_3genE3ELNS1_11target_archE908ELNS1_3gpuE7ELNS1_3repE0EEENS1_30default_config_static_selectorELNS0_4arch9wavefront6targetE0EEEvT1_
    .private_segment_fixed_size: 0
    .sgpr_count:     0
    .sgpr_spill_count: 0
    .symbol:         _ZN7rocprim17ROCPRIM_400000_NS6detail17trampoline_kernelINS0_14default_configENS1_20scan_config_selectorIfEEZZNS1_9scan_implILNS1_25lookback_scan_determinismE0ELb0ELb0ES3_PKfPffZZZN2at6native31launch_logcumsumexp_cuda_kernelERKNSB_10TensorBaseESF_lENKUlvE_clEvENKUlvE0_clEvEUlffE_fEEDaPvRmT3_T4_T5_mT6_P12ihipStream_tbENKUlT_T0_E_clISt17integral_constantIbLb0EESW_EEDaSR_SS_EUlSR_E0_NS1_11comp_targetILNS1_3genE3ELNS1_11target_archE908ELNS1_3gpuE7ELNS1_3repE0EEENS1_30default_config_static_selectorELNS0_4arch9wavefront6targetE0EEEvT1_.kd
    .uniform_work_group_size: 1
    .uses_dynamic_stack: false
    .vgpr_count:     0
    .vgpr_spill_count: 0
    .wavefront_size: 32
    .workgroup_processor_mode: 1
  - .args:
      - .offset:         0
        .size:           32
        .value_kind:     by_value
    .group_segment_fixed_size: 0
    .kernarg_segment_align: 8
    .kernarg_segment_size: 32
    .language:       OpenCL C
    .language_version:
      - 2
      - 0
    .max_flat_workgroup_size: 256
    .name:           _ZN7rocprim17ROCPRIM_400000_NS6detail17trampoline_kernelINS0_14default_configENS1_20scan_config_selectorIfEEZZNS1_9scan_implILNS1_25lookback_scan_determinismE0ELb0ELb0ES3_PKfPffZZZN2at6native31launch_logcumsumexp_cuda_kernelERKNSB_10TensorBaseESF_lENKUlvE_clEvENKUlvE0_clEvEUlffE_fEEDaPvRmT3_T4_T5_mT6_P12ihipStream_tbENKUlT_T0_E_clISt17integral_constantIbLb0EESW_EEDaSR_SS_EUlSR_E0_NS1_11comp_targetILNS1_3genE2ELNS1_11target_archE906ELNS1_3gpuE6ELNS1_3repE0EEENS1_30default_config_static_selectorELNS0_4arch9wavefront6targetE0EEEvT1_
    .private_segment_fixed_size: 0
    .sgpr_count:     0
    .sgpr_spill_count: 0
    .symbol:         _ZN7rocprim17ROCPRIM_400000_NS6detail17trampoline_kernelINS0_14default_configENS1_20scan_config_selectorIfEEZZNS1_9scan_implILNS1_25lookback_scan_determinismE0ELb0ELb0ES3_PKfPffZZZN2at6native31launch_logcumsumexp_cuda_kernelERKNSB_10TensorBaseESF_lENKUlvE_clEvENKUlvE0_clEvEUlffE_fEEDaPvRmT3_T4_T5_mT6_P12ihipStream_tbENKUlT_T0_E_clISt17integral_constantIbLb0EESW_EEDaSR_SS_EUlSR_E0_NS1_11comp_targetILNS1_3genE2ELNS1_11target_archE906ELNS1_3gpuE6ELNS1_3repE0EEENS1_30default_config_static_selectorELNS0_4arch9wavefront6targetE0EEEvT1_.kd
    .uniform_work_group_size: 1
    .uses_dynamic_stack: false
    .vgpr_count:     0
    .vgpr_spill_count: 0
    .wavefront_size: 32
    .workgroup_processor_mode: 1
  - .args:
      - .offset:         0
        .size:           32
        .value_kind:     by_value
    .group_segment_fixed_size: 0
    .kernarg_segment_align: 8
    .kernarg_segment_size: 32
    .language:       OpenCL C
    .language_version:
      - 2
      - 0
    .max_flat_workgroup_size: 256
    .name:           _ZN7rocprim17ROCPRIM_400000_NS6detail17trampoline_kernelINS0_14default_configENS1_20scan_config_selectorIfEEZZNS1_9scan_implILNS1_25lookback_scan_determinismE0ELb0ELb0ES3_PKfPffZZZN2at6native31launch_logcumsumexp_cuda_kernelERKNSB_10TensorBaseESF_lENKUlvE_clEvENKUlvE0_clEvEUlffE_fEEDaPvRmT3_T4_T5_mT6_P12ihipStream_tbENKUlT_T0_E_clISt17integral_constantIbLb0EESW_EEDaSR_SS_EUlSR_E0_NS1_11comp_targetILNS1_3genE10ELNS1_11target_archE1201ELNS1_3gpuE5ELNS1_3repE0EEENS1_30default_config_static_selectorELNS0_4arch9wavefront6targetE0EEEvT1_
    .private_segment_fixed_size: 0
    .sgpr_count:     0
    .sgpr_spill_count: 0
    .symbol:         _ZN7rocprim17ROCPRIM_400000_NS6detail17trampoline_kernelINS0_14default_configENS1_20scan_config_selectorIfEEZZNS1_9scan_implILNS1_25lookback_scan_determinismE0ELb0ELb0ES3_PKfPffZZZN2at6native31launch_logcumsumexp_cuda_kernelERKNSB_10TensorBaseESF_lENKUlvE_clEvENKUlvE0_clEvEUlffE_fEEDaPvRmT3_T4_T5_mT6_P12ihipStream_tbENKUlT_T0_E_clISt17integral_constantIbLb0EESW_EEDaSR_SS_EUlSR_E0_NS1_11comp_targetILNS1_3genE10ELNS1_11target_archE1201ELNS1_3gpuE5ELNS1_3repE0EEENS1_30default_config_static_selectorELNS0_4arch9wavefront6targetE0EEEvT1_.kd
    .uniform_work_group_size: 1
    .uses_dynamic_stack: false
    .vgpr_count:     0
    .vgpr_spill_count: 0
    .wavefront_size: 32
    .workgroup_processor_mode: 1
  - .args:
      - .offset:         0
        .size:           32
        .value_kind:     by_value
    .group_segment_fixed_size: 0
    .kernarg_segment_align: 8
    .kernarg_segment_size: 32
    .language:       OpenCL C
    .language_version:
      - 2
      - 0
    .max_flat_workgroup_size: 256
    .name:           _ZN7rocprim17ROCPRIM_400000_NS6detail17trampoline_kernelINS0_14default_configENS1_20scan_config_selectorIfEEZZNS1_9scan_implILNS1_25lookback_scan_determinismE0ELb0ELb0ES3_PKfPffZZZN2at6native31launch_logcumsumexp_cuda_kernelERKNSB_10TensorBaseESF_lENKUlvE_clEvENKUlvE0_clEvEUlffE_fEEDaPvRmT3_T4_T5_mT6_P12ihipStream_tbENKUlT_T0_E_clISt17integral_constantIbLb0EESW_EEDaSR_SS_EUlSR_E0_NS1_11comp_targetILNS1_3genE10ELNS1_11target_archE1200ELNS1_3gpuE4ELNS1_3repE0EEENS1_30default_config_static_selectorELNS0_4arch9wavefront6targetE0EEEvT1_
    .private_segment_fixed_size: 0
    .sgpr_count:     0
    .sgpr_spill_count: 0
    .symbol:         _ZN7rocprim17ROCPRIM_400000_NS6detail17trampoline_kernelINS0_14default_configENS1_20scan_config_selectorIfEEZZNS1_9scan_implILNS1_25lookback_scan_determinismE0ELb0ELb0ES3_PKfPffZZZN2at6native31launch_logcumsumexp_cuda_kernelERKNSB_10TensorBaseESF_lENKUlvE_clEvENKUlvE0_clEvEUlffE_fEEDaPvRmT3_T4_T5_mT6_P12ihipStream_tbENKUlT_T0_E_clISt17integral_constantIbLb0EESW_EEDaSR_SS_EUlSR_E0_NS1_11comp_targetILNS1_3genE10ELNS1_11target_archE1200ELNS1_3gpuE4ELNS1_3repE0EEENS1_30default_config_static_selectorELNS0_4arch9wavefront6targetE0EEEvT1_.kd
    .uniform_work_group_size: 1
    .uses_dynamic_stack: false
    .vgpr_count:     0
    .vgpr_spill_count: 0
    .wavefront_size: 32
    .workgroup_processor_mode: 1
  - .args:
      - .offset:         0
        .size:           32
        .value_kind:     by_value
    .group_segment_fixed_size: 0
    .kernarg_segment_align: 8
    .kernarg_segment_size: 32
    .language:       OpenCL C
    .language_version:
      - 2
      - 0
    .max_flat_workgroup_size: 256
    .name:           _ZN7rocprim17ROCPRIM_400000_NS6detail17trampoline_kernelINS0_14default_configENS1_20scan_config_selectorIfEEZZNS1_9scan_implILNS1_25lookback_scan_determinismE0ELb0ELb0ES3_PKfPffZZZN2at6native31launch_logcumsumexp_cuda_kernelERKNSB_10TensorBaseESF_lENKUlvE_clEvENKUlvE0_clEvEUlffE_fEEDaPvRmT3_T4_T5_mT6_P12ihipStream_tbENKUlT_T0_E_clISt17integral_constantIbLb0EESW_EEDaSR_SS_EUlSR_E0_NS1_11comp_targetILNS1_3genE9ELNS1_11target_archE1100ELNS1_3gpuE3ELNS1_3repE0EEENS1_30default_config_static_selectorELNS0_4arch9wavefront6targetE0EEEvT1_
    .private_segment_fixed_size: 0
    .sgpr_count:     0
    .sgpr_spill_count: 0
    .symbol:         _ZN7rocprim17ROCPRIM_400000_NS6detail17trampoline_kernelINS0_14default_configENS1_20scan_config_selectorIfEEZZNS1_9scan_implILNS1_25lookback_scan_determinismE0ELb0ELb0ES3_PKfPffZZZN2at6native31launch_logcumsumexp_cuda_kernelERKNSB_10TensorBaseESF_lENKUlvE_clEvENKUlvE0_clEvEUlffE_fEEDaPvRmT3_T4_T5_mT6_P12ihipStream_tbENKUlT_T0_E_clISt17integral_constantIbLb0EESW_EEDaSR_SS_EUlSR_E0_NS1_11comp_targetILNS1_3genE9ELNS1_11target_archE1100ELNS1_3gpuE3ELNS1_3repE0EEENS1_30default_config_static_selectorELNS0_4arch9wavefront6targetE0EEEvT1_.kd
    .uniform_work_group_size: 1
    .uses_dynamic_stack: false
    .vgpr_count:     0
    .vgpr_spill_count: 0
    .wavefront_size: 32
    .workgroup_processor_mode: 1
  - .args:
      - .offset:         0
        .size:           32
        .value_kind:     by_value
    .group_segment_fixed_size: 1280
    .kernarg_segment_align: 8
    .kernarg_segment_size: 32
    .language:       OpenCL C
    .language_version:
      - 2
      - 0
    .max_flat_workgroup_size: 64
    .name:           _ZN7rocprim17ROCPRIM_400000_NS6detail17trampoline_kernelINS0_14default_configENS1_20scan_config_selectorIfEEZZNS1_9scan_implILNS1_25lookback_scan_determinismE0ELb0ELb0ES3_PKfPffZZZN2at6native31launch_logcumsumexp_cuda_kernelERKNSB_10TensorBaseESF_lENKUlvE_clEvENKUlvE0_clEvEUlffE_fEEDaPvRmT3_T4_T5_mT6_P12ihipStream_tbENKUlT_T0_E_clISt17integral_constantIbLb0EESW_EEDaSR_SS_EUlSR_E0_NS1_11comp_targetILNS1_3genE8ELNS1_11target_archE1030ELNS1_3gpuE2ELNS1_3repE0EEENS1_30default_config_static_selectorELNS0_4arch9wavefront6targetE0EEEvT1_
    .private_segment_fixed_size: 0
    .sgpr_count:     22
    .sgpr_spill_count: 0
    .symbol:         _ZN7rocprim17ROCPRIM_400000_NS6detail17trampoline_kernelINS0_14default_configENS1_20scan_config_selectorIfEEZZNS1_9scan_implILNS1_25lookback_scan_determinismE0ELb0ELb0ES3_PKfPffZZZN2at6native31launch_logcumsumexp_cuda_kernelERKNSB_10TensorBaseESF_lENKUlvE_clEvENKUlvE0_clEvEUlffE_fEEDaPvRmT3_T4_T5_mT6_P12ihipStream_tbENKUlT_T0_E_clISt17integral_constantIbLb0EESW_EEDaSR_SS_EUlSR_E0_NS1_11comp_targetILNS1_3genE8ELNS1_11target_archE1030ELNS1_3gpuE2ELNS1_3repE0EEENS1_30default_config_static_selectorELNS0_4arch9wavefront6targetE0EEEvT1_.kd
    .uniform_work_group_size: 1
    .uses_dynamic_stack: false
    .vgpr_count:     35
    .vgpr_spill_count: 0
    .wavefront_size: 32
    .workgroup_processor_mode: 1
  - .args:
      - .address_space:  global
        .offset:         0
        .size:           8
        .value_kind:     global_buffer
      - .offset:         8
        .size:           4
        .value_kind:     by_value
      - .address_space:  global
        .offset:         16
        .size:           8
        .value_kind:     global_buffer
      - .offset:         24
        .size:           4
        .value_kind:     by_value
      - .address_space:  global
        .offset:         32
        .size:           8
        .value_kind:     global_buffer
      - .offset:         40
        .size:           4
        .value_kind:     hidden_block_count_x
      - .offset:         44
        .size:           4
        .value_kind:     hidden_block_count_y
      - .offset:         48
        .size:           4
        .value_kind:     hidden_block_count_z
      - .offset:         52
        .size:           2
        .value_kind:     hidden_group_size_x
      - .offset:         54
        .size:           2
        .value_kind:     hidden_group_size_y
      - .offset:         56
        .size:           2
        .value_kind:     hidden_group_size_z
      - .offset:         58
        .size:           2
        .value_kind:     hidden_remainder_x
      - .offset:         60
        .size:           2
        .value_kind:     hidden_remainder_y
      - .offset:         62
        .size:           2
        .value_kind:     hidden_remainder_z
      - .offset:         80
        .size:           8
        .value_kind:     hidden_global_offset_x
      - .offset:         88
        .size:           8
        .value_kind:     hidden_global_offset_y
      - .offset:         96
        .size:           8
        .value_kind:     hidden_global_offset_z
      - .offset:         104
        .size:           2
        .value_kind:     hidden_grid_dims
    .group_segment_fixed_size: 0
    .kernarg_segment_align: 8
    .kernarg_segment_size: 296
    .language:       OpenCL C
    .language_version:
      - 2
      - 0
    .max_flat_workgroup_size: 256
    .name:           _ZN7rocprim17ROCPRIM_400000_NS6detail31init_lookback_scan_state_kernelINS1_19lookback_scan_stateIfLb1ELb1EEENS1_16block_id_wrapperIjLb1EEEEEvT_jT0_jPNS7_10value_typeE
    .private_segment_fixed_size: 0
    .sgpr_count:     14
    .sgpr_spill_count: 0
    .symbol:         _ZN7rocprim17ROCPRIM_400000_NS6detail31init_lookback_scan_state_kernelINS1_19lookback_scan_stateIfLb1ELb1EEENS1_16block_id_wrapperIjLb1EEEEEvT_jT0_jPNS7_10value_typeE.kd
    .uniform_work_group_size: 1
    .uses_dynamic_stack: false
    .vgpr_count:     7
    .vgpr_spill_count: 0
    .wavefront_size: 32
    .workgroup_processor_mode: 1
  - .args:
      - .offset:         0
        .size:           96
        .value_kind:     by_value
    .group_segment_fixed_size: 0
    .kernarg_segment_align: 8
    .kernarg_segment_size: 96
    .language:       OpenCL C
    .language_version:
      - 2
      - 0
    .max_flat_workgroup_size: 256
    .name:           _ZN7rocprim17ROCPRIM_400000_NS6detail17trampoline_kernelINS0_14default_configENS1_20scan_config_selectorIfEEZZNS1_9scan_implILNS1_25lookback_scan_determinismE0ELb0ELb0ES3_PKfPffZZZN2at6native31launch_logcumsumexp_cuda_kernelERKNSB_10TensorBaseESF_lENKUlvE_clEvENKUlvE0_clEvEUlffE_fEEDaPvRmT3_T4_T5_mT6_P12ihipStream_tbENKUlT_T0_E_clISt17integral_constantIbLb1EESW_EEDaSR_SS_EUlSR_E_NS1_11comp_targetILNS1_3genE0ELNS1_11target_archE4294967295ELNS1_3gpuE0ELNS1_3repE0EEENS1_30default_config_static_selectorELNS0_4arch9wavefront6targetE0EEEvT1_
    .private_segment_fixed_size: 0
    .sgpr_count:     0
    .sgpr_spill_count: 0
    .symbol:         _ZN7rocprim17ROCPRIM_400000_NS6detail17trampoline_kernelINS0_14default_configENS1_20scan_config_selectorIfEEZZNS1_9scan_implILNS1_25lookback_scan_determinismE0ELb0ELb0ES3_PKfPffZZZN2at6native31launch_logcumsumexp_cuda_kernelERKNSB_10TensorBaseESF_lENKUlvE_clEvENKUlvE0_clEvEUlffE_fEEDaPvRmT3_T4_T5_mT6_P12ihipStream_tbENKUlT_T0_E_clISt17integral_constantIbLb1EESW_EEDaSR_SS_EUlSR_E_NS1_11comp_targetILNS1_3genE0ELNS1_11target_archE4294967295ELNS1_3gpuE0ELNS1_3repE0EEENS1_30default_config_static_selectorELNS0_4arch9wavefront6targetE0EEEvT1_.kd
    .uniform_work_group_size: 1
    .uses_dynamic_stack: false
    .vgpr_count:     0
    .vgpr_spill_count: 0
    .wavefront_size: 32
    .workgroup_processor_mode: 1
  - .args:
      - .offset:         0
        .size:           96
        .value_kind:     by_value
    .group_segment_fixed_size: 0
    .kernarg_segment_align: 8
    .kernarg_segment_size: 96
    .language:       OpenCL C
    .language_version:
      - 2
      - 0
    .max_flat_workgroup_size: 256
    .name:           _ZN7rocprim17ROCPRIM_400000_NS6detail17trampoline_kernelINS0_14default_configENS1_20scan_config_selectorIfEEZZNS1_9scan_implILNS1_25lookback_scan_determinismE0ELb0ELb0ES3_PKfPffZZZN2at6native31launch_logcumsumexp_cuda_kernelERKNSB_10TensorBaseESF_lENKUlvE_clEvENKUlvE0_clEvEUlffE_fEEDaPvRmT3_T4_T5_mT6_P12ihipStream_tbENKUlT_T0_E_clISt17integral_constantIbLb1EESW_EEDaSR_SS_EUlSR_E_NS1_11comp_targetILNS1_3genE5ELNS1_11target_archE942ELNS1_3gpuE9ELNS1_3repE0EEENS1_30default_config_static_selectorELNS0_4arch9wavefront6targetE0EEEvT1_
    .private_segment_fixed_size: 0
    .sgpr_count:     0
    .sgpr_spill_count: 0
    .symbol:         _ZN7rocprim17ROCPRIM_400000_NS6detail17trampoline_kernelINS0_14default_configENS1_20scan_config_selectorIfEEZZNS1_9scan_implILNS1_25lookback_scan_determinismE0ELb0ELb0ES3_PKfPffZZZN2at6native31launch_logcumsumexp_cuda_kernelERKNSB_10TensorBaseESF_lENKUlvE_clEvENKUlvE0_clEvEUlffE_fEEDaPvRmT3_T4_T5_mT6_P12ihipStream_tbENKUlT_T0_E_clISt17integral_constantIbLb1EESW_EEDaSR_SS_EUlSR_E_NS1_11comp_targetILNS1_3genE5ELNS1_11target_archE942ELNS1_3gpuE9ELNS1_3repE0EEENS1_30default_config_static_selectorELNS0_4arch9wavefront6targetE0EEEvT1_.kd
    .uniform_work_group_size: 1
    .uses_dynamic_stack: false
    .vgpr_count:     0
    .vgpr_spill_count: 0
    .wavefront_size: 32
    .workgroup_processor_mode: 1
  - .args:
      - .offset:         0
        .size:           96
        .value_kind:     by_value
    .group_segment_fixed_size: 0
    .kernarg_segment_align: 8
    .kernarg_segment_size: 96
    .language:       OpenCL C
    .language_version:
      - 2
      - 0
    .max_flat_workgroup_size: 128
    .name:           _ZN7rocprim17ROCPRIM_400000_NS6detail17trampoline_kernelINS0_14default_configENS1_20scan_config_selectorIfEEZZNS1_9scan_implILNS1_25lookback_scan_determinismE0ELb0ELb0ES3_PKfPffZZZN2at6native31launch_logcumsumexp_cuda_kernelERKNSB_10TensorBaseESF_lENKUlvE_clEvENKUlvE0_clEvEUlffE_fEEDaPvRmT3_T4_T5_mT6_P12ihipStream_tbENKUlT_T0_E_clISt17integral_constantIbLb1EESW_EEDaSR_SS_EUlSR_E_NS1_11comp_targetILNS1_3genE4ELNS1_11target_archE910ELNS1_3gpuE8ELNS1_3repE0EEENS1_30default_config_static_selectorELNS0_4arch9wavefront6targetE0EEEvT1_
    .private_segment_fixed_size: 0
    .sgpr_count:     0
    .sgpr_spill_count: 0
    .symbol:         _ZN7rocprim17ROCPRIM_400000_NS6detail17trampoline_kernelINS0_14default_configENS1_20scan_config_selectorIfEEZZNS1_9scan_implILNS1_25lookback_scan_determinismE0ELb0ELb0ES3_PKfPffZZZN2at6native31launch_logcumsumexp_cuda_kernelERKNSB_10TensorBaseESF_lENKUlvE_clEvENKUlvE0_clEvEUlffE_fEEDaPvRmT3_T4_T5_mT6_P12ihipStream_tbENKUlT_T0_E_clISt17integral_constantIbLb1EESW_EEDaSR_SS_EUlSR_E_NS1_11comp_targetILNS1_3genE4ELNS1_11target_archE910ELNS1_3gpuE8ELNS1_3repE0EEENS1_30default_config_static_selectorELNS0_4arch9wavefront6targetE0EEEvT1_.kd
    .uniform_work_group_size: 1
    .uses_dynamic_stack: false
    .vgpr_count:     0
    .vgpr_spill_count: 0
    .wavefront_size: 32
    .workgroup_processor_mode: 1
  - .args:
      - .offset:         0
        .size:           96
        .value_kind:     by_value
    .group_segment_fixed_size: 0
    .kernarg_segment_align: 8
    .kernarg_segment_size: 96
    .language:       OpenCL C
    .language_version:
      - 2
      - 0
    .max_flat_workgroup_size: 256
    .name:           _ZN7rocprim17ROCPRIM_400000_NS6detail17trampoline_kernelINS0_14default_configENS1_20scan_config_selectorIfEEZZNS1_9scan_implILNS1_25lookback_scan_determinismE0ELb0ELb0ES3_PKfPffZZZN2at6native31launch_logcumsumexp_cuda_kernelERKNSB_10TensorBaseESF_lENKUlvE_clEvENKUlvE0_clEvEUlffE_fEEDaPvRmT3_T4_T5_mT6_P12ihipStream_tbENKUlT_T0_E_clISt17integral_constantIbLb1EESW_EEDaSR_SS_EUlSR_E_NS1_11comp_targetILNS1_3genE3ELNS1_11target_archE908ELNS1_3gpuE7ELNS1_3repE0EEENS1_30default_config_static_selectorELNS0_4arch9wavefront6targetE0EEEvT1_
    .private_segment_fixed_size: 0
    .sgpr_count:     0
    .sgpr_spill_count: 0
    .symbol:         _ZN7rocprim17ROCPRIM_400000_NS6detail17trampoline_kernelINS0_14default_configENS1_20scan_config_selectorIfEEZZNS1_9scan_implILNS1_25lookback_scan_determinismE0ELb0ELb0ES3_PKfPffZZZN2at6native31launch_logcumsumexp_cuda_kernelERKNSB_10TensorBaseESF_lENKUlvE_clEvENKUlvE0_clEvEUlffE_fEEDaPvRmT3_T4_T5_mT6_P12ihipStream_tbENKUlT_T0_E_clISt17integral_constantIbLb1EESW_EEDaSR_SS_EUlSR_E_NS1_11comp_targetILNS1_3genE3ELNS1_11target_archE908ELNS1_3gpuE7ELNS1_3repE0EEENS1_30default_config_static_selectorELNS0_4arch9wavefront6targetE0EEEvT1_.kd
    .uniform_work_group_size: 1
    .uses_dynamic_stack: false
    .vgpr_count:     0
    .vgpr_spill_count: 0
    .wavefront_size: 32
    .workgroup_processor_mode: 1
  - .args:
      - .offset:         0
        .size:           96
        .value_kind:     by_value
    .group_segment_fixed_size: 0
    .kernarg_segment_align: 8
    .kernarg_segment_size: 96
    .language:       OpenCL C
    .language_version:
      - 2
      - 0
    .max_flat_workgroup_size: 256
    .name:           _ZN7rocprim17ROCPRIM_400000_NS6detail17trampoline_kernelINS0_14default_configENS1_20scan_config_selectorIfEEZZNS1_9scan_implILNS1_25lookback_scan_determinismE0ELb0ELb0ES3_PKfPffZZZN2at6native31launch_logcumsumexp_cuda_kernelERKNSB_10TensorBaseESF_lENKUlvE_clEvENKUlvE0_clEvEUlffE_fEEDaPvRmT3_T4_T5_mT6_P12ihipStream_tbENKUlT_T0_E_clISt17integral_constantIbLb1EESW_EEDaSR_SS_EUlSR_E_NS1_11comp_targetILNS1_3genE2ELNS1_11target_archE906ELNS1_3gpuE6ELNS1_3repE0EEENS1_30default_config_static_selectorELNS0_4arch9wavefront6targetE0EEEvT1_
    .private_segment_fixed_size: 0
    .sgpr_count:     0
    .sgpr_spill_count: 0
    .symbol:         _ZN7rocprim17ROCPRIM_400000_NS6detail17trampoline_kernelINS0_14default_configENS1_20scan_config_selectorIfEEZZNS1_9scan_implILNS1_25lookback_scan_determinismE0ELb0ELb0ES3_PKfPffZZZN2at6native31launch_logcumsumexp_cuda_kernelERKNSB_10TensorBaseESF_lENKUlvE_clEvENKUlvE0_clEvEUlffE_fEEDaPvRmT3_T4_T5_mT6_P12ihipStream_tbENKUlT_T0_E_clISt17integral_constantIbLb1EESW_EEDaSR_SS_EUlSR_E_NS1_11comp_targetILNS1_3genE2ELNS1_11target_archE906ELNS1_3gpuE6ELNS1_3repE0EEENS1_30default_config_static_selectorELNS0_4arch9wavefront6targetE0EEEvT1_.kd
    .uniform_work_group_size: 1
    .uses_dynamic_stack: false
    .vgpr_count:     0
    .vgpr_spill_count: 0
    .wavefront_size: 32
    .workgroup_processor_mode: 1
  - .args:
      - .offset:         0
        .size:           96
        .value_kind:     by_value
    .group_segment_fixed_size: 0
    .kernarg_segment_align: 8
    .kernarg_segment_size: 96
    .language:       OpenCL C
    .language_version:
      - 2
      - 0
    .max_flat_workgroup_size: 256
    .name:           _ZN7rocprim17ROCPRIM_400000_NS6detail17trampoline_kernelINS0_14default_configENS1_20scan_config_selectorIfEEZZNS1_9scan_implILNS1_25lookback_scan_determinismE0ELb0ELb0ES3_PKfPffZZZN2at6native31launch_logcumsumexp_cuda_kernelERKNSB_10TensorBaseESF_lENKUlvE_clEvENKUlvE0_clEvEUlffE_fEEDaPvRmT3_T4_T5_mT6_P12ihipStream_tbENKUlT_T0_E_clISt17integral_constantIbLb1EESW_EEDaSR_SS_EUlSR_E_NS1_11comp_targetILNS1_3genE10ELNS1_11target_archE1201ELNS1_3gpuE5ELNS1_3repE0EEENS1_30default_config_static_selectorELNS0_4arch9wavefront6targetE0EEEvT1_
    .private_segment_fixed_size: 0
    .sgpr_count:     0
    .sgpr_spill_count: 0
    .symbol:         _ZN7rocprim17ROCPRIM_400000_NS6detail17trampoline_kernelINS0_14default_configENS1_20scan_config_selectorIfEEZZNS1_9scan_implILNS1_25lookback_scan_determinismE0ELb0ELb0ES3_PKfPffZZZN2at6native31launch_logcumsumexp_cuda_kernelERKNSB_10TensorBaseESF_lENKUlvE_clEvENKUlvE0_clEvEUlffE_fEEDaPvRmT3_T4_T5_mT6_P12ihipStream_tbENKUlT_T0_E_clISt17integral_constantIbLb1EESW_EEDaSR_SS_EUlSR_E_NS1_11comp_targetILNS1_3genE10ELNS1_11target_archE1201ELNS1_3gpuE5ELNS1_3repE0EEENS1_30default_config_static_selectorELNS0_4arch9wavefront6targetE0EEEvT1_.kd
    .uniform_work_group_size: 1
    .uses_dynamic_stack: false
    .vgpr_count:     0
    .vgpr_spill_count: 0
    .wavefront_size: 32
    .workgroup_processor_mode: 1
  - .args:
      - .offset:         0
        .size:           96
        .value_kind:     by_value
    .group_segment_fixed_size: 0
    .kernarg_segment_align: 8
    .kernarg_segment_size: 96
    .language:       OpenCL C
    .language_version:
      - 2
      - 0
    .max_flat_workgroup_size: 256
    .name:           _ZN7rocprim17ROCPRIM_400000_NS6detail17trampoline_kernelINS0_14default_configENS1_20scan_config_selectorIfEEZZNS1_9scan_implILNS1_25lookback_scan_determinismE0ELb0ELb0ES3_PKfPffZZZN2at6native31launch_logcumsumexp_cuda_kernelERKNSB_10TensorBaseESF_lENKUlvE_clEvENKUlvE0_clEvEUlffE_fEEDaPvRmT3_T4_T5_mT6_P12ihipStream_tbENKUlT_T0_E_clISt17integral_constantIbLb1EESW_EEDaSR_SS_EUlSR_E_NS1_11comp_targetILNS1_3genE10ELNS1_11target_archE1200ELNS1_3gpuE4ELNS1_3repE0EEENS1_30default_config_static_selectorELNS0_4arch9wavefront6targetE0EEEvT1_
    .private_segment_fixed_size: 0
    .sgpr_count:     0
    .sgpr_spill_count: 0
    .symbol:         _ZN7rocprim17ROCPRIM_400000_NS6detail17trampoline_kernelINS0_14default_configENS1_20scan_config_selectorIfEEZZNS1_9scan_implILNS1_25lookback_scan_determinismE0ELb0ELb0ES3_PKfPffZZZN2at6native31launch_logcumsumexp_cuda_kernelERKNSB_10TensorBaseESF_lENKUlvE_clEvENKUlvE0_clEvEUlffE_fEEDaPvRmT3_T4_T5_mT6_P12ihipStream_tbENKUlT_T0_E_clISt17integral_constantIbLb1EESW_EEDaSR_SS_EUlSR_E_NS1_11comp_targetILNS1_3genE10ELNS1_11target_archE1200ELNS1_3gpuE4ELNS1_3repE0EEENS1_30default_config_static_selectorELNS0_4arch9wavefront6targetE0EEEvT1_.kd
    .uniform_work_group_size: 1
    .uses_dynamic_stack: false
    .vgpr_count:     0
    .vgpr_spill_count: 0
    .wavefront_size: 32
    .workgroup_processor_mode: 1
  - .args:
      - .offset:         0
        .size:           96
        .value_kind:     by_value
    .group_segment_fixed_size: 0
    .kernarg_segment_align: 8
    .kernarg_segment_size: 96
    .language:       OpenCL C
    .language_version:
      - 2
      - 0
    .max_flat_workgroup_size: 256
    .name:           _ZN7rocprim17ROCPRIM_400000_NS6detail17trampoline_kernelINS0_14default_configENS1_20scan_config_selectorIfEEZZNS1_9scan_implILNS1_25lookback_scan_determinismE0ELb0ELb0ES3_PKfPffZZZN2at6native31launch_logcumsumexp_cuda_kernelERKNSB_10TensorBaseESF_lENKUlvE_clEvENKUlvE0_clEvEUlffE_fEEDaPvRmT3_T4_T5_mT6_P12ihipStream_tbENKUlT_T0_E_clISt17integral_constantIbLb1EESW_EEDaSR_SS_EUlSR_E_NS1_11comp_targetILNS1_3genE9ELNS1_11target_archE1100ELNS1_3gpuE3ELNS1_3repE0EEENS1_30default_config_static_selectorELNS0_4arch9wavefront6targetE0EEEvT1_
    .private_segment_fixed_size: 0
    .sgpr_count:     0
    .sgpr_spill_count: 0
    .symbol:         _ZN7rocprim17ROCPRIM_400000_NS6detail17trampoline_kernelINS0_14default_configENS1_20scan_config_selectorIfEEZZNS1_9scan_implILNS1_25lookback_scan_determinismE0ELb0ELb0ES3_PKfPffZZZN2at6native31launch_logcumsumexp_cuda_kernelERKNSB_10TensorBaseESF_lENKUlvE_clEvENKUlvE0_clEvEUlffE_fEEDaPvRmT3_T4_T5_mT6_P12ihipStream_tbENKUlT_T0_E_clISt17integral_constantIbLb1EESW_EEDaSR_SS_EUlSR_E_NS1_11comp_targetILNS1_3genE9ELNS1_11target_archE1100ELNS1_3gpuE3ELNS1_3repE0EEENS1_30default_config_static_selectorELNS0_4arch9wavefront6targetE0EEEvT1_.kd
    .uniform_work_group_size: 1
    .uses_dynamic_stack: false
    .vgpr_count:     0
    .vgpr_spill_count: 0
    .wavefront_size: 32
    .workgroup_processor_mode: 1
  - .args:
      - .offset:         0
        .size:           96
        .value_kind:     by_value
    .group_segment_fixed_size: 0
    .kernarg_segment_align: 8
    .kernarg_segment_size: 96
    .language:       OpenCL C
    .language_version:
      - 2
      - 0
    .max_flat_workgroup_size: 64
    .name:           _ZN7rocprim17ROCPRIM_400000_NS6detail17trampoline_kernelINS0_14default_configENS1_20scan_config_selectorIfEEZZNS1_9scan_implILNS1_25lookback_scan_determinismE0ELb0ELb0ES3_PKfPffZZZN2at6native31launch_logcumsumexp_cuda_kernelERKNSB_10TensorBaseESF_lENKUlvE_clEvENKUlvE0_clEvEUlffE_fEEDaPvRmT3_T4_T5_mT6_P12ihipStream_tbENKUlT_T0_E_clISt17integral_constantIbLb1EESW_EEDaSR_SS_EUlSR_E_NS1_11comp_targetILNS1_3genE8ELNS1_11target_archE1030ELNS1_3gpuE2ELNS1_3repE0EEENS1_30default_config_static_selectorELNS0_4arch9wavefront6targetE0EEEvT1_
    .private_segment_fixed_size: 0
    .sgpr_count:     0
    .sgpr_spill_count: 0
    .symbol:         _ZN7rocprim17ROCPRIM_400000_NS6detail17trampoline_kernelINS0_14default_configENS1_20scan_config_selectorIfEEZZNS1_9scan_implILNS1_25lookback_scan_determinismE0ELb0ELb0ES3_PKfPffZZZN2at6native31launch_logcumsumexp_cuda_kernelERKNSB_10TensorBaseESF_lENKUlvE_clEvENKUlvE0_clEvEUlffE_fEEDaPvRmT3_T4_T5_mT6_P12ihipStream_tbENKUlT_T0_E_clISt17integral_constantIbLb1EESW_EEDaSR_SS_EUlSR_E_NS1_11comp_targetILNS1_3genE8ELNS1_11target_archE1030ELNS1_3gpuE2ELNS1_3repE0EEENS1_30default_config_static_selectorELNS0_4arch9wavefront6targetE0EEEvT1_.kd
    .uniform_work_group_size: 1
    .uses_dynamic_stack: false
    .vgpr_count:     0
    .vgpr_spill_count: 0
    .wavefront_size: 32
    .workgroup_processor_mode: 1
  - .args:
      - .offset:         0
        .size:           32
        .value_kind:     by_value
    .group_segment_fixed_size: 0
    .kernarg_segment_align: 8
    .kernarg_segment_size: 32
    .language:       OpenCL C
    .language_version:
      - 2
      - 0
    .max_flat_workgroup_size: 256
    .name:           _ZN7rocprim17ROCPRIM_400000_NS6detail17trampoline_kernelINS0_14default_configENS1_20scan_config_selectorIfEEZZNS1_9scan_implILNS1_25lookback_scan_determinismE0ELb0ELb0ES3_PKfPffZZZN2at6native31launch_logcumsumexp_cuda_kernelERKNSB_10TensorBaseESF_lENKUlvE_clEvENKUlvE0_clEvEUlffE_fEEDaPvRmT3_T4_T5_mT6_P12ihipStream_tbENKUlT_T0_E_clISt17integral_constantIbLb1EESW_EEDaSR_SS_EUlSR_E0_NS1_11comp_targetILNS1_3genE0ELNS1_11target_archE4294967295ELNS1_3gpuE0ELNS1_3repE0EEENS1_30default_config_static_selectorELNS0_4arch9wavefront6targetE0EEEvT1_
    .private_segment_fixed_size: 0
    .sgpr_count:     0
    .sgpr_spill_count: 0
    .symbol:         _ZN7rocprim17ROCPRIM_400000_NS6detail17trampoline_kernelINS0_14default_configENS1_20scan_config_selectorIfEEZZNS1_9scan_implILNS1_25lookback_scan_determinismE0ELb0ELb0ES3_PKfPffZZZN2at6native31launch_logcumsumexp_cuda_kernelERKNSB_10TensorBaseESF_lENKUlvE_clEvENKUlvE0_clEvEUlffE_fEEDaPvRmT3_T4_T5_mT6_P12ihipStream_tbENKUlT_T0_E_clISt17integral_constantIbLb1EESW_EEDaSR_SS_EUlSR_E0_NS1_11comp_targetILNS1_3genE0ELNS1_11target_archE4294967295ELNS1_3gpuE0ELNS1_3repE0EEENS1_30default_config_static_selectorELNS0_4arch9wavefront6targetE0EEEvT1_.kd
    .uniform_work_group_size: 1
    .uses_dynamic_stack: false
    .vgpr_count:     0
    .vgpr_spill_count: 0
    .wavefront_size: 32
    .workgroup_processor_mode: 1
  - .args:
      - .offset:         0
        .size:           32
        .value_kind:     by_value
    .group_segment_fixed_size: 0
    .kernarg_segment_align: 8
    .kernarg_segment_size: 32
    .language:       OpenCL C
    .language_version:
      - 2
      - 0
    .max_flat_workgroup_size: 256
    .name:           _ZN7rocprim17ROCPRIM_400000_NS6detail17trampoline_kernelINS0_14default_configENS1_20scan_config_selectorIfEEZZNS1_9scan_implILNS1_25lookback_scan_determinismE0ELb0ELb0ES3_PKfPffZZZN2at6native31launch_logcumsumexp_cuda_kernelERKNSB_10TensorBaseESF_lENKUlvE_clEvENKUlvE0_clEvEUlffE_fEEDaPvRmT3_T4_T5_mT6_P12ihipStream_tbENKUlT_T0_E_clISt17integral_constantIbLb1EESW_EEDaSR_SS_EUlSR_E0_NS1_11comp_targetILNS1_3genE5ELNS1_11target_archE942ELNS1_3gpuE9ELNS1_3repE0EEENS1_30default_config_static_selectorELNS0_4arch9wavefront6targetE0EEEvT1_
    .private_segment_fixed_size: 0
    .sgpr_count:     0
    .sgpr_spill_count: 0
    .symbol:         _ZN7rocprim17ROCPRIM_400000_NS6detail17trampoline_kernelINS0_14default_configENS1_20scan_config_selectorIfEEZZNS1_9scan_implILNS1_25lookback_scan_determinismE0ELb0ELb0ES3_PKfPffZZZN2at6native31launch_logcumsumexp_cuda_kernelERKNSB_10TensorBaseESF_lENKUlvE_clEvENKUlvE0_clEvEUlffE_fEEDaPvRmT3_T4_T5_mT6_P12ihipStream_tbENKUlT_T0_E_clISt17integral_constantIbLb1EESW_EEDaSR_SS_EUlSR_E0_NS1_11comp_targetILNS1_3genE5ELNS1_11target_archE942ELNS1_3gpuE9ELNS1_3repE0EEENS1_30default_config_static_selectorELNS0_4arch9wavefront6targetE0EEEvT1_.kd
    .uniform_work_group_size: 1
    .uses_dynamic_stack: false
    .vgpr_count:     0
    .vgpr_spill_count: 0
    .wavefront_size: 32
    .workgroup_processor_mode: 1
  - .args:
      - .offset:         0
        .size:           32
        .value_kind:     by_value
    .group_segment_fixed_size: 0
    .kernarg_segment_align: 8
    .kernarg_segment_size: 32
    .language:       OpenCL C
    .language_version:
      - 2
      - 0
    .max_flat_workgroup_size: 128
    .name:           _ZN7rocprim17ROCPRIM_400000_NS6detail17trampoline_kernelINS0_14default_configENS1_20scan_config_selectorIfEEZZNS1_9scan_implILNS1_25lookback_scan_determinismE0ELb0ELb0ES3_PKfPffZZZN2at6native31launch_logcumsumexp_cuda_kernelERKNSB_10TensorBaseESF_lENKUlvE_clEvENKUlvE0_clEvEUlffE_fEEDaPvRmT3_T4_T5_mT6_P12ihipStream_tbENKUlT_T0_E_clISt17integral_constantIbLb1EESW_EEDaSR_SS_EUlSR_E0_NS1_11comp_targetILNS1_3genE4ELNS1_11target_archE910ELNS1_3gpuE8ELNS1_3repE0EEENS1_30default_config_static_selectorELNS0_4arch9wavefront6targetE0EEEvT1_
    .private_segment_fixed_size: 0
    .sgpr_count:     0
    .sgpr_spill_count: 0
    .symbol:         _ZN7rocprim17ROCPRIM_400000_NS6detail17trampoline_kernelINS0_14default_configENS1_20scan_config_selectorIfEEZZNS1_9scan_implILNS1_25lookback_scan_determinismE0ELb0ELb0ES3_PKfPffZZZN2at6native31launch_logcumsumexp_cuda_kernelERKNSB_10TensorBaseESF_lENKUlvE_clEvENKUlvE0_clEvEUlffE_fEEDaPvRmT3_T4_T5_mT6_P12ihipStream_tbENKUlT_T0_E_clISt17integral_constantIbLb1EESW_EEDaSR_SS_EUlSR_E0_NS1_11comp_targetILNS1_3genE4ELNS1_11target_archE910ELNS1_3gpuE8ELNS1_3repE0EEENS1_30default_config_static_selectorELNS0_4arch9wavefront6targetE0EEEvT1_.kd
    .uniform_work_group_size: 1
    .uses_dynamic_stack: false
    .vgpr_count:     0
    .vgpr_spill_count: 0
    .wavefront_size: 32
    .workgroup_processor_mode: 1
  - .args:
      - .offset:         0
        .size:           32
        .value_kind:     by_value
    .group_segment_fixed_size: 0
    .kernarg_segment_align: 8
    .kernarg_segment_size: 32
    .language:       OpenCL C
    .language_version:
      - 2
      - 0
    .max_flat_workgroup_size: 256
    .name:           _ZN7rocprim17ROCPRIM_400000_NS6detail17trampoline_kernelINS0_14default_configENS1_20scan_config_selectorIfEEZZNS1_9scan_implILNS1_25lookback_scan_determinismE0ELb0ELb0ES3_PKfPffZZZN2at6native31launch_logcumsumexp_cuda_kernelERKNSB_10TensorBaseESF_lENKUlvE_clEvENKUlvE0_clEvEUlffE_fEEDaPvRmT3_T4_T5_mT6_P12ihipStream_tbENKUlT_T0_E_clISt17integral_constantIbLb1EESW_EEDaSR_SS_EUlSR_E0_NS1_11comp_targetILNS1_3genE3ELNS1_11target_archE908ELNS1_3gpuE7ELNS1_3repE0EEENS1_30default_config_static_selectorELNS0_4arch9wavefront6targetE0EEEvT1_
    .private_segment_fixed_size: 0
    .sgpr_count:     0
    .sgpr_spill_count: 0
    .symbol:         _ZN7rocprim17ROCPRIM_400000_NS6detail17trampoline_kernelINS0_14default_configENS1_20scan_config_selectorIfEEZZNS1_9scan_implILNS1_25lookback_scan_determinismE0ELb0ELb0ES3_PKfPffZZZN2at6native31launch_logcumsumexp_cuda_kernelERKNSB_10TensorBaseESF_lENKUlvE_clEvENKUlvE0_clEvEUlffE_fEEDaPvRmT3_T4_T5_mT6_P12ihipStream_tbENKUlT_T0_E_clISt17integral_constantIbLb1EESW_EEDaSR_SS_EUlSR_E0_NS1_11comp_targetILNS1_3genE3ELNS1_11target_archE908ELNS1_3gpuE7ELNS1_3repE0EEENS1_30default_config_static_selectorELNS0_4arch9wavefront6targetE0EEEvT1_.kd
    .uniform_work_group_size: 1
    .uses_dynamic_stack: false
    .vgpr_count:     0
    .vgpr_spill_count: 0
    .wavefront_size: 32
    .workgroup_processor_mode: 1
  - .args:
      - .offset:         0
        .size:           32
        .value_kind:     by_value
    .group_segment_fixed_size: 0
    .kernarg_segment_align: 8
    .kernarg_segment_size: 32
    .language:       OpenCL C
    .language_version:
      - 2
      - 0
    .max_flat_workgroup_size: 256
    .name:           _ZN7rocprim17ROCPRIM_400000_NS6detail17trampoline_kernelINS0_14default_configENS1_20scan_config_selectorIfEEZZNS1_9scan_implILNS1_25lookback_scan_determinismE0ELb0ELb0ES3_PKfPffZZZN2at6native31launch_logcumsumexp_cuda_kernelERKNSB_10TensorBaseESF_lENKUlvE_clEvENKUlvE0_clEvEUlffE_fEEDaPvRmT3_T4_T5_mT6_P12ihipStream_tbENKUlT_T0_E_clISt17integral_constantIbLb1EESW_EEDaSR_SS_EUlSR_E0_NS1_11comp_targetILNS1_3genE2ELNS1_11target_archE906ELNS1_3gpuE6ELNS1_3repE0EEENS1_30default_config_static_selectorELNS0_4arch9wavefront6targetE0EEEvT1_
    .private_segment_fixed_size: 0
    .sgpr_count:     0
    .sgpr_spill_count: 0
    .symbol:         _ZN7rocprim17ROCPRIM_400000_NS6detail17trampoline_kernelINS0_14default_configENS1_20scan_config_selectorIfEEZZNS1_9scan_implILNS1_25lookback_scan_determinismE0ELb0ELb0ES3_PKfPffZZZN2at6native31launch_logcumsumexp_cuda_kernelERKNSB_10TensorBaseESF_lENKUlvE_clEvENKUlvE0_clEvEUlffE_fEEDaPvRmT3_T4_T5_mT6_P12ihipStream_tbENKUlT_T0_E_clISt17integral_constantIbLb1EESW_EEDaSR_SS_EUlSR_E0_NS1_11comp_targetILNS1_3genE2ELNS1_11target_archE906ELNS1_3gpuE6ELNS1_3repE0EEENS1_30default_config_static_selectorELNS0_4arch9wavefront6targetE0EEEvT1_.kd
    .uniform_work_group_size: 1
    .uses_dynamic_stack: false
    .vgpr_count:     0
    .vgpr_spill_count: 0
    .wavefront_size: 32
    .workgroup_processor_mode: 1
  - .args:
      - .offset:         0
        .size:           32
        .value_kind:     by_value
    .group_segment_fixed_size: 0
    .kernarg_segment_align: 8
    .kernarg_segment_size: 32
    .language:       OpenCL C
    .language_version:
      - 2
      - 0
    .max_flat_workgroup_size: 256
    .name:           _ZN7rocprim17ROCPRIM_400000_NS6detail17trampoline_kernelINS0_14default_configENS1_20scan_config_selectorIfEEZZNS1_9scan_implILNS1_25lookback_scan_determinismE0ELb0ELb0ES3_PKfPffZZZN2at6native31launch_logcumsumexp_cuda_kernelERKNSB_10TensorBaseESF_lENKUlvE_clEvENKUlvE0_clEvEUlffE_fEEDaPvRmT3_T4_T5_mT6_P12ihipStream_tbENKUlT_T0_E_clISt17integral_constantIbLb1EESW_EEDaSR_SS_EUlSR_E0_NS1_11comp_targetILNS1_3genE10ELNS1_11target_archE1201ELNS1_3gpuE5ELNS1_3repE0EEENS1_30default_config_static_selectorELNS0_4arch9wavefront6targetE0EEEvT1_
    .private_segment_fixed_size: 0
    .sgpr_count:     0
    .sgpr_spill_count: 0
    .symbol:         _ZN7rocprim17ROCPRIM_400000_NS6detail17trampoline_kernelINS0_14default_configENS1_20scan_config_selectorIfEEZZNS1_9scan_implILNS1_25lookback_scan_determinismE0ELb0ELb0ES3_PKfPffZZZN2at6native31launch_logcumsumexp_cuda_kernelERKNSB_10TensorBaseESF_lENKUlvE_clEvENKUlvE0_clEvEUlffE_fEEDaPvRmT3_T4_T5_mT6_P12ihipStream_tbENKUlT_T0_E_clISt17integral_constantIbLb1EESW_EEDaSR_SS_EUlSR_E0_NS1_11comp_targetILNS1_3genE10ELNS1_11target_archE1201ELNS1_3gpuE5ELNS1_3repE0EEENS1_30default_config_static_selectorELNS0_4arch9wavefront6targetE0EEEvT1_.kd
    .uniform_work_group_size: 1
    .uses_dynamic_stack: false
    .vgpr_count:     0
    .vgpr_spill_count: 0
    .wavefront_size: 32
    .workgroup_processor_mode: 1
  - .args:
      - .offset:         0
        .size:           32
        .value_kind:     by_value
    .group_segment_fixed_size: 0
    .kernarg_segment_align: 8
    .kernarg_segment_size: 32
    .language:       OpenCL C
    .language_version:
      - 2
      - 0
    .max_flat_workgroup_size: 256
    .name:           _ZN7rocprim17ROCPRIM_400000_NS6detail17trampoline_kernelINS0_14default_configENS1_20scan_config_selectorIfEEZZNS1_9scan_implILNS1_25lookback_scan_determinismE0ELb0ELb0ES3_PKfPffZZZN2at6native31launch_logcumsumexp_cuda_kernelERKNSB_10TensorBaseESF_lENKUlvE_clEvENKUlvE0_clEvEUlffE_fEEDaPvRmT3_T4_T5_mT6_P12ihipStream_tbENKUlT_T0_E_clISt17integral_constantIbLb1EESW_EEDaSR_SS_EUlSR_E0_NS1_11comp_targetILNS1_3genE10ELNS1_11target_archE1200ELNS1_3gpuE4ELNS1_3repE0EEENS1_30default_config_static_selectorELNS0_4arch9wavefront6targetE0EEEvT1_
    .private_segment_fixed_size: 0
    .sgpr_count:     0
    .sgpr_spill_count: 0
    .symbol:         _ZN7rocprim17ROCPRIM_400000_NS6detail17trampoline_kernelINS0_14default_configENS1_20scan_config_selectorIfEEZZNS1_9scan_implILNS1_25lookback_scan_determinismE0ELb0ELb0ES3_PKfPffZZZN2at6native31launch_logcumsumexp_cuda_kernelERKNSB_10TensorBaseESF_lENKUlvE_clEvENKUlvE0_clEvEUlffE_fEEDaPvRmT3_T4_T5_mT6_P12ihipStream_tbENKUlT_T0_E_clISt17integral_constantIbLb1EESW_EEDaSR_SS_EUlSR_E0_NS1_11comp_targetILNS1_3genE10ELNS1_11target_archE1200ELNS1_3gpuE4ELNS1_3repE0EEENS1_30default_config_static_selectorELNS0_4arch9wavefront6targetE0EEEvT1_.kd
    .uniform_work_group_size: 1
    .uses_dynamic_stack: false
    .vgpr_count:     0
    .vgpr_spill_count: 0
    .wavefront_size: 32
    .workgroup_processor_mode: 1
  - .args:
      - .offset:         0
        .size:           32
        .value_kind:     by_value
    .group_segment_fixed_size: 0
    .kernarg_segment_align: 8
    .kernarg_segment_size: 32
    .language:       OpenCL C
    .language_version:
      - 2
      - 0
    .max_flat_workgroup_size: 256
    .name:           _ZN7rocprim17ROCPRIM_400000_NS6detail17trampoline_kernelINS0_14default_configENS1_20scan_config_selectorIfEEZZNS1_9scan_implILNS1_25lookback_scan_determinismE0ELb0ELb0ES3_PKfPffZZZN2at6native31launch_logcumsumexp_cuda_kernelERKNSB_10TensorBaseESF_lENKUlvE_clEvENKUlvE0_clEvEUlffE_fEEDaPvRmT3_T4_T5_mT6_P12ihipStream_tbENKUlT_T0_E_clISt17integral_constantIbLb1EESW_EEDaSR_SS_EUlSR_E0_NS1_11comp_targetILNS1_3genE9ELNS1_11target_archE1100ELNS1_3gpuE3ELNS1_3repE0EEENS1_30default_config_static_selectorELNS0_4arch9wavefront6targetE0EEEvT1_
    .private_segment_fixed_size: 0
    .sgpr_count:     0
    .sgpr_spill_count: 0
    .symbol:         _ZN7rocprim17ROCPRIM_400000_NS6detail17trampoline_kernelINS0_14default_configENS1_20scan_config_selectorIfEEZZNS1_9scan_implILNS1_25lookback_scan_determinismE0ELb0ELb0ES3_PKfPffZZZN2at6native31launch_logcumsumexp_cuda_kernelERKNSB_10TensorBaseESF_lENKUlvE_clEvENKUlvE0_clEvEUlffE_fEEDaPvRmT3_T4_T5_mT6_P12ihipStream_tbENKUlT_T0_E_clISt17integral_constantIbLb1EESW_EEDaSR_SS_EUlSR_E0_NS1_11comp_targetILNS1_3genE9ELNS1_11target_archE1100ELNS1_3gpuE3ELNS1_3repE0EEENS1_30default_config_static_selectorELNS0_4arch9wavefront6targetE0EEEvT1_.kd
    .uniform_work_group_size: 1
    .uses_dynamic_stack: false
    .vgpr_count:     0
    .vgpr_spill_count: 0
    .wavefront_size: 32
    .workgroup_processor_mode: 1
  - .args:
      - .offset:         0
        .size:           32
        .value_kind:     by_value
    .group_segment_fixed_size: 1280
    .kernarg_segment_align: 8
    .kernarg_segment_size: 32
    .language:       OpenCL C
    .language_version:
      - 2
      - 0
    .max_flat_workgroup_size: 64
    .name:           _ZN7rocprim17ROCPRIM_400000_NS6detail17trampoline_kernelINS0_14default_configENS1_20scan_config_selectorIfEEZZNS1_9scan_implILNS1_25lookback_scan_determinismE0ELb0ELb0ES3_PKfPffZZZN2at6native31launch_logcumsumexp_cuda_kernelERKNSB_10TensorBaseESF_lENKUlvE_clEvENKUlvE0_clEvEUlffE_fEEDaPvRmT3_T4_T5_mT6_P12ihipStream_tbENKUlT_T0_E_clISt17integral_constantIbLb1EESW_EEDaSR_SS_EUlSR_E0_NS1_11comp_targetILNS1_3genE8ELNS1_11target_archE1030ELNS1_3gpuE2ELNS1_3repE0EEENS1_30default_config_static_selectorELNS0_4arch9wavefront6targetE0EEEvT1_
    .private_segment_fixed_size: 0
    .sgpr_count:     22
    .sgpr_spill_count: 0
    .symbol:         _ZN7rocprim17ROCPRIM_400000_NS6detail17trampoline_kernelINS0_14default_configENS1_20scan_config_selectorIfEEZZNS1_9scan_implILNS1_25lookback_scan_determinismE0ELb0ELb0ES3_PKfPffZZZN2at6native31launch_logcumsumexp_cuda_kernelERKNSB_10TensorBaseESF_lENKUlvE_clEvENKUlvE0_clEvEUlffE_fEEDaPvRmT3_T4_T5_mT6_P12ihipStream_tbENKUlT_T0_E_clISt17integral_constantIbLb1EESW_EEDaSR_SS_EUlSR_E0_NS1_11comp_targetILNS1_3genE8ELNS1_11target_archE1030ELNS1_3gpuE2ELNS1_3repE0EEENS1_30default_config_static_selectorELNS0_4arch9wavefront6targetE0EEEvT1_.kd
    .uniform_work_group_size: 1
    .uses_dynamic_stack: false
    .vgpr_count:     35
    .vgpr_spill_count: 0
    .wavefront_size: 32
    .workgroup_processor_mode: 1
  - .args:
      - .address_space:  global
        .offset:         0
        .size:           8
        .value_kind:     global_buffer
      - .offset:         8
        .size:           4
        .value_kind:     by_value
      - .offset:         12
        .size:           1
        .value_kind:     by_value
      - .offset:         16
        .size:           4
        .value_kind:     by_value
      - .address_space:  global
        .offset:         24
        .size:           8
        .value_kind:     global_buffer
      - .offset:         32
        .size:           4
        .value_kind:     hidden_block_count_x
      - .offset:         36
        .size:           4
        .value_kind:     hidden_block_count_y
      - .offset:         40
        .size:           4
        .value_kind:     hidden_block_count_z
      - .offset:         44
        .size:           2
        .value_kind:     hidden_group_size_x
      - .offset:         46
        .size:           2
        .value_kind:     hidden_group_size_y
      - .offset:         48
        .size:           2
        .value_kind:     hidden_group_size_z
      - .offset:         50
        .size:           2
        .value_kind:     hidden_remainder_x
      - .offset:         52
        .size:           2
        .value_kind:     hidden_remainder_y
      - .offset:         54
        .size:           2
        .value_kind:     hidden_remainder_z
      - .offset:         72
        .size:           8
        .value_kind:     hidden_global_offset_x
      - .offset:         80
        .size:           8
        .value_kind:     hidden_global_offset_y
      - .offset:         88
        .size:           8
        .value_kind:     hidden_global_offset_z
      - .offset:         96
        .size:           2
        .value_kind:     hidden_grid_dims
    .group_segment_fixed_size: 0
    .kernarg_segment_align: 8
    .kernarg_segment_size: 288
    .language:       OpenCL C
    .language_version:
      - 2
      - 0
    .max_flat_workgroup_size: 256
    .name:           _ZN7rocprim17ROCPRIM_400000_NS6detail31init_lookback_scan_state_kernelINS1_19lookback_scan_stateIfLb1ELb1EEENS1_16block_id_wrapperIjLb0EEEEEvT_jT0_jPNS7_10value_typeE
    .private_segment_fixed_size: 0
    .sgpr_count:     12
    .sgpr_spill_count: 0
    .symbol:         _ZN7rocprim17ROCPRIM_400000_NS6detail31init_lookback_scan_state_kernelINS1_19lookback_scan_stateIfLb1ELb1EEENS1_16block_id_wrapperIjLb0EEEEEvT_jT0_jPNS7_10value_typeE.kd
    .uniform_work_group_size: 1
    .uses_dynamic_stack: false
    .vgpr_count:     7
    .vgpr_spill_count: 0
    .wavefront_size: 32
    .workgroup_processor_mode: 1
  - .args:
      - .offset:         0
        .size:           96
        .value_kind:     by_value
    .group_segment_fixed_size: 0
    .kernarg_segment_align: 8
    .kernarg_segment_size: 96
    .language:       OpenCL C
    .language_version:
      - 2
      - 0
    .max_flat_workgroup_size: 256
    .name:           _ZN7rocprim17ROCPRIM_400000_NS6detail17trampoline_kernelINS0_14default_configENS1_20scan_config_selectorIfEEZZNS1_9scan_implILNS1_25lookback_scan_determinismE0ELb0ELb0ES3_PKfPffZZZN2at6native31launch_logcumsumexp_cuda_kernelERKNSB_10TensorBaseESF_lENKUlvE_clEvENKUlvE0_clEvEUlffE_fEEDaPvRmT3_T4_T5_mT6_P12ihipStream_tbENKUlT_T0_E_clISt17integral_constantIbLb1EESV_IbLb0EEEEDaSR_SS_EUlSR_E_NS1_11comp_targetILNS1_3genE0ELNS1_11target_archE4294967295ELNS1_3gpuE0ELNS1_3repE0EEENS1_30default_config_static_selectorELNS0_4arch9wavefront6targetE0EEEvT1_
    .private_segment_fixed_size: 0
    .sgpr_count:     0
    .sgpr_spill_count: 0
    .symbol:         _ZN7rocprim17ROCPRIM_400000_NS6detail17trampoline_kernelINS0_14default_configENS1_20scan_config_selectorIfEEZZNS1_9scan_implILNS1_25lookback_scan_determinismE0ELb0ELb0ES3_PKfPffZZZN2at6native31launch_logcumsumexp_cuda_kernelERKNSB_10TensorBaseESF_lENKUlvE_clEvENKUlvE0_clEvEUlffE_fEEDaPvRmT3_T4_T5_mT6_P12ihipStream_tbENKUlT_T0_E_clISt17integral_constantIbLb1EESV_IbLb0EEEEDaSR_SS_EUlSR_E_NS1_11comp_targetILNS1_3genE0ELNS1_11target_archE4294967295ELNS1_3gpuE0ELNS1_3repE0EEENS1_30default_config_static_selectorELNS0_4arch9wavefront6targetE0EEEvT1_.kd
    .uniform_work_group_size: 1
    .uses_dynamic_stack: false
    .vgpr_count:     0
    .vgpr_spill_count: 0
    .wavefront_size: 32
    .workgroup_processor_mode: 1
  - .args:
      - .offset:         0
        .size:           96
        .value_kind:     by_value
    .group_segment_fixed_size: 0
    .kernarg_segment_align: 8
    .kernarg_segment_size: 96
    .language:       OpenCL C
    .language_version:
      - 2
      - 0
    .max_flat_workgroup_size: 256
    .name:           _ZN7rocprim17ROCPRIM_400000_NS6detail17trampoline_kernelINS0_14default_configENS1_20scan_config_selectorIfEEZZNS1_9scan_implILNS1_25lookback_scan_determinismE0ELb0ELb0ES3_PKfPffZZZN2at6native31launch_logcumsumexp_cuda_kernelERKNSB_10TensorBaseESF_lENKUlvE_clEvENKUlvE0_clEvEUlffE_fEEDaPvRmT3_T4_T5_mT6_P12ihipStream_tbENKUlT_T0_E_clISt17integral_constantIbLb1EESV_IbLb0EEEEDaSR_SS_EUlSR_E_NS1_11comp_targetILNS1_3genE5ELNS1_11target_archE942ELNS1_3gpuE9ELNS1_3repE0EEENS1_30default_config_static_selectorELNS0_4arch9wavefront6targetE0EEEvT1_
    .private_segment_fixed_size: 0
    .sgpr_count:     0
    .sgpr_spill_count: 0
    .symbol:         _ZN7rocprim17ROCPRIM_400000_NS6detail17trampoline_kernelINS0_14default_configENS1_20scan_config_selectorIfEEZZNS1_9scan_implILNS1_25lookback_scan_determinismE0ELb0ELb0ES3_PKfPffZZZN2at6native31launch_logcumsumexp_cuda_kernelERKNSB_10TensorBaseESF_lENKUlvE_clEvENKUlvE0_clEvEUlffE_fEEDaPvRmT3_T4_T5_mT6_P12ihipStream_tbENKUlT_T0_E_clISt17integral_constantIbLb1EESV_IbLb0EEEEDaSR_SS_EUlSR_E_NS1_11comp_targetILNS1_3genE5ELNS1_11target_archE942ELNS1_3gpuE9ELNS1_3repE0EEENS1_30default_config_static_selectorELNS0_4arch9wavefront6targetE0EEEvT1_.kd
    .uniform_work_group_size: 1
    .uses_dynamic_stack: false
    .vgpr_count:     0
    .vgpr_spill_count: 0
    .wavefront_size: 32
    .workgroup_processor_mode: 1
  - .args:
      - .offset:         0
        .size:           96
        .value_kind:     by_value
    .group_segment_fixed_size: 0
    .kernarg_segment_align: 8
    .kernarg_segment_size: 96
    .language:       OpenCL C
    .language_version:
      - 2
      - 0
    .max_flat_workgroup_size: 128
    .name:           _ZN7rocprim17ROCPRIM_400000_NS6detail17trampoline_kernelINS0_14default_configENS1_20scan_config_selectorIfEEZZNS1_9scan_implILNS1_25lookback_scan_determinismE0ELb0ELb0ES3_PKfPffZZZN2at6native31launch_logcumsumexp_cuda_kernelERKNSB_10TensorBaseESF_lENKUlvE_clEvENKUlvE0_clEvEUlffE_fEEDaPvRmT3_T4_T5_mT6_P12ihipStream_tbENKUlT_T0_E_clISt17integral_constantIbLb1EESV_IbLb0EEEEDaSR_SS_EUlSR_E_NS1_11comp_targetILNS1_3genE4ELNS1_11target_archE910ELNS1_3gpuE8ELNS1_3repE0EEENS1_30default_config_static_selectorELNS0_4arch9wavefront6targetE0EEEvT1_
    .private_segment_fixed_size: 0
    .sgpr_count:     0
    .sgpr_spill_count: 0
    .symbol:         _ZN7rocprim17ROCPRIM_400000_NS6detail17trampoline_kernelINS0_14default_configENS1_20scan_config_selectorIfEEZZNS1_9scan_implILNS1_25lookback_scan_determinismE0ELb0ELb0ES3_PKfPffZZZN2at6native31launch_logcumsumexp_cuda_kernelERKNSB_10TensorBaseESF_lENKUlvE_clEvENKUlvE0_clEvEUlffE_fEEDaPvRmT3_T4_T5_mT6_P12ihipStream_tbENKUlT_T0_E_clISt17integral_constantIbLb1EESV_IbLb0EEEEDaSR_SS_EUlSR_E_NS1_11comp_targetILNS1_3genE4ELNS1_11target_archE910ELNS1_3gpuE8ELNS1_3repE0EEENS1_30default_config_static_selectorELNS0_4arch9wavefront6targetE0EEEvT1_.kd
    .uniform_work_group_size: 1
    .uses_dynamic_stack: false
    .vgpr_count:     0
    .vgpr_spill_count: 0
    .wavefront_size: 32
    .workgroup_processor_mode: 1
  - .args:
      - .offset:         0
        .size:           96
        .value_kind:     by_value
    .group_segment_fixed_size: 0
    .kernarg_segment_align: 8
    .kernarg_segment_size: 96
    .language:       OpenCL C
    .language_version:
      - 2
      - 0
    .max_flat_workgroup_size: 256
    .name:           _ZN7rocprim17ROCPRIM_400000_NS6detail17trampoline_kernelINS0_14default_configENS1_20scan_config_selectorIfEEZZNS1_9scan_implILNS1_25lookback_scan_determinismE0ELb0ELb0ES3_PKfPffZZZN2at6native31launch_logcumsumexp_cuda_kernelERKNSB_10TensorBaseESF_lENKUlvE_clEvENKUlvE0_clEvEUlffE_fEEDaPvRmT3_T4_T5_mT6_P12ihipStream_tbENKUlT_T0_E_clISt17integral_constantIbLb1EESV_IbLb0EEEEDaSR_SS_EUlSR_E_NS1_11comp_targetILNS1_3genE3ELNS1_11target_archE908ELNS1_3gpuE7ELNS1_3repE0EEENS1_30default_config_static_selectorELNS0_4arch9wavefront6targetE0EEEvT1_
    .private_segment_fixed_size: 0
    .sgpr_count:     0
    .sgpr_spill_count: 0
    .symbol:         _ZN7rocprim17ROCPRIM_400000_NS6detail17trampoline_kernelINS0_14default_configENS1_20scan_config_selectorIfEEZZNS1_9scan_implILNS1_25lookback_scan_determinismE0ELb0ELb0ES3_PKfPffZZZN2at6native31launch_logcumsumexp_cuda_kernelERKNSB_10TensorBaseESF_lENKUlvE_clEvENKUlvE0_clEvEUlffE_fEEDaPvRmT3_T4_T5_mT6_P12ihipStream_tbENKUlT_T0_E_clISt17integral_constantIbLb1EESV_IbLb0EEEEDaSR_SS_EUlSR_E_NS1_11comp_targetILNS1_3genE3ELNS1_11target_archE908ELNS1_3gpuE7ELNS1_3repE0EEENS1_30default_config_static_selectorELNS0_4arch9wavefront6targetE0EEEvT1_.kd
    .uniform_work_group_size: 1
    .uses_dynamic_stack: false
    .vgpr_count:     0
    .vgpr_spill_count: 0
    .wavefront_size: 32
    .workgroup_processor_mode: 1
  - .args:
      - .offset:         0
        .size:           96
        .value_kind:     by_value
    .group_segment_fixed_size: 0
    .kernarg_segment_align: 8
    .kernarg_segment_size: 96
    .language:       OpenCL C
    .language_version:
      - 2
      - 0
    .max_flat_workgroup_size: 256
    .name:           _ZN7rocprim17ROCPRIM_400000_NS6detail17trampoline_kernelINS0_14default_configENS1_20scan_config_selectorIfEEZZNS1_9scan_implILNS1_25lookback_scan_determinismE0ELb0ELb0ES3_PKfPffZZZN2at6native31launch_logcumsumexp_cuda_kernelERKNSB_10TensorBaseESF_lENKUlvE_clEvENKUlvE0_clEvEUlffE_fEEDaPvRmT3_T4_T5_mT6_P12ihipStream_tbENKUlT_T0_E_clISt17integral_constantIbLb1EESV_IbLb0EEEEDaSR_SS_EUlSR_E_NS1_11comp_targetILNS1_3genE2ELNS1_11target_archE906ELNS1_3gpuE6ELNS1_3repE0EEENS1_30default_config_static_selectorELNS0_4arch9wavefront6targetE0EEEvT1_
    .private_segment_fixed_size: 0
    .sgpr_count:     0
    .sgpr_spill_count: 0
    .symbol:         _ZN7rocprim17ROCPRIM_400000_NS6detail17trampoline_kernelINS0_14default_configENS1_20scan_config_selectorIfEEZZNS1_9scan_implILNS1_25lookback_scan_determinismE0ELb0ELb0ES3_PKfPffZZZN2at6native31launch_logcumsumexp_cuda_kernelERKNSB_10TensorBaseESF_lENKUlvE_clEvENKUlvE0_clEvEUlffE_fEEDaPvRmT3_T4_T5_mT6_P12ihipStream_tbENKUlT_T0_E_clISt17integral_constantIbLb1EESV_IbLb0EEEEDaSR_SS_EUlSR_E_NS1_11comp_targetILNS1_3genE2ELNS1_11target_archE906ELNS1_3gpuE6ELNS1_3repE0EEENS1_30default_config_static_selectorELNS0_4arch9wavefront6targetE0EEEvT1_.kd
    .uniform_work_group_size: 1
    .uses_dynamic_stack: false
    .vgpr_count:     0
    .vgpr_spill_count: 0
    .wavefront_size: 32
    .workgroup_processor_mode: 1
  - .args:
      - .offset:         0
        .size:           96
        .value_kind:     by_value
    .group_segment_fixed_size: 0
    .kernarg_segment_align: 8
    .kernarg_segment_size: 96
    .language:       OpenCL C
    .language_version:
      - 2
      - 0
    .max_flat_workgroup_size: 256
    .name:           _ZN7rocprim17ROCPRIM_400000_NS6detail17trampoline_kernelINS0_14default_configENS1_20scan_config_selectorIfEEZZNS1_9scan_implILNS1_25lookback_scan_determinismE0ELb0ELb0ES3_PKfPffZZZN2at6native31launch_logcumsumexp_cuda_kernelERKNSB_10TensorBaseESF_lENKUlvE_clEvENKUlvE0_clEvEUlffE_fEEDaPvRmT3_T4_T5_mT6_P12ihipStream_tbENKUlT_T0_E_clISt17integral_constantIbLb1EESV_IbLb0EEEEDaSR_SS_EUlSR_E_NS1_11comp_targetILNS1_3genE10ELNS1_11target_archE1201ELNS1_3gpuE5ELNS1_3repE0EEENS1_30default_config_static_selectorELNS0_4arch9wavefront6targetE0EEEvT1_
    .private_segment_fixed_size: 0
    .sgpr_count:     0
    .sgpr_spill_count: 0
    .symbol:         _ZN7rocprim17ROCPRIM_400000_NS6detail17trampoline_kernelINS0_14default_configENS1_20scan_config_selectorIfEEZZNS1_9scan_implILNS1_25lookback_scan_determinismE0ELb0ELb0ES3_PKfPffZZZN2at6native31launch_logcumsumexp_cuda_kernelERKNSB_10TensorBaseESF_lENKUlvE_clEvENKUlvE0_clEvEUlffE_fEEDaPvRmT3_T4_T5_mT6_P12ihipStream_tbENKUlT_T0_E_clISt17integral_constantIbLb1EESV_IbLb0EEEEDaSR_SS_EUlSR_E_NS1_11comp_targetILNS1_3genE10ELNS1_11target_archE1201ELNS1_3gpuE5ELNS1_3repE0EEENS1_30default_config_static_selectorELNS0_4arch9wavefront6targetE0EEEvT1_.kd
    .uniform_work_group_size: 1
    .uses_dynamic_stack: false
    .vgpr_count:     0
    .vgpr_spill_count: 0
    .wavefront_size: 32
    .workgroup_processor_mode: 1
  - .args:
      - .offset:         0
        .size:           96
        .value_kind:     by_value
    .group_segment_fixed_size: 0
    .kernarg_segment_align: 8
    .kernarg_segment_size: 96
    .language:       OpenCL C
    .language_version:
      - 2
      - 0
    .max_flat_workgroup_size: 256
    .name:           _ZN7rocprim17ROCPRIM_400000_NS6detail17trampoline_kernelINS0_14default_configENS1_20scan_config_selectorIfEEZZNS1_9scan_implILNS1_25lookback_scan_determinismE0ELb0ELb0ES3_PKfPffZZZN2at6native31launch_logcumsumexp_cuda_kernelERKNSB_10TensorBaseESF_lENKUlvE_clEvENKUlvE0_clEvEUlffE_fEEDaPvRmT3_T4_T5_mT6_P12ihipStream_tbENKUlT_T0_E_clISt17integral_constantIbLb1EESV_IbLb0EEEEDaSR_SS_EUlSR_E_NS1_11comp_targetILNS1_3genE10ELNS1_11target_archE1200ELNS1_3gpuE4ELNS1_3repE0EEENS1_30default_config_static_selectorELNS0_4arch9wavefront6targetE0EEEvT1_
    .private_segment_fixed_size: 0
    .sgpr_count:     0
    .sgpr_spill_count: 0
    .symbol:         _ZN7rocprim17ROCPRIM_400000_NS6detail17trampoline_kernelINS0_14default_configENS1_20scan_config_selectorIfEEZZNS1_9scan_implILNS1_25lookback_scan_determinismE0ELb0ELb0ES3_PKfPffZZZN2at6native31launch_logcumsumexp_cuda_kernelERKNSB_10TensorBaseESF_lENKUlvE_clEvENKUlvE0_clEvEUlffE_fEEDaPvRmT3_T4_T5_mT6_P12ihipStream_tbENKUlT_T0_E_clISt17integral_constantIbLb1EESV_IbLb0EEEEDaSR_SS_EUlSR_E_NS1_11comp_targetILNS1_3genE10ELNS1_11target_archE1200ELNS1_3gpuE4ELNS1_3repE0EEENS1_30default_config_static_selectorELNS0_4arch9wavefront6targetE0EEEvT1_.kd
    .uniform_work_group_size: 1
    .uses_dynamic_stack: false
    .vgpr_count:     0
    .vgpr_spill_count: 0
    .wavefront_size: 32
    .workgroup_processor_mode: 1
  - .args:
      - .offset:         0
        .size:           96
        .value_kind:     by_value
    .group_segment_fixed_size: 0
    .kernarg_segment_align: 8
    .kernarg_segment_size: 96
    .language:       OpenCL C
    .language_version:
      - 2
      - 0
    .max_flat_workgroup_size: 256
    .name:           _ZN7rocprim17ROCPRIM_400000_NS6detail17trampoline_kernelINS0_14default_configENS1_20scan_config_selectorIfEEZZNS1_9scan_implILNS1_25lookback_scan_determinismE0ELb0ELb0ES3_PKfPffZZZN2at6native31launch_logcumsumexp_cuda_kernelERKNSB_10TensorBaseESF_lENKUlvE_clEvENKUlvE0_clEvEUlffE_fEEDaPvRmT3_T4_T5_mT6_P12ihipStream_tbENKUlT_T0_E_clISt17integral_constantIbLb1EESV_IbLb0EEEEDaSR_SS_EUlSR_E_NS1_11comp_targetILNS1_3genE9ELNS1_11target_archE1100ELNS1_3gpuE3ELNS1_3repE0EEENS1_30default_config_static_selectorELNS0_4arch9wavefront6targetE0EEEvT1_
    .private_segment_fixed_size: 0
    .sgpr_count:     0
    .sgpr_spill_count: 0
    .symbol:         _ZN7rocprim17ROCPRIM_400000_NS6detail17trampoline_kernelINS0_14default_configENS1_20scan_config_selectorIfEEZZNS1_9scan_implILNS1_25lookback_scan_determinismE0ELb0ELb0ES3_PKfPffZZZN2at6native31launch_logcumsumexp_cuda_kernelERKNSB_10TensorBaseESF_lENKUlvE_clEvENKUlvE0_clEvEUlffE_fEEDaPvRmT3_T4_T5_mT6_P12ihipStream_tbENKUlT_T0_E_clISt17integral_constantIbLb1EESV_IbLb0EEEEDaSR_SS_EUlSR_E_NS1_11comp_targetILNS1_3genE9ELNS1_11target_archE1100ELNS1_3gpuE3ELNS1_3repE0EEENS1_30default_config_static_selectorELNS0_4arch9wavefront6targetE0EEEvT1_.kd
    .uniform_work_group_size: 1
    .uses_dynamic_stack: false
    .vgpr_count:     0
    .vgpr_spill_count: 0
    .wavefront_size: 32
    .workgroup_processor_mode: 1
  - .args:
      - .offset:         0
        .size:           96
        .value_kind:     by_value
    .group_segment_fixed_size: 0
    .kernarg_segment_align: 8
    .kernarg_segment_size: 96
    .language:       OpenCL C
    .language_version:
      - 2
      - 0
    .max_flat_workgroup_size: 64
    .name:           _ZN7rocprim17ROCPRIM_400000_NS6detail17trampoline_kernelINS0_14default_configENS1_20scan_config_selectorIfEEZZNS1_9scan_implILNS1_25lookback_scan_determinismE0ELb0ELb0ES3_PKfPffZZZN2at6native31launch_logcumsumexp_cuda_kernelERKNSB_10TensorBaseESF_lENKUlvE_clEvENKUlvE0_clEvEUlffE_fEEDaPvRmT3_T4_T5_mT6_P12ihipStream_tbENKUlT_T0_E_clISt17integral_constantIbLb1EESV_IbLb0EEEEDaSR_SS_EUlSR_E_NS1_11comp_targetILNS1_3genE8ELNS1_11target_archE1030ELNS1_3gpuE2ELNS1_3repE0EEENS1_30default_config_static_selectorELNS0_4arch9wavefront6targetE0EEEvT1_
    .private_segment_fixed_size: 0
    .sgpr_count:     0
    .sgpr_spill_count: 0
    .symbol:         _ZN7rocprim17ROCPRIM_400000_NS6detail17trampoline_kernelINS0_14default_configENS1_20scan_config_selectorIfEEZZNS1_9scan_implILNS1_25lookback_scan_determinismE0ELb0ELb0ES3_PKfPffZZZN2at6native31launch_logcumsumexp_cuda_kernelERKNSB_10TensorBaseESF_lENKUlvE_clEvENKUlvE0_clEvEUlffE_fEEDaPvRmT3_T4_T5_mT6_P12ihipStream_tbENKUlT_T0_E_clISt17integral_constantIbLb1EESV_IbLb0EEEEDaSR_SS_EUlSR_E_NS1_11comp_targetILNS1_3genE8ELNS1_11target_archE1030ELNS1_3gpuE2ELNS1_3repE0EEENS1_30default_config_static_selectorELNS0_4arch9wavefront6targetE0EEEvT1_.kd
    .uniform_work_group_size: 1
    .uses_dynamic_stack: false
    .vgpr_count:     0
    .vgpr_spill_count: 0
    .wavefront_size: 32
    .workgroup_processor_mode: 1
  - .args:
      - .offset:         0
        .size:           32
        .value_kind:     by_value
    .group_segment_fixed_size: 0
    .kernarg_segment_align: 8
    .kernarg_segment_size: 32
    .language:       OpenCL C
    .language_version:
      - 2
      - 0
    .max_flat_workgroup_size: 256
    .name:           _ZN7rocprim17ROCPRIM_400000_NS6detail17trampoline_kernelINS0_14default_configENS1_20scan_config_selectorIfEEZZNS1_9scan_implILNS1_25lookback_scan_determinismE0ELb0ELb0ES3_PKfPffZZZN2at6native31launch_logcumsumexp_cuda_kernelERKNSB_10TensorBaseESF_lENKUlvE_clEvENKUlvE0_clEvEUlffE_fEEDaPvRmT3_T4_T5_mT6_P12ihipStream_tbENKUlT_T0_E_clISt17integral_constantIbLb1EESV_IbLb0EEEEDaSR_SS_EUlSR_E0_NS1_11comp_targetILNS1_3genE0ELNS1_11target_archE4294967295ELNS1_3gpuE0ELNS1_3repE0EEENS1_30default_config_static_selectorELNS0_4arch9wavefront6targetE0EEEvT1_
    .private_segment_fixed_size: 0
    .sgpr_count:     0
    .sgpr_spill_count: 0
    .symbol:         _ZN7rocprim17ROCPRIM_400000_NS6detail17trampoline_kernelINS0_14default_configENS1_20scan_config_selectorIfEEZZNS1_9scan_implILNS1_25lookback_scan_determinismE0ELb0ELb0ES3_PKfPffZZZN2at6native31launch_logcumsumexp_cuda_kernelERKNSB_10TensorBaseESF_lENKUlvE_clEvENKUlvE0_clEvEUlffE_fEEDaPvRmT3_T4_T5_mT6_P12ihipStream_tbENKUlT_T0_E_clISt17integral_constantIbLb1EESV_IbLb0EEEEDaSR_SS_EUlSR_E0_NS1_11comp_targetILNS1_3genE0ELNS1_11target_archE4294967295ELNS1_3gpuE0ELNS1_3repE0EEENS1_30default_config_static_selectorELNS0_4arch9wavefront6targetE0EEEvT1_.kd
    .uniform_work_group_size: 1
    .uses_dynamic_stack: false
    .vgpr_count:     0
    .vgpr_spill_count: 0
    .wavefront_size: 32
    .workgroup_processor_mode: 1
  - .args:
      - .offset:         0
        .size:           32
        .value_kind:     by_value
    .group_segment_fixed_size: 0
    .kernarg_segment_align: 8
    .kernarg_segment_size: 32
    .language:       OpenCL C
    .language_version:
      - 2
      - 0
    .max_flat_workgroup_size: 256
    .name:           _ZN7rocprim17ROCPRIM_400000_NS6detail17trampoline_kernelINS0_14default_configENS1_20scan_config_selectorIfEEZZNS1_9scan_implILNS1_25lookback_scan_determinismE0ELb0ELb0ES3_PKfPffZZZN2at6native31launch_logcumsumexp_cuda_kernelERKNSB_10TensorBaseESF_lENKUlvE_clEvENKUlvE0_clEvEUlffE_fEEDaPvRmT3_T4_T5_mT6_P12ihipStream_tbENKUlT_T0_E_clISt17integral_constantIbLb1EESV_IbLb0EEEEDaSR_SS_EUlSR_E0_NS1_11comp_targetILNS1_3genE5ELNS1_11target_archE942ELNS1_3gpuE9ELNS1_3repE0EEENS1_30default_config_static_selectorELNS0_4arch9wavefront6targetE0EEEvT1_
    .private_segment_fixed_size: 0
    .sgpr_count:     0
    .sgpr_spill_count: 0
    .symbol:         _ZN7rocprim17ROCPRIM_400000_NS6detail17trampoline_kernelINS0_14default_configENS1_20scan_config_selectorIfEEZZNS1_9scan_implILNS1_25lookback_scan_determinismE0ELb0ELb0ES3_PKfPffZZZN2at6native31launch_logcumsumexp_cuda_kernelERKNSB_10TensorBaseESF_lENKUlvE_clEvENKUlvE0_clEvEUlffE_fEEDaPvRmT3_T4_T5_mT6_P12ihipStream_tbENKUlT_T0_E_clISt17integral_constantIbLb1EESV_IbLb0EEEEDaSR_SS_EUlSR_E0_NS1_11comp_targetILNS1_3genE5ELNS1_11target_archE942ELNS1_3gpuE9ELNS1_3repE0EEENS1_30default_config_static_selectorELNS0_4arch9wavefront6targetE0EEEvT1_.kd
    .uniform_work_group_size: 1
    .uses_dynamic_stack: false
    .vgpr_count:     0
    .vgpr_spill_count: 0
    .wavefront_size: 32
    .workgroup_processor_mode: 1
  - .args:
      - .offset:         0
        .size:           32
        .value_kind:     by_value
    .group_segment_fixed_size: 0
    .kernarg_segment_align: 8
    .kernarg_segment_size: 32
    .language:       OpenCL C
    .language_version:
      - 2
      - 0
    .max_flat_workgroup_size: 128
    .name:           _ZN7rocprim17ROCPRIM_400000_NS6detail17trampoline_kernelINS0_14default_configENS1_20scan_config_selectorIfEEZZNS1_9scan_implILNS1_25lookback_scan_determinismE0ELb0ELb0ES3_PKfPffZZZN2at6native31launch_logcumsumexp_cuda_kernelERKNSB_10TensorBaseESF_lENKUlvE_clEvENKUlvE0_clEvEUlffE_fEEDaPvRmT3_T4_T5_mT6_P12ihipStream_tbENKUlT_T0_E_clISt17integral_constantIbLb1EESV_IbLb0EEEEDaSR_SS_EUlSR_E0_NS1_11comp_targetILNS1_3genE4ELNS1_11target_archE910ELNS1_3gpuE8ELNS1_3repE0EEENS1_30default_config_static_selectorELNS0_4arch9wavefront6targetE0EEEvT1_
    .private_segment_fixed_size: 0
    .sgpr_count:     0
    .sgpr_spill_count: 0
    .symbol:         _ZN7rocprim17ROCPRIM_400000_NS6detail17trampoline_kernelINS0_14default_configENS1_20scan_config_selectorIfEEZZNS1_9scan_implILNS1_25lookback_scan_determinismE0ELb0ELb0ES3_PKfPffZZZN2at6native31launch_logcumsumexp_cuda_kernelERKNSB_10TensorBaseESF_lENKUlvE_clEvENKUlvE0_clEvEUlffE_fEEDaPvRmT3_T4_T5_mT6_P12ihipStream_tbENKUlT_T0_E_clISt17integral_constantIbLb1EESV_IbLb0EEEEDaSR_SS_EUlSR_E0_NS1_11comp_targetILNS1_3genE4ELNS1_11target_archE910ELNS1_3gpuE8ELNS1_3repE0EEENS1_30default_config_static_selectorELNS0_4arch9wavefront6targetE0EEEvT1_.kd
    .uniform_work_group_size: 1
    .uses_dynamic_stack: false
    .vgpr_count:     0
    .vgpr_spill_count: 0
    .wavefront_size: 32
    .workgroup_processor_mode: 1
  - .args:
      - .offset:         0
        .size:           32
        .value_kind:     by_value
    .group_segment_fixed_size: 0
    .kernarg_segment_align: 8
    .kernarg_segment_size: 32
    .language:       OpenCL C
    .language_version:
      - 2
      - 0
    .max_flat_workgroup_size: 256
    .name:           _ZN7rocprim17ROCPRIM_400000_NS6detail17trampoline_kernelINS0_14default_configENS1_20scan_config_selectorIfEEZZNS1_9scan_implILNS1_25lookback_scan_determinismE0ELb0ELb0ES3_PKfPffZZZN2at6native31launch_logcumsumexp_cuda_kernelERKNSB_10TensorBaseESF_lENKUlvE_clEvENKUlvE0_clEvEUlffE_fEEDaPvRmT3_T4_T5_mT6_P12ihipStream_tbENKUlT_T0_E_clISt17integral_constantIbLb1EESV_IbLb0EEEEDaSR_SS_EUlSR_E0_NS1_11comp_targetILNS1_3genE3ELNS1_11target_archE908ELNS1_3gpuE7ELNS1_3repE0EEENS1_30default_config_static_selectorELNS0_4arch9wavefront6targetE0EEEvT1_
    .private_segment_fixed_size: 0
    .sgpr_count:     0
    .sgpr_spill_count: 0
    .symbol:         _ZN7rocprim17ROCPRIM_400000_NS6detail17trampoline_kernelINS0_14default_configENS1_20scan_config_selectorIfEEZZNS1_9scan_implILNS1_25lookback_scan_determinismE0ELb0ELb0ES3_PKfPffZZZN2at6native31launch_logcumsumexp_cuda_kernelERKNSB_10TensorBaseESF_lENKUlvE_clEvENKUlvE0_clEvEUlffE_fEEDaPvRmT3_T4_T5_mT6_P12ihipStream_tbENKUlT_T0_E_clISt17integral_constantIbLb1EESV_IbLb0EEEEDaSR_SS_EUlSR_E0_NS1_11comp_targetILNS1_3genE3ELNS1_11target_archE908ELNS1_3gpuE7ELNS1_3repE0EEENS1_30default_config_static_selectorELNS0_4arch9wavefront6targetE0EEEvT1_.kd
    .uniform_work_group_size: 1
    .uses_dynamic_stack: false
    .vgpr_count:     0
    .vgpr_spill_count: 0
    .wavefront_size: 32
    .workgroup_processor_mode: 1
  - .args:
      - .offset:         0
        .size:           32
        .value_kind:     by_value
    .group_segment_fixed_size: 0
    .kernarg_segment_align: 8
    .kernarg_segment_size: 32
    .language:       OpenCL C
    .language_version:
      - 2
      - 0
    .max_flat_workgroup_size: 256
    .name:           _ZN7rocprim17ROCPRIM_400000_NS6detail17trampoline_kernelINS0_14default_configENS1_20scan_config_selectorIfEEZZNS1_9scan_implILNS1_25lookback_scan_determinismE0ELb0ELb0ES3_PKfPffZZZN2at6native31launch_logcumsumexp_cuda_kernelERKNSB_10TensorBaseESF_lENKUlvE_clEvENKUlvE0_clEvEUlffE_fEEDaPvRmT3_T4_T5_mT6_P12ihipStream_tbENKUlT_T0_E_clISt17integral_constantIbLb1EESV_IbLb0EEEEDaSR_SS_EUlSR_E0_NS1_11comp_targetILNS1_3genE2ELNS1_11target_archE906ELNS1_3gpuE6ELNS1_3repE0EEENS1_30default_config_static_selectorELNS0_4arch9wavefront6targetE0EEEvT1_
    .private_segment_fixed_size: 0
    .sgpr_count:     0
    .sgpr_spill_count: 0
    .symbol:         _ZN7rocprim17ROCPRIM_400000_NS6detail17trampoline_kernelINS0_14default_configENS1_20scan_config_selectorIfEEZZNS1_9scan_implILNS1_25lookback_scan_determinismE0ELb0ELb0ES3_PKfPffZZZN2at6native31launch_logcumsumexp_cuda_kernelERKNSB_10TensorBaseESF_lENKUlvE_clEvENKUlvE0_clEvEUlffE_fEEDaPvRmT3_T4_T5_mT6_P12ihipStream_tbENKUlT_T0_E_clISt17integral_constantIbLb1EESV_IbLb0EEEEDaSR_SS_EUlSR_E0_NS1_11comp_targetILNS1_3genE2ELNS1_11target_archE906ELNS1_3gpuE6ELNS1_3repE0EEENS1_30default_config_static_selectorELNS0_4arch9wavefront6targetE0EEEvT1_.kd
    .uniform_work_group_size: 1
    .uses_dynamic_stack: false
    .vgpr_count:     0
    .vgpr_spill_count: 0
    .wavefront_size: 32
    .workgroup_processor_mode: 1
  - .args:
      - .offset:         0
        .size:           32
        .value_kind:     by_value
    .group_segment_fixed_size: 0
    .kernarg_segment_align: 8
    .kernarg_segment_size: 32
    .language:       OpenCL C
    .language_version:
      - 2
      - 0
    .max_flat_workgroup_size: 256
    .name:           _ZN7rocprim17ROCPRIM_400000_NS6detail17trampoline_kernelINS0_14default_configENS1_20scan_config_selectorIfEEZZNS1_9scan_implILNS1_25lookback_scan_determinismE0ELb0ELb0ES3_PKfPffZZZN2at6native31launch_logcumsumexp_cuda_kernelERKNSB_10TensorBaseESF_lENKUlvE_clEvENKUlvE0_clEvEUlffE_fEEDaPvRmT3_T4_T5_mT6_P12ihipStream_tbENKUlT_T0_E_clISt17integral_constantIbLb1EESV_IbLb0EEEEDaSR_SS_EUlSR_E0_NS1_11comp_targetILNS1_3genE10ELNS1_11target_archE1201ELNS1_3gpuE5ELNS1_3repE0EEENS1_30default_config_static_selectorELNS0_4arch9wavefront6targetE0EEEvT1_
    .private_segment_fixed_size: 0
    .sgpr_count:     0
    .sgpr_spill_count: 0
    .symbol:         _ZN7rocprim17ROCPRIM_400000_NS6detail17trampoline_kernelINS0_14default_configENS1_20scan_config_selectorIfEEZZNS1_9scan_implILNS1_25lookback_scan_determinismE0ELb0ELb0ES3_PKfPffZZZN2at6native31launch_logcumsumexp_cuda_kernelERKNSB_10TensorBaseESF_lENKUlvE_clEvENKUlvE0_clEvEUlffE_fEEDaPvRmT3_T4_T5_mT6_P12ihipStream_tbENKUlT_T0_E_clISt17integral_constantIbLb1EESV_IbLb0EEEEDaSR_SS_EUlSR_E0_NS1_11comp_targetILNS1_3genE10ELNS1_11target_archE1201ELNS1_3gpuE5ELNS1_3repE0EEENS1_30default_config_static_selectorELNS0_4arch9wavefront6targetE0EEEvT1_.kd
    .uniform_work_group_size: 1
    .uses_dynamic_stack: false
    .vgpr_count:     0
    .vgpr_spill_count: 0
    .wavefront_size: 32
    .workgroup_processor_mode: 1
  - .args:
      - .offset:         0
        .size:           32
        .value_kind:     by_value
    .group_segment_fixed_size: 0
    .kernarg_segment_align: 8
    .kernarg_segment_size: 32
    .language:       OpenCL C
    .language_version:
      - 2
      - 0
    .max_flat_workgroup_size: 256
    .name:           _ZN7rocprim17ROCPRIM_400000_NS6detail17trampoline_kernelINS0_14default_configENS1_20scan_config_selectorIfEEZZNS1_9scan_implILNS1_25lookback_scan_determinismE0ELb0ELb0ES3_PKfPffZZZN2at6native31launch_logcumsumexp_cuda_kernelERKNSB_10TensorBaseESF_lENKUlvE_clEvENKUlvE0_clEvEUlffE_fEEDaPvRmT3_T4_T5_mT6_P12ihipStream_tbENKUlT_T0_E_clISt17integral_constantIbLb1EESV_IbLb0EEEEDaSR_SS_EUlSR_E0_NS1_11comp_targetILNS1_3genE10ELNS1_11target_archE1200ELNS1_3gpuE4ELNS1_3repE0EEENS1_30default_config_static_selectorELNS0_4arch9wavefront6targetE0EEEvT1_
    .private_segment_fixed_size: 0
    .sgpr_count:     0
    .sgpr_spill_count: 0
    .symbol:         _ZN7rocprim17ROCPRIM_400000_NS6detail17trampoline_kernelINS0_14default_configENS1_20scan_config_selectorIfEEZZNS1_9scan_implILNS1_25lookback_scan_determinismE0ELb0ELb0ES3_PKfPffZZZN2at6native31launch_logcumsumexp_cuda_kernelERKNSB_10TensorBaseESF_lENKUlvE_clEvENKUlvE0_clEvEUlffE_fEEDaPvRmT3_T4_T5_mT6_P12ihipStream_tbENKUlT_T0_E_clISt17integral_constantIbLb1EESV_IbLb0EEEEDaSR_SS_EUlSR_E0_NS1_11comp_targetILNS1_3genE10ELNS1_11target_archE1200ELNS1_3gpuE4ELNS1_3repE0EEENS1_30default_config_static_selectorELNS0_4arch9wavefront6targetE0EEEvT1_.kd
    .uniform_work_group_size: 1
    .uses_dynamic_stack: false
    .vgpr_count:     0
    .vgpr_spill_count: 0
    .wavefront_size: 32
    .workgroup_processor_mode: 1
  - .args:
      - .offset:         0
        .size:           32
        .value_kind:     by_value
    .group_segment_fixed_size: 0
    .kernarg_segment_align: 8
    .kernarg_segment_size: 32
    .language:       OpenCL C
    .language_version:
      - 2
      - 0
    .max_flat_workgroup_size: 256
    .name:           _ZN7rocprim17ROCPRIM_400000_NS6detail17trampoline_kernelINS0_14default_configENS1_20scan_config_selectorIfEEZZNS1_9scan_implILNS1_25lookback_scan_determinismE0ELb0ELb0ES3_PKfPffZZZN2at6native31launch_logcumsumexp_cuda_kernelERKNSB_10TensorBaseESF_lENKUlvE_clEvENKUlvE0_clEvEUlffE_fEEDaPvRmT3_T4_T5_mT6_P12ihipStream_tbENKUlT_T0_E_clISt17integral_constantIbLb1EESV_IbLb0EEEEDaSR_SS_EUlSR_E0_NS1_11comp_targetILNS1_3genE9ELNS1_11target_archE1100ELNS1_3gpuE3ELNS1_3repE0EEENS1_30default_config_static_selectorELNS0_4arch9wavefront6targetE0EEEvT1_
    .private_segment_fixed_size: 0
    .sgpr_count:     0
    .sgpr_spill_count: 0
    .symbol:         _ZN7rocprim17ROCPRIM_400000_NS6detail17trampoline_kernelINS0_14default_configENS1_20scan_config_selectorIfEEZZNS1_9scan_implILNS1_25lookback_scan_determinismE0ELb0ELb0ES3_PKfPffZZZN2at6native31launch_logcumsumexp_cuda_kernelERKNSB_10TensorBaseESF_lENKUlvE_clEvENKUlvE0_clEvEUlffE_fEEDaPvRmT3_T4_T5_mT6_P12ihipStream_tbENKUlT_T0_E_clISt17integral_constantIbLb1EESV_IbLb0EEEEDaSR_SS_EUlSR_E0_NS1_11comp_targetILNS1_3genE9ELNS1_11target_archE1100ELNS1_3gpuE3ELNS1_3repE0EEENS1_30default_config_static_selectorELNS0_4arch9wavefront6targetE0EEEvT1_.kd
    .uniform_work_group_size: 1
    .uses_dynamic_stack: false
    .vgpr_count:     0
    .vgpr_spill_count: 0
    .wavefront_size: 32
    .workgroup_processor_mode: 1
  - .args:
      - .offset:         0
        .size:           32
        .value_kind:     by_value
    .group_segment_fixed_size: 1280
    .kernarg_segment_align: 8
    .kernarg_segment_size: 32
    .language:       OpenCL C
    .language_version:
      - 2
      - 0
    .max_flat_workgroup_size: 64
    .name:           _ZN7rocprim17ROCPRIM_400000_NS6detail17trampoline_kernelINS0_14default_configENS1_20scan_config_selectorIfEEZZNS1_9scan_implILNS1_25lookback_scan_determinismE0ELb0ELb0ES3_PKfPffZZZN2at6native31launch_logcumsumexp_cuda_kernelERKNSB_10TensorBaseESF_lENKUlvE_clEvENKUlvE0_clEvEUlffE_fEEDaPvRmT3_T4_T5_mT6_P12ihipStream_tbENKUlT_T0_E_clISt17integral_constantIbLb1EESV_IbLb0EEEEDaSR_SS_EUlSR_E0_NS1_11comp_targetILNS1_3genE8ELNS1_11target_archE1030ELNS1_3gpuE2ELNS1_3repE0EEENS1_30default_config_static_selectorELNS0_4arch9wavefront6targetE0EEEvT1_
    .private_segment_fixed_size: 0
    .sgpr_count:     22
    .sgpr_spill_count: 0
    .symbol:         _ZN7rocprim17ROCPRIM_400000_NS6detail17trampoline_kernelINS0_14default_configENS1_20scan_config_selectorIfEEZZNS1_9scan_implILNS1_25lookback_scan_determinismE0ELb0ELb0ES3_PKfPffZZZN2at6native31launch_logcumsumexp_cuda_kernelERKNSB_10TensorBaseESF_lENKUlvE_clEvENKUlvE0_clEvEUlffE_fEEDaPvRmT3_T4_T5_mT6_P12ihipStream_tbENKUlT_T0_E_clISt17integral_constantIbLb1EESV_IbLb0EEEEDaSR_SS_EUlSR_E0_NS1_11comp_targetILNS1_3genE8ELNS1_11target_archE1030ELNS1_3gpuE2ELNS1_3repE0EEENS1_30default_config_static_selectorELNS0_4arch9wavefront6targetE0EEEvT1_.kd
    .uniform_work_group_size: 1
    .uses_dynamic_stack: false
    .vgpr_count:     35
    .vgpr_spill_count: 0
    .wavefront_size: 32
    .workgroup_processor_mode: 1
  - .args:
      - .address_space:  global
        .offset:         0
        .size:           8
        .value_kind:     global_buffer
      - .offset:         8
        .size:           4
        .value_kind:     by_value
      - .address_space:  global
        .offset:         16
        .size:           8
        .value_kind:     global_buffer
      - .offset:         24
        .size:           4
        .value_kind:     by_value
      - .address_space:  global
        .offset:         32
        .size:           8
        .value_kind:     global_buffer
      - .offset:         40
        .size:           4
        .value_kind:     hidden_block_count_x
      - .offset:         44
        .size:           4
        .value_kind:     hidden_block_count_y
      - .offset:         48
        .size:           4
        .value_kind:     hidden_block_count_z
      - .offset:         52
        .size:           2
        .value_kind:     hidden_group_size_x
      - .offset:         54
        .size:           2
        .value_kind:     hidden_group_size_y
      - .offset:         56
        .size:           2
        .value_kind:     hidden_group_size_z
      - .offset:         58
        .size:           2
        .value_kind:     hidden_remainder_x
      - .offset:         60
        .size:           2
        .value_kind:     hidden_remainder_y
      - .offset:         62
        .size:           2
        .value_kind:     hidden_remainder_z
      - .offset:         80
        .size:           8
        .value_kind:     hidden_global_offset_x
      - .offset:         88
        .size:           8
        .value_kind:     hidden_global_offset_y
      - .offset:         96
        .size:           8
        .value_kind:     hidden_global_offset_z
      - .offset:         104
        .size:           2
        .value_kind:     hidden_grid_dims
    .group_segment_fixed_size: 0
    .kernarg_segment_align: 8
    .kernarg_segment_size: 296
    .language:       OpenCL C
    .language_version:
      - 2
      - 0
    .max_flat_workgroup_size: 256
    .name:           _ZN7rocprim17ROCPRIM_400000_NS6detail31init_lookback_scan_state_kernelINS1_19lookback_scan_stateIfLb0ELb1EEENS1_16block_id_wrapperIjLb1EEEEEvT_jT0_jPNS7_10value_typeE
    .private_segment_fixed_size: 0
    .sgpr_count:     12
    .sgpr_spill_count: 0
    .symbol:         _ZN7rocprim17ROCPRIM_400000_NS6detail31init_lookback_scan_state_kernelINS1_19lookback_scan_stateIfLb0ELb1EEENS1_16block_id_wrapperIjLb1EEEEEvT_jT0_jPNS7_10value_typeE.kd
    .uniform_work_group_size: 1
    .uses_dynamic_stack: false
    .vgpr_count:     7
    .vgpr_spill_count: 0
    .wavefront_size: 32
    .workgroup_processor_mode: 1
  - .args:
      - .offset:         0
        .size:           96
        .value_kind:     by_value
    .group_segment_fixed_size: 0
    .kernarg_segment_align: 8
    .kernarg_segment_size: 96
    .language:       OpenCL C
    .language_version:
      - 2
      - 0
    .max_flat_workgroup_size: 256
    .name:           _ZN7rocprim17ROCPRIM_400000_NS6detail17trampoline_kernelINS0_14default_configENS1_20scan_config_selectorIfEEZZNS1_9scan_implILNS1_25lookback_scan_determinismE0ELb0ELb0ES3_PKfPffZZZN2at6native31launch_logcumsumexp_cuda_kernelERKNSB_10TensorBaseESF_lENKUlvE_clEvENKUlvE0_clEvEUlffE_fEEDaPvRmT3_T4_T5_mT6_P12ihipStream_tbENKUlT_T0_E_clISt17integral_constantIbLb0EESV_IbLb1EEEEDaSR_SS_EUlSR_E_NS1_11comp_targetILNS1_3genE0ELNS1_11target_archE4294967295ELNS1_3gpuE0ELNS1_3repE0EEENS1_30default_config_static_selectorELNS0_4arch9wavefront6targetE0EEEvT1_
    .private_segment_fixed_size: 0
    .sgpr_count:     0
    .sgpr_spill_count: 0
    .symbol:         _ZN7rocprim17ROCPRIM_400000_NS6detail17trampoline_kernelINS0_14default_configENS1_20scan_config_selectorIfEEZZNS1_9scan_implILNS1_25lookback_scan_determinismE0ELb0ELb0ES3_PKfPffZZZN2at6native31launch_logcumsumexp_cuda_kernelERKNSB_10TensorBaseESF_lENKUlvE_clEvENKUlvE0_clEvEUlffE_fEEDaPvRmT3_T4_T5_mT6_P12ihipStream_tbENKUlT_T0_E_clISt17integral_constantIbLb0EESV_IbLb1EEEEDaSR_SS_EUlSR_E_NS1_11comp_targetILNS1_3genE0ELNS1_11target_archE4294967295ELNS1_3gpuE0ELNS1_3repE0EEENS1_30default_config_static_selectorELNS0_4arch9wavefront6targetE0EEEvT1_.kd
    .uniform_work_group_size: 1
    .uses_dynamic_stack: false
    .vgpr_count:     0
    .vgpr_spill_count: 0
    .wavefront_size: 32
    .workgroup_processor_mode: 1
  - .args:
      - .offset:         0
        .size:           96
        .value_kind:     by_value
    .group_segment_fixed_size: 0
    .kernarg_segment_align: 8
    .kernarg_segment_size: 96
    .language:       OpenCL C
    .language_version:
      - 2
      - 0
    .max_flat_workgroup_size: 256
    .name:           _ZN7rocprim17ROCPRIM_400000_NS6detail17trampoline_kernelINS0_14default_configENS1_20scan_config_selectorIfEEZZNS1_9scan_implILNS1_25lookback_scan_determinismE0ELb0ELb0ES3_PKfPffZZZN2at6native31launch_logcumsumexp_cuda_kernelERKNSB_10TensorBaseESF_lENKUlvE_clEvENKUlvE0_clEvEUlffE_fEEDaPvRmT3_T4_T5_mT6_P12ihipStream_tbENKUlT_T0_E_clISt17integral_constantIbLb0EESV_IbLb1EEEEDaSR_SS_EUlSR_E_NS1_11comp_targetILNS1_3genE5ELNS1_11target_archE942ELNS1_3gpuE9ELNS1_3repE0EEENS1_30default_config_static_selectorELNS0_4arch9wavefront6targetE0EEEvT1_
    .private_segment_fixed_size: 0
    .sgpr_count:     0
    .sgpr_spill_count: 0
    .symbol:         _ZN7rocprim17ROCPRIM_400000_NS6detail17trampoline_kernelINS0_14default_configENS1_20scan_config_selectorIfEEZZNS1_9scan_implILNS1_25lookback_scan_determinismE0ELb0ELb0ES3_PKfPffZZZN2at6native31launch_logcumsumexp_cuda_kernelERKNSB_10TensorBaseESF_lENKUlvE_clEvENKUlvE0_clEvEUlffE_fEEDaPvRmT3_T4_T5_mT6_P12ihipStream_tbENKUlT_T0_E_clISt17integral_constantIbLb0EESV_IbLb1EEEEDaSR_SS_EUlSR_E_NS1_11comp_targetILNS1_3genE5ELNS1_11target_archE942ELNS1_3gpuE9ELNS1_3repE0EEENS1_30default_config_static_selectorELNS0_4arch9wavefront6targetE0EEEvT1_.kd
    .uniform_work_group_size: 1
    .uses_dynamic_stack: false
    .vgpr_count:     0
    .vgpr_spill_count: 0
    .wavefront_size: 32
    .workgroup_processor_mode: 1
  - .args:
      - .offset:         0
        .size:           96
        .value_kind:     by_value
    .group_segment_fixed_size: 0
    .kernarg_segment_align: 8
    .kernarg_segment_size: 96
    .language:       OpenCL C
    .language_version:
      - 2
      - 0
    .max_flat_workgroup_size: 128
    .name:           _ZN7rocprim17ROCPRIM_400000_NS6detail17trampoline_kernelINS0_14default_configENS1_20scan_config_selectorIfEEZZNS1_9scan_implILNS1_25lookback_scan_determinismE0ELb0ELb0ES3_PKfPffZZZN2at6native31launch_logcumsumexp_cuda_kernelERKNSB_10TensorBaseESF_lENKUlvE_clEvENKUlvE0_clEvEUlffE_fEEDaPvRmT3_T4_T5_mT6_P12ihipStream_tbENKUlT_T0_E_clISt17integral_constantIbLb0EESV_IbLb1EEEEDaSR_SS_EUlSR_E_NS1_11comp_targetILNS1_3genE4ELNS1_11target_archE910ELNS1_3gpuE8ELNS1_3repE0EEENS1_30default_config_static_selectorELNS0_4arch9wavefront6targetE0EEEvT1_
    .private_segment_fixed_size: 0
    .sgpr_count:     0
    .sgpr_spill_count: 0
    .symbol:         _ZN7rocprim17ROCPRIM_400000_NS6detail17trampoline_kernelINS0_14default_configENS1_20scan_config_selectorIfEEZZNS1_9scan_implILNS1_25lookback_scan_determinismE0ELb0ELb0ES3_PKfPffZZZN2at6native31launch_logcumsumexp_cuda_kernelERKNSB_10TensorBaseESF_lENKUlvE_clEvENKUlvE0_clEvEUlffE_fEEDaPvRmT3_T4_T5_mT6_P12ihipStream_tbENKUlT_T0_E_clISt17integral_constantIbLb0EESV_IbLb1EEEEDaSR_SS_EUlSR_E_NS1_11comp_targetILNS1_3genE4ELNS1_11target_archE910ELNS1_3gpuE8ELNS1_3repE0EEENS1_30default_config_static_selectorELNS0_4arch9wavefront6targetE0EEEvT1_.kd
    .uniform_work_group_size: 1
    .uses_dynamic_stack: false
    .vgpr_count:     0
    .vgpr_spill_count: 0
    .wavefront_size: 32
    .workgroup_processor_mode: 1
  - .args:
      - .offset:         0
        .size:           96
        .value_kind:     by_value
    .group_segment_fixed_size: 0
    .kernarg_segment_align: 8
    .kernarg_segment_size: 96
    .language:       OpenCL C
    .language_version:
      - 2
      - 0
    .max_flat_workgroup_size: 256
    .name:           _ZN7rocprim17ROCPRIM_400000_NS6detail17trampoline_kernelINS0_14default_configENS1_20scan_config_selectorIfEEZZNS1_9scan_implILNS1_25lookback_scan_determinismE0ELb0ELb0ES3_PKfPffZZZN2at6native31launch_logcumsumexp_cuda_kernelERKNSB_10TensorBaseESF_lENKUlvE_clEvENKUlvE0_clEvEUlffE_fEEDaPvRmT3_T4_T5_mT6_P12ihipStream_tbENKUlT_T0_E_clISt17integral_constantIbLb0EESV_IbLb1EEEEDaSR_SS_EUlSR_E_NS1_11comp_targetILNS1_3genE3ELNS1_11target_archE908ELNS1_3gpuE7ELNS1_3repE0EEENS1_30default_config_static_selectorELNS0_4arch9wavefront6targetE0EEEvT1_
    .private_segment_fixed_size: 0
    .sgpr_count:     0
    .sgpr_spill_count: 0
    .symbol:         _ZN7rocprim17ROCPRIM_400000_NS6detail17trampoline_kernelINS0_14default_configENS1_20scan_config_selectorIfEEZZNS1_9scan_implILNS1_25lookback_scan_determinismE0ELb0ELb0ES3_PKfPffZZZN2at6native31launch_logcumsumexp_cuda_kernelERKNSB_10TensorBaseESF_lENKUlvE_clEvENKUlvE0_clEvEUlffE_fEEDaPvRmT3_T4_T5_mT6_P12ihipStream_tbENKUlT_T0_E_clISt17integral_constantIbLb0EESV_IbLb1EEEEDaSR_SS_EUlSR_E_NS1_11comp_targetILNS1_3genE3ELNS1_11target_archE908ELNS1_3gpuE7ELNS1_3repE0EEENS1_30default_config_static_selectorELNS0_4arch9wavefront6targetE0EEEvT1_.kd
    .uniform_work_group_size: 1
    .uses_dynamic_stack: false
    .vgpr_count:     0
    .vgpr_spill_count: 0
    .wavefront_size: 32
    .workgroup_processor_mode: 1
  - .args:
      - .offset:         0
        .size:           96
        .value_kind:     by_value
    .group_segment_fixed_size: 0
    .kernarg_segment_align: 8
    .kernarg_segment_size: 96
    .language:       OpenCL C
    .language_version:
      - 2
      - 0
    .max_flat_workgroup_size: 256
    .name:           _ZN7rocprim17ROCPRIM_400000_NS6detail17trampoline_kernelINS0_14default_configENS1_20scan_config_selectorIfEEZZNS1_9scan_implILNS1_25lookback_scan_determinismE0ELb0ELb0ES3_PKfPffZZZN2at6native31launch_logcumsumexp_cuda_kernelERKNSB_10TensorBaseESF_lENKUlvE_clEvENKUlvE0_clEvEUlffE_fEEDaPvRmT3_T4_T5_mT6_P12ihipStream_tbENKUlT_T0_E_clISt17integral_constantIbLb0EESV_IbLb1EEEEDaSR_SS_EUlSR_E_NS1_11comp_targetILNS1_3genE2ELNS1_11target_archE906ELNS1_3gpuE6ELNS1_3repE0EEENS1_30default_config_static_selectorELNS0_4arch9wavefront6targetE0EEEvT1_
    .private_segment_fixed_size: 0
    .sgpr_count:     0
    .sgpr_spill_count: 0
    .symbol:         _ZN7rocprim17ROCPRIM_400000_NS6detail17trampoline_kernelINS0_14default_configENS1_20scan_config_selectorIfEEZZNS1_9scan_implILNS1_25lookback_scan_determinismE0ELb0ELb0ES3_PKfPffZZZN2at6native31launch_logcumsumexp_cuda_kernelERKNSB_10TensorBaseESF_lENKUlvE_clEvENKUlvE0_clEvEUlffE_fEEDaPvRmT3_T4_T5_mT6_P12ihipStream_tbENKUlT_T0_E_clISt17integral_constantIbLb0EESV_IbLb1EEEEDaSR_SS_EUlSR_E_NS1_11comp_targetILNS1_3genE2ELNS1_11target_archE906ELNS1_3gpuE6ELNS1_3repE0EEENS1_30default_config_static_selectorELNS0_4arch9wavefront6targetE0EEEvT1_.kd
    .uniform_work_group_size: 1
    .uses_dynamic_stack: false
    .vgpr_count:     0
    .vgpr_spill_count: 0
    .wavefront_size: 32
    .workgroup_processor_mode: 1
  - .args:
      - .offset:         0
        .size:           96
        .value_kind:     by_value
    .group_segment_fixed_size: 0
    .kernarg_segment_align: 8
    .kernarg_segment_size: 96
    .language:       OpenCL C
    .language_version:
      - 2
      - 0
    .max_flat_workgroup_size: 256
    .name:           _ZN7rocprim17ROCPRIM_400000_NS6detail17trampoline_kernelINS0_14default_configENS1_20scan_config_selectorIfEEZZNS1_9scan_implILNS1_25lookback_scan_determinismE0ELb0ELb0ES3_PKfPffZZZN2at6native31launch_logcumsumexp_cuda_kernelERKNSB_10TensorBaseESF_lENKUlvE_clEvENKUlvE0_clEvEUlffE_fEEDaPvRmT3_T4_T5_mT6_P12ihipStream_tbENKUlT_T0_E_clISt17integral_constantIbLb0EESV_IbLb1EEEEDaSR_SS_EUlSR_E_NS1_11comp_targetILNS1_3genE10ELNS1_11target_archE1201ELNS1_3gpuE5ELNS1_3repE0EEENS1_30default_config_static_selectorELNS0_4arch9wavefront6targetE0EEEvT1_
    .private_segment_fixed_size: 0
    .sgpr_count:     0
    .sgpr_spill_count: 0
    .symbol:         _ZN7rocprim17ROCPRIM_400000_NS6detail17trampoline_kernelINS0_14default_configENS1_20scan_config_selectorIfEEZZNS1_9scan_implILNS1_25lookback_scan_determinismE0ELb0ELb0ES3_PKfPffZZZN2at6native31launch_logcumsumexp_cuda_kernelERKNSB_10TensorBaseESF_lENKUlvE_clEvENKUlvE0_clEvEUlffE_fEEDaPvRmT3_T4_T5_mT6_P12ihipStream_tbENKUlT_T0_E_clISt17integral_constantIbLb0EESV_IbLb1EEEEDaSR_SS_EUlSR_E_NS1_11comp_targetILNS1_3genE10ELNS1_11target_archE1201ELNS1_3gpuE5ELNS1_3repE0EEENS1_30default_config_static_selectorELNS0_4arch9wavefront6targetE0EEEvT1_.kd
    .uniform_work_group_size: 1
    .uses_dynamic_stack: false
    .vgpr_count:     0
    .vgpr_spill_count: 0
    .wavefront_size: 32
    .workgroup_processor_mode: 1
  - .args:
      - .offset:         0
        .size:           96
        .value_kind:     by_value
    .group_segment_fixed_size: 0
    .kernarg_segment_align: 8
    .kernarg_segment_size: 96
    .language:       OpenCL C
    .language_version:
      - 2
      - 0
    .max_flat_workgroup_size: 256
    .name:           _ZN7rocprim17ROCPRIM_400000_NS6detail17trampoline_kernelINS0_14default_configENS1_20scan_config_selectorIfEEZZNS1_9scan_implILNS1_25lookback_scan_determinismE0ELb0ELb0ES3_PKfPffZZZN2at6native31launch_logcumsumexp_cuda_kernelERKNSB_10TensorBaseESF_lENKUlvE_clEvENKUlvE0_clEvEUlffE_fEEDaPvRmT3_T4_T5_mT6_P12ihipStream_tbENKUlT_T0_E_clISt17integral_constantIbLb0EESV_IbLb1EEEEDaSR_SS_EUlSR_E_NS1_11comp_targetILNS1_3genE10ELNS1_11target_archE1200ELNS1_3gpuE4ELNS1_3repE0EEENS1_30default_config_static_selectorELNS0_4arch9wavefront6targetE0EEEvT1_
    .private_segment_fixed_size: 0
    .sgpr_count:     0
    .sgpr_spill_count: 0
    .symbol:         _ZN7rocprim17ROCPRIM_400000_NS6detail17trampoline_kernelINS0_14default_configENS1_20scan_config_selectorIfEEZZNS1_9scan_implILNS1_25lookback_scan_determinismE0ELb0ELb0ES3_PKfPffZZZN2at6native31launch_logcumsumexp_cuda_kernelERKNSB_10TensorBaseESF_lENKUlvE_clEvENKUlvE0_clEvEUlffE_fEEDaPvRmT3_T4_T5_mT6_P12ihipStream_tbENKUlT_T0_E_clISt17integral_constantIbLb0EESV_IbLb1EEEEDaSR_SS_EUlSR_E_NS1_11comp_targetILNS1_3genE10ELNS1_11target_archE1200ELNS1_3gpuE4ELNS1_3repE0EEENS1_30default_config_static_selectorELNS0_4arch9wavefront6targetE0EEEvT1_.kd
    .uniform_work_group_size: 1
    .uses_dynamic_stack: false
    .vgpr_count:     0
    .vgpr_spill_count: 0
    .wavefront_size: 32
    .workgroup_processor_mode: 1
  - .args:
      - .offset:         0
        .size:           96
        .value_kind:     by_value
    .group_segment_fixed_size: 0
    .kernarg_segment_align: 8
    .kernarg_segment_size: 96
    .language:       OpenCL C
    .language_version:
      - 2
      - 0
    .max_flat_workgroup_size: 256
    .name:           _ZN7rocprim17ROCPRIM_400000_NS6detail17trampoline_kernelINS0_14default_configENS1_20scan_config_selectorIfEEZZNS1_9scan_implILNS1_25lookback_scan_determinismE0ELb0ELb0ES3_PKfPffZZZN2at6native31launch_logcumsumexp_cuda_kernelERKNSB_10TensorBaseESF_lENKUlvE_clEvENKUlvE0_clEvEUlffE_fEEDaPvRmT3_T4_T5_mT6_P12ihipStream_tbENKUlT_T0_E_clISt17integral_constantIbLb0EESV_IbLb1EEEEDaSR_SS_EUlSR_E_NS1_11comp_targetILNS1_3genE9ELNS1_11target_archE1100ELNS1_3gpuE3ELNS1_3repE0EEENS1_30default_config_static_selectorELNS0_4arch9wavefront6targetE0EEEvT1_
    .private_segment_fixed_size: 0
    .sgpr_count:     0
    .sgpr_spill_count: 0
    .symbol:         _ZN7rocprim17ROCPRIM_400000_NS6detail17trampoline_kernelINS0_14default_configENS1_20scan_config_selectorIfEEZZNS1_9scan_implILNS1_25lookback_scan_determinismE0ELb0ELb0ES3_PKfPffZZZN2at6native31launch_logcumsumexp_cuda_kernelERKNSB_10TensorBaseESF_lENKUlvE_clEvENKUlvE0_clEvEUlffE_fEEDaPvRmT3_T4_T5_mT6_P12ihipStream_tbENKUlT_T0_E_clISt17integral_constantIbLb0EESV_IbLb1EEEEDaSR_SS_EUlSR_E_NS1_11comp_targetILNS1_3genE9ELNS1_11target_archE1100ELNS1_3gpuE3ELNS1_3repE0EEENS1_30default_config_static_selectorELNS0_4arch9wavefront6targetE0EEEvT1_.kd
    .uniform_work_group_size: 1
    .uses_dynamic_stack: false
    .vgpr_count:     0
    .vgpr_spill_count: 0
    .wavefront_size: 32
    .workgroup_processor_mode: 1
  - .args:
      - .offset:         0
        .size:           96
        .value_kind:     by_value
    .group_segment_fixed_size: 1280
    .kernarg_segment_align: 8
    .kernarg_segment_size: 96
    .language:       OpenCL C
    .language_version:
      - 2
      - 0
    .max_flat_workgroup_size: 64
    .name:           _ZN7rocprim17ROCPRIM_400000_NS6detail17trampoline_kernelINS0_14default_configENS1_20scan_config_selectorIfEEZZNS1_9scan_implILNS1_25lookback_scan_determinismE0ELb0ELb0ES3_PKfPffZZZN2at6native31launch_logcumsumexp_cuda_kernelERKNSB_10TensorBaseESF_lENKUlvE_clEvENKUlvE0_clEvEUlffE_fEEDaPvRmT3_T4_T5_mT6_P12ihipStream_tbENKUlT_T0_E_clISt17integral_constantIbLb0EESV_IbLb1EEEEDaSR_SS_EUlSR_E_NS1_11comp_targetILNS1_3genE8ELNS1_11target_archE1030ELNS1_3gpuE2ELNS1_3repE0EEENS1_30default_config_static_selectorELNS0_4arch9wavefront6targetE0EEEvT1_
    .private_segment_fixed_size: 0
    .sgpr_count:     36
    .sgpr_spill_count: 0
    .symbol:         _ZN7rocprim17ROCPRIM_400000_NS6detail17trampoline_kernelINS0_14default_configENS1_20scan_config_selectorIfEEZZNS1_9scan_implILNS1_25lookback_scan_determinismE0ELb0ELb0ES3_PKfPffZZZN2at6native31launch_logcumsumexp_cuda_kernelERKNSB_10TensorBaseESF_lENKUlvE_clEvENKUlvE0_clEvEUlffE_fEEDaPvRmT3_T4_T5_mT6_P12ihipStream_tbENKUlT_T0_E_clISt17integral_constantIbLb0EESV_IbLb1EEEEDaSR_SS_EUlSR_E_NS1_11comp_targetILNS1_3genE8ELNS1_11target_archE1030ELNS1_3gpuE2ELNS1_3repE0EEENS1_30default_config_static_selectorELNS0_4arch9wavefront6targetE0EEEvT1_.kd
    .uniform_work_group_size: 1
    .uses_dynamic_stack: false
    .vgpr_count:     46
    .vgpr_spill_count: 0
    .wavefront_size: 32
    .workgroup_processor_mode: 1
  - .args:
      - .offset:         0
        .size:           32
        .value_kind:     by_value
    .group_segment_fixed_size: 0
    .kernarg_segment_align: 8
    .kernarg_segment_size: 32
    .language:       OpenCL C
    .language_version:
      - 2
      - 0
    .max_flat_workgroup_size: 256
    .name:           _ZN7rocprim17ROCPRIM_400000_NS6detail17trampoline_kernelINS0_14default_configENS1_20scan_config_selectorIfEEZZNS1_9scan_implILNS1_25lookback_scan_determinismE0ELb0ELb0ES3_PKfPffZZZN2at6native31launch_logcumsumexp_cuda_kernelERKNSB_10TensorBaseESF_lENKUlvE_clEvENKUlvE0_clEvEUlffE_fEEDaPvRmT3_T4_T5_mT6_P12ihipStream_tbENKUlT_T0_E_clISt17integral_constantIbLb0EESV_IbLb1EEEEDaSR_SS_EUlSR_E0_NS1_11comp_targetILNS1_3genE0ELNS1_11target_archE4294967295ELNS1_3gpuE0ELNS1_3repE0EEENS1_30default_config_static_selectorELNS0_4arch9wavefront6targetE0EEEvT1_
    .private_segment_fixed_size: 0
    .sgpr_count:     0
    .sgpr_spill_count: 0
    .symbol:         _ZN7rocprim17ROCPRIM_400000_NS6detail17trampoline_kernelINS0_14default_configENS1_20scan_config_selectorIfEEZZNS1_9scan_implILNS1_25lookback_scan_determinismE0ELb0ELb0ES3_PKfPffZZZN2at6native31launch_logcumsumexp_cuda_kernelERKNSB_10TensorBaseESF_lENKUlvE_clEvENKUlvE0_clEvEUlffE_fEEDaPvRmT3_T4_T5_mT6_P12ihipStream_tbENKUlT_T0_E_clISt17integral_constantIbLb0EESV_IbLb1EEEEDaSR_SS_EUlSR_E0_NS1_11comp_targetILNS1_3genE0ELNS1_11target_archE4294967295ELNS1_3gpuE0ELNS1_3repE0EEENS1_30default_config_static_selectorELNS0_4arch9wavefront6targetE0EEEvT1_.kd
    .uniform_work_group_size: 1
    .uses_dynamic_stack: false
    .vgpr_count:     0
    .vgpr_spill_count: 0
    .wavefront_size: 32
    .workgroup_processor_mode: 1
  - .args:
      - .offset:         0
        .size:           32
        .value_kind:     by_value
    .group_segment_fixed_size: 0
    .kernarg_segment_align: 8
    .kernarg_segment_size: 32
    .language:       OpenCL C
    .language_version:
      - 2
      - 0
    .max_flat_workgroup_size: 256
    .name:           _ZN7rocprim17ROCPRIM_400000_NS6detail17trampoline_kernelINS0_14default_configENS1_20scan_config_selectorIfEEZZNS1_9scan_implILNS1_25lookback_scan_determinismE0ELb0ELb0ES3_PKfPffZZZN2at6native31launch_logcumsumexp_cuda_kernelERKNSB_10TensorBaseESF_lENKUlvE_clEvENKUlvE0_clEvEUlffE_fEEDaPvRmT3_T4_T5_mT6_P12ihipStream_tbENKUlT_T0_E_clISt17integral_constantIbLb0EESV_IbLb1EEEEDaSR_SS_EUlSR_E0_NS1_11comp_targetILNS1_3genE5ELNS1_11target_archE942ELNS1_3gpuE9ELNS1_3repE0EEENS1_30default_config_static_selectorELNS0_4arch9wavefront6targetE0EEEvT1_
    .private_segment_fixed_size: 0
    .sgpr_count:     0
    .sgpr_spill_count: 0
    .symbol:         _ZN7rocprim17ROCPRIM_400000_NS6detail17trampoline_kernelINS0_14default_configENS1_20scan_config_selectorIfEEZZNS1_9scan_implILNS1_25lookback_scan_determinismE0ELb0ELb0ES3_PKfPffZZZN2at6native31launch_logcumsumexp_cuda_kernelERKNSB_10TensorBaseESF_lENKUlvE_clEvENKUlvE0_clEvEUlffE_fEEDaPvRmT3_T4_T5_mT6_P12ihipStream_tbENKUlT_T0_E_clISt17integral_constantIbLb0EESV_IbLb1EEEEDaSR_SS_EUlSR_E0_NS1_11comp_targetILNS1_3genE5ELNS1_11target_archE942ELNS1_3gpuE9ELNS1_3repE0EEENS1_30default_config_static_selectorELNS0_4arch9wavefront6targetE0EEEvT1_.kd
    .uniform_work_group_size: 1
    .uses_dynamic_stack: false
    .vgpr_count:     0
    .vgpr_spill_count: 0
    .wavefront_size: 32
    .workgroup_processor_mode: 1
  - .args:
      - .offset:         0
        .size:           32
        .value_kind:     by_value
    .group_segment_fixed_size: 0
    .kernarg_segment_align: 8
    .kernarg_segment_size: 32
    .language:       OpenCL C
    .language_version:
      - 2
      - 0
    .max_flat_workgroup_size: 128
    .name:           _ZN7rocprim17ROCPRIM_400000_NS6detail17trampoline_kernelINS0_14default_configENS1_20scan_config_selectorIfEEZZNS1_9scan_implILNS1_25lookback_scan_determinismE0ELb0ELb0ES3_PKfPffZZZN2at6native31launch_logcumsumexp_cuda_kernelERKNSB_10TensorBaseESF_lENKUlvE_clEvENKUlvE0_clEvEUlffE_fEEDaPvRmT3_T4_T5_mT6_P12ihipStream_tbENKUlT_T0_E_clISt17integral_constantIbLb0EESV_IbLb1EEEEDaSR_SS_EUlSR_E0_NS1_11comp_targetILNS1_3genE4ELNS1_11target_archE910ELNS1_3gpuE8ELNS1_3repE0EEENS1_30default_config_static_selectorELNS0_4arch9wavefront6targetE0EEEvT1_
    .private_segment_fixed_size: 0
    .sgpr_count:     0
    .sgpr_spill_count: 0
    .symbol:         _ZN7rocprim17ROCPRIM_400000_NS6detail17trampoline_kernelINS0_14default_configENS1_20scan_config_selectorIfEEZZNS1_9scan_implILNS1_25lookback_scan_determinismE0ELb0ELb0ES3_PKfPffZZZN2at6native31launch_logcumsumexp_cuda_kernelERKNSB_10TensorBaseESF_lENKUlvE_clEvENKUlvE0_clEvEUlffE_fEEDaPvRmT3_T4_T5_mT6_P12ihipStream_tbENKUlT_T0_E_clISt17integral_constantIbLb0EESV_IbLb1EEEEDaSR_SS_EUlSR_E0_NS1_11comp_targetILNS1_3genE4ELNS1_11target_archE910ELNS1_3gpuE8ELNS1_3repE0EEENS1_30default_config_static_selectorELNS0_4arch9wavefront6targetE0EEEvT1_.kd
    .uniform_work_group_size: 1
    .uses_dynamic_stack: false
    .vgpr_count:     0
    .vgpr_spill_count: 0
    .wavefront_size: 32
    .workgroup_processor_mode: 1
  - .args:
      - .offset:         0
        .size:           32
        .value_kind:     by_value
    .group_segment_fixed_size: 0
    .kernarg_segment_align: 8
    .kernarg_segment_size: 32
    .language:       OpenCL C
    .language_version:
      - 2
      - 0
    .max_flat_workgroup_size: 256
    .name:           _ZN7rocprim17ROCPRIM_400000_NS6detail17trampoline_kernelINS0_14default_configENS1_20scan_config_selectorIfEEZZNS1_9scan_implILNS1_25lookback_scan_determinismE0ELb0ELb0ES3_PKfPffZZZN2at6native31launch_logcumsumexp_cuda_kernelERKNSB_10TensorBaseESF_lENKUlvE_clEvENKUlvE0_clEvEUlffE_fEEDaPvRmT3_T4_T5_mT6_P12ihipStream_tbENKUlT_T0_E_clISt17integral_constantIbLb0EESV_IbLb1EEEEDaSR_SS_EUlSR_E0_NS1_11comp_targetILNS1_3genE3ELNS1_11target_archE908ELNS1_3gpuE7ELNS1_3repE0EEENS1_30default_config_static_selectorELNS0_4arch9wavefront6targetE0EEEvT1_
    .private_segment_fixed_size: 0
    .sgpr_count:     0
    .sgpr_spill_count: 0
    .symbol:         _ZN7rocprim17ROCPRIM_400000_NS6detail17trampoline_kernelINS0_14default_configENS1_20scan_config_selectorIfEEZZNS1_9scan_implILNS1_25lookback_scan_determinismE0ELb0ELb0ES3_PKfPffZZZN2at6native31launch_logcumsumexp_cuda_kernelERKNSB_10TensorBaseESF_lENKUlvE_clEvENKUlvE0_clEvEUlffE_fEEDaPvRmT3_T4_T5_mT6_P12ihipStream_tbENKUlT_T0_E_clISt17integral_constantIbLb0EESV_IbLb1EEEEDaSR_SS_EUlSR_E0_NS1_11comp_targetILNS1_3genE3ELNS1_11target_archE908ELNS1_3gpuE7ELNS1_3repE0EEENS1_30default_config_static_selectorELNS0_4arch9wavefront6targetE0EEEvT1_.kd
    .uniform_work_group_size: 1
    .uses_dynamic_stack: false
    .vgpr_count:     0
    .vgpr_spill_count: 0
    .wavefront_size: 32
    .workgroup_processor_mode: 1
  - .args:
      - .offset:         0
        .size:           32
        .value_kind:     by_value
    .group_segment_fixed_size: 0
    .kernarg_segment_align: 8
    .kernarg_segment_size: 32
    .language:       OpenCL C
    .language_version:
      - 2
      - 0
    .max_flat_workgroup_size: 256
    .name:           _ZN7rocprim17ROCPRIM_400000_NS6detail17trampoline_kernelINS0_14default_configENS1_20scan_config_selectorIfEEZZNS1_9scan_implILNS1_25lookback_scan_determinismE0ELb0ELb0ES3_PKfPffZZZN2at6native31launch_logcumsumexp_cuda_kernelERKNSB_10TensorBaseESF_lENKUlvE_clEvENKUlvE0_clEvEUlffE_fEEDaPvRmT3_T4_T5_mT6_P12ihipStream_tbENKUlT_T0_E_clISt17integral_constantIbLb0EESV_IbLb1EEEEDaSR_SS_EUlSR_E0_NS1_11comp_targetILNS1_3genE2ELNS1_11target_archE906ELNS1_3gpuE6ELNS1_3repE0EEENS1_30default_config_static_selectorELNS0_4arch9wavefront6targetE0EEEvT1_
    .private_segment_fixed_size: 0
    .sgpr_count:     0
    .sgpr_spill_count: 0
    .symbol:         _ZN7rocprim17ROCPRIM_400000_NS6detail17trampoline_kernelINS0_14default_configENS1_20scan_config_selectorIfEEZZNS1_9scan_implILNS1_25lookback_scan_determinismE0ELb0ELb0ES3_PKfPffZZZN2at6native31launch_logcumsumexp_cuda_kernelERKNSB_10TensorBaseESF_lENKUlvE_clEvENKUlvE0_clEvEUlffE_fEEDaPvRmT3_T4_T5_mT6_P12ihipStream_tbENKUlT_T0_E_clISt17integral_constantIbLb0EESV_IbLb1EEEEDaSR_SS_EUlSR_E0_NS1_11comp_targetILNS1_3genE2ELNS1_11target_archE906ELNS1_3gpuE6ELNS1_3repE0EEENS1_30default_config_static_selectorELNS0_4arch9wavefront6targetE0EEEvT1_.kd
    .uniform_work_group_size: 1
    .uses_dynamic_stack: false
    .vgpr_count:     0
    .vgpr_spill_count: 0
    .wavefront_size: 32
    .workgroup_processor_mode: 1
  - .args:
      - .offset:         0
        .size:           32
        .value_kind:     by_value
    .group_segment_fixed_size: 0
    .kernarg_segment_align: 8
    .kernarg_segment_size: 32
    .language:       OpenCL C
    .language_version:
      - 2
      - 0
    .max_flat_workgroup_size: 256
    .name:           _ZN7rocprim17ROCPRIM_400000_NS6detail17trampoline_kernelINS0_14default_configENS1_20scan_config_selectorIfEEZZNS1_9scan_implILNS1_25lookback_scan_determinismE0ELb0ELb0ES3_PKfPffZZZN2at6native31launch_logcumsumexp_cuda_kernelERKNSB_10TensorBaseESF_lENKUlvE_clEvENKUlvE0_clEvEUlffE_fEEDaPvRmT3_T4_T5_mT6_P12ihipStream_tbENKUlT_T0_E_clISt17integral_constantIbLb0EESV_IbLb1EEEEDaSR_SS_EUlSR_E0_NS1_11comp_targetILNS1_3genE10ELNS1_11target_archE1201ELNS1_3gpuE5ELNS1_3repE0EEENS1_30default_config_static_selectorELNS0_4arch9wavefront6targetE0EEEvT1_
    .private_segment_fixed_size: 0
    .sgpr_count:     0
    .sgpr_spill_count: 0
    .symbol:         _ZN7rocprim17ROCPRIM_400000_NS6detail17trampoline_kernelINS0_14default_configENS1_20scan_config_selectorIfEEZZNS1_9scan_implILNS1_25lookback_scan_determinismE0ELb0ELb0ES3_PKfPffZZZN2at6native31launch_logcumsumexp_cuda_kernelERKNSB_10TensorBaseESF_lENKUlvE_clEvENKUlvE0_clEvEUlffE_fEEDaPvRmT3_T4_T5_mT6_P12ihipStream_tbENKUlT_T0_E_clISt17integral_constantIbLb0EESV_IbLb1EEEEDaSR_SS_EUlSR_E0_NS1_11comp_targetILNS1_3genE10ELNS1_11target_archE1201ELNS1_3gpuE5ELNS1_3repE0EEENS1_30default_config_static_selectorELNS0_4arch9wavefront6targetE0EEEvT1_.kd
    .uniform_work_group_size: 1
    .uses_dynamic_stack: false
    .vgpr_count:     0
    .vgpr_spill_count: 0
    .wavefront_size: 32
    .workgroup_processor_mode: 1
  - .args:
      - .offset:         0
        .size:           32
        .value_kind:     by_value
    .group_segment_fixed_size: 0
    .kernarg_segment_align: 8
    .kernarg_segment_size: 32
    .language:       OpenCL C
    .language_version:
      - 2
      - 0
    .max_flat_workgroup_size: 256
    .name:           _ZN7rocprim17ROCPRIM_400000_NS6detail17trampoline_kernelINS0_14default_configENS1_20scan_config_selectorIfEEZZNS1_9scan_implILNS1_25lookback_scan_determinismE0ELb0ELb0ES3_PKfPffZZZN2at6native31launch_logcumsumexp_cuda_kernelERKNSB_10TensorBaseESF_lENKUlvE_clEvENKUlvE0_clEvEUlffE_fEEDaPvRmT3_T4_T5_mT6_P12ihipStream_tbENKUlT_T0_E_clISt17integral_constantIbLb0EESV_IbLb1EEEEDaSR_SS_EUlSR_E0_NS1_11comp_targetILNS1_3genE10ELNS1_11target_archE1200ELNS1_3gpuE4ELNS1_3repE0EEENS1_30default_config_static_selectorELNS0_4arch9wavefront6targetE0EEEvT1_
    .private_segment_fixed_size: 0
    .sgpr_count:     0
    .sgpr_spill_count: 0
    .symbol:         _ZN7rocprim17ROCPRIM_400000_NS6detail17trampoline_kernelINS0_14default_configENS1_20scan_config_selectorIfEEZZNS1_9scan_implILNS1_25lookback_scan_determinismE0ELb0ELb0ES3_PKfPffZZZN2at6native31launch_logcumsumexp_cuda_kernelERKNSB_10TensorBaseESF_lENKUlvE_clEvENKUlvE0_clEvEUlffE_fEEDaPvRmT3_T4_T5_mT6_P12ihipStream_tbENKUlT_T0_E_clISt17integral_constantIbLb0EESV_IbLb1EEEEDaSR_SS_EUlSR_E0_NS1_11comp_targetILNS1_3genE10ELNS1_11target_archE1200ELNS1_3gpuE4ELNS1_3repE0EEENS1_30default_config_static_selectorELNS0_4arch9wavefront6targetE0EEEvT1_.kd
    .uniform_work_group_size: 1
    .uses_dynamic_stack: false
    .vgpr_count:     0
    .vgpr_spill_count: 0
    .wavefront_size: 32
    .workgroup_processor_mode: 1
  - .args:
      - .offset:         0
        .size:           32
        .value_kind:     by_value
    .group_segment_fixed_size: 0
    .kernarg_segment_align: 8
    .kernarg_segment_size: 32
    .language:       OpenCL C
    .language_version:
      - 2
      - 0
    .max_flat_workgroup_size: 256
    .name:           _ZN7rocprim17ROCPRIM_400000_NS6detail17trampoline_kernelINS0_14default_configENS1_20scan_config_selectorIfEEZZNS1_9scan_implILNS1_25lookback_scan_determinismE0ELb0ELb0ES3_PKfPffZZZN2at6native31launch_logcumsumexp_cuda_kernelERKNSB_10TensorBaseESF_lENKUlvE_clEvENKUlvE0_clEvEUlffE_fEEDaPvRmT3_T4_T5_mT6_P12ihipStream_tbENKUlT_T0_E_clISt17integral_constantIbLb0EESV_IbLb1EEEEDaSR_SS_EUlSR_E0_NS1_11comp_targetILNS1_3genE9ELNS1_11target_archE1100ELNS1_3gpuE3ELNS1_3repE0EEENS1_30default_config_static_selectorELNS0_4arch9wavefront6targetE0EEEvT1_
    .private_segment_fixed_size: 0
    .sgpr_count:     0
    .sgpr_spill_count: 0
    .symbol:         _ZN7rocprim17ROCPRIM_400000_NS6detail17trampoline_kernelINS0_14default_configENS1_20scan_config_selectorIfEEZZNS1_9scan_implILNS1_25lookback_scan_determinismE0ELb0ELb0ES3_PKfPffZZZN2at6native31launch_logcumsumexp_cuda_kernelERKNSB_10TensorBaseESF_lENKUlvE_clEvENKUlvE0_clEvEUlffE_fEEDaPvRmT3_T4_T5_mT6_P12ihipStream_tbENKUlT_T0_E_clISt17integral_constantIbLb0EESV_IbLb1EEEEDaSR_SS_EUlSR_E0_NS1_11comp_targetILNS1_3genE9ELNS1_11target_archE1100ELNS1_3gpuE3ELNS1_3repE0EEENS1_30default_config_static_selectorELNS0_4arch9wavefront6targetE0EEEvT1_.kd
    .uniform_work_group_size: 1
    .uses_dynamic_stack: false
    .vgpr_count:     0
    .vgpr_spill_count: 0
    .wavefront_size: 32
    .workgroup_processor_mode: 1
  - .args:
      - .offset:         0
        .size:           32
        .value_kind:     by_value
    .group_segment_fixed_size: 1280
    .kernarg_segment_align: 8
    .kernarg_segment_size: 32
    .language:       OpenCL C
    .language_version:
      - 2
      - 0
    .max_flat_workgroup_size: 64
    .name:           _ZN7rocprim17ROCPRIM_400000_NS6detail17trampoline_kernelINS0_14default_configENS1_20scan_config_selectorIfEEZZNS1_9scan_implILNS1_25lookback_scan_determinismE0ELb0ELb0ES3_PKfPffZZZN2at6native31launch_logcumsumexp_cuda_kernelERKNSB_10TensorBaseESF_lENKUlvE_clEvENKUlvE0_clEvEUlffE_fEEDaPvRmT3_T4_T5_mT6_P12ihipStream_tbENKUlT_T0_E_clISt17integral_constantIbLb0EESV_IbLb1EEEEDaSR_SS_EUlSR_E0_NS1_11comp_targetILNS1_3genE8ELNS1_11target_archE1030ELNS1_3gpuE2ELNS1_3repE0EEENS1_30default_config_static_selectorELNS0_4arch9wavefront6targetE0EEEvT1_
    .private_segment_fixed_size: 0
    .sgpr_count:     22
    .sgpr_spill_count: 0
    .symbol:         _ZN7rocprim17ROCPRIM_400000_NS6detail17trampoline_kernelINS0_14default_configENS1_20scan_config_selectorIfEEZZNS1_9scan_implILNS1_25lookback_scan_determinismE0ELb0ELb0ES3_PKfPffZZZN2at6native31launch_logcumsumexp_cuda_kernelERKNSB_10TensorBaseESF_lENKUlvE_clEvENKUlvE0_clEvEUlffE_fEEDaPvRmT3_T4_T5_mT6_P12ihipStream_tbENKUlT_T0_E_clISt17integral_constantIbLb0EESV_IbLb1EEEEDaSR_SS_EUlSR_E0_NS1_11comp_targetILNS1_3genE8ELNS1_11target_archE1030ELNS1_3gpuE2ELNS1_3repE0EEENS1_30default_config_static_selectorELNS0_4arch9wavefront6targetE0EEEvT1_.kd
    .uniform_work_group_size: 1
    .uses_dynamic_stack: false
    .vgpr_count:     35
    .vgpr_spill_count: 0
    .wavefront_size: 32
    .workgroup_processor_mode: 1
  - .args:
      - .address_space:  global
        .offset:         0
        .size:           8
        .value_kind:     global_buffer
      - .address_space:  global
        .offset:         8
        .size:           8
        .value_kind:     global_buffer
      - .offset:         16
        .size:           4
        .value_kind:     by_value
      - .offset:         20
        .size:           4
        .value_kind:     by_value
      - .offset:         24
        .size:           4
        .value_kind:     by_value
      - .offset:         28
        .size:           4
        .value_kind:     by_value
      - .offset:         32
        .size:           1
        .value_kind:     by_value
      - .offset:         40
        .size:           4
        .value_kind:     hidden_block_count_x
      - .offset:         44
        .size:           4
        .value_kind:     hidden_block_count_y
      - .offset:         48
        .size:           4
        .value_kind:     hidden_block_count_z
      - .offset:         52
        .size:           2
        .value_kind:     hidden_group_size_x
      - .offset:         54
        .size:           2
        .value_kind:     hidden_group_size_y
      - .offset:         56
        .size:           2
        .value_kind:     hidden_group_size_z
      - .offset:         58
        .size:           2
        .value_kind:     hidden_remainder_x
      - .offset:         60
        .size:           2
        .value_kind:     hidden_remainder_y
      - .offset:         62
        .size:           2
        .value_kind:     hidden_remainder_z
      - .offset:         80
        .size:           8
        .value_kind:     hidden_global_offset_x
      - .offset:         88
        .size:           8
        .value_kind:     hidden_global_offset_y
      - .offset:         96
        .size:           8
        .value_kind:     hidden_global_offset_z
      - .offset:         104
        .size:           2
        .value_kind:     hidden_grid_dims
      - .offset:         160
        .size:           4
        .value_kind:     hidden_dynamic_lds_size
    .group_segment_fixed_size: 0
    .kernarg_segment_align: 8
    .kernarg_segment_size: 296
    .language:       OpenCL C
    .language_version:
      - 2
      - 0
    .max_flat_workgroup_size: 1024
    .name:           _ZN2at6native32tensor_kernel_scan_innermost_dimIfZZZNS0_31launch_logcumsumexp_cuda_kernelERKNS_10TensorBaseES4_lENKUlvE_clEvENKUlvE0_clEvEUlffE_EEvPT_PKS8_jjjS8_T0_
    .private_segment_fixed_size: 0
    .sgpr_count:     30
    .sgpr_spill_count: 0
    .symbol:         _ZN2at6native32tensor_kernel_scan_innermost_dimIfZZZNS0_31launch_logcumsumexp_cuda_kernelERKNS_10TensorBaseES4_lENKUlvE_clEvENKUlvE0_clEvEUlffE_EEvPT_PKS8_jjjS8_T0_.kd
    .uniform_work_group_size: 1
    .uses_dynamic_stack: false
    .vgpr_count:     31
    .vgpr_spill_count: 0
    .wavefront_size: 32
    .workgroup_processor_mode: 1
  - .args:
      - .address_space:  global
        .offset:         0
        .size:           8
        .value_kind:     global_buffer
      - .address_space:  global
        .offset:         8
        .size:           8
        .value_kind:     global_buffer
      - .offset:         16
        .size:           4
        .value_kind:     by_value
      - .offset:         20
        .size:           4
        .value_kind:     by_value
      - .offset:         24
        .size:           4
        .value_kind:     by_value
      - .offset:         28
        .size:           4
        .value_kind:     by_value
      - .offset:         32
        .size:           1
        .value_kind:     by_value
      - .offset:         40
        .size:           4
        .value_kind:     hidden_block_count_x
      - .offset:         44
        .size:           4
        .value_kind:     hidden_block_count_y
      - .offset:         48
        .size:           4
        .value_kind:     hidden_block_count_z
      - .offset:         52
        .size:           2
        .value_kind:     hidden_group_size_x
      - .offset:         54
        .size:           2
        .value_kind:     hidden_group_size_y
      - .offset:         56
        .size:           2
        .value_kind:     hidden_group_size_z
      - .offset:         58
        .size:           2
        .value_kind:     hidden_remainder_x
      - .offset:         60
        .size:           2
        .value_kind:     hidden_remainder_y
      - .offset:         62
        .size:           2
        .value_kind:     hidden_remainder_z
      - .offset:         80
        .size:           8
        .value_kind:     hidden_global_offset_x
      - .offset:         88
        .size:           8
        .value_kind:     hidden_global_offset_y
      - .offset:         96
        .size:           8
        .value_kind:     hidden_global_offset_z
      - .offset:         104
        .size:           2
        .value_kind:     hidden_grid_dims
    .group_segment_fixed_size: 0
    .kernarg_segment_align: 8
    .kernarg_segment_size: 296
    .language:       OpenCL C
    .language_version:
      - 2
      - 0
    .max_flat_workgroup_size: 1024
    .name:           _ZN2at6native28tensor_kernel_scan_outer_dimIfjZZZNS0_31launch_logcumsumexp_cuda_kernelERKNS_10TensorBaseES4_lENKUlvE_clEvENKUlvE0_clEvEUlffE_EEvPT_PKS8_jjjS8_T1_
    .private_segment_fixed_size: 0
    .sgpr_count:     31
    .sgpr_spill_count: 0
    .symbol:         _ZN2at6native28tensor_kernel_scan_outer_dimIfjZZZNS0_31launch_logcumsumexp_cuda_kernelERKNS_10TensorBaseES4_lENKUlvE_clEvENKUlvE0_clEvEUlffE_EEvPT_PKS8_jjjS8_T1_.kd
    .uniform_work_group_size: 1
    .uses_dynamic_stack: false
    .vgpr_count:     19
    .vgpr_spill_count: 0
    .wavefront_size: 32
    .workgroup_processor_mode: 1
  - .args:
      - .address_space:  global
        .offset:         0
        .size:           8
        .value_kind:     global_buffer
      - .address_space:  global
        .offset:         8
        .size:           8
        .value_kind:     global_buffer
      - .offset:         16
        .size:           4
        .value_kind:     by_value
      - .offset:         20
        .size:           4
        .value_kind:     by_value
      - .offset:         24
        .size:           4
        .value_kind:     by_value
      - .offset:         28
        .size:           4
        .value_kind:     by_value
      - .offset:         32
        .size:           1
        .value_kind:     by_value
      - .offset:         40
        .size:           4
        .value_kind:     hidden_block_count_x
      - .offset:         44
        .size:           4
        .value_kind:     hidden_block_count_y
      - .offset:         48
        .size:           4
        .value_kind:     hidden_block_count_z
      - .offset:         52
        .size:           2
        .value_kind:     hidden_group_size_x
      - .offset:         54
        .size:           2
        .value_kind:     hidden_group_size_y
      - .offset:         56
        .size:           2
        .value_kind:     hidden_group_size_z
      - .offset:         58
        .size:           2
        .value_kind:     hidden_remainder_x
      - .offset:         60
        .size:           2
        .value_kind:     hidden_remainder_y
      - .offset:         62
        .size:           2
        .value_kind:     hidden_remainder_z
      - .offset:         80
        .size:           8
        .value_kind:     hidden_global_offset_x
      - .offset:         88
        .size:           8
        .value_kind:     hidden_global_offset_y
      - .offset:         96
        .size:           8
        .value_kind:     hidden_global_offset_z
      - .offset:         104
        .size:           2
        .value_kind:     hidden_grid_dims
    .group_segment_fixed_size: 0
    .kernarg_segment_align: 8
    .kernarg_segment_size: 296
    .language:       OpenCL C
    .language_version:
      - 2
      - 0
    .max_flat_workgroup_size: 1024
    .name:           _ZN2at6native28tensor_kernel_scan_outer_dimIfmZZZNS0_31launch_logcumsumexp_cuda_kernelERKNS_10TensorBaseES4_lENKUlvE_clEvENKUlvE0_clEvEUlffE_EEvPT_PKS8_jjjS8_T1_
    .private_segment_fixed_size: 0
    .sgpr_count:     30
    .sgpr_spill_count: 0
    .symbol:         _ZN2at6native28tensor_kernel_scan_outer_dimIfmZZZNS0_31launch_logcumsumexp_cuda_kernelERKNS_10TensorBaseES4_lENKUlvE_clEvENKUlvE0_clEvEUlffE_EEvPT_PKS8_jjjS8_T1_.kd
    .uniform_work_group_size: 1
    .uses_dynamic_stack: false
    .vgpr_count:     19
    .vgpr_spill_count: 0
    .wavefront_size: 32
    .workgroup_processor_mode: 1
  - .args:
      - .offset:         0
        .size:           24
        .value_kind:     by_value
      - .offset:         24
        .size:           4
        .value_kind:     by_value
      - .offset:         28
        .size:           1
        .value_kind:     by_value
      - .offset:         32
        .size:           4
        .value_kind:     by_value
      - .address_space:  global
        .offset:         40
        .size:           8
        .value_kind:     global_buffer
      - .offset:         48
        .size:           4
        .value_kind:     hidden_block_count_x
      - .offset:         52
        .size:           4
        .value_kind:     hidden_block_count_y
      - .offset:         56
        .size:           4
        .value_kind:     hidden_block_count_z
      - .offset:         60
        .size:           2
        .value_kind:     hidden_group_size_x
      - .offset:         62
        .size:           2
        .value_kind:     hidden_group_size_y
      - .offset:         64
        .size:           2
        .value_kind:     hidden_group_size_z
      - .offset:         66
        .size:           2
        .value_kind:     hidden_remainder_x
      - .offset:         68
        .size:           2
        .value_kind:     hidden_remainder_y
      - .offset:         70
        .size:           2
        .value_kind:     hidden_remainder_z
      - .offset:         88
        .size:           8
        .value_kind:     hidden_global_offset_x
      - .offset:         96
        .size:           8
        .value_kind:     hidden_global_offset_y
      - .offset:         104
        .size:           8
        .value_kind:     hidden_global_offset_z
      - .offset:         112
        .size:           2
        .value_kind:     hidden_grid_dims
    .group_segment_fixed_size: 0
    .kernarg_segment_align: 8
    .kernarg_segment_size: 304
    .language:       OpenCL C
    .language_version:
      - 2
      - 0
    .max_flat_workgroup_size: 256
    .name:           _ZN7rocprim17ROCPRIM_400000_NS6detail31init_lookback_scan_state_kernelINS1_19lookback_scan_stateIN3c107complexIdEELb0ELb0EEENS1_16block_id_wrapperIjLb0EEEEEvT_jT0_jPNSA_10value_typeE
    .private_segment_fixed_size: 0
    .sgpr_count:     18
    .sgpr_spill_count: 0
    .symbol:         _ZN7rocprim17ROCPRIM_400000_NS6detail31init_lookback_scan_state_kernelINS1_19lookback_scan_stateIN3c107complexIdEELb0ELb0EEENS1_16block_id_wrapperIjLb0EEEEEvT_jT0_jPNSA_10value_typeE.kd
    .uniform_work_group_size: 1
    .uses_dynamic_stack: false
    .vgpr_count:     6
    .vgpr_spill_count: 0
    .wavefront_size: 32
    .workgroup_processor_mode: 1
  - .args:
      - .offset:         0
        .size:           128
        .value_kind:     by_value
    .group_segment_fixed_size: 0
    .kernarg_segment_align: 16
    .kernarg_segment_size: 128
    .language:       OpenCL C
    .language_version:
      - 2
      - 0
    .max_flat_workgroup_size: 128
    .name:           _ZN7rocprim17ROCPRIM_400000_NS6detail17trampoline_kernelINS0_14default_configENS1_20scan_config_selectorIN3c107complexIdEEEEZZNS1_9scan_implILNS1_25lookback_scan_determinismE0ELb0ELb0ES3_PKS7_PS7_S7_ZZZN2at6native31launch_logcumsumexp_cuda_kernelERKNSE_10TensorBaseESI_lENKUlvE_clEvENKUlvE1_clEvEUlS7_S7_E_S7_EEDaPvRmT3_T4_T5_mT6_P12ihipStream_tbENKUlT_T0_E_clISt17integral_constantIbLb0EESZ_EEDaSU_SV_EUlSU_E_NS1_11comp_targetILNS1_3genE0ELNS1_11target_archE4294967295ELNS1_3gpuE0ELNS1_3repE0EEENS1_30default_config_static_selectorELNS0_4arch9wavefront6targetE0EEEvT1_
    .private_segment_fixed_size: 0
    .sgpr_count:     0
    .sgpr_spill_count: 0
    .symbol:         _ZN7rocprim17ROCPRIM_400000_NS6detail17trampoline_kernelINS0_14default_configENS1_20scan_config_selectorIN3c107complexIdEEEEZZNS1_9scan_implILNS1_25lookback_scan_determinismE0ELb0ELb0ES3_PKS7_PS7_S7_ZZZN2at6native31launch_logcumsumexp_cuda_kernelERKNSE_10TensorBaseESI_lENKUlvE_clEvENKUlvE1_clEvEUlS7_S7_E_S7_EEDaPvRmT3_T4_T5_mT6_P12ihipStream_tbENKUlT_T0_E_clISt17integral_constantIbLb0EESZ_EEDaSU_SV_EUlSU_E_NS1_11comp_targetILNS1_3genE0ELNS1_11target_archE4294967295ELNS1_3gpuE0ELNS1_3repE0EEENS1_30default_config_static_selectorELNS0_4arch9wavefront6targetE0EEEvT1_.kd
    .uniform_work_group_size: 1
    .uses_dynamic_stack: false
    .vgpr_count:     0
    .vgpr_spill_count: 0
    .wavefront_size: 32
    .workgroup_processor_mode: 1
  - .args:
      - .offset:         0
        .size:           128
        .value_kind:     by_value
    .group_segment_fixed_size: 0
    .kernarg_segment_align: 16
    .kernarg_segment_size: 128
    .language:       OpenCL C
    .language_version:
      - 2
      - 0
    .max_flat_workgroup_size: 256
    .name:           _ZN7rocprim17ROCPRIM_400000_NS6detail17trampoline_kernelINS0_14default_configENS1_20scan_config_selectorIN3c107complexIdEEEEZZNS1_9scan_implILNS1_25lookback_scan_determinismE0ELb0ELb0ES3_PKS7_PS7_S7_ZZZN2at6native31launch_logcumsumexp_cuda_kernelERKNSE_10TensorBaseESI_lENKUlvE_clEvENKUlvE1_clEvEUlS7_S7_E_S7_EEDaPvRmT3_T4_T5_mT6_P12ihipStream_tbENKUlT_T0_E_clISt17integral_constantIbLb0EESZ_EEDaSU_SV_EUlSU_E_NS1_11comp_targetILNS1_3genE5ELNS1_11target_archE942ELNS1_3gpuE9ELNS1_3repE0EEENS1_30default_config_static_selectorELNS0_4arch9wavefront6targetE0EEEvT1_
    .private_segment_fixed_size: 0
    .sgpr_count:     0
    .sgpr_spill_count: 0
    .symbol:         _ZN7rocprim17ROCPRIM_400000_NS6detail17trampoline_kernelINS0_14default_configENS1_20scan_config_selectorIN3c107complexIdEEEEZZNS1_9scan_implILNS1_25lookback_scan_determinismE0ELb0ELb0ES3_PKS7_PS7_S7_ZZZN2at6native31launch_logcumsumexp_cuda_kernelERKNSE_10TensorBaseESI_lENKUlvE_clEvENKUlvE1_clEvEUlS7_S7_E_S7_EEDaPvRmT3_T4_T5_mT6_P12ihipStream_tbENKUlT_T0_E_clISt17integral_constantIbLb0EESZ_EEDaSU_SV_EUlSU_E_NS1_11comp_targetILNS1_3genE5ELNS1_11target_archE942ELNS1_3gpuE9ELNS1_3repE0EEENS1_30default_config_static_selectorELNS0_4arch9wavefront6targetE0EEEvT1_.kd
    .uniform_work_group_size: 1
    .uses_dynamic_stack: false
    .vgpr_count:     0
    .vgpr_spill_count: 0
    .wavefront_size: 32
    .workgroup_processor_mode: 1
  - .args:
      - .offset:         0
        .size:           128
        .value_kind:     by_value
    .group_segment_fixed_size: 0
    .kernarg_segment_align: 16
    .kernarg_segment_size: 128
    .language:       OpenCL C
    .language_version:
      - 2
      - 0
    .max_flat_workgroup_size: 64
    .name:           _ZN7rocprim17ROCPRIM_400000_NS6detail17trampoline_kernelINS0_14default_configENS1_20scan_config_selectorIN3c107complexIdEEEEZZNS1_9scan_implILNS1_25lookback_scan_determinismE0ELb0ELb0ES3_PKS7_PS7_S7_ZZZN2at6native31launch_logcumsumexp_cuda_kernelERKNSE_10TensorBaseESI_lENKUlvE_clEvENKUlvE1_clEvEUlS7_S7_E_S7_EEDaPvRmT3_T4_T5_mT6_P12ihipStream_tbENKUlT_T0_E_clISt17integral_constantIbLb0EESZ_EEDaSU_SV_EUlSU_E_NS1_11comp_targetILNS1_3genE4ELNS1_11target_archE910ELNS1_3gpuE8ELNS1_3repE0EEENS1_30default_config_static_selectorELNS0_4arch9wavefront6targetE0EEEvT1_
    .private_segment_fixed_size: 0
    .sgpr_count:     0
    .sgpr_spill_count: 0
    .symbol:         _ZN7rocprim17ROCPRIM_400000_NS6detail17trampoline_kernelINS0_14default_configENS1_20scan_config_selectorIN3c107complexIdEEEEZZNS1_9scan_implILNS1_25lookback_scan_determinismE0ELb0ELb0ES3_PKS7_PS7_S7_ZZZN2at6native31launch_logcumsumexp_cuda_kernelERKNSE_10TensorBaseESI_lENKUlvE_clEvENKUlvE1_clEvEUlS7_S7_E_S7_EEDaPvRmT3_T4_T5_mT6_P12ihipStream_tbENKUlT_T0_E_clISt17integral_constantIbLb0EESZ_EEDaSU_SV_EUlSU_E_NS1_11comp_targetILNS1_3genE4ELNS1_11target_archE910ELNS1_3gpuE8ELNS1_3repE0EEENS1_30default_config_static_selectorELNS0_4arch9wavefront6targetE0EEEvT1_.kd
    .uniform_work_group_size: 1
    .uses_dynamic_stack: false
    .vgpr_count:     0
    .vgpr_spill_count: 0
    .wavefront_size: 32
    .workgroup_processor_mode: 1
  - .args:
      - .offset:         0
        .size:           128
        .value_kind:     by_value
    .group_segment_fixed_size: 0
    .kernarg_segment_align: 16
    .kernarg_segment_size: 128
    .language:       OpenCL C
    .language_version:
      - 2
      - 0
    .max_flat_workgroup_size: 128
    .name:           _ZN7rocprim17ROCPRIM_400000_NS6detail17trampoline_kernelINS0_14default_configENS1_20scan_config_selectorIN3c107complexIdEEEEZZNS1_9scan_implILNS1_25lookback_scan_determinismE0ELb0ELb0ES3_PKS7_PS7_S7_ZZZN2at6native31launch_logcumsumexp_cuda_kernelERKNSE_10TensorBaseESI_lENKUlvE_clEvENKUlvE1_clEvEUlS7_S7_E_S7_EEDaPvRmT3_T4_T5_mT6_P12ihipStream_tbENKUlT_T0_E_clISt17integral_constantIbLb0EESZ_EEDaSU_SV_EUlSU_E_NS1_11comp_targetILNS1_3genE3ELNS1_11target_archE908ELNS1_3gpuE7ELNS1_3repE0EEENS1_30default_config_static_selectorELNS0_4arch9wavefront6targetE0EEEvT1_
    .private_segment_fixed_size: 0
    .sgpr_count:     0
    .sgpr_spill_count: 0
    .symbol:         _ZN7rocprim17ROCPRIM_400000_NS6detail17trampoline_kernelINS0_14default_configENS1_20scan_config_selectorIN3c107complexIdEEEEZZNS1_9scan_implILNS1_25lookback_scan_determinismE0ELb0ELb0ES3_PKS7_PS7_S7_ZZZN2at6native31launch_logcumsumexp_cuda_kernelERKNSE_10TensorBaseESI_lENKUlvE_clEvENKUlvE1_clEvEUlS7_S7_E_S7_EEDaPvRmT3_T4_T5_mT6_P12ihipStream_tbENKUlT_T0_E_clISt17integral_constantIbLb0EESZ_EEDaSU_SV_EUlSU_E_NS1_11comp_targetILNS1_3genE3ELNS1_11target_archE908ELNS1_3gpuE7ELNS1_3repE0EEENS1_30default_config_static_selectorELNS0_4arch9wavefront6targetE0EEEvT1_.kd
    .uniform_work_group_size: 1
    .uses_dynamic_stack: false
    .vgpr_count:     0
    .vgpr_spill_count: 0
    .wavefront_size: 32
    .workgroup_processor_mode: 1
  - .args:
      - .offset:         0
        .size:           128
        .value_kind:     by_value
    .group_segment_fixed_size: 0
    .kernarg_segment_align: 16
    .kernarg_segment_size: 128
    .language:       OpenCL C
    .language_version:
      - 2
      - 0
    .max_flat_workgroup_size: 64
    .name:           _ZN7rocprim17ROCPRIM_400000_NS6detail17trampoline_kernelINS0_14default_configENS1_20scan_config_selectorIN3c107complexIdEEEEZZNS1_9scan_implILNS1_25lookback_scan_determinismE0ELb0ELb0ES3_PKS7_PS7_S7_ZZZN2at6native31launch_logcumsumexp_cuda_kernelERKNSE_10TensorBaseESI_lENKUlvE_clEvENKUlvE1_clEvEUlS7_S7_E_S7_EEDaPvRmT3_T4_T5_mT6_P12ihipStream_tbENKUlT_T0_E_clISt17integral_constantIbLb0EESZ_EEDaSU_SV_EUlSU_E_NS1_11comp_targetILNS1_3genE2ELNS1_11target_archE906ELNS1_3gpuE6ELNS1_3repE0EEENS1_30default_config_static_selectorELNS0_4arch9wavefront6targetE0EEEvT1_
    .private_segment_fixed_size: 0
    .sgpr_count:     0
    .sgpr_spill_count: 0
    .symbol:         _ZN7rocprim17ROCPRIM_400000_NS6detail17trampoline_kernelINS0_14default_configENS1_20scan_config_selectorIN3c107complexIdEEEEZZNS1_9scan_implILNS1_25lookback_scan_determinismE0ELb0ELb0ES3_PKS7_PS7_S7_ZZZN2at6native31launch_logcumsumexp_cuda_kernelERKNSE_10TensorBaseESI_lENKUlvE_clEvENKUlvE1_clEvEUlS7_S7_E_S7_EEDaPvRmT3_T4_T5_mT6_P12ihipStream_tbENKUlT_T0_E_clISt17integral_constantIbLb0EESZ_EEDaSU_SV_EUlSU_E_NS1_11comp_targetILNS1_3genE2ELNS1_11target_archE906ELNS1_3gpuE6ELNS1_3repE0EEENS1_30default_config_static_selectorELNS0_4arch9wavefront6targetE0EEEvT1_.kd
    .uniform_work_group_size: 1
    .uses_dynamic_stack: false
    .vgpr_count:     0
    .vgpr_spill_count: 0
    .wavefront_size: 32
    .workgroup_processor_mode: 1
  - .args:
      - .offset:         0
        .size:           128
        .value_kind:     by_value
    .group_segment_fixed_size: 0
    .kernarg_segment_align: 16
    .kernarg_segment_size: 128
    .language:       OpenCL C
    .language_version:
      - 2
      - 0
    .max_flat_workgroup_size: 256
    .name:           _ZN7rocprim17ROCPRIM_400000_NS6detail17trampoline_kernelINS0_14default_configENS1_20scan_config_selectorIN3c107complexIdEEEEZZNS1_9scan_implILNS1_25lookback_scan_determinismE0ELb0ELb0ES3_PKS7_PS7_S7_ZZZN2at6native31launch_logcumsumexp_cuda_kernelERKNSE_10TensorBaseESI_lENKUlvE_clEvENKUlvE1_clEvEUlS7_S7_E_S7_EEDaPvRmT3_T4_T5_mT6_P12ihipStream_tbENKUlT_T0_E_clISt17integral_constantIbLb0EESZ_EEDaSU_SV_EUlSU_E_NS1_11comp_targetILNS1_3genE10ELNS1_11target_archE1201ELNS1_3gpuE5ELNS1_3repE0EEENS1_30default_config_static_selectorELNS0_4arch9wavefront6targetE0EEEvT1_
    .private_segment_fixed_size: 0
    .sgpr_count:     0
    .sgpr_spill_count: 0
    .symbol:         _ZN7rocprim17ROCPRIM_400000_NS6detail17trampoline_kernelINS0_14default_configENS1_20scan_config_selectorIN3c107complexIdEEEEZZNS1_9scan_implILNS1_25lookback_scan_determinismE0ELb0ELb0ES3_PKS7_PS7_S7_ZZZN2at6native31launch_logcumsumexp_cuda_kernelERKNSE_10TensorBaseESI_lENKUlvE_clEvENKUlvE1_clEvEUlS7_S7_E_S7_EEDaPvRmT3_T4_T5_mT6_P12ihipStream_tbENKUlT_T0_E_clISt17integral_constantIbLb0EESZ_EEDaSU_SV_EUlSU_E_NS1_11comp_targetILNS1_3genE10ELNS1_11target_archE1201ELNS1_3gpuE5ELNS1_3repE0EEENS1_30default_config_static_selectorELNS0_4arch9wavefront6targetE0EEEvT1_.kd
    .uniform_work_group_size: 1
    .uses_dynamic_stack: false
    .vgpr_count:     0
    .vgpr_spill_count: 0
    .wavefront_size: 32
    .workgroup_processor_mode: 1
  - .args:
      - .offset:         0
        .size:           128
        .value_kind:     by_value
    .group_segment_fixed_size: 0
    .kernarg_segment_align: 16
    .kernarg_segment_size: 128
    .language:       OpenCL C
    .language_version:
      - 2
      - 0
    .max_flat_workgroup_size: 256
    .name:           _ZN7rocprim17ROCPRIM_400000_NS6detail17trampoline_kernelINS0_14default_configENS1_20scan_config_selectorIN3c107complexIdEEEEZZNS1_9scan_implILNS1_25lookback_scan_determinismE0ELb0ELb0ES3_PKS7_PS7_S7_ZZZN2at6native31launch_logcumsumexp_cuda_kernelERKNSE_10TensorBaseESI_lENKUlvE_clEvENKUlvE1_clEvEUlS7_S7_E_S7_EEDaPvRmT3_T4_T5_mT6_P12ihipStream_tbENKUlT_T0_E_clISt17integral_constantIbLb0EESZ_EEDaSU_SV_EUlSU_E_NS1_11comp_targetILNS1_3genE10ELNS1_11target_archE1200ELNS1_3gpuE4ELNS1_3repE0EEENS1_30default_config_static_selectorELNS0_4arch9wavefront6targetE0EEEvT1_
    .private_segment_fixed_size: 0
    .sgpr_count:     0
    .sgpr_spill_count: 0
    .symbol:         _ZN7rocprim17ROCPRIM_400000_NS6detail17trampoline_kernelINS0_14default_configENS1_20scan_config_selectorIN3c107complexIdEEEEZZNS1_9scan_implILNS1_25lookback_scan_determinismE0ELb0ELb0ES3_PKS7_PS7_S7_ZZZN2at6native31launch_logcumsumexp_cuda_kernelERKNSE_10TensorBaseESI_lENKUlvE_clEvENKUlvE1_clEvEUlS7_S7_E_S7_EEDaPvRmT3_T4_T5_mT6_P12ihipStream_tbENKUlT_T0_E_clISt17integral_constantIbLb0EESZ_EEDaSU_SV_EUlSU_E_NS1_11comp_targetILNS1_3genE10ELNS1_11target_archE1200ELNS1_3gpuE4ELNS1_3repE0EEENS1_30default_config_static_selectorELNS0_4arch9wavefront6targetE0EEEvT1_.kd
    .uniform_work_group_size: 1
    .uses_dynamic_stack: false
    .vgpr_count:     0
    .vgpr_spill_count: 0
    .wavefront_size: 32
    .workgroup_processor_mode: 1
  - .args:
      - .offset:         0
        .size:           128
        .value_kind:     by_value
    .group_segment_fixed_size: 0
    .kernarg_segment_align: 16
    .kernarg_segment_size: 128
    .language:       OpenCL C
    .language_version:
      - 2
      - 0
    .max_flat_workgroup_size: 256
    .name:           _ZN7rocprim17ROCPRIM_400000_NS6detail17trampoline_kernelINS0_14default_configENS1_20scan_config_selectorIN3c107complexIdEEEEZZNS1_9scan_implILNS1_25lookback_scan_determinismE0ELb0ELb0ES3_PKS7_PS7_S7_ZZZN2at6native31launch_logcumsumexp_cuda_kernelERKNSE_10TensorBaseESI_lENKUlvE_clEvENKUlvE1_clEvEUlS7_S7_E_S7_EEDaPvRmT3_T4_T5_mT6_P12ihipStream_tbENKUlT_T0_E_clISt17integral_constantIbLb0EESZ_EEDaSU_SV_EUlSU_E_NS1_11comp_targetILNS1_3genE9ELNS1_11target_archE1100ELNS1_3gpuE3ELNS1_3repE0EEENS1_30default_config_static_selectorELNS0_4arch9wavefront6targetE0EEEvT1_
    .private_segment_fixed_size: 0
    .sgpr_count:     0
    .sgpr_spill_count: 0
    .symbol:         _ZN7rocprim17ROCPRIM_400000_NS6detail17trampoline_kernelINS0_14default_configENS1_20scan_config_selectorIN3c107complexIdEEEEZZNS1_9scan_implILNS1_25lookback_scan_determinismE0ELb0ELb0ES3_PKS7_PS7_S7_ZZZN2at6native31launch_logcumsumexp_cuda_kernelERKNSE_10TensorBaseESI_lENKUlvE_clEvENKUlvE1_clEvEUlS7_S7_E_S7_EEDaPvRmT3_T4_T5_mT6_P12ihipStream_tbENKUlT_T0_E_clISt17integral_constantIbLb0EESZ_EEDaSU_SV_EUlSU_E_NS1_11comp_targetILNS1_3genE9ELNS1_11target_archE1100ELNS1_3gpuE3ELNS1_3repE0EEENS1_30default_config_static_selectorELNS0_4arch9wavefront6targetE0EEEvT1_.kd
    .uniform_work_group_size: 1
    .uses_dynamic_stack: false
    .vgpr_count:     0
    .vgpr_spill_count: 0
    .wavefront_size: 32
    .workgroup_processor_mode: 1
  - .args:
      - .offset:         0
        .size:           128
        .value_kind:     by_value
    .group_segment_fixed_size: 8448
    .kernarg_segment_align: 16
    .kernarg_segment_size: 128
    .language:       OpenCL C
    .language_version:
      - 2
      - 0
    .max_flat_workgroup_size: 256
    .name:           _ZN7rocprim17ROCPRIM_400000_NS6detail17trampoline_kernelINS0_14default_configENS1_20scan_config_selectorIN3c107complexIdEEEEZZNS1_9scan_implILNS1_25lookback_scan_determinismE0ELb0ELb0ES3_PKS7_PS7_S7_ZZZN2at6native31launch_logcumsumexp_cuda_kernelERKNSE_10TensorBaseESI_lENKUlvE_clEvENKUlvE1_clEvEUlS7_S7_E_S7_EEDaPvRmT3_T4_T5_mT6_P12ihipStream_tbENKUlT_T0_E_clISt17integral_constantIbLb0EESZ_EEDaSU_SV_EUlSU_E_NS1_11comp_targetILNS1_3genE8ELNS1_11target_archE1030ELNS1_3gpuE2ELNS1_3repE0EEENS1_30default_config_static_selectorELNS0_4arch9wavefront6targetE0EEEvT1_
    .private_segment_fixed_size: 0
    .sgpr_count:     67
    .sgpr_spill_count: 0
    .symbol:         _ZN7rocprim17ROCPRIM_400000_NS6detail17trampoline_kernelINS0_14default_configENS1_20scan_config_selectorIN3c107complexIdEEEEZZNS1_9scan_implILNS1_25lookback_scan_determinismE0ELb0ELb0ES3_PKS7_PS7_S7_ZZZN2at6native31launch_logcumsumexp_cuda_kernelERKNSE_10TensorBaseESI_lENKUlvE_clEvENKUlvE1_clEvEUlS7_S7_E_S7_EEDaPvRmT3_T4_T5_mT6_P12ihipStream_tbENKUlT_T0_E_clISt17integral_constantIbLb0EESZ_EEDaSU_SV_EUlSU_E_NS1_11comp_targetILNS1_3genE8ELNS1_11target_archE1030ELNS1_3gpuE2ELNS1_3repE0EEENS1_30default_config_static_selectorELNS0_4arch9wavefront6targetE0EEEvT1_.kd
    .uniform_work_group_size: 1
    .uses_dynamic_stack: false
    .vgpr_count:     103
    .vgpr_spill_count: 0
    .wavefront_size: 32
    .workgroup_processor_mode: 1
  - .args:
      - .offset:         0
        .size:           40
        .value_kind:     by_value
    .group_segment_fixed_size: 0
    .kernarg_segment_align: 8
    .kernarg_segment_size: 40
    .language:       OpenCL C
    .language_version:
      - 2
      - 0
    .max_flat_workgroup_size: 128
    .name:           _ZN7rocprim17ROCPRIM_400000_NS6detail17trampoline_kernelINS0_14default_configENS1_25transform_config_selectorIN3c107complexIdEELb1EEEZNS1_14transform_implILb1ES3_S8_PS7_SA_NS0_8identityIS7_EEEE10hipError_tT2_T3_mT4_P12ihipStream_tbEUlT_E_NS1_11comp_targetILNS1_3genE0ELNS1_11target_archE4294967295ELNS1_3gpuE0ELNS1_3repE0EEENS1_30default_config_static_selectorELNS0_4arch9wavefront6targetE0EEEvT1_
    .private_segment_fixed_size: 0
    .sgpr_count:     0
    .sgpr_spill_count: 0
    .symbol:         _ZN7rocprim17ROCPRIM_400000_NS6detail17trampoline_kernelINS0_14default_configENS1_25transform_config_selectorIN3c107complexIdEELb1EEEZNS1_14transform_implILb1ES3_S8_PS7_SA_NS0_8identityIS7_EEEE10hipError_tT2_T3_mT4_P12ihipStream_tbEUlT_E_NS1_11comp_targetILNS1_3genE0ELNS1_11target_archE4294967295ELNS1_3gpuE0ELNS1_3repE0EEENS1_30default_config_static_selectorELNS0_4arch9wavefront6targetE0EEEvT1_.kd
    .uniform_work_group_size: 1
    .uses_dynamic_stack: false
    .vgpr_count:     0
    .vgpr_spill_count: 0
    .wavefront_size: 32
    .workgroup_processor_mode: 1
  - .args:
      - .offset:         0
        .size:           40
        .value_kind:     by_value
    .group_segment_fixed_size: 0
    .kernarg_segment_align: 8
    .kernarg_segment_size: 40
    .language:       OpenCL C
    .language_version:
      - 2
      - 0
    .max_flat_workgroup_size: 64
    .name:           _ZN7rocprim17ROCPRIM_400000_NS6detail17trampoline_kernelINS0_14default_configENS1_25transform_config_selectorIN3c107complexIdEELb1EEEZNS1_14transform_implILb1ES3_S8_PS7_SA_NS0_8identityIS7_EEEE10hipError_tT2_T3_mT4_P12ihipStream_tbEUlT_E_NS1_11comp_targetILNS1_3genE10ELNS1_11target_archE1201ELNS1_3gpuE5ELNS1_3repE0EEENS1_30default_config_static_selectorELNS0_4arch9wavefront6targetE0EEEvT1_
    .private_segment_fixed_size: 0
    .sgpr_count:     0
    .sgpr_spill_count: 0
    .symbol:         _ZN7rocprim17ROCPRIM_400000_NS6detail17trampoline_kernelINS0_14default_configENS1_25transform_config_selectorIN3c107complexIdEELb1EEEZNS1_14transform_implILb1ES3_S8_PS7_SA_NS0_8identityIS7_EEEE10hipError_tT2_T3_mT4_P12ihipStream_tbEUlT_E_NS1_11comp_targetILNS1_3genE10ELNS1_11target_archE1201ELNS1_3gpuE5ELNS1_3repE0EEENS1_30default_config_static_selectorELNS0_4arch9wavefront6targetE0EEEvT1_.kd
    .uniform_work_group_size: 1
    .uses_dynamic_stack: false
    .vgpr_count:     0
    .vgpr_spill_count: 0
    .wavefront_size: 32
    .workgroup_processor_mode: 1
  - .args:
      - .offset:         0
        .size:           40
        .value_kind:     by_value
    .group_segment_fixed_size: 0
    .kernarg_segment_align: 8
    .kernarg_segment_size: 40
    .language:       OpenCL C
    .language_version:
      - 2
      - 0
    .max_flat_workgroup_size: 256
    .name:           _ZN7rocprim17ROCPRIM_400000_NS6detail17trampoline_kernelINS0_14default_configENS1_25transform_config_selectorIN3c107complexIdEELb1EEEZNS1_14transform_implILb1ES3_S8_PS7_SA_NS0_8identityIS7_EEEE10hipError_tT2_T3_mT4_P12ihipStream_tbEUlT_E_NS1_11comp_targetILNS1_3genE5ELNS1_11target_archE942ELNS1_3gpuE9ELNS1_3repE0EEENS1_30default_config_static_selectorELNS0_4arch9wavefront6targetE0EEEvT1_
    .private_segment_fixed_size: 0
    .sgpr_count:     0
    .sgpr_spill_count: 0
    .symbol:         _ZN7rocprim17ROCPRIM_400000_NS6detail17trampoline_kernelINS0_14default_configENS1_25transform_config_selectorIN3c107complexIdEELb1EEEZNS1_14transform_implILb1ES3_S8_PS7_SA_NS0_8identityIS7_EEEE10hipError_tT2_T3_mT4_P12ihipStream_tbEUlT_E_NS1_11comp_targetILNS1_3genE5ELNS1_11target_archE942ELNS1_3gpuE9ELNS1_3repE0EEENS1_30default_config_static_selectorELNS0_4arch9wavefront6targetE0EEEvT1_.kd
    .uniform_work_group_size: 1
    .uses_dynamic_stack: false
    .vgpr_count:     0
    .vgpr_spill_count: 0
    .wavefront_size: 32
    .workgroup_processor_mode: 1
  - .args:
      - .offset:         0
        .size:           40
        .value_kind:     by_value
    .group_segment_fixed_size: 0
    .kernarg_segment_align: 8
    .kernarg_segment_size: 40
    .language:       OpenCL C
    .language_version:
      - 2
      - 0
    .max_flat_workgroup_size: 1024
    .name:           _ZN7rocprim17ROCPRIM_400000_NS6detail17trampoline_kernelINS0_14default_configENS1_25transform_config_selectorIN3c107complexIdEELb1EEEZNS1_14transform_implILb1ES3_S8_PS7_SA_NS0_8identityIS7_EEEE10hipError_tT2_T3_mT4_P12ihipStream_tbEUlT_E_NS1_11comp_targetILNS1_3genE4ELNS1_11target_archE910ELNS1_3gpuE8ELNS1_3repE0EEENS1_30default_config_static_selectorELNS0_4arch9wavefront6targetE0EEEvT1_
    .private_segment_fixed_size: 0
    .sgpr_count:     0
    .sgpr_spill_count: 0
    .symbol:         _ZN7rocprim17ROCPRIM_400000_NS6detail17trampoline_kernelINS0_14default_configENS1_25transform_config_selectorIN3c107complexIdEELb1EEEZNS1_14transform_implILb1ES3_S8_PS7_SA_NS0_8identityIS7_EEEE10hipError_tT2_T3_mT4_P12ihipStream_tbEUlT_E_NS1_11comp_targetILNS1_3genE4ELNS1_11target_archE910ELNS1_3gpuE8ELNS1_3repE0EEENS1_30default_config_static_selectorELNS0_4arch9wavefront6targetE0EEEvT1_.kd
    .uniform_work_group_size: 1
    .uses_dynamic_stack: false
    .vgpr_count:     0
    .vgpr_spill_count: 0
    .wavefront_size: 32
    .workgroup_processor_mode: 1
  - .args:
      - .offset:         0
        .size:           40
        .value_kind:     by_value
    .group_segment_fixed_size: 0
    .kernarg_segment_align: 8
    .kernarg_segment_size: 40
    .language:       OpenCL C
    .language_version:
      - 2
      - 0
    .max_flat_workgroup_size: 128
    .name:           _ZN7rocprim17ROCPRIM_400000_NS6detail17trampoline_kernelINS0_14default_configENS1_25transform_config_selectorIN3c107complexIdEELb1EEEZNS1_14transform_implILb1ES3_S8_PS7_SA_NS0_8identityIS7_EEEE10hipError_tT2_T3_mT4_P12ihipStream_tbEUlT_E_NS1_11comp_targetILNS1_3genE3ELNS1_11target_archE908ELNS1_3gpuE7ELNS1_3repE0EEENS1_30default_config_static_selectorELNS0_4arch9wavefront6targetE0EEEvT1_
    .private_segment_fixed_size: 0
    .sgpr_count:     0
    .sgpr_spill_count: 0
    .symbol:         _ZN7rocprim17ROCPRIM_400000_NS6detail17trampoline_kernelINS0_14default_configENS1_25transform_config_selectorIN3c107complexIdEELb1EEEZNS1_14transform_implILb1ES3_S8_PS7_SA_NS0_8identityIS7_EEEE10hipError_tT2_T3_mT4_P12ihipStream_tbEUlT_E_NS1_11comp_targetILNS1_3genE3ELNS1_11target_archE908ELNS1_3gpuE7ELNS1_3repE0EEENS1_30default_config_static_selectorELNS0_4arch9wavefront6targetE0EEEvT1_.kd
    .uniform_work_group_size: 1
    .uses_dynamic_stack: false
    .vgpr_count:     0
    .vgpr_spill_count: 0
    .wavefront_size: 32
    .workgroup_processor_mode: 1
  - .args:
      - .offset:         0
        .size:           40
        .value_kind:     by_value
    .group_segment_fixed_size: 0
    .kernarg_segment_align: 8
    .kernarg_segment_size: 40
    .language:       OpenCL C
    .language_version:
      - 2
      - 0
    .max_flat_workgroup_size: 1024
    .name:           _ZN7rocprim17ROCPRIM_400000_NS6detail17trampoline_kernelINS0_14default_configENS1_25transform_config_selectorIN3c107complexIdEELb1EEEZNS1_14transform_implILb1ES3_S8_PS7_SA_NS0_8identityIS7_EEEE10hipError_tT2_T3_mT4_P12ihipStream_tbEUlT_E_NS1_11comp_targetILNS1_3genE2ELNS1_11target_archE906ELNS1_3gpuE6ELNS1_3repE0EEENS1_30default_config_static_selectorELNS0_4arch9wavefront6targetE0EEEvT1_
    .private_segment_fixed_size: 0
    .sgpr_count:     0
    .sgpr_spill_count: 0
    .symbol:         _ZN7rocprim17ROCPRIM_400000_NS6detail17trampoline_kernelINS0_14default_configENS1_25transform_config_selectorIN3c107complexIdEELb1EEEZNS1_14transform_implILb1ES3_S8_PS7_SA_NS0_8identityIS7_EEEE10hipError_tT2_T3_mT4_P12ihipStream_tbEUlT_E_NS1_11comp_targetILNS1_3genE2ELNS1_11target_archE906ELNS1_3gpuE6ELNS1_3repE0EEENS1_30default_config_static_selectorELNS0_4arch9wavefront6targetE0EEEvT1_.kd
    .uniform_work_group_size: 1
    .uses_dynamic_stack: false
    .vgpr_count:     0
    .vgpr_spill_count: 0
    .wavefront_size: 32
    .workgroup_processor_mode: 1
  - .args:
      - .offset:         0
        .size:           40
        .value_kind:     by_value
    .group_segment_fixed_size: 0
    .kernarg_segment_align: 8
    .kernarg_segment_size: 40
    .language:       OpenCL C
    .language_version:
      - 2
      - 0
    .max_flat_workgroup_size: 1024
    .name:           _ZN7rocprim17ROCPRIM_400000_NS6detail17trampoline_kernelINS0_14default_configENS1_25transform_config_selectorIN3c107complexIdEELb1EEEZNS1_14transform_implILb1ES3_S8_PS7_SA_NS0_8identityIS7_EEEE10hipError_tT2_T3_mT4_P12ihipStream_tbEUlT_E_NS1_11comp_targetILNS1_3genE9ELNS1_11target_archE1100ELNS1_3gpuE3ELNS1_3repE0EEENS1_30default_config_static_selectorELNS0_4arch9wavefront6targetE0EEEvT1_
    .private_segment_fixed_size: 0
    .sgpr_count:     0
    .sgpr_spill_count: 0
    .symbol:         _ZN7rocprim17ROCPRIM_400000_NS6detail17trampoline_kernelINS0_14default_configENS1_25transform_config_selectorIN3c107complexIdEELb1EEEZNS1_14transform_implILb1ES3_S8_PS7_SA_NS0_8identityIS7_EEEE10hipError_tT2_T3_mT4_P12ihipStream_tbEUlT_E_NS1_11comp_targetILNS1_3genE9ELNS1_11target_archE1100ELNS1_3gpuE3ELNS1_3repE0EEENS1_30default_config_static_selectorELNS0_4arch9wavefront6targetE0EEEvT1_.kd
    .uniform_work_group_size: 1
    .uses_dynamic_stack: false
    .vgpr_count:     0
    .vgpr_spill_count: 0
    .wavefront_size: 32
    .workgroup_processor_mode: 1
  - .args:
      - .offset:         0
        .size:           40
        .value_kind:     by_value
      - .offset:         40
        .size:           4
        .value_kind:     hidden_block_count_x
      - .offset:         44
        .size:           4
        .value_kind:     hidden_block_count_y
      - .offset:         48
        .size:           4
        .value_kind:     hidden_block_count_z
      - .offset:         52
        .size:           2
        .value_kind:     hidden_group_size_x
      - .offset:         54
        .size:           2
        .value_kind:     hidden_group_size_y
      - .offset:         56
        .size:           2
        .value_kind:     hidden_group_size_z
      - .offset:         58
        .size:           2
        .value_kind:     hidden_remainder_x
      - .offset:         60
        .size:           2
        .value_kind:     hidden_remainder_y
      - .offset:         62
        .size:           2
        .value_kind:     hidden_remainder_z
      - .offset:         80
        .size:           8
        .value_kind:     hidden_global_offset_x
      - .offset:         88
        .size:           8
        .value_kind:     hidden_global_offset_y
      - .offset:         96
        .size:           8
        .value_kind:     hidden_global_offset_z
      - .offset:         104
        .size:           2
        .value_kind:     hidden_grid_dims
    .group_segment_fixed_size: 0
    .kernarg_segment_align: 8
    .kernarg_segment_size: 296
    .language:       OpenCL C
    .language_version:
      - 2
      - 0
    .max_flat_workgroup_size: 1024
    .name:           _ZN7rocprim17ROCPRIM_400000_NS6detail17trampoline_kernelINS0_14default_configENS1_25transform_config_selectorIN3c107complexIdEELb1EEEZNS1_14transform_implILb1ES3_S8_PS7_SA_NS0_8identityIS7_EEEE10hipError_tT2_T3_mT4_P12ihipStream_tbEUlT_E_NS1_11comp_targetILNS1_3genE8ELNS1_11target_archE1030ELNS1_3gpuE2ELNS1_3repE0EEENS1_30default_config_static_selectorELNS0_4arch9wavefront6targetE0EEEvT1_
    .private_segment_fixed_size: 0
    .sgpr_count:     14
    .sgpr_spill_count: 0
    .symbol:         _ZN7rocprim17ROCPRIM_400000_NS6detail17trampoline_kernelINS0_14default_configENS1_25transform_config_selectorIN3c107complexIdEELb1EEEZNS1_14transform_implILb1ES3_S8_PS7_SA_NS0_8identityIS7_EEEE10hipError_tT2_T3_mT4_P12ihipStream_tbEUlT_E_NS1_11comp_targetILNS1_3genE8ELNS1_11target_archE1030ELNS1_3gpuE2ELNS1_3repE0EEENS1_30default_config_static_selectorELNS0_4arch9wavefront6targetE0EEEvT1_.kd
    .uniform_work_group_size: 1
    .uses_dynamic_stack: false
    .vgpr_count:     5
    .vgpr_spill_count: 0
    .wavefront_size: 32
    .workgroup_processor_mode: 1
  - .args:
      - .offset:         0
        .size:           48
        .value_kind:     by_value
    .group_segment_fixed_size: 0
    .kernarg_segment_align: 16
    .kernarg_segment_size: 48
    .language:       OpenCL C
    .language_version:
      - 2
      - 0
    .max_flat_workgroup_size: 128
    .name:           _ZN7rocprim17ROCPRIM_400000_NS6detail17trampoline_kernelINS0_14default_configENS1_20scan_config_selectorIN3c107complexIdEEEEZZNS1_9scan_implILNS1_25lookback_scan_determinismE0ELb0ELb0ES3_PKS7_PS7_S7_ZZZN2at6native31launch_logcumsumexp_cuda_kernelERKNSE_10TensorBaseESI_lENKUlvE_clEvENKUlvE1_clEvEUlS7_S7_E_S7_EEDaPvRmT3_T4_T5_mT6_P12ihipStream_tbENKUlT_T0_E_clISt17integral_constantIbLb0EESZ_EEDaSU_SV_EUlSU_E0_NS1_11comp_targetILNS1_3genE0ELNS1_11target_archE4294967295ELNS1_3gpuE0ELNS1_3repE0EEENS1_30default_config_static_selectorELNS0_4arch9wavefront6targetE0EEEvT1_
    .private_segment_fixed_size: 0
    .sgpr_count:     0
    .sgpr_spill_count: 0
    .symbol:         _ZN7rocprim17ROCPRIM_400000_NS6detail17trampoline_kernelINS0_14default_configENS1_20scan_config_selectorIN3c107complexIdEEEEZZNS1_9scan_implILNS1_25lookback_scan_determinismE0ELb0ELb0ES3_PKS7_PS7_S7_ZZZN2at6native31launch_logcumsumexp_cuda_kernelERKNSE_10TensorBaseESI_lENKUlvE_clEvENKUlvE1_clEvEUlS7_S7_E_S7_EEDaPvRmT3_T4_T5_mT6_P12ihipStream_tbENKUlT_T0_E_clISt17integral_constantIbLb0EESZ_EEDaSU_SV_EUlSU_E0_NS1_11comp_targetILNS1_3genE0ELNS1_11target_archE4294967295ELNS1_3gpuE0ELNS1_3repE0EEENS1_30default_config_static_selectorELNS0_4arch9wavefront6targetE0EEEvT1_.kd
    .uniform_work_group_size: 1
    .uses_dynamic_stack: false
    .vgpr_count:     0
    .vgpr_spill_count: 0
    .wavefront_size: 32
    .workgroup_processor_mode: 1
  - .args:
      - .offset:         0
        .size:           48
        .value_kind:     by_value
    .group_segment_fixed_size: 0
    .kernarg_segment_align: 16
    .kernarg_segment_size: 48
    .language:       OpenCL C
    .language_version:
      - 2
      - 0
    .max_flat_workgroup_size: 256
    .name:           _ZN7rocprim17ROCPRIM_400000_NS6detail17trampoline_kernelINS0_14default_configENS1_20scan_config_selectorIN3c107complexIdEEEEZZNS1_9scan_implILNS1_25lookback_scan_determinismE0ELb0ELb0ES3_PKS7_PS7_S7_ZZZN2at6native31launch_logcumsumexp_cuda_kernelERKNSE_10TensorBaseESI_lENKUlvE_clEvENKUlvE1_clEvEUlS7_S7_E_S7_EEDaPvRmT3_T4_T5_mT6_P12ihipStream_tbENKUlT_T0_E_clISt17integral_constantIbLb0EESZ_EEDaSU_SV_EUlSU_E0_NS1_11comp_targetILNS1_3genE5ELNS1_11target_archE942ELNS1_3gpuE9ELNS1_3repE0EEENS1_30default_config_static_selectorELNS0_4arch9wavefront6targetE0EEEvT1_
    .private_segment_fixed_size: 0
    .sgpr_count:     0
    .sgpr_spill_count: 0
    .symbol:         _ZN7rocprim17ROCPRIM_400000_NS6detail17trampoline_kernelINS0_14default_configENS1_20scan_config_selectorIN3c107complexIdEEEEZZNS1_9scan_implILNS1_25lookback_scan_determinismE0ELb0ELb0ES3_PKS7_PS7_S7_ZZZN2at6native31launch_logcumsumexp_cuda_kernelERKNSE_10TensorBaseESI_lENKUlvE_clEvENKUlvE1_clEvEUlS7_S7_E_S7_EEDaPvRmT3_T4_T5_mT6_P12ihipStream_tbENKUlT_T0_E_clISt17integral_constantIbLb0EESZ_EEDaSU_SV_EUlSU_E0_NS1_11comp_targetILNS1_3genE5ELNS1_11target_archE942ELNS1_3gpuE9ELNS1_3repE0EEENS1_30default_config_static_selectorELNS0_4arch9wavefront6targetE0EEEvT1_.kd
    .uniform_work_group_size: 1
    .uses_dynamic_stack: false
    .vgpr_count:     0
    .vgpr_spill_count: 0
    .wavefront_size: 32
    .workgroup_processor_mode: 1
  - .args:
      - .offset:         0
        .size:           48
        .value_kind:     by_value
    .group_segment_fixed_size: 0
    .kernarg_segment_align: 16
    .kernarg_segment_size: 48
    .language:       OpenCL C
    .language_version:
      - 2
      - 0
    .max_flat_workgroup_size: 64
    .name:           _ZN7rocprim17ROCPRIM_400000_NS6detail17trampoline_kernelINS0_14default_configENS1_20scan_config_selectorIN3c107complexIdEEEEZZNS1_9scan_implILNS1_25lookback_scan_determinismE0ELb0ELb0ES3_PKS7_PS7_S7_ZZZN2at6native31launch_logcumsumexp_cuda_kernelERKNSE_10TensorBaseESI_lENKUlvE_clEvENKUlvE1_clEvEUlS7_S7_E_S7_EEDaPvRmT3_T4_T5_mT6_P12ihipStream_tbENKUlT_T0_E_clISt17integral_constantIbLb0EESZ_EEDaSU_SV_EUlSU_E0_NS1_11comp_targetILNS1_3genE4ELNS1_11target_archE910ELNS1_3gpuE8ELNS1_3repE0EEENS1_30default_config_static_selectorELNS0_4arch9wavefront6targetE0EEEvT1_
    .private_segment_fixed_size: 0
    .sgpr_count:     0
    .sgpr_spill_count: 0
    .symbol:         _ZN7rocprim17ROCPRIM_400000_NS6detail17trampoline_kernelINS0_14default_configENS1_20scan_config_selectorIN3c107complexIdEEEEZZNS1_9scan_implILNS1_25lookback_scan_determinismE0ELb0ELb0ES3_PKS7_PS7_S7_ZZZN2at6native31launch_logcumsumexp_cuda_kernelERKNSE_10TensorBaseESI_lENKUlvE_clEvENKUlvE1_clEvEUlS7_S7_E_S7_EEDaPvRmT3_T4_T5_mT6_P12ihipStream_tbENKUlT_T0_E_clISt17integral_constantIbLb0EESZ_EEDaSU_SV_EUlSU_E0_NS1_11comp_targetILNS1_3genE4ELNS1_11target_archE910ELNS1_3gpuE8ELNS1_3repE0EEENS1_30default_config_static_selectorELNS0_4arch9wavefront6targetE0EEEvT1_.kd
    .uniform_work_group_size: 1
    .uses_dynamic_stack: false
    .vgpr_count:     0
    .vgpr_spill_count: 0
    .wavefront_size: 32
    .workgroup_processor_mode: 1
  - .args:
      - .offset:         0
        .size:           48
        .value_kind:     by_value
    .group_segment_fixed_size: 0
    .kernarg_segment_align: 16
    .kernarg_segment_size: 48
    .language:       OpenCL C
    .language_version:
      - 2
      - 0
    .max_flat_workgroup_size: 128
    .name:           _ZN7rocprim17ROCPRIM_400000_NS6detail17trampoline_kernelINS0_14default_configENS1_20scan_config_selectorIN3c107complexIdEEEEZZNS1_9scan_implILNS1_25lookback_scan_determinismE0ELb0ELb0ES3_PKS7_PS7_S7_ZZZN2at6native31launch_logcumsumexp_cuda_kernelERKNSE_10TensorBaseESI_lENKUlvE_clEvENKUlvE1_clEvEUlS7_S7_E_S7_EEDaPvRmT3_T4_T5_mT6_P12ihipStream_tbENKUlT_T0_E_clISt17integral_constantIbLb0EESZ_EEDaSU_SV_EUlSU_E0_NS1_11comp_targetILNS1_3genE3ELNS1_11target_archE908ELNS1_3gpuE7ELNS1_3repE0EEENS1_30default_config_static_selectorELNS0_4arch9wavefront6targetE0EEEvT1_
    .private_segment_fixed_size: 0
    .sgpr_count:     0
    .sgpr_spill_count: 0
    .symbol:         _ZN7rocprim17ROCPRIM_400000_NS6detail17trampoline_kernelINS0_14default_configENS1_20scan_config_selectorIN3c107complexIdEEEEZZNS1_9scan_implILNS1_25lookback_scan_determinismE0ELb0ELb0ES3_PKS7_PS7_S7_ZZZN2at6native31launch_logcumsumexp_cuda_kernelERKNSE_10TensorBaseESI_lENKUlvE_clEvENKUlvE1_clEvEUlS7_S7_E_S7_EEDaPvRmT3_T4_T5_mT6_P12ihipStream_tbENKUlT_T0_E_clISt17integral_constantIbLb0EESZ_EEDaSU_SV_EUlSU_E0_NS1_11comp_targetILNS1_3genE3ELNS1_11target_archE908ELNS1_3gpuE7ELNS1_3repE0EEENS1_30default_config_static_selectorELNS0_4arch9wavefront6targetE0EEEvT1_.kd
    .uniform_work_group_size: 1
    .uses_dynamic_stack: false
    .vgpr_count:     0
    .vgpr_spill_count: 0
    .wavefront_size: 32
    .workgroup_processor_mode: 1
  - .args:
      - .offset:         0
        .size:           48
        .value_kind:     by_value
    .group_segment_fixed_size: 0
    .kernarg_segment_align: 16
    .kernarg_segment_size: 48
    .language:       OpenCL C
    .language_version:
      - 2
      - 0
    .max_flat_workgroup_size: 64
    .name:           _ZN7rocprim17ROCPRIM_400000_NS6detail17trampoline_kernelINS0_14default_configENS1_20scan_config_selectorIN3c107complexIdEEEEZZNS1_9scan_implILNS1_25lookback_scan_determinismE0ELb0ELb0ES3_PKS7_PS7_S7_ZZZN2at6native31launch_logcumsumexp_cuda_kernelERKNSE_10TensorBaseESI_lENKUlvE_clEvENKUlvE1_clEvEUlS7_S7_E_S7_EEDaPvRmT3_T4_T5_mT6_P12ihipStream_tbENKUlT_T0_E_clISt17integral_constantIbLb0EESZ_EEDaSU_SV_EUlSU_E0_NS1_11comp_targetILNS1_3genE2ELNS1_11target_archE906ELNS1_3gpuE6ELNS1_3repE0EEENS1_30default_config_static_selectorELNS0_4arch9wavefront6targetE0EEEvT1_
    .private_segment_fixed_size: 0
    .sgpr_count:     0
    .sgpr_spill_count: 0
    .symbol:         _ZN7rocprim17ROCPRIM_400000_NS6detail17trampoline_kernelINS0_14default_configENS1_20scan_config_selectorIN3c107complexIdEEEEZZNS1_9scan_implILNS1_25lookback_scan_determinismE0ELb0ELb0ES3_PKS7_PS7_S7_ZZZN2at6native31launch_logcumsumexp_cuda_kernelERKNSE_10TensorBaseESI_lENKUlvE_clEvENKUlvE1_clEvEUlS7_S7_E_S7_EEDaPvRmT3_T4_T5_mT6_P12ihipStream_tbENKUlT_T0_E_clISt17integral_constantIbLb0EESZ_EEDaSU_SV_EUlSU_E0_NS1_11comp_targetILNS1_3genE2ELNS1_11target_archE906ELNS1_3gpuE6ELNS1_3repE0EEENS1_30default_config_static_selectorELNS0_4arch9wavefront6targetE0EEEvT1_.kd
    .uniform_work_group_size: 1
    .uses_dynamic_stack: false
    .vgpr_count:     0
    .vgpr_spill_count: 0
    .wavefront_size: 32
    .workgroup_processor_mode: 1
  - .args:
      - .offset:         0
        .size:           48
        .value_kind:     by_value
    .group_segment_fixed_size: 0
    .kernarg_segment_align: 16
    .kernarg_segment_size: 48
    .language:       OpenCL C
    .language_version:
      - 2
      - 0
    .max_flat_workgroup_size: 256
    .name:           _ZN7rocprim17ROCPRIM_400000_NS6detail17trampoline_kernelINS0_14default_configENS1_20scan_config_selectorIN3c107complexIdEEEEZZNS1_9scan_implILNS1_25lookback_scan_determinismE0ELb0ELb0ES3_PKS7_PS7_S7_ZZZN2at6native31launch_logcumsumexp_cuda_kernelERKNSE_10TensorBaseESI_lENKUlvE_clEvENKUlvE1_clEvEUlS7_S7_E_S7_EEDaPvRmT3_T4_T5_mT6_P12ihipStream_tbENKUlT_T0_E_clISt17integral_constantIbLb0EESZ_EEDaSU_SV_EUlSU_E0_NS1_11comp_targetILNS1_3genE10ELNS1_11target_archE1201ELNS1_3gpuE5ELNS1_3repE0EEENS1_30default_config_static_selectorELNS0_4arch9wavefront6targetE0EEEvT1_
    .private_segment_fixed_size: 0
    .sgpr_count:     0
    .sgpr_spill_count: 0
    .symbol:         _ZN7rocprim17ROCPRIM_400000_NS6detail17trampoline_kernelINS0_14default_configENS1_20scan_config_selectorIN3c107complexIdEEEEZZNS1_9scan_implILNS1_25lookback_scan_determinismE0ELb0ELb0ES3_PKS7_PS7_S7_ZZZN2at6native31launch_logcumsumexp_cuda_kernelERKNSE_10TensorBaseESI_lENKUlvE_clEvENKUlvE1_clEvEUlS7_S7_E_S7_EEDaPvRmT3_T4_T5_mT6_P12ihipStream_tbENKUlT_T0_E_clISt17integral_constantIbLb0EESZ_EEDaSU_SV_EUlSU_E0_NS1_11comp_targetILNS1_3genE10ELNS1_11target_archE1201ELNS1_3gpuE5ELNS1_3repE0EEENS1_30default_config_static_selectorELNS0_4arch9wavefront6targetE0EEEvT1_.kd
    .uniform_work_group_size: 1
    .uses_dynamic_stack: false
    .vgpr_count:     0
    .vgpr_spill_count: 0
    .wavefront_size: 32
    .workgroup_processor_mode: 1
  - .args:
      - .offset:         0
        .size:           48
        .value_kind:     by_value
    .group_segment_fixed_size: 0
    .kernarg_segment_align: 16
    .kernarg_segment_size: 48
    .language:       OpenCL C
    .language_version:
      - 2
      - 0
    .max_flat_workgroup_size: 256
    .name:           _ZN7rocprim17ROCPRIM_400000_NS6detail17trampoline_kernelINS0_14default_configENS1_20scan_config_selectorIN3c107complexIdEEEEZZNS1_9scan_implILNS1_25lookback_scan_determinismE0ELb0ELb0ES3_PKS7_PS7_S7_ZZZN2at6native31launch_logcumsumexp_cuda_kernelERKNSE_10TensorBaseESI_lENKUlvE_clEvENKUlvE1_clEvEUlS7_S7_E_S7_EEDaPvRmT3_T4_T5_mT6_P12ihipStream_tbENKUlT_T0_E_clISt17integral_constantIbLb0EESZ_EEDaSU_SV_EUlSU_E0_NS1_11comp_targetILNS1_3genE10ELNS1_11target_archE1200ELNS1_3gpuE4ELNS1_3repE0EEENS1_30default_config_static_selectorELNS0_4arch9wavefront6targetE0EEEvT1_
    .private_segment_fixed_size: 0
    .sgpr_count:     0
    .sgpr_spill_count: 0
    .symbol:         _ZN7rocprim17ROCPRIM_400000_NS6detail17trampoline_kernelINS0_14default_configENS1_20scan_config_selectorIN3c107complexIdEEEEZZNS1_9scan_implILNS1_25lookback_scan_determinismE0ELb0ELb0ES3_PKS7_PS7_S7_ZZZN2at6native31launch_logcumsumexp_cuda_kernelERKNSE_10TensorBaseESI_lENKUlvE_clEvENKUlvE1_clEvEUlS7_S7_E_S7_EEDaPvRmT3_T4_T5_mT6_P12ihipStream_tbENKUlT_T0_E_clISt17integral_constantIbLb0EESZ_EEDaSU_SV_EUlSU_E0_NS1_11comp_targetILNS1_3genE10ELNS1_11target_archE1200ELNS1_3gpuE4ELNS1_3repE0EEENS1_30default_config_static_selectorELNS0_4arch9wavefront6targetE0EEEvT1_.kd
    .uniform_work_group_size: 1
    .uses_dynamic_stack: false
    .vgpr_count:     0
    .vgpr_spill_count: 0
    .wavefront_size: 32
    .workgroup_processor_mode: 1
  - .args:
      - .offset:         0
        .size:           48
        .value_kind:     by_value
    .group_segment_fixed_size: 0
    .kernarg_segment_align: 16
    .kernarg_segment_size: 48
    .language:       OpenCL C
    .language_version:
      - 2
      - 0
    .max_flat_workgroup_size: 256
    .name:           _ZN7rocprim17ROCPRIM_400000_NS6detail17trampoline_kernelINS0_14default_configENS1_20scan_config_selectorIN3c107complexIdEEEEZZNS1_9scan_implILNS1_25lookback_scan_determinismE0ELb0ELb0ES3_PKS7_PS7_S7_ZZZN2at6native31launch_logcumsumexp_cuda_kernelERKNSE_10TensorBaseESI_lENKUlvE_clEvENKUlvE1_clEvEUlS7_S7_E_S7_EEDaPvRmT3_T4_T5_mT6_P12ihipStream_tbENKUlT_T0_E_clISt17integral_constantIbLb0EESZ_EEDaSU_SV_EUlSU_E0_NS1_11comp_targetILNS1_3genE9ELNS1_11target_archE1100ELNS1_3gpuE3ELNS1_3repE0EEENS1_30default_config_static_selectorELNS0_4arch9wavefront6targetE0EEEvT1_
    .private_segment_fixed_size: 0
    .sgpr_count:     0
    .sgpr_spill_count: 0
    .symbol:         _ZN7rocprim17ROCPRIM_400000_NS6detail17trampoline_kernelINS0_14default_configENS1_20scan_config_selectorIN3c107complexIdEEEEZZNS1_9scan_implILNS1_25lookback_scan_determinismE0ELb0ELb0ES3_PKS7_PS7_S7_ZZZN2at6native31launch_logcumsumexp_cuda_kernelERKNSE_10TensorBaseESI_lENKUlvE_clEvENKUlvE1_clEvEUlS7_S7_E_S7_EEDaPvRmT3_T4_T5_mT6_P12ihipStream_tbENKUlT_T0_E_clISt17integral_constantIbLb0EESZ_EEDaSU_SV_EUlSU_E0_NS1_11comp_targetILNS1_3genE9ELNS1_11target_archE1100ELNS1_3gpuE3ELNS1_3repE0EEENS1_30default_config_static_selectorELNS0_4arch9wavefront6targetE0EEEvT1_.kd
    .uniform_work_group_size: 1
    .uses_dynamic_stack: false
    .vgpr_count:     0
    .vgpr_spill_count: 0
    .wavefront_size: 32
    .workgroup_processor_mode: 1
  - .args:
      - .offset:         0
        .size:           48
        .value_kind:     by_value
    .group_segment_fixed_size: 8448
    .kernarg_segment_align: 16
    .kernarg_segment_size: 48
    .language:       OpenCL C
    .language_version:
      - 2
      - 0
    .max_flat_workgroup_size: 256
    .name:           _ZN7rocprim17ROCPRIM_400000_NS6detail17trampoline_kernelINS0_14default_configENS1_20scan_config_selectorIN3c107complexIdEEEEZZNS1_9scan_implILNS1_25lookback_scan_determinismE0ELb0ELb0ES3_PKS7_PS7_S7_ZZZN2at6native31launch_logcumsumexp_cuda_kernelERKNSE_10TensorBaseESI_lENKUlvE_clEvENKUlvE1_clEvEUlS7_S7_E_S7_EEDaPvRmT3_T4_T5_mT6_P12ihipStream_tbENKUlT_T0_E_clISt17integral_constantIbLb0EESZ_EEDaSU_SV_EUlSU_E0_NS1_11comp_targetILNS1_3genE8ELNS1_11target_archE1030ELNS1_3gpuE2ELNS1_3repE0EEENS1_30default_config_static_selectorELNS0_4arch9wavefront6targetE0EEEvT1_
    .private_segment_fixed_size: 0
    .sgpr_count:     44
    .sgpr_spill_count: 0
    .symbol:         _ZN7rocprim17ROCPRIM_400000_NS6detail17trampoline_kernelINS0_14default_configENS1_20scan_config_selectorIN3c107complexIdEEEEZZNS1_9scan_implILNS1_25lookback_scan_determinismE0ELb0ELb0ES3_PKS7_PS7_S7_ZZZN2at6native31launch_logcumsumexp_cuda_kernelERKNSE_10TensorBaseESI_lENKUlvE_clEvENKUlvE1_clEvEUlS7_S7_E_S7_EEDaPvRmT3_T4_T5_mT6_P12ihipStream_tbENKUlT_T0_E_clISt17integral_constantIbLb0EESZ_EEDaSU_SV_EUlSU_E0_NS1_11comp_targetILNS1_3genE8ELNS1_11target_archE1030ELNS1_3gpuE2ELNS1_3repE0EEENS1_30default_config_static_selectorELNS0_4arch9wavefront6targetE0EEEvT1_.kd
    .uniform_work_group_size: 1
    .uses_dynamic_stack: false
    .vgpr_count:     86
    .vgpr_spill_count: 0
    .wavefront_size: 32
    .workgroup_processor_mode: 1
  - .args:
      - .offset:         0
        .size:           24
        .value_kind:     by_value
      - .offset:         24
        .size:           4
        .value_kind:     by_value
      - .address_space:  global
        .offset:         32
        .size:           8
        .value_kind:     global_buffer
      - .offset:         40
        .size:           4
        .value_kind:     by_value
      - .address_space:  global
        .offset:         48
        .size:           8
        .value_kind:     global_buffer
      - .offset:         56
        .size:           4
        .value_kind:     hidden_block_count_x
      - .offset:         60
        .size:           4
        .value_kind:     hidden_block_count_y
      - .offset:         64
        .size:           4
        .value_kind:     hidden_block_count_z
      - .offset:         68
        .size:           2
        .value_kind:     hidden_group_size_x
      - .offset:         70
        .size:           2
        .value_kind:     hidden_group_size_y
      - .offset:         72
        .size:           2
        .value_kind:     hidden_group_size_z
      - .offset:         74
        .size:           2
        .value_kind:     hidden_remainder_x
      - .offset:         76
        .size:           2
        .value_kind:     hidden_remainder_y
      - .offset:         78
        .size:           2
        .value_kind:     hidden_remainder_z
      - .offset:         96
        .size:           8
        .value_kind:     hidden_global_offset_x
      - .offset:         104
        .size:           8
        .value_kind:     hidden_global_offset_y
      - .offset:         112
        .size:           8
        .value_kind:     hidden_global_offset_z
      - .offset:         120
        .size:           2
        .value_kind:     hidden_grid_dims
    .group_segment_fixed_size: 0
    .kernarg_segment_align: 8
    .kernarg_segment_size: 312
    .language:       OpenCL C
    .language_version:
      - 2
      - 0
    .max_flat_workgroup_size: 256
    .name:           _ZN7rocprim17ROCPRIM_400000_NS6detail31init_lookback_scan_state_kernelINS1_19lookback_scan_stateIN3c107complexIdEELb1ELb0EEENS1_16block_id_wrapperIjLb1EEEEEvT_jT0_jPNSA_10value_typeE
    .private_segment_fixed_size: 0
    .sgpr_count:     21
    .sgpr_spill_count: 0
    .symbol:         _ZN7rocprim17ROCPRIM_400000_NS6detail31init_lookback_scan_state_kernelINS1_19lookback_scan_stateIN3c107complexIdEELb1ELb0EEENS1_16block_id_wrapperIjLb1EEEEEvT_jT0_jPNSA_10value_typeE.kd
    .uniform_work_group_size: 1
    .uses_dynamic_stack: false
    .vgpr_count:     6
    .vgpr_spill_count: 0
    .wavefront_size: 32
    .workgroup_processor_mode: 1
  - .args:
      - .offset:         0
        .size:           128
        .value_kind:     by_value
    .group_segment_fixed_size: 0
    .kernarg_segment_align: 16
    .kernarg_segment_size: 128
    .language:       OpenCL C
    .language_version:
      - 2
      - 0
    .max_flat_workgroup_size: 128
    .name:           _ZN7rocprim17ROCPRIM_400000_NS6detail17trampoline_kernelINS0_14default_configENS1_20scan_config_selectorIN3c107complexIdEEEEZZNS1_9scan_implILNS1_25lookback_scan_determinismE0ELb0ELb0ES3_PKS7_PS7_S7_ZZZN2at6native31launch_logcumsumexp_cuda_kernelERKNSE_10TensorBaseESI_lENKUlvE_clEvENKUlvE1_clEvEUlS7_S7_E_S7_EEDaPvRmT3_T4_T5_mT6_P12ihipStream_tbENKUlT_T0_E_clISt17integral_constantIbLb1EESZ_EEDaSU_SV_EUlSU_E_NS1_11comp_targetILNS1_3genE0ELNS1_11target_archE4294967295ELNS1_3gpuE0ELNS1_3repE0EEENS1_30default_config_static_selectorELNS0_4arch9wavefront6targetE0EEEvT1_
    .private_segment_fixed_size: 0
    .sgpr_count:     0
    .sgpr_spill_count: 0
    .symbol:         _ZN7rocprim17ROCPRIM_400000_NS6detail17trampoline_kernelINS0_14default_configENS1_20scan_config_selectorIN3c107complexIdEEEEZZNS1_9scan_implILNS1_25lookback_scan_determinismE0ELb0ELb0ES3_PKS7_PS7_S7_ZZZN2at6native31launch_logcumsumexp_cuda_kernelERKNSE_10TensorBaseESI_lENKUlvE_clEvENKUlvE1_clEvEUlS7_S7_E_S7_EEDaPvRmT3_T4_T5_mT6_P12ihipStream_tbENKUlT_T0_E_clISt17integral_constantIbLb1EESZ_EEDaSU_SV_EUlSU_E_NS1_11comp_targetILNS1_3genE0ELNS1_11target_archE4294967295ELNS1_3gpuE0ELNS1_3repE0EEENS1_30default_config_static_selectorELNS0_4arch9wavefront6targetE0EEEvT1_.kd
    .uniform_work_group_size: 1
    .uses_dynamic_stack: false
    .vgpr_count:     0
    .vgpr_spill_count: 0
    .wavefront_size: 32
    .workgroup_processor_mode: 1
  - .args:
      - .offset:         0
        .size:           128
        .value_kind:     by_value
    .group_segment_fixed_size: 0
    .kernarg_segment_align: 16
    .kernarg_segment_size: 128
    .language:       OpenCL C
    .language_version:
      - 2
      - 0
    .max_flat_workgroup_size: 256
    .name:           _ZN7rocprim17ROCPRIM_400000_NS6detail17trampoline_kernelINS0_14default_configENS1_20scan_config_selectorIN3c107complexIdEEEEZZNS1_9scan_implILNS1_25lookback_scan_determinismE0ELb0ELb0ES3_PKS7_PS7_S7_ZZZN2at6native31launch_logcumsumexp_cuda_kernelERKNSE_10TensorBaseESI_lENKUlvE_clEvENKUlvE1_clEvEUlS7_S7_E_S7_EEDaPvRmT3_T4_T5_mT6_P12ihipStream_tbENKUlT_T0_E_clISt17integral_constantIbLb1EESZ_EEDaSU_SV_EUlSU_E_NS1_11comp_targetILNS1_3genE5ELNS1_11target_archE942ELNS1_3gpuE9ELNS1_3repE0EEENS1_30default_config_static_selectorELNS0_4arch9wavefront6targetE0EEEvT1_
    .private_segment_fixed_size: 0
    .sgpr_count:     0
    .sgpr_spill_count: 0
    .symbol:         _ZN7rocprim17ROCPRIM_400000_NS6detail17trampoline_kernelINS0_14default_configENS1_20scan_config_selectorIN3c107complexIdEEEEZZNS1_9scan_implILNS1_25lookback_scan_determinismE0ELb0ELb0ES3_PKS7_PS7_S7_ZZZN2at6native31launch_logcumsumexp_cuda_kernelERKNSE_10TensorBaseESI_lENKUlvE_clEvENKUlvE1_clEvEUlS7_S7_E_S7_EEDaPvRmT3_T4_T5_mT6_P12ihipStream_tbENKUlT_T0_E_clISt17integral_constantIbLb1EESZ_EEDaSU_SV_EUlSU_E_NS1_11comp_targetILNS1_3genE5ELNS1_11target_archE942ELNS1_3gpuE9ELNS1_3repE0EEENS1_30default_config_static_selectorELNS0_4arch9wavefront6targetE0EEEvT1_.kd
    .uniform_work_group_size: 1
    .uses_dynamic_stack: false
    .vgpr_count:     0
    .vgpr_spill_count: 0
    .wavefront_size: 32
    .workgroup_processor_mode: 1
  - .args:
      - .offset:         0
        .size:           128
        .value_kind:     by_value
    .group_segment_fixed_size: 0
    .kernarg_segment_align: 16
    .kernarg_segment_size: 128
    .language:       OpenCL C
    .language_version:
      - 2
      - 0
    .max_flat_workgroup_size: 64
    .name:           _ZN7rocprim17ROCPRIM_400000_NS6detail17trampoline_kernelINS0_14default_configENS1_20scan_config_selectorIN3c107complexIdEEEEZZNS1_9scan_implILNS1_25lookback_scan_determinismE0ELb0ELb0ES3_PKS7_PS7_S7_ZZZN2at6native31launch_logcumsumexp_cuda_kernelERKNSE_10TensorBaseESI_lENKUlvE_clEvENKUlvE1_clEvEUlS7_S7_E_S7_EEDaPvRmT3_T4_T5_mT6_P12ihipStream_tbENKUlT_T0_E_clISt17integral_constantIbLb1EESZ_EEDaSU_SV_EUlSU_E_NS1_11comp_targetILNS1_3genE4ELNS1_11target_archE910ELNS1_3gpuE8ELNS1_3repE0EEENS1_30default_config_static_selectorELNS0_4arch9wavefront6targetE0EEEvT1_
    .private_segment_fixed_size: 0
    .sgpr_count:     0
    .sgpr_spill_count: 0
    .symbol:         _ZN7rocprim17ROCPRIM_400000_NS6detail17trampoline_kernelINS0_14default_configENS1_20scan_config_selectorIN3c107complexIdEEEEZZNS1_9scan_implILNS1_25lookback_scan_determinismE0ELb0ELb0ES3_PKS7_PS7_S7_ZZZN2at6native31launch_logcumsumexp_cuda_kernelERKNSE_10TensorBaseESI_lENKUlvE_clEvENKUlvE1_clEvEUlS7_S7_E_S7_EEDaPvRmT3_T4_T5_mT6_P12ihipStream_tbENKUlT_T0_E_clISt17integral_constantIbLb1EESZ_EEDaSU_SV_EUlSU_E_NS1_11comp_targetILNS1_3genE4ELNS1_11target_archE910ELNS1_3gpuE8ELNS1_3repE0EEENS1_30default_config_static_selectorELNS0_4arch9wavefront6targetE0EEEvT1_.kd
    .uniform_work_group_size: 1
    .uses_dynamic_stack: false
    .vgpr_count:     0
    .vgpr_spill_count: 0
    .wavefront_size: 32
    .workgroup_processor_mode: 1
  - .args:
      - .offset:         0
        .size:           128
        .value_kind:     by_value
    .group_segment_fixed_size: 0
    .kernarg_segment_align: 16
    .kernarg_segment_size: 128
    .language:       OpenCL C
    .language_version:
      - 2
      - 0
    .max_flat_workgroup_size: 128
    .name:           _ZN7rocprim17ROCPRIM_400000_NS6detail17trampoline_kernelINS0_14default_configENS1_20scan_config_selectorIN3c107complexIdEEEEZZNS1_9scan_implILNS1_25lookback_scan_determinismE0ELb0ELb0ES3_PKS7_PS7_S7_ZZZN2at6native31launch_logcumsumexp_cuda_kernelERKNSE_10TensorBaseESI_lENKUlvE_clEvENKUlvE1_clEvEUlS7_S7_E_S7_EEDaPvRmT3_T4_T5_mT6_P12ihipStream_tbENKUlT_T0_E_clISt17integral_constantIbLb1EESZ_EEDaSU_SV_EUlSU_E_NS1_11comp_targetILNS1_3genE3ELNS1_11target_archE908ELNS1_3gpuE7ELNS1_3repE0EEENS1_30default_config_static_selectorELNS0_4arch9wavefront6targetE0EEEvT1_
    .private_segment_fixed_size: 0
    .sgpr_count:     0
    .sgpr_spill_count: 0
    .symbol:         _ZN7rocprim17ROCPRIM_400000_NS6detail17trampoline_kernelINS0_14default_configENS1_20scan_config_selectorIN3c107complexIdEEEEZZNS1_9scan_implILNS1_25lookback_scan_determinismE0ELb0ELb0ES3_PKS7_PS7_S7_ZZZN2at6native31launch_logcumsumexp_cuda_kernelERKNSE_10TensorBaseESI_lENKUlvE_clEvENKUlvE1_clEvEUlS7_S7_E_S7_EEDaPvRmT3_T4_T5_mT6_P12ihipStream_tbENKUlT_T0_E_clISt17integral_constantIbLb1EESZ_EEDaSU_SV_EUlSU_E_NS1_11comp_targetILNS1_3genE3ELNS1_11target_archE908ELNS1_3gpuE7ELNS1_3repE0EEENS1_30default_config_static_selectorELNS0_4arch9wavefront6targetE0EEEvT1_.kd
    .uniform_work_group_size: 1
    .uses_dynamic_stack: false
    .vgpr_count:     0
    .vgpr_spill_count: 0
    .wavefront_size: 32
    .workgroup_processor_mode: 1
  - .args:
      - .offset:         0
        .size:           128
        .value_kind:     by_value
    .group_segment_fixed_size: 0
    .kernarg_segment_align: 16
    .kernarg_segment_size: 128
    .language:       OpenCL C
    .language_version:
      - 2
      - 0
    .max_flat_workgroup_size: 64
    .name:           _ZN7rocprim17ROCPRIM_400000_NS6detail17trampoline_kernelINS0_14default_configENS1_20scan_config_selectorIN3c107complexIdEEEEZZNS1_9scan_implILNS1_25lookback_scan_determinismE0ELb0ELb0ES3_PKS7_PS7_S7_ZZZN2at6native31launch_logcumsumexp_cuda_kernelERKNSE_10TensorBaseESI_lENKUlvE_clEvENKUlvE1_clEvEUlS7_S7_E_S7_EEDaPvRmT3_T4_T5_mT6_P12ihipStream_tbENKUlT_T0_E_clISt17integral_constantIbLb1EESZ_EEDaSU_SV_EUlSU_E_NS1_11comp_targetILNS1_3genE2ELNS1_11target_archE906ELNS1_3gpuE6ELNS1_3repE0EEENS1_30default_config_static_selectorELNS0_4arch9wavefront6targetE0EEEvT1_
    .private_segment_fixed_size: 0
    .sgpr_count:     0
    .sgpr_spill_count: 0
    .symbol:         _ZN7rocprim17ROCPRIM_400000_NS6detail17trampoline_kernelINS0_14default_configENS1_20scan_config_selectorIN3c107complexIdEEEEZZNS1_9scan_implILNS1_25lookback_scan_determinismE0ELb0ELb0ES3_PKS7_PS7_S7_ZZZN2at6native31launch_logcumsumexp_cuda_kernelERKNSE_10TensorBaseESI_lENKUlvE_clEvENKUlvE1_clEvEUlS7_S7_E_S7_EEDaPvRmT3_T4_T5_mT6_P12ihipStream_tbENKUlT_T0_E_clISt17integral_constantIbLb1EESZ_EEDaSU_SV_EUlSU_E_NS1_11comp_targetILNS1_3genE2ELNS1_11target_archE906ELNS1_3gpuE6ELNS1_3repE0EEENS1_30default_config_static_selectorELNS0_4arch9wavefront6targetE0EEEvT1_.kd
    .uniform_work_group_size: 1
    .uses_dynamic_stack: false
    .vgpr_count:     0
    .vgpr_spill_count: 0
    .wavefront_size: 32
    .workgroup_processor_mode: 1
  - .args:
      - .offset:         0
        .size:           128
        .value_kind:     by_value
    .group_segment_fixed_size: 0
    .kernarg_segment_align: 16
    .kernarg_segment_size: 128
    .language:       OpenCL C
    .language_version:
      - 2
      - 0
    .max_flat_workgroup_size: 256
    .name:           _ZN7rocprim17ROCPRIM_400000_NS6detail17trampoline_kernelINS0_14default_configENS1_20scan_config_selectorIN3c107complexIdEEEEZZNS1_9scan_implILNS1_25lookback_scan_determinismE0ELb0ELb0ES3_PKS7_PS7_S7_ZZZN2at6native31launch_logcumsumexp_cuda_kernelERKNSE_10TensorBaseESI_lENKUlvE_clEvENKUlvE1_clEvEUlS7_S7_E_S7_EEDaPvRmT3_T4_T5_mT6_P12ihipStream_tbENKUlT_T0_E_clISt17integral_constantIbLb1EESZ_EEDaSU_SV_EUlSU_E_NS1_11comp_targetILNS1_3genE10ELNS1_11target_archE1201ELNS1_3gpuE5ELNS1_3repE0EEENS1_30default_config_static_selectorELNS0_4arch9wavefront6targetE0EEEvT1_
    .private_segment_fixed_size: 0
    .sgpr_count:     0
    .sgpr_spill_count: 0
    .symbol:         _ZN7rocprim17ROCPRIM_400000_NS6detail17trampoline_kernelINS0_14default_configENS1_20scan_config_selectorIN3c107complexIdEEEEZZNS1_9scan_implILNS1_25lookback_scan_determinismE0ELb0ELb0ES3_PKS7_PS7_S7_ZZZN2at6native31launch_logcumsumexp_cuda_kernelERKNSE_10TensorBaseESI_lENKUlvE_clEvENKUlvE1_clEvEUlS7_S7_E_S7_EEDaPvRmT3_T4_T5_mT6_P12ihipStream_tbENKUlT_T0_E_clISt17integral_constantIbLb1EESZ_EEDaSU_SV_EUlSU_E_NS1_11comp_targetILNS1_3genE10ELNS1_11target_archE1201ELNS1_3gpuE5ELNS1_3repE0EEENS1_30default_config_static_selectorELNS0_4arch9wavefront6targetE0EEEvT1_.kd
    .uniform_work_group_size: 1
    .uses_dynamic_stack: false
    .vgpr_count:     0
    .vgpr_spill_count: 0
    .wavefront_size: 32
    .workgroup_processor_mode: 1
  - .args:
      - .offset:         0
        .size:           128
        .value_kind:     by_value
    .group_segment_fixed_size: 0
    .kernarg_segment_align: 16
    .kernarg_segment_size: 128
    .language:       OpenCL C
    .language_version:
      - 2
      - 0
    .max_flat_workgroup_size: 256
    .name:           _ZN7rocprim17ROCPRIM_400000_NS6detail17trampoline_kernelINS0_14default_configENS1_20scan_config_selectorIN3c107complexIdEEEEZZNS1_9scan_implILNS1_25lookback_scan_determinismE0ELb0ELb0ES3_PKS7_PS7_S7_ZZZN2at6native31launch_logcumsumexp_cuda_kernelERKNSE_10TensorBaseESI_lENKUlvE_clEvENKUlvE1_clEvEUlS7_S7_E_S7_EEDaPvRmT3_T4_T5_mT6_P12ihipStream_tbENKUlT_T0_E_clISt17integral_constantIbLb1EESZ_EEDaSU_SV_EUlSU_E_NS1_11comp_targetILNS1_3genE10ELNS1_11target_archE1200ELNS1_3gpuE4ELNS1_3repE0EEENS1_30default_config_static_selectorELNS0_4arch9wavefront6targetE0EEEvT1_
    .private_segment_fixed_size: 0
    .sgpr_count:     0
    .sgpr_spill_count: 0
    .symbol:         _ZN7rocprim17ROCPRIM_400000_NS6detail17trampoline_kernelINS0_14default_configENS1_20scan_config_selectorIN3c107complexIdEEEEZZNS1_9scan_implILNS1_25lookback_scan_determinismE0ELb0ELb0ES3_PKS7_PS7_S7_ZZZN2at6native31launch_logcumsumexp_cuda_kernelERKNSE_10TensorBaseESI_lENKUlvE_clEvENKUlvE1_clEvEUlS7_S7_E_S7_EEDaPvRmT3_T4_T5_mT6_P12ihipStream_tbENKUlT_T0_E_clISt17integral_constantIbLb1EESZ_EEDaSU_SV_EUlSU_E_NS1_11comp_targetILNS1_3genE10ELNS1_11target_archE1200ELNS1_3gpuE4ELNS1_3repE0EEENS1_30default_config_static_selectorELNS0_4arch9wavefront6targetE0EEEvT1_.kd
    .uniform_work_group_size: 1
    .uses_dynamic_stack: false
    .vgpr_count:     0
    .vgpr_spill_count: 0
    .wavefront_size: 32
    .workgroup_processor_mode: 1
  - .args:
      - .offset:         0
        .size:           128
        .value_kind:     by_value
    .group_segment_fixed_size: 0
    .kernarg_segment_align: 16
    .kernarg_segment_size: 128
    .language:       OpenCL C
    .language_version:
      - 2
      - 0
    .max_flat_workgroup_size: 256
    .name:           _ZN7rocprim17ROCPRIM_400000_NS6detail17trampoline_kernelINS0_14default_configENS1_20scan_config_selectorIN3c107complexIdEEEEZZNS1_9scan_implILNS1_25lookback_scan_determinismE0ELb0ELb0ES3_PKS7_PS7_S7_ZZZN2at6native31launch_logcumsumexp_cuda_kernelERKNSE_10TensorBaseESI_lENKUlvE_clEvENKUlvE1_clEvEUlS7_S7_E_S7_EEDaPvRmT3_T4_T5_mT6_P12ihipStream_tbENKUlT_T0_E_clISt17integral_constantIbLb1EESZ_EEDaSU_SV_EUlSU_E_NS1_11comp_targetILNS1_3genE9ELNS1_11target_archE1100ELNS1_3gpuE3ELNS1_3repE0EEENS1_30default_config_static_selectorELNS0_4arch9wavefront6targetE0EEEvT1_
    .private_segment_fixed_size: 0
    .sgpr_count:     0
    .sgpr_spill_count: 0
    .symbol:         _ZN7rocprim17ROCPRIM_400000_NS6detail17trampoline_kernelINS0_14default_configENS1_20scan_config_selectorIN3c107complexIdEEEEZZNS1_9scan_implILNS1_25lookback_scan_determinismE0ELb0ELb0ES3_PKS7_PS7_S7_ZZZN2at6native31launch_logcumsumexp_cuda_kernelERKNSE_10TensorBaseESI_lENKUlvE_clEvENKUlvE1_clEvEUlS7_S7_E_S7_EEDaPvRmT3_T4_T5_mT6_P12ihipStream_tbENKUlT_T0_E_clISt17integral_constantIbLb1EESZ_EEDaSU_SV_EUlSU_E_NS1_11comp_targetILNS1_3genE9ELNS1_11target_archE1100ELNS1_3gpuE3ELNS1_3repE0EEENS1_30default_config_static_selectorELNS0_4arch9wavefront6targetE0EEEvT1_.kd
    .uniform_work_group_size: 1
    .uses_dynamic_stack: false
    .vgpr_count:     0
    .vgpr_spill_count: 0
    .wavefront_size: 32
    .workgroup_processor_mode: 1
  - .args:
      - .offset:         0
        .size:           128
        .value_kind:     by_value
    .group_segment_fixed_size: 0
    .kernarg_segment_align: 16
    .kernarg_segment_size: 128
    .language:       OpenCL C
    .language_version:
      - 2
      - 0
    .max_flat_workgroup_size: 256
    .name:           _ZN7rocprim17ROCPRIM_400000_NS6detail17trampoline_kernelINS0_14default_configENS1_20scan_config_selectorIN3c107complexIdEEEEZZNS1_9scan_implILNS1_25lookback_scan_determinismE0ELb0ELb0ES3_PKS7_PS7_S7_ZZZN2at6native31launch_logcumsumexp_cuda_kernelERKNSE_10TensorBaseESI_lENKUlvE_clEvENKUlvE1_clEvEUlS7_S7_E_S7_EEDaPvRmT3_T4_T5_mT6_P12ihipStream_tbENKUlT_T0_E_clISt17integral_constantIbLb1EESZ_EEDaSU_SV_EUlSU_E_NS1_11comp_targetILNS1_3genE8ELNS1_11target_archE1030ELNS1_3gpuE2ELNS1_3repE0EEENS1_30default_config_static_selectorELNS0_4arch9wavefront6targetE0EEEvT1_
    .private_segment_fixed_size: 0
    .sgpr_count:     0
    .sgpr_spill_count: 0
    .symbol:         _ZN7rocprim17ROCPRIM_400000_NS6detail17trampoline_kernelINS0_14default_configENS1_20scan_config_selectorIN3c107complexIdEEEEZZNS1_9scan_implILNS1_25lookback_scan_determinismE0ELb0ELb0ES3_PKS7_PS7_S7_ZZZN2at6native31launch_logcumsumexp_cuda_kernelERKNSE_10TensorBaseESI_lENKUlvE_clEvENKUlvE1_clEvEUlS7_S7_E_S7_EEDaPvRmT3_T4_T5_mT6_P12ihipStream_tbENKUlT_T0_E_clISt17integral_constantIbLb1EESZ_EEDaSU_SV_EUlSU_E_NS1_11comp_targetILNS1_3genE8ELNS1_11target_archE1030ELNS1_3gpuE2ELNS1_3repE0EEENS1_30default_config_static_selectorELNS0_4arch9wavefront6targetE0EEEvT1_.kd
    .uniform_work_group_size: 1
    .uses_dynamic_stack: false
    .vgpr_count:     0
    .vgpr_spill_count: 0
    .wavefront_size: 32
    .workgroup_processor_mode: 1
  - .args:
      - .offset:         0
        .size:           48
        .value_kind:     by_value
    .group_segment_fixed_size: 0
    .kernarg_segment_align: 16
    .kernarg_segment_size: 48
    .language:       OpenCL C
    .language_version:
      - 2
      - 0
    .max_flat_workgroup_size: 128
    .name:           _ZN7rocprim17ROCPRIM_400000_NS6detail17trampoline_kernelINS0_14default_configENS1_20scan_config_selectorIN3c107complexIdEEEEZZNS1_9scan_implILNS1_25lookback_scan_determinismE0ELb0ELb0ES3_PKS7_PS7_S7_ZZZN2at6native31launch_logcumsumexp_cuda_kernelERKNSE_10TensorBaseESI_lENKUlvE_clEvENKUlvE1_clEvEUlS7_S7_E_S7_EEDaPvRmT3_T4_T5_mT6_P12ihipStream_tbENKUlT_T0_E_clISt17integral_constantIbLb1EESZ_EEDaSU_SV_EUlSU_E0_NS1_11comp_targetILNS1_3genE0ELNS1_11target_archE4294967295ELNS1_3gpuE0ELNS1_3repE0EEENS1_30default_config_static_selectorELNS0_4arch9wavefront6targetE0EEEvT1_
    .private_segment_fixed_size: 0
    .sgpr_count:     0
    .sgpr_spill_count: 0
    .symbol:         _ZN7rocprim17ROCPRIM_400000_NS6detail17trampoline_kernelINS0_14default_configENS1_20scan_config_selectorIN3c107complexIdEEEEZZNS1_9scan_implILNS1_25lookback_scan_determinismE0ELb0ELb0ES3_PKS7_PS7_S7_ZZZN2at6native31launch_logcumsumexp_cuda_kernelERKNSE_10TensorBaseESI_lENKUlvE_clEvENKUlvE1_clEvEUlS7_S7_E_S7_EEDaPvRmT3_T4_T5_mT6_P12ihipStream_tbENKUlT_T0_E_clISt17integral_constantIbLb1EESZ_EEDaSU_SV_EUlSU_E0_NS1_11comp_targetILNS1_3genE0ELNS1_11target_archE4294967295ELNS1_3gpuE0ELNS1_3repE0EEENS1_30default_config_static_selectorELNS0_4arch9wavefront6targetE0EEEvT1_.kd
    .uniform_work_group_size: 1
    .uses_dynamic_stack: false
    .vgpr_count:     0
    .vgpr_spill_count: 0
    .wavefront_size: 32
    .workgroup_processor_mode: 1
  - .args:
      - .offset:         0
        .size:           48
        .value_kind:     by_value
    .group_segment_fixed_size: 0
    .kernarg_segment_align: 16
    .kernarg_segment_size: 48
    .language:       OpenCL C
    .language_version:
      - 2
      - 0
    .max_flat_workgroup_size: 256
    .name:           _ZN7rocprim17ROCPRIM_400000_NS6detail17trampoline_kernelINS0_14default_configENS1_20scan_config_selectorIN3c107complexIdEEEEZZNS1_9scan_implILNS1_25lookback_scan_determinismE0ELb0ELb0ES3_PKS7_PS7_S7_ZZZN2at6native31launch_logcumsumexp_cuda_kernelERKNSE_10TensorBaseESI_lENKUlvE_clEvENKUlvE1_clEvEUlS7_S7_E_S7_EEDaPvRmT3_T4_T5_mT6_P12ihipStream_tbENKUlT_T0_E_clISt17integral_constantIbLb1EESZ_EEDaSU_SV_EUlSU_E0_NS1_11comp_targetILNS1_3genE5ELNS1_11target_archE942ELNS1_3gpuE9ELNS1_3repE0EEENS1_30default_config_static_selectorELNS0_4arch9wavefront6targetE0EEEvT1_
    .private_segment_fixed_size: 0
    .sgpr_count:     0
    .sgpr_spill_count: 0
    .symbol:         _ZN7rocprim17ROCPRIM_400000_NS6detail17trampoline_kernelINS0_14default_configENS1_20scan_config_selectorIN3c107complexIdEEEEZZNS1_9scan_implILNS1_25lookback_scan_determinismE0ELb0ELb0ES3_PKS7_PS7_S7_ZZZN2at6native31launch_logcumsumexp_cuda_kernelERKNSE_10TensorBaseESI_lENKUlvE_clEvENKUlvE1_clEvEUlS7_S7_E_S7_EEDaPvRmT3_T4_T5_mT6_P12ihipStream_tbENKUlT_T0_E_clISt17integral_constantIbLb1EESZ_EEDaSU_SV_EUlSU_E0_NS1_11comp_targetILNS1_3genE5ELNS1_11target_archE942ELNS1_3gpuE9ELNS1_3repE0EEENS1_30default_config_static_selectorELNS0_4arch9wavefront6targetE0EEEvT1_.kd
    .uniform_work_group_size: 1
    .uses_dynamic_stack: false
    .vgpr_count:     0
    .vgpr_spill_count: 0
    .wavefront_size: 32
    .workgroup_processor_mode: 1
  - .args:
      - .offset:         0
        .size:           48
        .value_kind:     by_value
    .group_segment_fixed_size: 0
    .kernarg_segment_align: 16
    .kernarg_segment_size: 48
    .language:       OpenCL C
    .language_version:
      - 2
      - 0
    .max_flat_workgroup_size: 64
    .name:           _ZN7rocprim17ROCPRIM_400000_NS6detail17trampoline_kernelINS0_14default_configENS1_20scan_config_selectorIN3c107complexIdEEEEZZNS1_9scan_implILNS1_25lookback_scan_determinismE0ELb0ELb0ES3_PKS7_PS7_S7_ZZZN2at6native31launch_logcumsumexp_cuda_kernelERKNSE_10TensorBaseESI_lENKUlvE_clEvENKUlvE1_clEvEUlS7_S7_E_S7_EEDaPvRmT3_T4_T5_mT6_P12ihipStream_tbENKUlT_T0_E_clISt17integral_constantIbLb1EESZ_EEDaSU_SV_EUlSU_E0_NS1_11comp_targetILNS1_3genE4ELNS1_11target_archE910ELNS1_3gpuE8ELNS1_3repE0EEENS1_30default_config_static_selectorELNS0_4arch9wavefront6targetE0EEEvT1_
    .private_segment_fixed_size: 0
    .sgpr_count:     0
    .sgpr_spill_count: 0
    .symbol:         _ZN7rocprim17ROCPRIM_400000_NS6detail17trampoline_kernelINS0_14default_configENS1_20scan_config_selectorIN3c107complexIdEEEEZZNS1_9scan_implILNS1_25lookback_scan_determinismE0ELb0ELb0ES3_PKS7_PS7_S7_ZZZN2at6native31launch_logcumsumexp_cuda_kernelERKNSE_10TensorBaseESI_lENKUlvE_clEvENKUlvE1_clEvEUlS7_S7_E_S7_EEDaPvRmT3_T4_T5_mT6_P12ihipStream_tbENKUlT_T0_E_clISt17integral_constantIbLb1EESZ_EEDaSU_SV_EUlSU_E0_NS1_11comp_targetILNS1_3genE4ELNS1_11target_archE910ELNS1_3gpuE8ELNS1_3repE0EEENS1_30default_config_static_selectorELNS0_4arch9wavefront6targetE0EEEvT1_.kd
    .uniform_work_group_size: 1
    .uses_dynamic_stack: false
    .vgpr_count:     0
    .vgpr_spill_count: 0
    .wavefront_size: 32
    .workgroup_processor_mode: 1
  - .args:
      - .offset:         0
        .size:           48
        .value_kind:     by_value
    .group_segment_fixed_size: 0
    .kernarg_segment_align: 16
    .kernarg_segment_size: 48
    .language:       OpenCL C
    .language_version:
      - 2
      - 0
    .max_flat_workgroup_size: 128
    .name:           _ZN7rocprim17ROCPRIM_400000_NS6detail17trampoline_kernelINS0_14default_configENS1_20scan_config_selectorIN3c107complexIdEEEEZZNS1_9scan_implILNS1_25lookback_scan_determinismE0ELb0ELb0ES3_PKS7_PS7_S7_ZZZN2at6native31launch_logcumsumexp_cuda_kernelERKNSE_10TensorBaseESI_lENKUlvE_clEvENKUlvE1_clEvEUlS7_S7_E_S7_EEDaPvRmT3_T4_T5_mT6_P12ihipStream_tbENKUlT_T0_E_clISt17integral_constantIbLb1EESZ_EEDaSU_SV_EUlSU_E0_NS1_11comp_targetILNS1_3genE3ELNS1_11target_archE908ELNS1_3gpuE7ELNS1_3repE0EEENS1_30default_config_static_selectorELNS0_4arch9wavefront6targetE0EEEvT1_
    .private_segment_fixed_size: 0
    .sgpr_count:     0
    .sgpr_spill_count: 0
    .symbol:         _ZN7rocprim17ROCPRIM_400000_NS6detail17trampoline_kernelINS0_14default_configENS1_20scan_config_selectorIN3c107complexIdEEEEZZNS1_9scan_implILNS1_25lookback_scan_determinismE0ELb0ELb0ES3_PKS7_PS7_S7_ZZZN2at6native31launch_logcumsumexp_cuda_kernelERKNSE_10TensorBaseESI_lENKUlvE_clEvENKUlvE1_clEvEUlS7_S7_E_S7_EEDaPvRmT3_T4_T5_mT6_P12ihipStream_tbENKUlT_T0_E_clISt17integral_constantIbLb1EESZ_EEDaSU_SV_EUlSU_E0_NS1_11comp_targetILNS1_3genE3ELNS1_11target_archE908ELNS1_3gpuE7ELNS1_3repE0EEENS1_30default_config_static_selectorELNS0_4arch9wavefront6targetE0EEEvT1_.kd
    .uniform_work_group_size: 1
    .uses_dynamic_stack: false
    .vgpr_count:     0
    .vgpr_spill_count: 0
    .wavefront_size: 32
    .workgroup_processor_mode: 1
  - .args:
      - .offset:         0
        .size:           48
        .value_kind:     by_value
    .group_segment_fixed_size: 0
    .kernarg_segment_align: 16
    .kernarg_segment_size: 48
    .language:       OpenCL C
    .language_version:
      - 2
      - 0
    .max_flat_workgroup_size: 64
    .name:           _ZN7rocprim17ROCPRIM_400000_NS6detail17trampoline_kernelINS0_14default_configENS1_20scan_config_selectorIN3c107complexIdEEEEZZNS1_9scan_implILNS1_25lookback_scan_determinismE0ELb0ELb0ES3_PKS7_PS7_S7_ZZZN2at6native31launch_logcumsumexp_cuda_kernelERKNSE_10TensorBaseESI_lENKUlvE_clEvENKUlvE1_clEvEUlS7_S7_E_S7_EEDaPvRmT3_T4_T5_mT6_P12ihipStream_tbENKUlT_T0_E_clISt17integral_constantIbLb1EESZ_EEDaSU_SV_EUlSU_E0_NS1_11comp_targetILNS1_3genE2ELNS1_11target_archE906ELNS1_3gpuE6ELNS1_3repE0EEENS1_30default_config_static_selectorELNS0_4arch9wavefront6targetE0EEEvT1_
    .private_segment_fixed_size: 0
    .sgpr_count:     0
    .sgpr_spill_count: 0
    .symbol:         _ZN7rocprim17ROCPRIM_400000_NS6detail17trampoline_kernelINS0_14default_configENS1_20scan_config_selectorIN3c107complexIdEEEEZZNS1_9scan_implILNS1_25lookback_scan_determinismE0ELb0ELb0ES3_PKS7_PS7_S7_ZZZN2at6native31launch_logcumsumexp_cuda_kernelERKNSE_10TensorBaseESI_lENKUlvE_clEvENKUlvE1_clEvEUlS7_S7_E_S7_EEDaPvRmT3_T4_T5_mT6_P12ihipStream_tbENKUlT_T0_E_clISt17integral_constantIbLb1EESZ_EEDaSU_SV_EUlSU_E0_NS1_11comp_targetILNS1_3genE2ELNS1_11target_archE906ELNS1_3gpuE6ELNS1_3repE0EEENS1_30default_config_static_selectorELNS0_4arch9wavefront6targetE0EEEvT1_.kd
    .uniform_work_group_size: 1
    .uses_dynamic_stack: false
    .vgpr_count:     0
    .vgpr_spill_count: 0
    .wavefront_size: 32
    .workgroup_processor_mode: 1
  - .args:
      - .offset:         0
        .size:           48
        .value_kind:     by_value
    .group_segment_fixed_size: 0
    .kernarg_segment_align: 16
    .kernarg_segment_size: 48
    .language:       OpenCL C
    .language_version:
      - 2
      - 0
    .max_flat_workgroup_size: 256
    .name:           _ZN7rocprim17ROCPRIM_400000_NS6detail17trampoline_kernelINS0_14default_configENS1_20scan_config_selectorIN3c107complexIdEEEEZZNS1_9scan_implILNS1_25lookback_scan_determinismE0ELb0ELb0ES3_PKS7_PS7_S7_ZZZN2at6native31launch_logcumsumexp_cuda_kernelERKNSE_10TensorBaseESI_lENKUlvE_clEvENKUlvE1_clEvEUlS7_S7_E_S7_EEDaPvRmT3_T4_T5_mT6_P12ihipStream_tbENKUlT_T0_E_clISt17integral_constantIbLb1EESZ_EEDaSU_SV_EUlSU_E0_NS1_11comp_targetILNS1_3genE10ELNS1_11target_archE1201ELNS1_3gpuE5ELNS1_3repE0EEENS1_30default_config_static_selectorELNS0_4arch9wavefront6targetE0EEEvT1_
    .private_segment_fixed_size: 0
    .sgpr_count:     0
    .sgpr_spill_count: 0
    .symbol:         _ZN7rocprim17ROCPRIM_400000_NS6detail17trampoline_kernelINS0_14default_configENS1_20scan_config_selectorIN3c107complexIdEEEEZZNS1_9scan_implILNS1_25lookback_scan_determinismE0ELb0ELb0ES3_PKS7_PS7_S7_ZZZN2at6native31launch_logcumsumexp_cuda_kernelERKNSE_10TensorBaseESI_lENKUlvE_clEvENKUlvE1_clEvEUlS7_S7_E_S7_EEDaPvRmT3_T4_T5_mT6_P12ihipStream_tbENKUlT_T0_E_clISt17integral_constantIbLb1EESZ_EEDaSU_SV_EUlSU_E0_NS1_11comp_targetILNS1_3genE10ELNS1_11target_archE1201ELNS1_3gpuE5ELNS1_3repE0EEENS1_30default_config_static_selectorELNS0_4arch9wavefront6targetE0EEEvT1_.kd
    .uniform_work_group_size: 1
    .uses_dynamic_stack: false
    .vgpr_count:     0
    .vgpr_spill_count: 0
    .wavefront_size: 32
    .workgroup_processor_mode: 1
  - .args:
      - .offset:         0
        .size:           48
        .value_kind:     by_value
    .group_segment_fixed_size: 0
    .kernarg_segment_align: 16
    .kernarg_segment_size: 48
    .language:       OpenCL C
    .language_version:
      - 2
      - 0
    .max_flat_workgroup_size: 256
    .name:           _ZN7rocprim17ROCPRIM_400000_NS6detail17trampoline_kernelINS0_14default_configENS1_20scan_config_selectorIN3c107complexIdEEEEZZNS1_9scan_implILNS1_25lookback_scan_determinismE0ELb0ELb0ES3_PKS7_PS7_S7_ZZZN2at6native31launch_logcumsumexp_cuda_kernelERKNSE_10TensorBaseESI_lENKUlvE_clEvENKUlvE1_clEvEUlS7_S7_E_S7_EEDaPvRmT3_T4_T5_mT6_P12ihipStream_tbENKUlT_T0_E_clISt17integral_constantIbLb1EESZ_EEDaSU_SV_EUlSU_E0_NS1_11comp_targetILNS1_3genE10ELNS1_11target_archE1200ELNS1_3gpuE4ELNS1_3repE0EEENS1_30default_config_static_selectorELNS0_4arch9wavefront6targetE0EEEvT1_
    .private_segment_fixed_size: 0
    .sgpr_count:     0
    .sgpr_spill_count: 0
    .symbol:         _ZN7rocprim17ROCPRIM_400000_NS6detail17trampoline_kernelINS0_14default_configENS1_20scan_config_selectorIN3c107complexIdEEEEZZNS1_9scan_implILNS1_25lookback_scan_determinismE0ELb0ELb0ES3_PKS7_PS7_S7_ZZZN2at6native31launch_logcumsumexp_cuda_kernelERKNSE_10TensorBaseESI_lENKUlvE_clEvENKUlvE1_clEvEUlS7_S7_E_S7_EEDaPvRmT3_T4_T5_mT6_P12ihipStream_tbENKUlT_T0_E_clISt17integral_constantIbLb1EESZ_EEDaSU_SV_EUlSU_E0_NS1_11comp_targetILNS1_3genE10ELNS1_11target_archE1200ELNS1_3gpuE4ELNS1_3repE0EEENS1_30default_config_static_selectorELNS0_4arch9wavefront6targetE0EEEvT1_.kd
    .uniform_work_group_size: 1
    .uses_dynamic_stack: false
    .vgpr_count:     0
    .vgpr_spill_count: 0
    .wavefront_size: 32
    .workgroup_processor_mode: 1
  - .args:
      - .offset:         0
        .size:           48
        .value_kind:     by_value
    .group_segment_fixed_size: 0
    .kernarg_segment_align: 16
    .kernarg_segment_size: 48
    .language:       OpenCL C
    .language_version:
      - 2
      - 0
    .max_flat_workgroup_size: 256
    .name:           _ZN7rocprim17ROCPRIM_400000_NS6detail17trampoline_kernelINS0_14default_configENS1_20scan_config_selectorIN3c107complexIdEEEEZZNS1_9scan_implILNS1_25lookback_scan_determinismE0ELb0ELb0ES3_PKS7_PS7_S7_ZZZN2at6native31launch_logcumsumexp_cuda_kernelERKNSE_10TensorBaseESI_lENKUlvE_clEvENKUlvE1_clEvEUlS7_S7_E_S7_EEDaPvRmT3_T4_T5_mT6_P12ihipStream_tbENKUlT_T0_E_clISt17integral_constantIbLb1EESZ_EEDaSU_SV_EUlSU_E0_NS1_11comp_targetILNS1_3genE9ELNS1_11target_archE1100ELNS1_3gpuE3ELNS1_3repE0EEENS1_30default_config_static_selectorELNS0_4arch9wavefront6targetE0EEEvT1_
    .private_segment_fixed_size: 0
    .sgpr_count:     0
    .sgpr_spill_count: 0
    .symbol:         _ZN7rocprim17ROCPRIM_400000_NS6detail17trampoline_kernelINS0_14default_configENS1_20scan_config_selectorIN3c107complexIdEEEEZZNS1_9scan_implILNS1_25lookback_scan_determinismE0ELb0ELb0ES3_PKS7_PS7_S7_ZZZN2at6native31launch_logcumsumexp_cuda_kernelERKNSE_10TensorBaseESI_lENKUlvE_clEvENKUlvE1_clEvEUlS7_S7_E_S7_EEDaPvRmT3_T4_T5_mT6_P12ihipStream_tbENKUlT_T0_E_clISt17integral_constantIbLb1EESZ_EEDaSU_SV_EUlSU_E0_NS1_11comp_targetILNS1_3genE9ELNS1_11target_archE1100ELNS1_3gpuE3ELNS1_3repE0EEENS1_30default_config_static_selectorELNS0_4arch9wavefront6targetE0EEEvT1_.kd
    .uniform_work_group_size: 1
    .uses_dynamic_stack: false
    .vgpr_count:     0
    .vgpr_spill_count: 0
    .wavefront_size: 32
    .workgroup_processor_mode: 1
  - .args:
      - .offset:         0
        .size:           48
        .value_kind:     by_value
    .group_segment_fixed_size: 8448
    .kernarg_segment_align: 16
    .kernarg_segment_size: 48
    .language:       OpenCL C
    .language_version:
      - 2
      - 0
    .max_flat_workgroup_size: 256
    .name:           _ZN7rocprim17ROCPRIM_400000_NS6detail17trampoline_kernelINS0_14default_configENS1_20scan_config_selectorIN3c107complexIdEEEEZZNS1_9scan_implILNS1_25lookback_scan_determinismE0ELb0ELb0ES3_PKS7_PS7_S7_ZZZN2at6native31launch_logcumsumexp_cuda_kernelERKNSE_10TensorBaseESI_lENKUlvE_clEvENKUlvE1_clEvEUlS7_S7_E_S7_EEDaPvRmT3_T4_T5_mT6_P12ihipStream_tbENKUlT_T0_E_clISt17integral_constantIbLb1EESZ_EEDaSU_SV_EUlSU_E0_NS1_11comp_targetILNS1_3genE8ELNS1_11target_archE1030ELNS1_3gpuE2ELNS1_3repE0EEENS1_30default_config_static_selectorELNS0_4arch9wavefront6targetE0EEEvT1_
    .private_segment_fixed_size: 0
    .sgpr_count:     44
    .sgpr_spill_count: 0
    .symbol:         _ZN7rocprim17ROCPRIM_400000_NS6detail17trampoline_kernelINS0_14default_configENS1_20scan_config_selectorIN3c107complexIdEEEEZZNS1_9scan_implILNS1_25lookback_scan_determinismE0ELb0ELb0ES3_PKS7_PS7_S7_ZZZN2at6native31launch_logcumsumexp_cuda_kernelERKNSE_10TensorBaseESI_lENKUlvE_clEvENKUlvE1_clEvEUlS7_S7_E_S7_EEDaPvRmT3_T4_T5_mT6_P12ihipStream_tbENKUlT_T0_E_clISt17integral_constantIbLb1EESZ_EEDaSU_SV_EUlSU_E0_NS1_11comp_targetILNS1_3genE8ELNS1_11target_archE1030ELNS1_3gpuE2ELNS1_3repE0EEENS1_30default_config_static_selectorELNS0_4arch9wavefront6targetE0EEEvT1_.kd
    .uniform_work_group_size: 1
    .uses_dynamic_stack: false
    .vgpr_count:     86
    .vgpr_spill_count: 0
    .wavefront_size: 32
    .workgroup_processor_mode: 1
  - .args:
      - .offset:         0
        .size:           24
        .value_kind:     by_value
      - .offset:         24
        .size:           4
        .value_kind:     by_value
      - .offset:         28
        .size:           1
        .value_kind:     by_value
      - .offset:         32
        .size:           4
        .value_kind:     by_value
      - .address_space:  global
        .offset:         40
        .size:           8
        .value_kind:     global_buffer
      - .offset:         48
        .size:           4
        .value_kind:     hidden_block_count_x
      - .offset:         52
        .size:           4
        .value_kind:     hidden_block_count_y
      - .offset:         56
        .size:           4
        .value_kind:     hidden_block_count_z
      - .offset:         60
        .size:           2
        .value_kind:     hidden_group_size_x
      - .offset:         62
        .size:           2
        .value_kind:     hidden_group_size_y
      - .offset:         64
        .size:           2
        .value_kind:     hidden_group_size_z
      - .offset:         66
        .size:           2
        .value_kind:     hidden_remainder_x
      - .offset:         68
        .size:           2
        .value_kind:     hidden_remainder_y
      - .offset:         70
        .size:           2
        .value_kind:     hidden_remainder_z
      - .offset:         88
        .size:           8
        .value_kind:     hidden_global_offset_x
      - .offset:         96
        .size:           8
        .value_kind:     hidden_global_offset_y
      - .offset:         104
        .size:           8
        .value_kind:     hidden_global_offset_z
      - .offset:         112
        .size:           2
        .value_kind:     hidden_grid_dims
    .group_segment_fixed_size: 0
    .kernarg_segment_align: 8
    .kernarg_segment_size: 304
    .language:       OpenCL C
    .language_version:
      - 2
      - 0
    .max_flat_workgroup_size: 256
    .name:           _ZN7rocprim17ROCPRIM_400000_NS6detail31init_lookback_scan_state_kernelINS1_19lookback_scan_stateIN3c107complexIdEELb1ELb0EEENS1_16block_id_wrapperIjLb0EEEEEvT_jT0_jPNSA_10value_typeE
    .private_segment_fixed_size: 0
    .sgpr_count:     19
    .sgpr_spill_count: 0
    .symbol:         _ZN7rocprim17ROCPRIM_400000_NS6detail31init_lookback_scan_state_kernelINS1_19lookback_scan_stateIN3c107complexIdEELb1ELb0EEENS1_16block_id_wrapperIjLb0EEEEEvT_jT0_jPNSA_10value_typeE.kd
    .uniform_work_group_size: 1
    .uses_dynamic_stack: false
    .vgpr_count:     6
    .vgpr_spill_count: 0
    .wavefront_size: 32
    .workgroup_processor_mode: 1
  - .args:
      - .offset:         0
        .size:           128
        .value_kind:     by_value
    .group_segment_fixed_size: 0
    .kernarg_segment_align: 16
    .kernarg_segment_size: 128
    .language:       OpenCL C
    .language_version:
      - 2
      - 0
    .max_flat_workgroup_size: 128
    .name:           _ZN7rocprim17ROCPRIM_400000_NS6detail17trampoline_kernelINS0_14default_configENS1_20scan_config_selectorIN3c107complexIdEEEEZZNS1_9scan_implILNS1_25lookback_scan_determinismE0ELb0ELb0ES3_PKS7_PS7_S7_ZZZN2at6native31launch_logcumsumexp_cuda_kernelERKNSE_10TensorBaseESI_lENKUlvE_clEvENKUlvE1_clEvEUlS7_S7_E_S7_EEDaPvRmT3_T4_T5_mT6_P12ihipStream_tbENKUlT_T0_E_clISt17integral_constantIbLb1EESY_IbLb0EEEEDaSU_SV_EUlSU_E_NS1_11comp_targetILNS1_3genE0ELNS1_11target_archE4294967295ELNS1_3gpuE0ELNS1_3repE0EEENS1_30default_config_static_selectorELNS0_4arch9wavefront6targetE0EEEvT1_
    .private_segment_fixed_size: 0
    .sgpr_count:     0
    .sgpr_spill_count: 0
    .symbol:         _ZN7rocprim17ROCPRIM_400000_NS6detail17trampoline_kernelINS0_14default_configENS1_20scan_config_selectorIN3c107complexIdEEEEZZNS1_9scan_implILNS1_25lookback_scan_determinismE0ELb0ELb0ES3_PKS7_PS7_S7_ZZZN2at6native31launch_logcumsumexp_cuda_kernelERKNSE_10TensorBaseESI_lENKUlvE_clEvENKUlvE1_clEvEUlS7_S7_E_S7_EEDaPvRmT3_T4_T5_mT6_P12ihipStream_tbENKUlT_T0_E_clISt17integral_constantIbLb1EESY_IbLb0EEEEDaSU_SV_EUlSU_E_NS1_11comp_targetILNS1_3genE0ELNS1_11target_archE4294967295ELNS1_3gpuE0ELNS1_3repE0EEENS1_30default_config_static_selectorELNS0_4arch9wavefront6targetE0EEEvT1_.kd
    .uniform_work_group_size: 1
    .uses_dynamic_stack: false
    .vgpr_count:     0
    .vgpr_spill_count: 0
    .wavefront_size: 32
    .workgroup_processor_mode: 1
  - .args:
      - .offset:         0
        .size:           128
        .value_kind:     by_value
    .group_segment_fixed_size: 0
    .kernarg_segment_align: 16
    .kernarg_segment_size: 128
    .language:       OpenCL C
    .language_version:
      - 2
      - 0
    .max_flat_workgroup_size: 256
    .name:           _ZN7rocprim17ROCPRIM_400000_NS6detail17trampoline_kernelINS0_14default_configENS1_20scan_config_selectorIN3c107complexIdEEEEZZNS1_9scan_implILNS1_25lookback_scan_determinismE0ELb0ELb0ES3_PKS7_PS7_S7_ZZZN2at6native31launch_logcumsumexp_cuda_kernelERKNSE_10TensorBaseESI_lENKUlvE_clEvENKUlvE1_clEvEUlS7_S7_E_S7_EEDaPvRmT3_T4_T5_mT6_P12ihipStream_tbENKUlT_T0_E_clISt17integral_constantIbLb1EESY_IbLb0EEEEDaSU_SV_EUlSU_E_NS1_11comp_targetILNS1_3genE5ELNS1_11target_archE942ELNS1_3gpuE9ELNS1_3repE0EEENS1_30default_config_static_selectorELNS0_4arch9wavefront6targetE0EEEvT1_
    .private_segment_fixed_size: 0
    .sgpr_count:     0
    .sgpr_spill_count: 0
    .symbol:         _ZN7rocprim17ROCPRIM_400000_NS6detail17trampoline_kernelINS0_14default_configENS1_20scan_config_selectorIN3c107complexIdEEEEZZNS1_9scan_implILNS1_25lookback_scan_determinismE0ELb0ELb0ES3_PKS7_PS7_S7_ZZZN2at6native31launch_logcumsumexp_cuda_kernelERKNSE_10TensorBaseESI_lENKUlvE_clEvENKUlvE1_clEvEUlS7_S7_E_S7_EEDaPvRmT3_T4_T5_mT6_P12ihipStream_tbENKUlT_T0_E_clISt17integral_constantIbLb1EESY_IbLb0EEEEDaSU_SV_EUlSU_E_NS1_11comp_targetILNS1_3genE5ELNS1_11target_archE942ELNS1_3gpuE9ELNS1_3repE0EEENS1_30default_config_static_selectorELNS0_4arch9wavefront6targetE0EEEvT1_.kd
    .uniform_work_group_size: 1
    .uses_dynamic_stack: false
    .vgpr_count:     0
    .vgpr_spill_count: 0
    .wavefront_size: 32
    .workgroup_processor_mode: 1
  - .args:
      - .offset:         0
        .size:           128
        .value_kind:     by_value
    .group_segment_fixed_size: 0
    .kernarg_segment_align: 16
    .kernarg_segment_size: 128
    .language:       OpenCL C
    .language_version:
      - 2
      - 0
    .max_flat_workgroup_size: 64
    .name:           _ZN7rocprim17ROCPRIM_400000_NS6detail17trampoline_kernelINS0_14default_configENS1_20scan_config_selectorIN3c107complexIdEEEEZZNS1_9scan_implILNS1_25lookback_scan_determinismE0ELb0ELb0ES3_PKS7_PS7_S7_ZZZN2at6native31launch_logcumsumexp_cuda_kernelERKNSE_10TensorBaseESI_lENKUlvE_clEvENKUlvE1_clEvEUlS7_S7_E_S7_EEDaPvRmT3_T4_T5_mT6_P12ihipStream_tbENKUlT_T0_E_clISt17integral_constantIbLb1EESY_IbLb0EEEEDaSU_SV_EUlSU_E_NS1_11comp_targetILNS1_3genE4ELNS1_11target_archE910ELNS1_3gpuE8ELNS1_3repE0EEENS1_30default_config_static_selectorELNS0_4arch9wavefront6targetE0EEEvT1_
    .private_segment_fixed_size: 0
    .sgpr_count:     0
    .sgpr_spill_count: 0
    .symbol:         _ZN7rocprim17ROCPRIM_400000_NS6detail17trampoline_kernelINS0_14default_configENS1_20scan_config_selectorIN3c107complexIdEEEEZZNS1_9scan_implILNS1_25lookback_scan_determinismE0ELb0ELb0ES3_PKS7_PS7_S7_ZZZN2at6native31launch_logcumsumexp_cuda_kernelERKNSE_10TensorBaseESI_lENKUlvE_clEvENKUlvE1_clEvEUlS7_S7_E_S7_EEDaPvRmT3_T4_T5_mT6_P12ihipStream_tbENKUlT_T0_E_clISt17integral_constantIbLb1EESY_IbLb0EEEEDaSU_SV_EUlSU_E_NS1_11comp_targetILNS1_3genE4ELNS1_11target_archE910ELNS1_3gpuE8ELNS1_3repE0EEENS1_30default_config_static_selectorELNS0_4arch9wavefront6targetE0EEEvT1_.kd
    .uniform_work_group_size: 1
    .uses_dynamic_stack: false
    .vgpr_count:     0
    .vgpr_spill_count: 0
    .wavefront_size: 32
    .workgroup_processor_mode: 1
  - .args:
      - .offset:         0
        .size:           128
        .value_kind:     by_value
    .group_segment_fixed_size: 0
    .kernarg_segment_align: 16
    .kernarg_segment_size: 128
    .language:       OpenCL C
    .language_version:
      - 2
      - 0
    .max_flat_workgroup_size: 128
    .name:           _ZN7rocprim17ROCPRIM_400000_NS6detail17trampoline_kernelINS0_14default_configENS1_20scan_config_selectorIN3c107complexIdEEEEZZNS1_9scan_implILNS1_25lookback_scan_determinismE0ELb0ELb0ES3_PKS7_PS7_S7_ZZZN2at6native31launch_logcumsumexp_cuda_kernelERKNSE_10TensorBaseESI_lENKUlvE_clEvENKUlvE1_clEvEUlS7_S7_E_S7_EEDaPvRmT3_T4_T5_mT6_P12ihipStream_tbENKUlT_T0_E_clISt17integral_constantIbLb1EESY_IbLb0EEEEDaSU_SV_EUlSU_E_NS1_11comp_targetILNS1_3genE3ELNS1_11target_archE908ELNS1_3gpuE7ELNS1_3repE0EEENS1_30default_config_static_selectorELNS0_4arch9wavefront6targetE0EEEvT1_
    .private_segment_fixed_size: 0
    .sgpr_count:     0
    .sgpr_spill_count: 0
    .symbol:         _ZN7rocprim17ROCPRIM_400000_NS6detail17trampoline_kernelINS0_14default_configENS1_20scan_config_selectorIN3c107complexIdEEEEZZNS1_9scan_implILNS1_25lookback_scan_determinismE0ELb0ELb0ES3_PKS7_PS7_S7_ZZZN2at6native31launch_logcumsumexp_cuda_kernelERKNSE_10TensorBaseESI_lENKUlvE_clEvENKUlvE1_clEvEUlS7_S7_E_S7_EEDaPvRmT3_T4_T5_mT6_P12ihipStream_tbENKUlT_T0_E_clISt17integral_constantIbLb1EESY_IbLb0EEEEDaSU_SV_EUlSU_E_NS1_11comp_targetILNS1_3genE3ELNS1_11target_archE908ELNS1_3gpuE7ELNS1_3repE0EEENS1_30default_config_static_selectorELNS0_4arch9wavefront6targetE0EEEvT1_.kd
    .uniform_work_group_size: 1
    .uses_dynamic_stack: false
    .vgpr_count:     0
    .vgpr_spill_count: 0
    .wavefront_size: 32
    .workgroup_processor_mode: 1
  - .args:
      - .offset:         0
        .size:           128
        .value_kind:     by_value
    .group_segment_fixed_size: 0
    .kernarg_segment_align: 16
    .kernarg_segment_size: 128
    .language:       OpenCL C
    .language_version:
      - 2
      - 0
    .max_flat_workgroup_size: 64
    .name:           _ZN7rocprim17ROCPRIM_400000_NS6detail17trampoline_kernelINS0_14default_configENS1_20scan_config_selectorIN3c107complexIdEEEEZZNS1_9scan_implILNS1_25lookback_scan_determinismE0ELb0ELb0ES3_PKS7_PS7_S7_ZZZN2at6native31launch_logcumsumexp_cuda_kernelERKNSE_10TensorBaseESI_lENKUlvE_clEvENKUlvE1_clEvEUlS7_S7_E_S7_EEDaPvRmT3_T4_T5_mT6_P12ihipStream_tbENKUlT_T0_E_clISt17integral_constantIbLb1EESY_IbLb0EEEEDaSU_SV_EUlSU_E_NS1_11comp_targetILNS1_3genE2ELNS1_11target_archE906ELNS1_3gpuE6ELNS1_3repE0EEENS1_30default_config_static_selectorELNS0_4arch9wavefront6targetE0EEEvT1_
    .private_segment_fixed_size: 0
    .sgpr_count:     0
    .sgpr_spill_count: 0
    .symbol:         _ZN7rocprim17ROCPRIM_400000_NS6detail17trampoline_kernelINS0_14default_configENS1_20scan_config_selectorIN3c107complexIdEEEEZZNS1_9scan_implILNS1_25lookback_scan_determinismE0ELb0ELb0ES3_PKS7_PS7_S7_ZZZN2at6native31launch_logcumsumexp_cuda_kernelERKNSE_10TensorBaseESI_lENKUlvE_clEvENKUlvE1_clEvEUlS7_S7_E_S7_EEDaPvRmT3_T4_T5_mT6_P12ihipStream_tbENKUlT_T0_E_clISt17integral_constantIbLb1EESY_IbLb0EEEEDaSU_SV_EUlSU_E_NS1_11comp_targetILNS1_3genE2ELNS1_11target_archE906ELNS1_3gpuE6ELNS1_3repE0EEENS1_30default_config_static_selectorELNS0_4arch9wavefront6targetE0EEEvT1_.kd
    .uniform_work_group_size: 1
    .uses_dynamic_stack: false
    .vgpr_count:     0
    .vgpr_spill_count: 0
    .wavefront_size: 32
    .workgroup_processor_mode: 1
  - .args:
      - .offset:         0
        .size:           128
        .value_kind:     by_value
    .group_segment_fixed_size: 0
    .kernarg_segment_align: 16
    .kernarg_segment_size: 128
    .language:       OpenCL C
    .language_version:
      - 2
      - 0
    .max_flat_workgroup_size: 256
    .name:           _ZN7rocprim17ROCPRIM_400000_NS6detail17trampoline_kernelINS0_14default_configENS1_20scan_config_selectorIN3c107complexIdEEEEZZNS1_9scan_implILNS1_25lookback_scan_determinismE0ELb0ELb0ES3_PKS7_PS7_S7_ZZZN2at6native31launch_logcumsumexp_cuda_kernelERKNSE_10TensorBaseESI_lENKUlvE_clEvENKUlvE1_clEvEUlS7_S7_E_S7_EEDaPvRmT3_T4_T5_mT6_P12ihipStream_tbENKUlT_T0_E_clISt17integral_constantIbLb1EESY_IbLb0EEEEDaSU_SV_EUlSU_E_NS1_11comp_targetILNS1_3genE10ELNS1_11target_archE1201ELNS1_3gpuE5ELNS1_3repE0EEENS1_30default_config_static_selectorELNS0_4arch9wavefront6targetE0EEEvT1_
    .private_segment_fixed_size: 0
    .sgpr_count:     0
    .sgpr_spill_count: 0
    .symbol:         _ZN7rocprim17ROCPRIM_400000_NS6detail17trampoline_kernelINS0_14default_configENS1_20scan_config_selectorIN3c107complexIdEEEEZZNS1_9scan_implILNS1_25lookback_scan_determinismE0ELb0ELb0ES3_PKS7_PS7_S7_ZZZN2at6native31launch_logcumsumexp_cuda_kernelERKNSE_10TensorBaseESI_lENKUlvE_clEvENKUlvE1_clEvEUlS7_S7_E_S7_EEDaPvRmT3_T4_T5_mT6_P12ihipStream_tbENKUlT_T0_E_clISt17integral_constantIbLb1EESY_IbLb0EEEEDaSU_SV_EUlSU_E_NS1_11comp_targetILNS1_3genE10ELNS1_11target_archE1201ELNS1_3gpuE5ELNS1_3repE0EEENS1_30default_config_static_selectorELNS0_4arch9wavefront6targetE0EEEvT1_.kd
    .uniform_work_group_size: 1
    .uses_dynamic_stack: false
    .vgpr_count:     0
    .vgpr_spill_count: 0
    .wavefront_size: 32
    .workgroup_processor_mode: 1
  - .args:
      - .offset:         0
        .size:           128
        .value_kind:     by_value
    .group_segment_fixed_size: 0
    .kernarg_segment_align: 16
    .kernarg_segment_size: 128
    .language:       OpenCL C
    .language_version:
      - 2
      - 0
    .max_flat_workgroup_size: 256
    .name:           _ZN7rocprim17ROCPRIM_400000_NS6detail17trampoline_kernelINS0_14default_configENS1_20scan_config_selectorIN3c107complexIdEEEEZZNS1_9scan_implILNS1_25lookback_scan_determinismE0ELb0ELb0ES3_PKS7_PS7_S7_ZZZN2at6native31launch_logcumsumexp_cuda_kernelERKNSE_10TensorBaseESI_lENKUlvE_clEvENKUlvE1_clEvEUlS7_S7_E_S7_EEDaPvRmT3_T4_T5_mT6_P12ihipStream_tbENKUlT_T0_E_clISt17integral_constantIbLb1EESY_IbLb0EEEEDaSU_SV_EUlSU_E_NS1_11comp_targetILNS1_3genE10ELNS1_11target_archE1200ELNS1_3gpuE4ELNS1_3repE0EEENS1_30default_config_static_selectorELNS0_4arch9wavefront6targetE0EEEvT1_
    .private_segment_fixed_size: 0
    .sgpr_count:     0
    .sgpr_spill_count: 0
    .symbol:         _ZN7rocprim17ROCPRIM_400000_NS6detail17trampoline_kernelINS0_14default_configENS1_20scan_config_selectorIN3c107complexIdEEEEZZNS1_9scan_implILNS1_25lookback_scan_determinismE0ELb0ELb0ES3_PKS7_PS7_S7_ZZZN2at6native31launch_logcumsumexp_cuda_kernelERKNSE_10TensorBaseESI_lENKUlvE_clEvENKUlvE1_clEvEUlS7_S7_E_S7_EEDaPvRmT3_T4_T5_mT6_P12ihipStream_tbENKUlT_T0_E_clISt17integral_constantIbLb1EESY_IbLb0EEEEDaSU_SV_EUlSU_E_NS1_11comp_targetILNS1_3genE10ELNS1_11target_archE1200ELNS1_3gpuE4ELNS1_3repE0EEENS1_30default_config_static_selectorELNS0_4arch9wavefront6targetE0EEEvT1_.kd
    .uniform_work_group_size: 1
    .uses_dynamic_stack: false
    .vgpr_count:     0
    .vgpr_spill_count: 0
    .wavefront_size: 32
    .workgroup_processor_mode: 1
  - .args:
      - .offset:         0
        .size:           128
        .value_kind:     by_value
    .group_segment_fixed_size: 0
    .kernarg_segment_align: 16
    .kernarg_segment_size: 128
    .language:       OpenCL C
    .language_version:
      - 2
      - 0
    .max_flat_workgroup_size: 256
    .name:           _ZN7rocprim17ROCPRIM_400000_NS6detail17trampoline_kernelINS0_14default_configENS1_20scan_config_selectorIN3c107complexIdEEEEZZNS1_9scan_implILNS1_25lookback_scan_determinismE0ELb0ELb0ES3_PKS7_PS7_S7_ZZZN2at6native31launch_logcumsumexp_cuda_kernelERKNSE_10TensorBaseESI_lENKUlvE_clEvENKUlvE1_clEvEUlS7_S7_E_S7_EEDaPvRmT3_T4_T5_mT6_P12ihipStream_tbENKUlT_T0_E_clISt17integral_constantIbLb1EESY_IbLb0EEEEDaSU_SV_EUlSU_E_NS1_11comp_targetILNS1_3genE9ELNS1_11target_archE1100ELNS1_3gpuE3ELNS1_3repE0EEENS1_30default_config_static_selectorELNS0_4arch9wavefront6targetE0EEEvT1_
    .private_segment_fixed_size: 0
    .sgpr_count:     0
    .sgpr_spill_count: 0
    .symbol:         _ZN7rocprim17ROCPRIM_400000_NS6detail17trampoline_kernelINS0_14default_configENS1_20scan_config_selectorIN3c107complexIdEEEEZZNS1_9scan_implILNS1_25lookback_scan_determinismE0ELb0ELb0ES3_PKS7_PS7_S7_ZZZN2at6native31launch_logcumsumexp_cuda_kernelERKNSE_10TensorBaseESI_lENKUlvE_clEvENKUlvE1_clEvEUlS7_S7_E_S7_EEDaPvRmT3_T4_T5_mT6_P12ihipStream_tbENKUlT_T0_E_clISt17integral_constantIbLb1EESY_IbLb0EEEEDaSU_SV_EUlSU_E_NS1_11comp_targetILNS1_3genE9ELNS1_11target_archE1100ELNS1_3gpuE3ELNS1_3repE0EEENS1_30default_config_static_selectorELNS0_4arch9wavefront6targetE0EEEvT1_.kd
    .uniform_work_group_size: 1
    .uses_dynamic_stack: false
    .vgpr_count:     0
    .vgpr_spill_count: 0
    .wavefront_size: 32
    .workgroup_processor_mode: 1
  - .args:
      - .offset:         0
        .size:           128
        .value_kind:     by_value
    .group_segment_fixed_size: 0
    .kernarg_segment_align: 16
    .kernarg_segment_size: 128
    .language:       OpenCL C
    .language_version:
      - 2
      - 0
    .max_flat_workgroup_size: 256
    .name:           _ZN7rocprim17ROCPRIM_400000_NS6detail17trampoline_kernelINS0_14default_configENS1_20scan_config_selectorIN3c107complexIdEEEEZZNS1_9scan_implILNS1_25lookback_scan_determinismE0ELb0ELb0ES3_PKS7_PS7_S7_ZZZN2at6native31launch_logcumsumexp_cuda_kernelERKNSE_10TensorBaseESI_lENKUlvE_clEvENKUlvE1_clEvEUlS7_S7_E_S7_EEDaPvRmT3_T4_T5_mT6_P12ihipStream_tbENKUlT_T0_E_clISt17integral_constantIbLb1EESY_IbLb0EEEEDaSU_SV_EUlSU_E_NS1_11comp_targetILNS1_3genE8ELNS1_11target_archE1030ELNS1_3gpuE2ELNS1_3repE0EEENS1_30default_config_static_selectorELNS0_4arch9wavefront6targetE0EEEvT1_
    .private_segment_fixed_size: 0
    .sgpr_count:     0
    .sgpr_spill_count: 0
    .symbol:         _ZN7rocprim17ROCPRIM_400000_NS6detail17trampoline_kernelINS0_14default_configENS1_20scan_config_selectorIN3c107complexIdEEEEZZNS1_9scan_implILNS1_25lookback_scan_determinismE0ELb0ELb0ES3_PKS7_PS7_S7_ZZZN2at6native31launch_logcumsumexp_cuda_kernelERKNSE_10TensorBaseESI_lENKUlvE_clEvENKUlvE1_clEvEUlS7_S7_E_S7_EEDaPvRmT3_T4_T5_mT6_P12ihipStream_tbENKUlT_T0_E_clISt17integral_constantIbLb1EESY_IbLb0EEEEDaSU_SV_EUlSU_E_NS1_11comp_targetILNS1_3genE8ELNS1_11target_archE1030ELNS1_3gpuE2ELNS1_3repE0EEENS1_30default_config_static_selectorELNS0_4arch9wavefront6targetE0EEEvT1_.kd
    .uniform_work_group_size: 1
    .uses_dynamic_stack: false
    .vgpr_count:     0
    .vgpr_spill_count: 0
    .wavefront_size: 32
    .workgroup_processor_mode: 1
  - .args:
      - .offset:         0
        .size:           48
        .value_kind:     by_value
    .group_segment_fixed_size: 0
    .kernarg_segment_align: 16
    .kernarg_segment_size: 48
    .language:       OpenCL C
    .language_version:
      - 2
      - 0
    .max_flat_workgroup_size: 128
    .name:           _ZN7rocprim17ROCPRIM_400000_NS6detail17trampoline_kernelINS0_14default_configENS1_20scan_config_selectorIN3c107complexIdEEEEZZNS1_9scan_implILNS1_25lookback_scan_determinismE0ELb0ELb0ES3_PKS7_PS7_S7_ZZZN2at6native31launch_logcumsumexp_cuda_kernelERKNSE_10TensorBaseESI_lENKUlvE_clEvENKUlvE1_clEvEUlS7_S7_E_S7_EEDaPvRmT3_T4_T5_mT6_P12ihipStream_tbENKUlT_T0_E_clISt17integral_constantIbLb1EESY_IbLb0EEEEDaSU_SV_EUlSU_E0_NS1_11comp_targetILNS1_3genE0ELNS1_11target_archE4294967295ELNS1_3gpuE0ELNS1_3repE0EEENS1_30default_config_static_selectorELNS0_4arch9wavefront6targetE0EEEvT1_
    .private_segment_fixed_size: 0
    .sgpr_count:     0
    .sgpr_spill_count: 0
    .symbol:         _ZN7rocprim17ROCPRIM_400000_NS6detail17trampoline_kernelINS0_14default_configENS1_20scan_config_selectorIN3c107complexIdEEEEZZNS1_9scan_implILNS1_25lookback_scan_determinismE0ELb0ELb0ES3_PKS7_PS7_S7_ZZZN2at6native31launch_logcumsumexp_cuda_kernelERKNSE_10TensorBaseESI_lENKUlvE_clEvENKUlvE1_clEvEUlS7_S7_E_S7_EEDaPvRmT3_T4_T5_mT6_P12ihipStream_tbENKUlT_T0_E_clISt17integral_constantIbLb1EESY_IbLb0EEEEDaSU_SV_EUlSU_E0_NS1_11comp_targetILNS1_3genE0ELNS1_11target_archE4294967295ELNS1_3gpuE0ELNS1_3repE0EEENS1_30default_config_static_selectorELNS0_4arch9wavefront6targetE0EEEvT1_.kd
    .uniform_work_group_size: 1
    .uses_dynamic_stack: false
    .vgpr_count:     0
    .vgpr_spill_count: 0
    .wavefront_size: 32
    .workgroup_processor_mode: 1
  - .args:
      - .offset:         0
        .size:           48
        .value_kind:     by_value
    .group_segment_fixed_size: 0
    .kernarg_segment_align: 16
    .kernarg_segment_size: 48
    .language:       OpenCL C
    .language_version:
      - 2
      - 0
    .max_flat_workgroup_size: 256
    .name:           _ZN7rocprim17ROCPRIM_400000_NS6detail17trampoline_kernelINS0_14default_configENS1_20scan_config_selectorIN3c107complexIdEEEEZZNS1_9scan_implILNS1_25lookback_scan_determinismE0ELb0ELb0ES3_PKS7_PS7_S7_ZZZN2at6native31launch_logcumsumexp_cuda_kernelERKNSE_10TensorBaseESI_lENKUlvE_clEvENKUlvE1_clEvEUlS7_S7_E_S7_EEDaPvRmT3_T4_T5_mT6_P12ihipStream_tbENKUlT_T0_E_clISt17integral_constantIbLb1EESY_IbLb0EEEEDaSU_SV_EUlSU_E0_NS1_11comp_targetILNS1_3genE5ELNS1_11target_archE942ELNS1_3gpuE9ELNS1_3repE0EEENS1_30default_config_static_selectorELNS0_4arch9wavefront6targetE0EEEvT1_
    .private_segment_fixed_size: 0
    .sgpr_count:     0
    .sgpr_spill_count: 0
    .symbol:         _ZN7rocprim17ROCPRIM_400000_NS6detail17trampoline_kernelINS0_14default_configENS1_20scan_config_selectorIN3c107complexIdEEEEZZNS1_9scan_implILNS1_25lookback_scan_determinismE0ELb0ELb0ES3_PKS7_PS7_S7_ZZZN2at6native31launch_logcumsumexp_cuda_kernelERKNSE_10TensorBaseESI_lENKUlvE_clEvENKUlvE1_clEvEUlS7_S7_E_S7_EEDaPvRmT3_T4_T5_mT6_P12ihipStream_tbENKUlT_T0_E_clISt17integral_constantIbLb1EESY_IbLb0EEEEDaSU_SV_EUlSU_E0_NS1_11comp_targetILNS1_3genE5ELNS1_11target_archE942ELNS1_3gpuE9ELNS1_3repE0EEENS1_30default_config_static_selectorELNS0_4arch9wavefront6targetE0EEEvT1_.kd
    .uniform_work_group_size: 1
    .uses_dynamic_stack: false
    .vgpr_count:     0
    .vgpr_spill_count: 0
    .wavefront_size: 32
    .workgroup_processor_mode: 1
  - .args:
      - .offset:         0
        .size:           48
        .value_kind:     by_value
    .group_segment_fixed_size: 0
    .kernarg_segment_align: 16
    .kernarg_segment_size: 48
    .language:       OpenCL C
    .language_version:
      - 2
      - 0
    .max_flat_workgroup_size: 64
    .name:           _ZN7rocprim17ROCPRIM_400000_NS6detail17trampoline_kernelINS0_14default_configENS1_20scan_config_selectorIN3c107complexIdEEEEZZNS1_9scan_implILNS1_25lookback_scan_determinismE0ELb0ELb0ES3_PKS7_PS7_S7_ZZZN2at6native31launch_logcumsumexp_cuda_kernelERKNSE_10TensorBaseESI_lENKUlvE_clEvENKUlvE1_clEvEUlS7_S7_E_S7_EEDaPvRmT3_T4_T5_mT6_P12ihipStream_tbENKUlT_T0_E_clISt17integral_constantIbLb1EESY_IbLb0EEEEDaSU_SV_EUlSU_E0_NS1_11comp_targetILNS1_3genE4ELNS1_11target_archE910ELNS1_3gpuE8ELNS1_3repE0EEENS1_30default_config_static_selectorELNS0_4arch9wavefront6targetE0EEEvT1_
    .private_segment_fixed_size: 0
    .sgpr_count:     0
    .sgpr_spill_count: 0
    .symbol:         _ZN7rocprim17ROCPRIM_400000_NS6detail17trampoline_kernelINS0_14default_configENS1_20scan_config_selectorIN3c107complexIdEEEEZZNS1_9scan_implILNS1_25lookback_scan_determinismE0ELb0ELb0ES3_PKS7_PS7_S7_ZZZN2at6native31launch_logcumsumexp_cuda_kernelERKNSE_10TensorBaseESI_lENKUlvE_clEvENKUlvE1_clEvEUlS7_S7_E_S7_EEDaPvRmT3_T4_T5_mT6_P12ihipStream_tbENKUlT_T0_E_clISt17integral_constantIbLb1EESY_IbLb0EEEEDaSU_SV_EUlSU_E0_NS1_11comp_targetILNS1_3genE4ELNS1_11target_archE910ELNS1_3gpuE8ELNS1_3repE0EEENS1_30default_config_static_selectorELNS0_4arch9wavefront6targetE0EEEvT1_.kd
    .uniform_work_group_size: 1
    .uses_dynamic_stack: false
    .vgpr_count:     0
    .vgpr_spill_count: 0
    .wavefront_size: 32
    .workgroup_processor_mode: 1
  - .args:
      - .offset:         0
        .size:           48
        .value_kind:     by_value
    .group_segment_fixed_size: 0
    .kernarg_segment_align: 16
    .kernarg_segment_size: 48
    .language:       OpenCL C
    .language_version:
      - 2
      - 0
    .max_flat_workgroup_size: 128
    .name:           _ZN7rocprim17ROCPRIM_400000_NS6detail17trampoline_kernelINS0_14default_configENS1_20scan_config_selectorIN3c107complexIdEEEEZZNS1_9scan_implILNS1_25lookback_scan_determinismE0ELb0ELb0ES3_PKS7_PS7_S7_ZZZN2at6native31launch_logcumsumexp_cuda_kernelERKNSE_10TensorBaseESI_lENKUlvE_clEvENKUlvE1_clEvEUlS7_S7_E_S7_EEDaPvRmT3_T4_T5_mT6_P12ihipStream_tbENKUlT_T0_E_clISt17integral_constantIbLb1EESY_IbLb0EEEEDaSU_SV_EUlSU_E0_NS1_11comp_targetILNS1_3genE3ELNS1_11target_archE908ELNS1_3gpuE7ELNS1_3repE0EEENS1_30default_config_static_selectorELNS0_4arch9wavefront6targetE0EEEvT1_
    .private_segment_fixed_size: 0
    .sgpr_count:     0
    .sgpr_spill_count: 0
    .symbol:         _ZN7rocprim17ROCPRIM_400000_NS6detail17trampoline_kernelINS0_14default_configENS1_20scan_config_selectorIN3c107complexIdEEEEZZNS1_9scan_implILNS1_25lookback_scan_determinismE0ELb0ELb0ES3_PKS7_PS7_S7_ZZZN2at6native31launch_logcumsumexp_cuda_kernelERKNSE_10TensorBaseESI_lENKUlvE_clEvENKUlvE1_clEvEUlS7_S7_E_S7_EEDaPvRmT3_T4_T5_mT6_P12ihipStream_tbENKUlT_T0_E_clISt17integral_constantIbLb1EESY_IbLb0EEEEDaSU_SV_EUlSU_E0_NS1_11comp_targetILNS1_3genE3ELNS1_11target_archE908ELNS1_3gpuE7ELNS1_3repE0EEENS1_30default_config_static_selectorELNS0_4arch9wavefront6targetE0EEEvT1_.kd
    .uniform_work_group_size: 1
    .uses_dynamic_stack: false
    .vgpr_count:     0
    .vgpr_spill_count: 0
    .wavefront_size: 32
    .workgroup_processor_mode: 1
  - .args:
      - .offset:         0
        .size:           48
        .value_kind:     by_value
    .group_segment_fixed_size: 0
    .kernarg_segment_align: 16
    .kernarg_segment_size: 48
    .language:       OpenCL C
    .language_version:
      - 2
      - 0
    .max_flat_workgroup_size: 64
    .name:           _ZN7rocprim17ROCPRIM_400000_NS6detail17trampoline_kernelINS0_14default_configENS1_20scan_config_selectorIN3c107complexIdEEEEZZNS1_9scan_implILNS1_25lookback_scan_determinismE0ELb0ELb0ES3_PKS7_PS7_S7_ZZZN2at6native31launch_logcumsumexp_cuda_kernelERKNSE_10TensorBaseESI_lENKUlvE_clEvENKUlvE1_clEvEUlS7_S7_E_S7_EEDaPvRmT3_T4_T5_mT6_P12ihipStream_tbENKUlT_T0_E_clISt17integral_constantIbLb1EESY_IbLb0EEEEDaSU_SV_EUlSU_E0_NS1_11comp_targetILNS1_3genE2ELNS1_11target_archE906ELNS1_3gpuE6ELNS1_3repE0EEENS1_30default_config_static_selectorELNS0_4arch9wavefront6targetE0EEEvT1_
    .private_segment_fixed_size: 0
    .sgpr_count:     0
    .sgpr_spill_count: 0
    .symbol:         _ZN7rocprim17ROCPRIM_400000_NS6detail17trampoline_kernelINS0_14default_configENS1_20scan_config_selectorIN3c107complexIdEEEEZZNS1_9scan_implILNS1_25lookback_scan_determinismE0ELb0ELb0ES3_PKS7_PS7_S7_ZZZN2at6native31launch_logcumsumexp_cuda_kernelERKNSE_10TensorBaseESI_lENKUlvE_clEvENKUlvE1_clEvEUlS7_S7_E_S7_EEDaPvRmT3_T4_T5_mT6_P12ihipStream_tbENKUlT_T0_E_clISt17integral_constantIbLb1EESY_IbLb0EEEEDaSU_SV_EUlSU_E0_NS1_11comp_targetILNS1_3genE2ELNS1_11target_archE906ELNS1_3gpuE6ELNS1_3repE0EEENS1_30default_config_static_selectorELNS0_4arch9wavefront6targetE0EEEvT1_.kd
    .uniform_work_group_size: 1
    .uses_dynamic_stack: false
    .vgpr_count:     0
    .vgpr_spill_count: 0
    .wavefront_size: 32
    .workgroup_processor_mode: 1
  - .args:
      - .offset:         0
        .size:           48
        .value_kind:     by_value
    .group_segment_fixed_size: 0
    .kernarg_segment_align: 16
    .kernarg_segment_size: 48
    .language:       OpenCL C
    .language_version:
      - 2
      - 0
    .max_flat_workgroup_size: 256
    .name:           _ZN7rocprim17ROCPRIM_400000_NS6detail17trampoline_kernelINS0_14default_configENS1_20scan_config_selectorIN3c107complexIdEEEEZZNS1_9scan_implILNS1_25lookback_scan_determinismE0ELb0ELb0ES3_PKS7_PS7_S7_ZZZN2at6native31launch_logcumsumexp_cuda_kernelERKNSE_10TensorBaseESI_lENKUlvE_clEvENKUlvE1_clEvEUlS7_S7_E_S7_EEDaPvRmT3_T4_T5_mT6_P12ihipStream_tbENKUlT_T0_E_clISt17integral_constantIbLb1EESY_IbLb0EEEEDaSU_SV_EUlSU_E0_NS1_11comp_targetILNS1_3genE10ELNS1_11target_archE1201ELNS1_3gpuE5ELNS1_3repE0EEENS1_30default_config_static_selectorELNS0_4arch9wavefront6targetE0EEEvT1_
    .private_segment_fixed_size: 0
    .sgpr_count:     0
    .sgpr_spill_count: 0
    .symbol:         _ZN7rocprim17ROCPRIM_400000_NS6detail17trampoline_kernelINS0_14default_configENS1_20scan_config_selectorIN3c107complexIdEEEEZZNS1_9scan_implILNS1_25lookback_scan_determinismE0ELb0ELb0ES3_PKS7_PS7_S7_ZZZN2at6native31launch_logcumsumexp_cuda_kernelERKNSE_10TensorBaseESI_lENKUlvE_clEvENKUlvE1_clEvEUlS7_S7_E_S7_EEDaPvRmT3_T4_T5_mT6_P12ihipStream_tbENKUlT_T0_E_clISt17integral_constantIbLb1EESY_IbLb0EEEEDaSU_SV_EUlSU_E0_NS1_11comp_targetILNS1_3genE10ELNS1_11target_archE1201ELNS1_3gpuE5ELNS1_3repE0EEENS1_30default_config_static_selectorELNS0_4arch9wavefront6targetE0EEEvT1_.kd
    .uniform_work_group_size: 1
    .uses_dynamic_stack: false
    .vgpr_count:     0
    .vgpr_spill_count: 0
    .wavefront_size: 32
    .workgroup_processor_mode: 1
  - .args:
      - .offset:         0
        .size:           48
        .value_kind:     by_value
    .group_segment_fixed_size: 0
    .kernarg_segment_align: 16
    .kernarg_segment_size: 48
    .language:       OpenCL C
    .language_version:
      - 2
      - 0
    .max_flat_workgroup_size: 256
    .name:           _ZN7rocprim17ROCPRIM_400000_NS6detail17trampoline_kernelINS0_14default_configENS1_20scan_config_selectorIN3c107complexIdEEEEZZNS1_9scan_implILNS1_25lookback_scan_determinismE0ELb0ELb0ES3_PKS7_PS7_S7_ZZZN2at6native31launch_logcumsumexp_cuda_kernelERKNSE_10TensorBaseESI_lENKUlvE_clEvENKUlvE1_clEvEUlS7_S7_E_S7_EEDaPvRmT3_T4_T5_mT6_P12ihipStream_tbENKUlT_T0_E_clISt17integral_constantIbLb1EESY_IbLb0EEEEDaSU_SV_EUlSU_E0_NS1_11comp_targetILNS1_3genE10ELNS1_11target_archE1200ELNS1_3gpuE4ELNS1_3repE0EEENS1_30default_config_static_selectorELNS0_4arch9wavefront6targetE0EEEvT1_
    .private_segment_fixed_size: 0
    .sgpr_count:     0
    .sgpr_spill_count: 0
    .symbol:         _ZN7rocprim17ROCPRIM_400000_NS6detail17trampoline_kernelINS0_14default_configENS1_20scan_config_selectorIN3c107complexIdEEEEZZNS1_9scan_implILNS1_25lookback_scan_determinismE0ELb0ELb0ES3_PKS7_PS7_S7_ZZZN2at6native31launch_logcumsumexp_cuda_kernelERKNSE_10TensorBaseESI_lENKUlvE_clEvENKUlvE1_clEvEUlS7_S7_E_S7_EEDaPvRmT3_T4_T5_mT6_P12ihipStream_tbENKUlT_T0_E_clISt17integral_constantIbLb1EESY_IbLb0EEEEDaSU_SV_EUlSU_E0_NS1_11comp_targetILNS1_3genE10ELNS1_11target_archE1200ELNS1_3gpuE4ELNS1_3repE0EEENS1_30default_config_static_selectorELNS0_4arch9wavefront6targetE0EEEvT1_.kd
    .uniform_work_group_size: 1
    .uses_dynamic_stack: false
    .vgpr_count:     0
    .vgpr_spill_count: 0
    .wavefront_size: 32
    .workgroup_processor_mode: 1
  - .args:
      - .offset:         0
        .size:           48
        .value_kind:     by_value
    .group_segment_fixed_size: 0
    .kernarg_segment_align: 16
    .kernarg_segment_size: 48
    .language:       OpenCL C
    .language_version:
      - 2
      - 0
    .max_flat_workgroup_size: 256
    .name:           _ZN7rocprim17ROCPRIM_400000_NS6detail17trampoline_kernelINS0_14default_configENS1_20scan_config_selectorIN3c107complexIdEEEEZZNS1_9scan_implILNS1_25lookback_scan_determinismE0ELb0ELb0ES3_PKS7_PS7_S7_ZZZN2at6native31launch_logcumsumexp_cuda_kernelERKNSE_10TensorBaseESI_lENKUlvE_clEvENKUlvE1_clEvEUlS7_S7_E_S7_EEDaPvRmT3_T4_T5_mT6_P12ihipStream_tbENKUlT_T0_E_clISt17integral_constantIbLb1EESY_IbLb0EEEEDaSU_SV_EUlSU_E0_NS1_11comp_targetILNS1_3genE9ELNS1_11target_archE1100ELNS1_3gpuE3ELNS1_3repE0EEENS1_30default_config_static_selectorELNS0_4arch9wavefront6targetE0EEEvT1_
    .private_segment_fixed_size: 0
    .sgpr_count:     0
    .sgpr_spill_count: 0
    .symbol:         _ZN7rocprim17ROCPRIM_400000_NS6detail17trampoline_kernelINS0_14default_configENS1_20scan_config_selectorIN3c107complexIdEEEEZZNS1_9scan_implILNS1_25lookback_scan_determinismE0ELb0ELb0ES3_PKS7_PS7_S7_ZZZN2at6native31launch_logcumsumexp_cuda_kernelERKNSE_10TensorBaseESI_lENKUlvE_clEvENKUlvE1_clEvEUlS7_S7_E_S7_EEDaPvRmT3_T4_T5_mT6_P12ihipStream_tbENKUlT_T0_E_clISt17integral_constantIbLb1EESY_IbLb0EEEEDaSU_SV_EUlSU_E0_NS1_11comp_targetILNS1_3genE9ELNS1_11target_archE1100ELNS1_3gpuE3ELNS1_3repE0EEENS1_30default_config_static_selectorELNS0_4arch9wavefront6targetE0EEEvT1_.kd
    .uniform_work_group_size: 1
    .uses_dynamic_stack: false
    .vgpr_count:     0
    .vgpr_spill_count: 0
    .wavefront_size: 32
    .workgroup_processor_mode: 1
  - .args:
      - .offset:         0
        .size:           48
        .value_kind:     by_value
    .group_segment_fixed_size: 8448
    .kernarg_segment_align: 16
    .kernarg_segment_size: 48
    .language:       OpenCL C
    .language_version:
      - 2
      - 0
    .max_flat_workgroup_size: 256
    .name:           _ZN7rocprim17ROCPRIM_400000_NS6detail17trampoline_kernelINS0_14default_configENS1_20scan_config_selectorIN3c107complexIdEEEEZZNS1_9scan_implILNS1_25lookback_scan_determinismE0ELb0ELb0ES3_PKS7_PS7_S7_ZZZN2at6native31launch_logcumsumexp_cuda_kernelERKNSE_10TensorBaseESI_lENKUlvE_clEvENKUlvE1_clEvEUlS7_S7_E_S7_EEDaPvRmT3_T4_T5_mT6_P12ihipStream_tbENKUlT_T0_E_clISt17integral_constantIbLb1EESY_IbLb0EEEEDaSU_SV_EUlSU_E0_NS1_11comp_targetILNS1_3genE8ELNS1_11target_archE1030ELNS1_3gpuE2ELNS1_3repE0EEENS1_30default_config_static_selectorELNS0_4arch9wavefront6targetE0EEEvT1_
    .private_segment_fixed_size: 0
    .sgpr_count:     44
    .sgpr_spill_count: 0
    .symbol:         _ZN7rocprim17ROCPRIM_400000_NS6detail17trampoline_kernelINS0_14default_configENS1_20scan_config_selectorIN3c107complexIdEEEEZZNS1_9scan_implILNS1_25lookback_scan_determinismE0ELb0ELb0ES3_PKS7_PS7_S7_ZZZN2at6native31launch_logcumsumexp_cuda_kernelERKNSE_10TensorBaseESI_lENKUlvE_clEvENKUlvE1_clEvEUlS7_S7_E_S7_EEDaPvRmT3_T4_T5_mT6_P12ihipStream_tbENKUlT_T0_E_clISt17integral_constantIbLb1EESY_IbLb0EEEEDaSU_SV_EUlSU_E0_NS1_11comp_targetILNS1_3genE8ELNS1_11target_archE1030ELNS1_3gpuE2ELNS1_3repE0EEENS1_30default_config_static_selectorELNS0_4arch9wavefront6targetE0EEEvT1_.kd
    .uniform_work_group_size: 1
    .uses_dynamic_stack: false
    .vgpr_count:     86
    .vgpr_spill_count: 0
    .wavefront_size: 32
    .workgroup_processor_mode: 1
  - .args:
      - .offset:         0
        .size:           24
        .value_kind:     by_value
      - .offset:         24
        .size:           4
        .value_kind:     by_value
      - .address_space:  global
        .offset:         32
        .size:           8
        .value_kind:     global_buffer
      - .offset:         40
        .size:           4
        .value_kind:     by_value
      - .address_space:  global
        .offset:         48
        .size:           8
        .value_kind:     global_buffer
      - .offset:         56
        .size:           4
        .value_kind:     hidden_block_count_x
      - .offset:         60
        .size:           4
        .value_kind:     hidden_block_count_y
      - .offset:         64
        .size:           4
        .value_kind:     hidden_block_count_z
      - .offset:         68
        .size:           2
        .value_kind:     hidden_group_size_x
      - .offset:         70
        .size:           2
        .value_kind:     hidden_group_size_y
      - .offset:         72
        .size:           2
        .value_kind:     hidden_group_size_z
      - .offset:         74
        .size:           2
        .value_kind:     hidden_remainder_x
      - .offset:         76
        .size:           2
        .value_kind:     hidden_remainder_y
      - .offset:         78
        .size:           2
        .value_kind:     hidden_remainder_z
      - .offset:         96
        .size:           8
        .value_kind:     hidden_global_offset_x
      - .offset:         104
        .size:           8
        .value_kind:     hidden_global_offset_y
      - .offset:         112
        .size:           8
        .value_kind:     hidden_global_offset_z
      - .offset:         120
        .size:           2
        .value_kind:     hidden_grid_dims
    .group_segment_fixed_size: 0
    .kernarg_segment_align: 8
    .kernarg_segment_size: 312
    .language:       OpenCL C
    .language_version:
      - 2
      - 0
    .max_flat_workgroup_size: 256
    .name:           _ZN7rocprim17ROCPRIM_400000_NS6detail31init_lookback_scan_state_kernelINS1_19lookback_scan_stateIN3c107complexIdEELb0ELb0EEENS1_16block_id_wrapperIjLb1EEEEEvT_jT0_jPNSA_10value_typeE
    .private_segment_fixed_size: 0
    .sgpr_count:     20
    .sgpr_spill_count: 0
    .symbol:         _ZN7rocprim17ROCPRIM_400000_NS6detail31init_lookback_scan_state_kernelINS1_19lookback_scan_stateIN3c107complexIdEELb0ELb0EEENS1_16block_id_wrapperIjLb1EEEEEvT_jT0_jPNSA_10value_typeE.kd
    .uniform_work_group_size: 1
    .uses_dynamic_stack: false
    .vgpr_count:     6
    .vgpr_spill_count: 0
    .wavefront_size: 32
    .workgroup_processor_mode: 1
  - .args:
      - .offset:         0
        .size:           128
        .value_kind:     by_value
    .group_segment_fixed_size: 0
    .kernarg_segment_align: 16
    .kernarg_segment_size: 128
    .language:       OpenCL C
    .language_version:
      - 2
      - 0
    .max_flat_workgroup_size: 128
    .name:           _ZN7rocprim17ROCPRIM_400000_NS6detail17trampoline_kernelINS0_14default_configENS1_20scan_config_selectorIN3c107complexIdEEEEZZNS1_9scan_implILNS1_25lookback_scan_determinismE0ELb0ELb0ES3_PKS7_PS7_S7_ZZZN2at6native31launch_logcumsumexp_cuda_kernelERKNSE_10TensorBaseESI_lENKUlvE_clEvENKUlvE1_clEvEUlS7_S7_E_S7_EEDaPvRmT3_T4_T5_mT6_P12ihipStream_tbENKUlT_T0_E_clISt17integral_constantIbLb0EESY_IbLb1EEEEDaSU_SV_EUlSU_E_NS1_11comp_targetILNS1_3genE0ELNS1_11target_archE4294967295ELNS1_3gpuE0ELNS1_3repE0EEENS1_30default_config_static_selectorELNS0_4arch9wavefront6targetE0EEEvT1_
    .private_segment_fixed_size: 0
    .sgpr_count:     0
    .sgpr_spill_count: 0
    .symbol:         _ZN7rocprim17ROCPRIM_400000_NS6detail17trampoline_kernelINS0_14default_configENS1_20scan_config_selectorIN3c107complexIdEEEEZZNS1_9scan_implILNS1_25lookback_scan_determinismE0ELb0ELb0ES3_PKS7_PS7_S7_ZZZN2at6native31launch_logcumsumexp_cuda_kernelERKNSE_10TensorBaseESI_lENKUlvE_clEvENKUlvE1_clEvEUlS7_S7_E_S7_EEDaPvRmT3_T4_T5_mT6_P12ihipStream_tbENKUlT_T0_E_clISt17integral_constantIbLb0EESY_IbLb1EEEEDaSU_SV_EUlSU_E_NS1_11comp_targetILNS1_3genE0ELNS1_11target_archE4294967295ELNS1_3gpuE0ELNS1_3repE0EEENS1_30default_config_static_selectorELNS0_4arch9wavefront6targetE0EEEvT1_.kd
    .uniform_work_group_size: 1
    .uses_dynamic_stack: false
    .vgpr_count:     0
    .vgpr_spill_count: 0
    .wavefront_size: 32
    .workgroup_processor_mode: 1
  - .args:
      - .offset:         0
        .size:           128
        .value_kind:     by_value
    .group_segment_fixed_size: 0
    .kernarg_segment_align: 16
    .kernarg_segment_size: 128
    .language:       OpenCL C
    .language_version:
      - 2
      - 0
    .max_flat_workgroup_size: 256
    .name:           _ZN7rocprim17ROCPRIM_400000_NS6detail17trampoline_kernelINS0_14default_configENS1_20scan_config_selectorIN3c107complexIdEEEEZZNS1_9scan_implILNS1_25lookback_scan_determinismE0ELb0ELb0ES3_PKS7_PS7_S7_ZZZN2at6native31launch_logcumsumexp_cuda_kernelERKNSE_10TensorBaseESI_lENKUlvE_clEvENKUlvE1_clEvEUlS7_S7_E_S7_EEDaPvRmT3_T4_T5_mT6_P12ihipStream_tbENKUlT_T0_E_clISt17integral_constantIbLb0EESY_IbLb1EEEEDaSU_SV_EUlSU_E_NS1_11comp_targetILNS1_3genE5ELNS1_11target_archE942ELNS1_3gpuE9ELNS1_3repE0EEENS1_30default_config_static_selectorELNS0_4arch9wavefront6targetE0EEEvT1_
    .private_segment_fixed_size: 0
    .sgpr_count:     0
    .sgpr_spill_count: 0
    .symbol:         _ZN7rocprim17ROCPRIM_400000_NS6detail17trampoline_kernelINS0_14default_configENS1_20scan_config_selectorIN3c107complexIdEEEEZZNS1_9scan_implILNS1_25lookback_scan_determinismE0ELb0ELb0ES3_PKS7_PS7_S7_ZZZN2at6native31launch_logcumsumexp_cuda_kernelERKNSE_10TensorBaseESI_lENKUlvE_clEvENKUlvE1_clEvEUlS7_S7_E_S7_EEDaPvRmT3_T4_T5_mT6_P12ihipStream_tbENKUlT_T0_E_clISt17integral_constantIbLb0EESY_IbLb1EEEEDaSU_SV_EUlSU_E_NS1_11comp_targetILNS1_3genE5ELNS1_11target_archE942ELNS1_3gpuE9ELNS1_3repE0EEENS1_30default_config_static_selectorELNS0_4arch9wavefront6targetE0EEEvT1_.kd
    .uniform_work_group_size: 1
    .uses_dynamic_stack: false
    .vgpr_count:     0
    .vgpr_spill_count: 0
    .wavefront_size: 32
    .workgroup_processor_mode: 1
  - .args:
      - .offset:         0
        .size:           128
        .value_kind:     by_value
    .group_segment_fixed_size: 0
    .kernarg_segment_align: 16
    .kernarg_segment_size: 128
    .language:       OpenCL C
    .language_version:
      - 2
      - 0
    .max_flat_workgroup_size: 64
    .name:           _ZN7rocprim17ROCPRIM_400000_NS6detail17trampoline_kernelINS0_14default_configENS1_20scan_config_selectorIN3c107complexIdEEEEZZNS1_9scan_implILNS1_25lookback_scan_determinismE0ELb0ELb0ES3_PKS7_PS7_S7_ZZZN2at6native31launch_logcumsumexp_cuda_kernelERKNSE_10TensorBaseESI_lENKUlvE_clEvENKUlvE1_clEvEUlS7_S7_E_S7_EEDaPvRmT3_T4_T5_mT6_P12ihipStream_tbENKUlT_T0_E_clISt17integral_constantIbLb0EESY_IbLb1EEEEDaSU_SV_EUlSU_E_NS1_11comp_targetILNS1_3genE4ELNS1_11target_archE910ELNS1_3gpuE8ELNS1_3repE0EEENS1_30default_config_static_selectorELNS0_4arch9wavefront6targetE0EEEvT1_
    .private_segment_fixed_size: 0
    .sgpr_count:     0
    .sgpr_spill_count: 0
    .symbol:         _ZN7rocprim17ROCPRIM_400000_NS6detail17trampoline_kernelINS0_14default_configENS1_20scan_config_selectorIN3c107complexIdEEEEZZNS1_9scan_implILNS1_25lookback_scan_determinismE0ELb0ELb0ES3_PKS7_PS7_S7_ZZZN2at6native31launch_logcumsumexp_cuda_kernelERKNSE_10TensorBaseESI_lENKUlvE_clEvENKUlvE1_clEvEUlS7_S7_E_S7_EEDaPvRmT3_T4_T5_mT6_P12ihipStream_tbENKUlT_T0_E_clISt17integral_constantIbLb0EESY_IbLb1EEEEDaSU_SV_EUlSU_E_NS1_11comp_targetILNS1_3genE4ELNS1_11target_archE910ELNS1_3gpuE8ELNS1_3repE0EEENS1_30default_config_static_selectorELNS0_4arch9wavefront6targetE0EEEvT1_.kd
    .uniform_work_group_size: 1
    .uses_dynamic_stack: false
    .vgpr_count:     0
    .vgpr_spill_count: 0
    .wavefront_size: 32
    .workgroup_processor_mode: 1
  - .args:
      - .offset:         0
        .size:           128
        .value_kind:     by_value
    .group_segment_fixed_size: 0
    .kernarg_segment_align: 16
    .kernarg_segment_size: 128
    .language:       OpenCL C
    .language_version:
      - 2
      - 0
    .max_flat_workgroup_size: 128
    .name:           _ZN7rocprim17ROCPRIM_400000_NS6detail17trampoline_kernelINS0_14default_configENS1_20scan_config_selectorIN3c107complexIdEEEEZZNS1_9scan_implILNS1_25lookback_scan_determinismE0ELb0ELb0ES3_PKS7_PS7_S7_ZZZN2at6native31launch_logcumsumexp_cuda_kernelERKNSE_10TensorBaseESI_lENKUlvE_clEvENKUlvE1_clEvEUlS7_S7_E_S7_EEDaPvRmT3_T4_T5_mT6_P12ihipStream_tbENKUlT_T0_E_clISt17integral_constantIbLb0EESY_IbLb1EEEEDaSU_SV_EUlSU_E_NS1_11comp_targetILNS1_3genE3ELNS1_11target_archE908ELNS1_3gpuE7ELNS1_3repE0EEENS1_30default_config_static_selectorELNS0_4arch9wavefront6targetE0EEEvT1_
    .private_segment_fixed_size: 0
    .sgpr_count:     0
    .sgpr_spill_count: 0
    .symbol:         _ZN7rocprim17ROCPRIM_400000_NS6detail17trampoline_kernelINS0_14default_configENS1_20scan_config_selectorIN3c107complexIdEEEEZZNS1_9scan_implILNS1_25lookback_scan_determinismE0ELb0ELb0ES3_PKS7_PS7_S7_ZZZN2at6native31launch_logcumsumexp_cuda_kernelERKNSE_10TensorBaseESI_lENKUlvE_clEvENKUlvE1_clEvEUlS7_S7_E_S7_EEDaPvRmT3_T4_T5_mT6_P12ihipStream_tbENKUlT_T0_E_clISt17integral_constantIbLb0EESY_IbLb1EEEEDaSU_SV_EUlSU_E_NS1_11comp_targetILNS1_3genE3ELNS1_11target_archE908ELNS1_3gpuE7ELNS1_3repE0EEENS1_30default_config_static_selectorELNS0_4arch9wavefront6targetE0EEEvT1_.kd
    .uniform_work_group_size: 1
    .uses_dynamic_stack: false
    .vgpr_count:     0
    .vgpr_spill_count: 0
    .wavefront_size: 32
    .workgroup_processor_mode: 1
  - .args:
      - .offset:         0
        .size:           128
        .value_kind:     by_value
    .group_segment_fixed_size: 0
    .kernarg_segment_align: 16
    .kernarg_segment_size: 128
    .language:       OpenCL C
    .language_version:
      - 2
      - 0
    .max_flat_workgroup_size: 64
    .name:           _ZN7rocprim17ROCPRIM_400000_NS6detail17trampoline_kernelINS0_14default_configENS1_20scan_config_selectorIN3c107complexIdEEEEZZNS1_9scan_implILNS1_25lookback_scan_determinismE0ELb0ELb0ES3_PKS7_PS7_S7_ZZZN2at6native31launch_logcumsumexp_cuda_kernelERKNSE_10TensorBaseESI_lENKUlvE_clEvENKUlvE1_clEvEUlS7_S7_E_S7_EEDaPvRmT3_T4_T5_mT6_P12ihipStream_tbENKUlT_T0_E_clISt17integral_constantIbLb0EESY_IbLb1EEEEDaSU_SV_EUlSU_E_NS1_11comp_targetILNS1_3genE2ELNS1_11target_archE906ELNS1_3gpuE6ELNS1_3repE0EEENS1_30default_config_static_selectorELNS0_4arch9wavefront6targetE0EEEvT1_
    .private_segment_fixed_size: 0
    .sgpr_count:     0
    .sgpr_spill_count: 0
    .symbol:         _ZN7rocprim17ROCPRIM_400000_NS6detail17trampoline_kernelINS0_14default_configENS1_20scan_config_selectorIN3c107complexIdEEEEZZNS1_9scan_implILNS1_25lookback_scan_determinismE0ELb0ELb0ES3_PKS7_PS7_S7_ZZZN2at6native31launch_logcumsumexp_cuda_kernelERKNSE_10TensorBaseESI_lENKUlvE_clEvENKUlvE1_clEvEUlS7_S7_E_S7_EEDaPvRmT3_T4_T5_mT6_P12ihipStream_tbENKUlT_T0_E_clISt17integral_constantIbLb0EESY_IbLb1EEEEDaSU_SV_EUlSU_E_NS1_11comp_targetILNS1_3genE2ELNS1_11target_archE906ELNS1_3gpuE6ELNS1_3repE0EEENS1_30default_config_static_selectorELNS0_4arch9wavefront6targetE0EEEvT1_.kd
    .uniform_work_group_size: 1
    .uses_dynamic_stack: false
    .vgpr_count:     0
    .vgpr_spill_count: 0
    .wavefront_size: 32
    .workgroup_processor_mode: 1
  - .args:
      - .offset:         0
        .size:           128
        .value_kind:     by_value
    .group_segment_fixed_size: 0
    .kernarg_segment_align: 16
    .kernarg_segment_size: 128
    .language:       OpenCL C
    .language_version:
      - 2
      - 0
    .max_flat_workgroup_size: 256
    .name:           _ZN7rocprim17ROCPRIM_400000_NS6detail17trampoline_kernelINS0_14default_configENS1_20scan_config_selectorIN3c107complexIdEEEEZZNS1_9scan_implILNS1_25lookback_scan_determinismE0ELb0ELb0ES3_PKS7_PS7_S7_ZZZN2at6native31launch_logcumsumexp_cuda_kernelERKNSE_10TensorBaseESI_lENKUlvE_clEvENKUlvE1_clEvEUlS7_S7_E_S7_EEDaPvRmT3_T4_T5_mT6_P12ihipStream_tbENKUlT_T0_E_clISt17integral_constantIbLb0EESY_IbLb1EEEEDaSU_SV_EUlSU_E_NS1_11comp_targetILNS1_3genE10ELNS1_11target_archE1201ELNS1_3gpuE5ELNS1_3repE0EEENS1_30default_config_static_selectorELNS0_4arch9wavefront6targetE0EEEvT1_
    .private_segment_fixed_size: 0
    .sgpr_count:     0
    .sgpr_spill_count: 0
    .symbol:         _ZN7rocprim17ROCPRIM_400000_NS6detail17trampoline_kernelINS0_14default_configENS1_20scan_config_selectorIN3c107complexIdEEEEZZNS1_9scan_implILNS1_25lookback_scan_determinismE0ELb0ELb0ES3_PKS7_PS7_S7_ZZZN2at6native31launch_logcumsumexp_cuda_kernelERKNSE_10TensorBaseESI_lENKUlvE_clEvENKUlvE1_clEvEUlS7_S7_E_S7_EEDaPvRmT3_T4_T5_mT6_P12ihipStream_tbENKUlT_T0_E_clISt17integral_constantIbLb0EESY_IbLb1EEEEDaSU_SV_EUlSU_E_NS1_11comp_targetILNS1_3genE10ELNS1_11target_archE1201ELNS1_3gpuE5ELNS1_3repE0EEENS1_30default_config_static_selectorELNS0_4arch9wavefront6targetE0EEEvT1_.kd
    .uniform_work_group_size: 1
    .uses_dynamic_stack: false
    .vgpr_count:     0
    .vgpr_spill_count: 0
    .wavefront_size: 32
    .workgroup_processor_mode: 1
  - .args:
      - .offset:         0
        .size:           128
        .value_kind:     by_value
    .group_segment_fixed_size: 0
    .kernarg_segment_align: 16
    .kernarg_segment_size: 128
    .language:       OpenCL C
    .language_version:
      - 2
      - 0
    .max_flat_workgroup_size: 256
    .name:           _ZN7rocprim17ROCPRIM_400000_NS6detail17trampoline_kernelINS0_14default_configENS1_20scan_config_selectorIN3c107complexIdEEEEZZNS1_9scan_implILNS1_25lookback_scan_determinismE0ELb0ELb0ES3_PKS7_PS7_S7_ZZZN2at6native31launch_logcumsumexp_cuda_kernelERKNSE_10TensorBaseESI_lENKUlvE_clEvENKUlvE1_clEvEUlS7_S7_E_S7_EEDaPvRmT3_T4_T5_mT6_P12ihipStream_tbENKUlT_T0_E_clISt17integral_constantIbLb0EESY_IbLb1EEEEDaSU_SV_EUlSU_E_NS1_11comp_targetILNS1_3genE10ELNS1_11target_archE1200ELNS1_3gpuE4ELNS1_3repE0EEENS1_30default_config_static_selectorELNS0_4arch9wavefront6targetE0EEEvT1_
    .private_segment_fixed_size: 0
    .sgpr_count:     0
    .sgpr_spill_count: 0
    .symbol:         _ZN7rocprim17ROCPRIM_400000_NS6detail17trampoline_kernelINS0_14default_configENS1_20scan_config_selectorIN3c107complexIdEEEEZZNS1_9scan_implILNS1_25lookback_scan_determinismE0ELb0ELb0ES3_PKS7_PS7_S7_ZZZN2at6native31launch_logcumsumexp_cuda_kernelERKNSE_10TensorBaseESI_lENKUlvE_clEvENKUlvE1_clEvEUlS7_S7_E_S7_EEDaPvRmT3_T4_T5_mT6_P12ihipStream_tbENKUlT_T0_E_clISt17integral_constantIbLb0EESY_IbLb1EEEEDaSU_SV_EUlSU_E_NS1_11comp_targetILNS1_3genE10ELNS1_11target_archE1200ELNS1_3gpuE4ELNS1_3repE0EEENS1_30default_config_static_selectorELNS0_4arch9wavefront6targetE0EEEvT1_.kd
    .uniform_work_group_size: 1
    .uses_dynamic_stack: false
    .vgpr_count:     0
    .vgpr_spill_count: 0
    .wavefront_size: 32
    .workgroup_processor_mode: 1
  - .args:
      - .offset:         0
        .size:           128
        .value_kind:     by_value
    .group_segment_fixed_size: 0
    .kernarg_segment_align: 16
    .kernarg_segment_size: 128
    .language:       OpenCL C
    .language_version:
      - 2
      - 0
    .max_flat_workgroup_size: 256
    .name:           _ZN7rocprim17ROCPRIM_400000_NS6detail17trampoline_kernelINS0_14default_configENS1_20scan_config_selectorIN3c107complexIdEEEEZZNS1_9scan_implILNS1_25lookback_scan_determinismE0ELb0ELb0ES3_PKS7_PS7_S7_ZZZN2at6native31launch_logcumsumexp_cuda_kernelERKNSE_10TensorBaseESI_lENKUlvE_clEvENKUlvE1_clEvEUlS7_S7_E_S7_EEDaPvRmT3_T4_T5_mT6_P12ihipStream_tbENKUlT_T0_E_clISt17integral_constantIbLb0EESY_IbLb1EEEEDaSU_SV_EUlSU_E_NS1_11comp_targetILNS1_3genE9ELNS1_11target_archE1100ELNS1_3gpuE3ELNS1_3repE0EEENS1_30default_config_static_selectorELNS0_4arch9wavefront6targetE0EEEvT1_
    .private_segment_fixed_size: 0
    .sgpr_count:     0
    .sgpr_spill_count: 0
    .symbol:         _ZN7rocprim17ROCPRIM_400000_NS6detail17trampoline_kernelINS0_14default_configENS1_20scan_config_selectorIN3c107complexIdEEEEZZNS1_9scan_implILNS1_25lookback_scan_determinismE0ELb0ELb0ES3_PKS7_PS7_S7_ZZZN2at6native31launch_logcumsumexp_cuda_kernelERKNSE_10TensorBaseESI_lENKUlvE_clEvENKUlvE1_clEvEUlS7_S7_E_S7_EEDaPvRmT3_T4_T5_mT6_P12ihipStream_tbENKUlT_T0_E_clISt17integral_constantIbLb0EESY_IbLb1EEEEDaSU_SV_EUlSU_E_NS1_11comp_targetILNS1_3genE9ELNS1_11target_archE1100ELNS1_3gpuE3ELNS1_3repE0EEENS1_30default_config_static_selectorELNS0_4arch9wavefront6targetE0EEEvT1_.kd
    .uniform_work_group_size: 1
    .uses_dynamic_stack: false
    .vgpr_count:     0
    .vgpr_spill_count: 0
    .wavefront_size: 32
    .workgroup_processor_mode: 1
  - .args:
      - .offset:         0
        .size:           128
        .value_kind:     by_value
    .group_segment_fixed_size: 8448
    .kernarg_segment_align: 16
    .kernarg_segment_size: 128
    .language:       OpenCL C
    .language_version:
      - 2
      - 0
    .max_flat_workgroup_size: 256
    .name:           _ZN7rocprim17ROCPRIM_400000_NS6detail17trampoline_kernelINS0_14default_configENS1_20scan_config_selectorIN3c107complexIdEEEEZZNS1_9scan_implILNS1_25lookback_scan_determinismE0ELb0ELb0ES3_PKS7_PS7_S7_ZZZN2at6native31launch_logcumsumexp_cuda_kernelERKNSE_10TensorBaseESI_lENKUlvE_clEvENKUlvE1_clEvEUlS7_S7_E_S7_EEDaPvRmT3_T4_T5_mT6_P12ihipStream_tbENKUlT_T0_E_clISt17integral_constantIbLb0EESY_IbLb1EEEEDaSU_SV_EUlSU_E_NS1_11comp_targetILNS1_3genE8ELNS1_11target_archE1030ELNS1_3gpuE2ELNS1_3repE0EEENS1_30default_config_static_selectorELNS0_4arch9wavefront6targetE0EEEvT1_
    .private_segment_fixed_size: 0
    .sgpr_count:     66
    .sgpr_spill_count: 0
    .symbol:         _ZN7rocprim17ROCPRIM_400000_NS6detail17trampoline_kernelINS0_14default_configENS1_20scan_config_selectorIN3c107complexIdEEEEZZNS1_9scan_implILNS1_25lookback_scan_determinismE0ELb0ELb0ES3_PKS7_PS7_S7_ZZZN2at6native31launch_logcumsumexp_cuda_kernelERKNSE_10TensorBaseESI_lENKUlvE_clEvENKUlvE1_clEvEUlS7_S7_E_S7_EEDaPvRmT3_T4_T5_mT6_P12ihipStream_tbENKUlT_T0_E_clISt17integral_constantIbLb0EESY_IbLb1EEEEDaSU_SV_EUlSU_E_NS1_11comp_targetILNS1_3genE8ELNS1_11target_archE1030ELNS1_3gpuE2ELNS1_3repE0EEENS1_30default_config_static_selectorELNS0_4arch9wavefront6targetE0EEEvT1_.kd
    .uniform_work_group_size: 1
    .uses_dynamic_stack: false
    .vgpr_count:     103
    .vgpr_spill_count: 0
    .wavefront_size: 32
    .workgroup_processor_mode: 1
  - .args:
      - .offset:         0
        .size:           48
        .value_kind:     by_value
    .group_segment_fixed_size: 0
    .kernarg_segment_align: 16
    .kernarg_segment_size: 48
    .language:       OpenCL C
    .language_version:
      - 2
      - 0
    .max_flat_workgroup_size: 128
    .name:           _ZN7rocprim17ROCPRIM_400000_NS6detail17trampoline_kernelINS0_14default_configENS1_20scan_config_selectorIN3c107complexIdEEEEZZNS1_9scan_implILNS1_25lookback_scan_determinismE0ELb0ELb0ES3_PKS7_PS7_S7_ZZZN2at6native31launch_logcumsumexp_cuda_kernelERKNSE_10TensorBaseESI_lENKUlvE_clEvENKUlvE1_clEvEUlS7_S7_E_S7_EEDaPvRmT3_T4_T5_mT6_P12ihipStream_tbENKUlT_T0_E_clISt17integral_constantIbLb0EESY_IbLb1EEEEDaSU_SV_EUlSU_E0_NS1_11comp_targetILNS1_3genE0ELNS1_11target_archE4294967295ELNS1_3gpuE0ELNS1_3repE0EEENS1_30default_config_static_selectorELNS0_4arch9wavefront6targetE0EEEvT1_
    .private_segment_fixed_size: 0
    .sgpr_count:     0
    .sgpr_spill_count: 0
    .symbol:         _ZN7rocprim17ROCPRIM_400000_NS6detail17trampoline_kernelINS0_14default_configENS1_20scan_config_selectorIN3c107complexIdEEEEZZNS1_9scan_implILNS1_25lookback_scan_determinismE0ELb0ELb0ES3_PKS7_PS7_S7_ZZZN2at6native31launch_logcumsumexp_cuda_kernelERKNSE_10TensorBaseESI_lENKUlvE_clEvENKUlvE1_clEvEUlS7_S7_E_S7_EEDaPvRmT3_T4_T5_mT6_P12ihipStream_tbENKUlT_T0_E_clISt17integral_constantIbLb0EESY_IbLb1EEEEDaSU_SV_EUlSU_E0_NS1_11comp_targetILNS1_3genE0ELNS1_11target_archE4294967295ELNS1_3gpuE0ELNS1_3repE0EEENS1_30default_config_static_selectorELNS0_4arch9wavefront6targetE0EEEvT1_.kd
    .uniform_work_group_size: 1
    .uses_dynamic_stack: false
    .vgpr_count:     0
    .vgpr_spill_count: 0
    .wavefront_size: 32
    .workgroup_processor_mode: 1
  - .args:
      - .offset:         0
        .size:           48
        .value_kind:     by_value
    .group_segment_fixed_size: 0
    .kernarg_segment_align: 16
    .kernarg_segment_size: 48
    .language:       OpenCL C
    .language_version:
      - 2
      - 0
    .max_flat_workgroup_size: 256
    .name:           _ZN7rocprim17ROCPRIM_400000_NS6detail17trampoline_kernelINS0_14default_configENS1_20scan_config_selectorIN3c107complexIdEEEEZZNS1_9scan_implILNS1_25lookback_scan_determinismE0ELb0ELb0ES3_PKS7_PS7_S7_ZZZN2at6native31launch_logcumsumexp_cuda_kernelERKNSE_10TensorBaseESI_lENKUlvE_clEvENKUlvE1_clEvEUlS7_S7_E_S7_EEDaPvRmT3_T4_T5_mT6_P12ihipStream_tbENKUlT_T0_E_clISt17integral_constantIbLb0EESY_IbLb1EEEEDaSU_SV_EUlSU_E0_NS1_11comp_targetILNS1_3genE5ELNS1_11target_archE942ELNS1_3gpuE9ELNS1_3repE0EEENS1_30default_config_static_selectorELNS0_4arch9wavefront6targetE0EEEvT1_
    .private_segment_fixed_size: 0
    .sgpr_count:     0
    .sgpr_spill_count: 0
    .symbol:         _ZN7rocprim17ROCPRIM_400000_NS6detail17trampoline_kernelINS0_14default_configENS1_20scan_config_selectorIN3c107complexIdEEEEZZNS1_9scan_implILNS1_25lookback_scan_determinismE0ELb0ELb0ES3_PKS7_PS7_S7_ZZZN2at6native31launch_logcumsumexp_cuda_kernelERKNSE_10TensorBaseESI_lENKUlvE_clEvENKUlvE1_clEvEUlS7_S7_E_S7_EEDaPvRmT3_T4_T5_mT6_P12ihipStream_tbENKUlT_T0_E_clISt17integral_constantIbLb0EESY_IbLb1EEEEDaSU_SV_EUlSU_E0_NS1_11comp_targetILNS1_3genE5ELNS1_11target_archE942ELNS1_3gpuE9ELNS1_3repE0EEENS1_30default_config_static_selectorELNS0_4arch9wavefront6targetE0EEEvT1_.kd
    .uniform_work_group_size: 1
    .uses_dynamic_stack: false
    .vgpr_count:     0
    .vgpr_spill_count: 0
    .wavefront_size: 32
    .workgroup_processor_mode: 1
  - .args:
      - .offset:         0
        .size:           48
        .value_kind:     by_value
    .group_segment_fixed_size: 0
    .kernarg_segment_align: 16
    .kernarg_segment_size: 48
    .language:       OpenCL C
    .language_version:
      - 2
      - 0
    .max_flat_workgroup_size: 64
    .name:           _ZN7rocprim17ROCPRIM_400000_NS6detail17trampoline_kernelINS0_14default_configENS1_20scan_config_selectorIN3c107complexIdEEEEZZNS1_9scan_implILNS1_25lookback_scan_determinismE0ELb0ELb0ES3_PKS7_PS7_S7_ZZZN2at6native31launch_logcumsumexp_cuda_kernelERKNSE_10TensorBaseESI_lENKUlvE_clEvENKUlvE1_clEvEUlS7_S7_E_S7_EEDaPvRmT3_T4_T5_mT6_P12ihipStream_tbENKUlT_T0_E_clISt17integral_constantIbLb0EESY_IbLb1EEEEDaSU_SV_EUlSU_E0_NS1_11comp_targetILNS1_3genE4ELNS1_11target_archE910ELNS1_3gpuE8ELNS1_3repE0EEENS1_30default_config_static_selectorELNS0_4arch9wavefront6targetE0EEEvT1_
    .private_segment_fixed_size: 0
    .sgpr_count:     0
    .sgpr_spill_count: 0
    .symbol:         _ZN7rocprim17ROCPRIM_400000_NS6detail17trampoline_kernelINS0_14default_configENS1_20scan_config_selectorIN3c107complexIdEEEEZZNS1_9scan_implILNS1_25lookback_scan_determinismE0ELb0ELb0ES3_PKS7_PS7_S7_ZZZN2at6native31launch_logcumsumexp_cuda_kernelERKNSE_10TensorBaseESI_lENKUlvE_clEvENKUlvE1_clEvEUlS7_S7_E_S7_EEDaPvRmT3_T4_T5_mT6_P12ihipStream_tbENKUlT_T0_E_clISt17integral_constantIbLb0EESY_IbLb1EEEEDaSU_SV_EUlSU_E0_NS1_11comp_targetILNS1_3genE4ELNS1_11target_archE910ELNS1_3gpuE8ELNS1_3repE0EEENS1_30default_config_static_selectorELNS0_4arch9wavefront6targetE0EEEvT1_.kd
    .uniform_work_group_size: 1
    .uses_dynamic_stack: false
    .vgpr_count:     0
    .vgpr_spill_count: 0
    .wavefront_size: 32
    .workgroup_processor_mode: 1
  - .args:
      - .offset:         0
        .size:           48
        .value_kind:     by_value
    .group_segment_fixed_size: 0
    .kernarg_segment_align: 16
    .kernarg_segment_size: 48
    .language:       OpenCL C
    .language_version:
      - 2
      - 0
    .max_flat_workgroup_size: 128
    .name:           _ZN7rocprim17ROCPRIM_400000_NS6detail17trampoline_kernelINS0_14default_configENS1_20scan_config_selectorIN3c107complexIdEEEEZZNS1_9scan_implILNS1_25lookback_scan_determinismE0ELb0ELb0ES3_PKS7_PS7_S7_ZZZN2at6native31launch_logcumsumexp_cuda_kernelERKNSE_10TensorBaseESI_lENKUlvE_clEvENKUlvE1_clEvEUlS7_S7_E_S7_EEDaPvRmT3_T4_T5_mT6_P12ihipStream_tbENKUlT_T0_E_clISt17integral_constantIbLb0EESY_IbLb1EEEEDaSU_SV_EUlSU_E0_NS1_11comp_targetILNS1_3genE3ELNS1_11target_archE908ELNS1_3gpuE7ELNS1_3repE0EEENS1_30default_config_static_selectorELNS0_4arch9wavefront6targetE0EEEvT1_
    .private_segment_fixed_size: 0
    .sgpr_count:     0
    .sgpr_spill_count: 0
    .symbol:         _ZN7rocprim17ROCPRIM_400000_NS6detail17trampoline_kernelINS0_14default_configENS1_20scan_config_selectorIN3c107complexIdEEEEZZNS1_9scan_implILNS1_25lookback_scan_determinismE0ELb0ELb0ES3_PKS7_PS7_S7_ZZZN2at6native31launch_logcumsumexp_cuda_kernelERKNSE_10TensorBaseESI_lENKUlvE_clEvENKUlvE1_clEvEUlS7_S7_E_S7_EEDaPvRmT3_T4_T5_mT6_P12ihipStream_tbENKUlT_T0_E_clISt17integral_constantIbLb0EESY_IbLb1EEEEDaSU_SV_EUlSU_E0_NS1_11comp_targetILNS1_3genE3ELNS1_11target_archE908ELNS1_3gpuE7ELNS1_3repE0EEENS1_30default_config_static_selectorELNS0_4arch9wavefront6targetE0EEEvT1_.kd
    .uniform_work_group_size: 1
    .uses_dynamic_stack: false
    .vgpr_count:     0
    .vgpr_spill_count: 0
    .wavefront_size: 32
    .workgroup_processor_mode: 1
  - .args:
      - .offset:         0
        .size:           48
        .value_kind:     by_value
    .group_segment_fixed_size: 0
    .kernarg_segment_align: 16
    .kernarg_segment_size: 48
    .language:       OpenCL C
    .language_version:
      - 2
      - 0
    .max_flat_workgroup_size: 64
    .name:           _ZN7rocprim17ROCPRIM_400000_NS6detail17trampoline_kernelINS0_14default_configENS1_20scan_config_selectorIN3c107complexIdEEEEZZNS1_9scan_implILNS1_25lookback_scan_determinismE0ELb0ELb0ES3_PKS7_PS7_S7_ZZZN2at6native31launch_logcumsumexp_cuda_kernelERKNSE_10TensorBaseESI_lENKUlvE_clEvENKUlvE1_clEvEUlS7_S7_E_S7_EEDaPvRmT3_T4_T5_mT6_P12ihipStream_tbENKUlT_T0_E_clISt17integral_constantIbLb0EESY_IbLb1EEEEDaSU_SV_EUlSU_E0_NS1_11comp_targetILNS1_3genE2ELNS1_11target_archE906ELNS1_3gpuE6ELNS1_3repE0EEENS1_30default_config_static_selectorELNS0_4arch9wavefront6targetE0EEEvT1_
    .private_segment_fixed_size: 0
    .sgpr_count:     0
    .sgpr_spill_count: 0
    .symbol:         _ZN7rocprim17ROCPRIM_400000_NS6detail17trampoline_kernelINS0_14default_configENS1_20scan_config_selectorIN3c107complexIdEEEEZZNS1_9scan_implILNS1_25lookback_scan_determinismE0ELb0ELb0ES3_PKS7_PS7_S7_ZZZN2at6native31launch_logcumsumexp_cuda_kernelERKNSE_10TensorBaseESI_lENKUlvE_clEvENKUlvE1_clEvEUlS7_S7_E_S7_EEDaPvRmT3_T4_T5_mT6_P12ihipStream_tbENKUlT_T0_E_clISt17integral_constantIbLb0EESY_IbLb1EEEEDaSU_SV_EUlSU_E0_NS1_11comp_targetILNS1_3genE2ELNS1_11target_archE906ELNS1_3gpuE6ELNS1_3repE0EEENS1_30default_config_static_selectorELNS0_4arch9wavefront6targetE0EEEvT1_.kd
    .uniform_work_group_size: 1
    .uses_dynamic_stack: false
    .vgpr_count:     0
    .vgpr_spill_count: 0
    .wavefront_size: 32
    .workgroup_processor_mode: 1
  - .args:
      - .offset:         0
        .size:           48
        .value_kind:     by_value
    .group_segment_fixed_size: 0
    .kernarg_segment_align: 16
    .kernarg_segment_size: 48
    .language:       OpenCL C
    .language_version:
      - 2
      - 0
    .max_flat_workgroup_size: 256
    .name:           _ZN7rocprim17ROCPRIM_400000_NS6detail17trampoline_kernelINS0_14default_configENS1_20scan_config_selectorIN3c107complexIdEEEEZZNS1_9scan_implILNS1_25lookback_scan_determinismE0ELb0ELb0ES3_PKS7_PS7_S7_ZZZN2at6native31launch_logcumsumexp_cuda_kernelERKNSE_10TensorBaseESI_lENKUlvE_clEvENKUlvE1_clEvEUlS7_S7_E_S7_EEDaPvRmT3_T4_T5_mT6_P12ihipStream_tbENKUlT_T0_E_clISt17integral_constantIbLb0EESY_IbLb1EEEEDaSU_SV_EUlSU_E0_NS1_11comp_targetILNS1_3genE10ELNS1_11target_archE1201ELNS1_3gpuE5ELNS1_3repE0EEENS1_30default_config_static_selectorELNS0_4arch9wavefront6targetE0EEEvT1_
    .private_segment_fixed_size: 0
    .sgpr_count:     0
    .sgpr_spill_count: 0
    .symbol:         _ZN7rocprim17ROCPRIM_400000_NS6detail17trampoline_kernelINS0_14default_configENS1_20scan_config_selectorIN3c107complexIdEEEEZZNS1_9scan_implILNS1_25lookback_scan_determinismE0ELb0ELb0ES3_PKS7_PS7_S7_ZZZN2at6native31launch_logcumsumexp_cuda_kernelERKNSE_10TensorBaseESI_lENKUlvE_clEvENKUlvE1_clEvEUlS7_S7_E_S7_EEDaPvRmT3_T4_T5_mT6_P12ihipStream_tbENKUlT_T0_E_clISt17integral_constantIbLb0EESY_IbLb1EEEEDaSU_SV_EUlSU_E0_NS1_11comp_targetILNS1_3genE10ELNS1_11target_archE1201ELNS1_3gpuE5ELNS1_3repE0EEENS1_30default_config_static_selectorELNS0_4arch9wavefront6targetE0EEEvT1_.kd
    .uniform_work_group_size: 1
    .uses_dynamic_stack: false
    .vgpr_count:     0
    .vgpr_spill_count: 0
    .wavefront_size: 32
    .workgroup_processor_mode: 1
  - .args:
      - .offset:         0
        .size:           48
        .value_kind:     by_value
    .group_segment_fixed_size: 0
    .kernarg_segment_align: 16
    .kernarg_segment_size: 48
    .language:       OpenCL C
    .language_version:
      - 2
      - 0
    .max_flat_workgroup_size: 256
    .name:           _ZN7rocprim17ROCPRIM_400000_NS6detail17trampoline_kernelINS0_14default_configENS1_20scan_config_selectorIN3c107complexIdEEEEZZNS1_9scan_implILNS1_25lookback_scan_determinismE0ELb0ELb0ES3_PKS7_PS7_S7_ZZZN2at6native31launch_logcumsumexp_cuda_kernelERKNSE_10TensorBaseESI_lENKUlvE_clEvENKUlvE1_clEvEUlS7_S7_E_S7_EEDaPvRmT3_T4_T5_mT6_P12ihipStream_tbENKUlT_T0_E_clISt17integral_constantIbLb0EESY_IbLb1EEEEDaSU_SV_EUlSU_E0_NS1_11comp_targetILNS1_3genE10ELNS1_11target_archE1200ELNS1_3gpuE4ELNS1_3repE0EEENS1_30default_config_static_selectorELNS0_4arch9wavefront6targetE0EEEvT1_
    .private_segment_fixed_size: 0
    .sgpr_count:     0
    .sgpr_spill_count: 0
    .symbol:         _ZN7rocprim17ROCPRIM_400000_NS6detail17trampoline_kernelINS0_14default_configENS1_20scan_config_selectorIN3c107complexIdEEEEZZNS1_9scan_implILNS1_25lookback_scan_determinismE0ELb0ELb0ES3_PKS7_PS7_S7_ZZZN2at6native31launch_logcumsumexp_cuda_kernelERKNSE_10TensorBaseESI_lENKUlvE_clEvENKUlvE1_clEvEUlS7_S7_E_S7_EEDaPvRmT3_T4_T5_mT6_P12ihipStream_tbENKUlT_T0_E_clISt17integral_constantIbLb0EESY_IbLb1EEEEDaSU_SV_EUlSU_E0_NS1_11comp_targetILNS1_3genE10ELNS1_11target_archE1200ELNS1_3gpuE4ELNS1_3repE0EEENS1_30default_config_static_selectorELNS0_4arch9wavefront6targetE0EEEvT1_.kd
    .uniform_work_group_size: 1
    .uses_dynamic_stack: false
    .vgpr_count:     0
    .vgpr_spill_count: 0
    .wavefront_size: 32
    .workgroup_processor_mode: 1
  - .args:
      - .offset:         0
        .size:           48
        .value_kind:     by_value
    .group_segment_fixed_size: 0
    .kernarg_segment_align: 16
    .kernarg_segment_size: 48
    .language:       OpenCL C
    .language_version:
      - 2
      - 0
    .max_flat_workgroup_size: 256
    .name:           _ZN7rocprim17ROCPRIM_400000_NS6detail17trampoline_kernelINS0_14default_configENS1_20scan_config_selectorIN3c107complexIdEEEEZZNS1_9scan_implILNS1_25lookback_scan_determinismE0ELb0ELb0ES3_PKS7_PS7_S7_ZZZN2at6native31launch_logcumsumexp_cuda_kernelERKNSE_10TensorBaseESI_lENKUlvE_clEvENKUlvE1_clEvEUlS7_S7_E_S7_EEDaPvRmT3_T4_T5_mT6_P12ihipStream_tbENKUlT_T0_E_clISt17integral_constantIbLb0EESY_IbLb1EEEEDaSU_SV_EUlSU_E0_NS1_11comp_targetILNS1_3genE9ELNS1_11target_archE1100ELNS1_3gpuE3ELNS1_3repE0EEENS1_30default_config_static_selectorELNS0_4arch9wavefront6targetE0EEEvT1_
    .private_segment_fixed_size: 0
    .sgpr_count:     0
    .sgpr_spill_count: 0
    .symbol:         _ZN7rocprim17ROCPRIM_400000_NS6detail17trampoline_kernelINS0_14default_configENS1_20scan_config_selectorIN3c107complexIdEEEEZZNS1_9scan_implILNS1_25lookback_scan_determinismE0ELb0ELb0ES3_PKS7_PS7_S7_ZZZN2at6native31launch_logcumsumexp_cuda_kernelERKNSE_10TensorBaseESI_lENKUlvE_clEvENKUlvE1_clEvEUlS7_S7_E_S7_EEDaPvRmT3_T4_T5_mT6_P12ihipStream_tbENKUlT_T0_E_clISt17integral_constantIbLb0EESY_IbLb1EEEEDaSU_SV_EUlSU_E0_NS1_11comp_targetILNS1_3genE9ELNS1_11target_archE1100ELNS1_3gpuE3ELNS1_3repE0EEENS1_30default_config_static_selectorELNS0_4arch9wavefront6targetE0EEEvT1_.kd
    .uniform_work_group_size: 1
    .uses_dynamic_stack: false
    .vgpr_count:     0
    .vgpr_spill_count: 0
    .wavefront_size: 32
    .workgroup_processor_mode: 1
  - .args:
      - .offset:         0
        .size:           48
        .value_kind:     by_value
    .group_segment_fixed_size: 8448
    .kernarg_segment_align: 16
    .kernarg_segment_size: 48
    .language:       OpenCL C
    .language_version:
      - 2
      - 0
    .max_flat_workgroup_size: 256
    .name:           _ZN7rocprim17ROCPRIM_400000_NS6detail17trampoline_kernelINS0_14default_configENS1_20scan_config_selectorIN3c107complexIdEEEEZZNS1_9scan_implILNS1_25lookback_scan_determinismE0ELb0ELb0ES3_PKS7_PS7_S7_ZZZN2at6native31launch_logcumsumexp_cuda_kernelERKNSE_10TensorBaseESI_lENKUlvE_clEvENKUlvE1_clEvEUlS7_S7_E_S7_EEDaPvRmT3_T4_T5_mT6_P12ihipStream_tbENKUlT_T0_E_clISt17integral_constantIbLb0EESY_IbLb1EEEEDaSU_SV_EUlSU_E0_NS1_11comp_targetILNS1_3genE8ELNS1_11target_archE1030ELNS1_3gpuE2ELNS1_3repE0EEENS1_30default_config_static_selectorELNS0_4arch9wavefront6targetE0EEEvT1_
    .private_segment_fixed_size: 0
    .sgpr_count:     44
    .sgpr_spill_count: 0
    .symbol:         _ZN7rocprim17ROCPRIM_400000_NS6detail17trampoline_kernelINS0_14default_configENS1_20scan_config_selectorIN3c107complexIdEEEEZZNS1_9scan_implILNS1_25lookback_scan_determinismE0ELb0ELb0ES3_PKS7_PS7_S7_ZZZN2at6native31launch_logcumsumexp_cuda_kernelERKNSE_10TensorBaseESI_lENKUlvE_clEvENKUlvE1_clEvEUlS7_S7_E_S7_EEDaPvRmT3_T4_T5_mT6_P12ihipStream_tbENKUlT_T0_E_clISt17integral_constantIbLb0EESY_IbLb1EEEEDaSU_SV_EUlSU_E0_NS1_11comp_targetILNS1_3genE8ELNS1_11target_archE1030ELNS1_3gpuE2ELNS1_3repE0EEENS1_30default_config_static_selectorELNS0_4arch9wavefront6targetE0EEEvT1_.kd
    .uniform_work_group_size: 1
    .uses_dynamic_stack: false
    .vgpr_count:     86
    .vgpr_spill_count: 0
    .wavefront_size: 32
    .workgroup_processor_mode: 1
  - .args:
      - .address_space:  global
        .offset:         0
        .size:           8
        .value_kind:     global_buffer
      - .address_space:  global
        .offset:         8
        .size:           8
        .value_kind:     global_buffer
      - .offset:         16
        .size:           4
        .value_kind:     by_value
      - .offset:         20
        .size:           4
        .value_kind:     by_value
      - .offset:         24
        .size:           4
        .value_kind:     by_value
      - .offset:         32
        .size:           16
        .value_kind:     by_value
      - .offset:         48
        .size:           1
        .value_kind:     by_value
      - .offset:         56
        .size:           4
        .value_kind:     hidden_block_count_x
      - .offset:         60
        .size:           4
        .value_kind:     hidden_block_count_y
      - .offset:         64
        .size:           4
        .value_kind:     hidden_block_count_z
      - .offset:         68
        .size:           2
        .value_kind:     hidden_group_size_x
      - .offset:         70
        .size:           2
        .value_kind:     hidden_group_size_y
      - .offset:         72
        .size:           2
        .value_kind:     hidden_group_size_z
      - .offset:         74
        .size:           2
        .value_kind:     hidden_remainder_x
      - .offset:         76
        .size:           2
        .value_kind:     hidden_remainder_y
      - .offset:         78
        .size:           2
        .value_kind:     hidden_remainder_z
      - .offset:         96
        .size:           8
        .value_kind:     hidden_global_offset_x
      - .offset:         104
        .size:           8
        .value_kind:     hidden_global_offset_y
      - .offset:         112
        .size:           8
        .value_kind:     hidden_global_offset_z
      - .offset:         120
        .size:           2
        .value_kind:     hidden_grid_dims
      - .offset:         176
        .size:           4
        .value_kind:     hidden_dynamic_lds_size
    .group_segment_fixed_size: 0
    .kernarg_segment_align: 16
    .kernarg_segment_size: 312
    .language:       OpenCL C
    .language_version:
      - 2
      - 0
    .max_flat_workgroup_size: 1024
    .name:           _ZN2at6native32tensor_kernel_scan_innermost_dimIN3c107complexIdEEZZZNS0_31launch_logcumsumexp_cuda_kernelERKNS_10TensorBaseES7_lENKUlvE_clEvENKUlvE1_clEvEUlS4_S4_E_EEvPT_PKSB_jjjSB_T0_
    .private_segment_fixed_size: 0
    .sgpr_count:     64
    .sgpr_spill_count: 0
    .symbol:         _ZN2at6native32tensor_kernel_scan_innermost_dimIN3c107complexIdEEZZZNS0_31launch_logcumsumexp_cuda_kernelERKNS_10TensorBaseES7_lENKUlvE_clEvENKUlvE1_clEvEUlS4_S4_E_EEvPT_PKSB_jjjSB_T0_.kd
    .uniform_work_group_size: 1
    .uses_dynamic_stack: false
    .vgpr_count:     86
    .vgpr_spill_count: 0
    .wavefront_size: 32
    .workgroup_processor_mode: 1
  - .args:
      - .address_space:  global
        .offset:         0
        .size:           8
        .value_kind:     global_buffer
      - .address_space:  global
        .offset:         8
        .size:           8
        .value_kind:     global_buffer
      - .offset:         16
        .size:           4
        .value_kind:     by_value
      - .offset:         20
        .size:           4
        .value_kind:     by_value
      - .offset:         24
        .size:           4
        .value_kind:     by_value
      - .offset:         32
        .size:           16
        .value_kind:     by_value
      - .offset:         48
        .size:           1
        .value_kind:     by_value
      - .offset:         56
        .size:           4
        .value_kind:     hidden_block_count_x
      - .offset:         60
        .size:           4
        .value_kind:     hidden_block_count_y
      - .offset:         64
        .size:           4
        .value_kind:     hidden_block_count_z
      - .offset:         68
        .size:           2
        .value_kind:     hidden_group_size_x
      - .offset:         70
        .size:           2
        .value_kind:     hidden_group_size_y
      - .offset:         72
        .size:           2
        .value_kind:     hidden_group_size_z
      - .offset:         74
        .size:           2
        .value_kind:     hidden_remainder_x
      - .offset:         76
        .size:           2
        .value_kind:     hidden_remainder_y
      - .offset:         78
        .size:           2
        .value_kind:     hidden_remainder_z
      - .offset:         96
        .size:           8
        .value_kind:     hidden_global_offset_x
      - .offset:         104
        .size:           8
        .value_kind:     hidden_global_offset_y
      - .offset:         112
        .size:           8
        .value_kind:     hidden_global_offset_z
      - .offset:         120
        .size:           2
        .value_kind:     hidden_grid_dims
    .group_segment_fixed_size: 0
    .kernarg_segment_align: 16
    .kernarg_segment_size: 312
    .language:       OpenCL C
    .language_version:
      - 2
      - 0
    .max_flat_workgroup_size: 1024
    .name:           _ZN2at6native28tensor_kernel_scan_outer_dimIN3c107complexIdEEjZZZNS0_31launch_logcumsumexp_cuda_kernelERKNS_10TensorBaseES7_lENKUlvE_clEvENKUlvE1_clEvEUlS4_S4_E_EEvPT_PKSB_jjjSB_T1_
    .private_segment_fixed_size: 0
    .sgpr_count:     65
    .sgpr_spill_count: 0
    .symbol:         _ZN2at6native28tensor_kernel_scan_outer_dimIN3c107complexIdEEjZZZNS0_31launch_logcumsumexp_cuda_kernelERKNS_10TensorBaseES7_lENKUlvE_clEvENKUlvE1_clEvEUlS4_S4_E_EEvPT_PKSB_jjjSB_T1_.kd
    .uniform_work_group_size: 1
    .uses_dynamic_stack: false
    .vgpr_count:     86
    .vgpr_spill_count: 0
    .wavefront_size: 32
    .workgroup_processor_mode: 1
  - .args:
      - .address_space:  global
        .offset:         0
        .size:           8
        .value_kind:     global_buffer
      - .address_space:  global
        .offset:         8
        .size:           8
        .value_kind:     global_buffer
      - .offset:         16
        .size:           4
        .value_kind:     by_value
      - .offset:         20
        .size:           4
        .value_kind:     by_value
      - .offset:         24
        .size:           4
        .value_kind:     by_value
      - .offset:         32
        .size:           16
        .value_kind:     by_value
      - .offset:         48
        .size:           1
        .value_kind:     by_value
      - .offset:         56
        .size:           4
        .value_kind:     hidden_block_count_x
      - .offset:         60
        .size:           4
        .value_kind:     hidden_block_count_y
      - .offset:         64
        .size:           4
        .value_kind:     hidden_block_count_z
      - .offset:         68
        .size:           2
        .value_kind:     hidden_group_size_x
      - .offset:         70
        .size:           2
        .value_kind:     hidden_group_size_y
      - .offset:         72
        .size:           2
        .value_kind:     hidden_group_size_z
      - .offset:         74
        .size:           2
        .value_kind:     hidden_remainder_x
      - .offset:         76
        .size:           2
        .value_kind:     hidden_remainder_y
      - .offset:         78
        .size:           2
        .value_kind:     hidden_remainder_z
      - .offset:         96
        .size:           8
        .value_kind:     hidden_global_offset_x
      - .offset:         104
        .size:           8
        .value_kind:     hidden_global_offset_y
      - .offset:         112
        .size:           8
        .value_kind:     hidden_global_offset_z
      - .offset:         120
        .size:           2
        .value_kind:     hidden_grid_dims
    .group_segment_fixed_size: 0
    .kernarg_segment_align: 16
    .kernarg_segment_size: 312
    .language:       OpenCL C
    .language_version:
      - 2
      - 0
    .max_flat_workgroup_size: 1024
    .name:           _ZN2at6native28tensor_kernel_scan_outer_dimIN3c107complexIdEEmZZZNS0_31launch_logcumsumexp_cuda_kernelERKNS_10TensorBaseES7_lENKUlvE_clEvENKUlvE1_clEvEUlS4_S4_E_EEvPT_PKSB_jjjSB_T1_
    .private_segment_fixed_size: 0
    .sgpr_count:     64
    .sgpr_spill_count: 0
    .symbol:         _ZN2at6native28tensor_kernel_scan_outer_dimIN3c107complexIdEEmZZZNS0_31launch_logcumsumexp_cuda_kernelERKNS_10TensorBaseES7_lENKUlvE_clEvENKUlvE1_clEvEUlS4_S4_E_EEvPT_PKSB_jjjSB_T1_.kd
    .uniform_work_group_size: 1
    .uses_dynamic_stack: false
    .vgpr_count:     86
    .vgpr_spill_count: 0
    .wavefront_size: 32
    .workgroup_processor_mode: 1
  - .args:
      - .address_space:  global
        .offset:         0
        .size:           8
        .value_kind:     global_buffer
      - .offset:         8
        .size:           4
        .value_kind:     by_value
      - .offset:         12
        .size:           1
        .value_kind:     by_value
      - .offset:         16
        .size:           4
        .value_kind:     by_value
      - .address_space:  global
        .offset:         24
        .size:           8
        .value_kind:     global_buffer
      - .offset:         32
        .size:           4
        .value_kind:     hidden_block_count_x
      - .offset:         36
        .size:           4
        .value_kind:     hidden_block_count_y
      - .offset:         40
        .size:           4
        .value_kind:     hidden_block_count_z
      - .offset:         44
        .size:           2
        .value_kind:     hidden_group_size_x
      - .offset:         46
        .size:           2
        .value_kind:     hidden_group_size_y
      - .offset:         48
        .size:           2
        .value_kind:     hidden_group_size_z
      - .offset:         50
        .size:           2
        .value_kind:     hidden_remainder_x
      - .offset:         52
        .size:           2
        .value_kind:     hidden_remainder_y
      - .offset:         54
        .size:           2
        .value_kind:     hidden_remainder_z
      - .offset:         72
        .size:           8
        .value_kind:     hidden_global_offset_x
      - .offset:         80
        .size:           8
        .value_kind:     hidden_global_offset_y
      - .offset:         88
        .size:           8
        .value_kind:     hidden_global_offset_z
      - .offset:         96
        .size:           2
        .value_kind:     hidden_grid_dims
    .group_segment_fixed_size: 0
    .kernarg_segment_align: 8
    .kernarg_segment_size: 288
    .language:       OpenCL C
    .language_version:
      - 2
      - 0
    .max_flat_workgroup_size: 256
    .name:           _ZN7rocprim17ROCPRIM_400000_NS6detail31init_lookback_scan_state_kernelINS1_19lookback_scan_stateIN3c107complexIfEELb0ELb1EEENS1_16block_id_wrapperIjLb0EEEEEvT_jT0_jPNSA_10value_typeE
    .private_segment_fixed_size: 0
    .sgpr_count:     11
    .sgpr_spill_count: 0
    .symbol:         _ZN7rocprim17ROCPRIM_400000_NS6detail31init_lookback_scan_state_kernelINS1_19lookback_scan_stateIN3c107complexIfEELb0ELb1EEENS1_16block_id_wrapperIjLb0EEEEEvT_jT0_jPNSA_10value_typeE.kd
    .uniform_work_group_size: 1
    .uses_dynamic_stack: false
    .vgpr_count:     8
    .vgpr_spill_count: 0
    .wavefront_size: 32
    .workgroup_processor_mode: 1
  - .args:
      - .offset:         0
        .size:           104
        .value_kind:     by_value
    .group_segment_fixed_size: 0
    .kernarg_segment_align: 8
    .kernarg_segment_size: 104
    .language:       OpenCL C
    .language_version:
      - 2
      - 0
    .max_flat_workgroup_size: 256
    .name:           _ZN7rocprim17ROCPRIM_400000_NS6detail17trampoline_kernelINS0_14default_configENS1_20scan_config_selectorIN3c107complexIfEEEEZZNS1_9scan_implILNS1_25lookback_scan_determinismE0ELb0ELb0ES3_PKS7_PS7_S7_ZZZN2at6native31launch_logcumsumexp_cuda_kernelERKNSE_10TensorBaseESI_lENKUlvE_clEvENKUlvE2_clEvEUlS7_S7_E_S7_EEDaPvRmT3_T4_T5_mT6_P12ihipStream_tbENKUlT_T0_E_clISt17integral_constantIbLb0EESZ_EEDaSU_SV_EUlSU_E_NS1_11comp_targetILNS1_3genE0ELNS1_11target_archE4294967295ELNS1_3gpuE0ELNS1_3repE0EEENS1_30default_config_static_selectorELNS0_4arch9wavefront6targetE0EEEvT1_
    .private_segment_fixed_size: 0
    .sgpr_count:     0
    .sgpr_spill_count: 0
    .symbol:         _ZN7rocprim17ROCPRIM_400000_NS6detail17trampoline_kernelINS0_14default_configENS1_20scan_config_selectorIN3c107complexIfEEEEZZNS1_9scan_implILNS1_25lookback_scan_determinismE0ELb0ELb0ES3_PKS7_PS7_S7_ZZZN2at6native31launch_logcumsumexp_cuda_kernelERKNSE_10TensorBaseESI_lENKUlvE_clEvENKUlvE2_clEvEUlS7_S7_E_S7_EEDaPvRmT3_T4_T5_mT6_P12ihipStream_tbENKUlT_T0_E_clISt17integral_constantIbLb0EESZ_EEDaSU_SV_EUlSU_E_NS1_11comp_targetILNS1_3genE0ELNS1_11target_archE4294967295ELNS1_3gpuE0ELNS1_3repE0EEENS1_30default_config_static_selectorELNS0_4arch9wavefront6targetE0EEEvT1_.kd
    .uniform_work_group_size: 1
    .uses_dynamic_stack: false
    .vgpr_count:     0
    .vgpr_spill_count: 0
    .wavefront_size: 32
    .workgroup_processor_mode: 1
  - .args:
      - .offset:         0
        .size:           104
        .value_kind:     by_value
    .group_segment_fixed_size: 0
    .kernarg_segment_align: 8
    .kernarg_segment_size: 104
    .language:       OpenCL C
    .language_version:
      - 2
      - 0
    .max_flat_workgroup_size: 256
    .name:           _ZN7rocprim17ROCPRIM_400000_NS6detail17trampoline_kernelINS0_14default_configENS1_20scan_config_selectorIN3c107complexIfEEEEZZNS1_9scan_implILNS1_25lookback_scan_determinismE0ELb0ELb0ES3_PKS7_PS7_S7_ZZZN2at6native31launch_logcumsumexp_cuda_kernelERKNSE_10TensorBaseESI_lENKUlvE_clEvENKUlvE2_clEvEUlS7_S7_E_S7_EEDaPvRmT3_T4_T5_mT6_P12ihipStream_tbENKUlT_T0_E_clISt17integral_constantIbLb0EESZ_EEDaSU_SV_EUlSU_E_NS1_11comp_targetILNS1_3genE5ELNS1_11target_archE942ELNS1_3gpuE9ELNS1_3repE0EEENS1_30default_config_static_selectorELNS0_4arch9wavefront6targetE0EEEvT1_
    .private_segment_fixed_size: 0
    .sgpr_count:     0
    .sgpr_spill_count: 0
    .symbol:         _ZN7rocprim17ROCPRIM_400000_NS6detail17trampoline_kernelINS0_14default_configENS1_20scan_config_selectorIN3c107complexIfEEEEZZNS1_9scan_implILNS1_25lookback_scan_determinismE0ELb0ELb0ES3_PKS7_PS7_S7_ZZZN2at6native31launch_logcumsumexp_cuda_kernelERKNSE_10TensorBaseESI_lENKUlvE_clEvENKUlvE2_clEvEUlS7_S7_E_S7_EEDaPvRmT3_T4_T5_mT6_P12ihipStream_tbENKUlT_T0_E_clISt17integral_constantIbLb0EESZ_EEDaSU_SV_EUlSU_E_NS1_11comp_targetILNS1_3genE5ELNS1_11target_archE942ELNS1_3gpuE9ELNS1_3repE0EEENS1_30default_config_static_selectorELNS0_4arch9wavefront6targetE0EEEvT1_.kd
    .uniform_work_group_size: 1
    .uses_dynamic_stack: false
    .vgpr_count:     0
    .vgpr_spill_count: 0
    .wavefront_size: 32
    .workgroup_processor_mode: 1
  - .args:
      - .offset:         0
        .size:           104
        .value_kind:     by_value
    .group_segment_fixed_size: 0
    .kernarg_segment_align: 8
    .kernarg_segment_size: 104
    .language:       OpenCL C
    .language_version:
      - 2
      - 0
    .max_flat_workgroup_size: 128
    .name:           _ZN7rocprim17ROCPRIM_400000_NS6detail17trampoline_kernelINS0_14default_configENS1_20scan_config_selectorIN3c107complexIfEEEEZZNS1_9scan_implILNS1_25lookback_scan_determinismE0ELb0ELb0ES3_PKS7_PS7_S7_ZZZN2at6native31launch_logcumsumexp_cuda_kernelERKNSE_10TensorBaseESI_lENKUlvE_clEvENKUlvE2_clEvEUlS7_S7_E_S7_EEDaPvRmT3_T4_T5_mT6_P12ihipStream_tbENKUlT_T0_E_clISt17integral_constantIbLb0EESZ_EEDaSU_SV_EUlSU_E_NS1_11comp_targetILNS1_3genE4ELNS1_11target_archE910ELNS1_3gpuE8ELNS1_3repE0EEENS1_30default_config_static_selectorELNS0_4arch9wavefront6targetE0EEEvT1_
    .private_segment_fixed_size: 0
    .sgpr_count:     0
    .sgpr_spill_count: 0
    .symbol:         _ZN7rocprim17ROCPRIM_400000_NS6detail17trampoline_kernelINS0_14default_configENS1_20scan_config_selectorIN3c107complexIfEEEEZZNS1_9scan_implILNS1_25lookback_scan_determinismE0ELb0ELb0ES3_PKS7_PS7_S7_ZZZN2at6native31launch_logcumsumexp_cuda_kernelERKNSE_10TensorBaseESI_lENKUlvE_clEvENKUlvE2_clEvEUlS7_S7_E_S7_EEDaPvRmT3_T4_T5_mT6_P12ihipStream_tbENKUlT_T0_E_clISt17integral_constantIbLb0EESZ_EEDaSU_SV_EUlSU_E_NS1_11comp_targetILNS1_3genE4ELNS1_11target_archE910ELNS1_3gpuE8ELNS1_3repE0EEENS1_30default_config_static_selectorELNS0_4arch9wavefront6targetE0EEEvT1_.kd
    .uniform_work_group_size: 1
    .uses_dynamic_stack: false
    .vgpr_count:     0
    .vgpr_spill_count: 0
    .wavefront_size: 32
    .workgroup_processor_mode: 1
  - .args:
      - .offset:         0
        .size:           104
        .value_kind:     by_value
    .group_segment_fixed_size: 0
    .kernarg_segment_align: 8
    .kernarg_segment_size: 104
    .language:       OpenCL C
    .language_version:
      - 2
      - 0
    .max_flat_workgroup_size: 256
    .name:           _ZN7rocprim17ROCPRIM_400000_NS6detail17trampoline_kernelINS0_14default_configENS1_20scan_config_selectorIN3c107complexIfEEEEZZNS1_9scan_implILNS1_25lookback_scan_determinismE0ELb0ELb0ES3_PKS7_PS7_S7_ZZZN2at6native31launch_logcumsumexp_cuda_kernelERKNSE_10TensorBaseESI_lENKUlvE_clEvENKUlvE2_clEvEUlS7_S7_E_S7_EEDaPvRmT3_T4_T5_mT6_P12ihipStream_tbENKUlT_T0_E_clISt17integral_constantIbLb0EESZ_EEDaSU_SV_EUlSU_E_NS1_11comp_targetILNS1_3genE3ELNS1_11target_archE908ELNS1_3gpuE7ELNS1_3repE0EEENS1_30default_config_static_selectorELNS0_4arch9wavefront6targetE0EEEvT1_
    .private_segment_fixed_size: 0
    .sgpr_count:     0
    .sgpr_spill_count: 0
    .symbol:         _ZN7rocprim17ROCPRIM_400000_NS6detail17trampoline_kernelINS0_14default_configENS1_20scan_config_selectorIN3c107complexIfEEEEZZNS1_9scan_implILNS1_25lookback_scan_determinismE0ELb0ELb0ES3_PKS7_PS7_S7_ZZZN2at6native31launch_logcumsumexp_cuda_kernelERKNSE_10TensorBaseESI_lENKUlvE_clEvENKUlvE2_clEvEUlS7_S7_E_S7_EEDaPvRmT3_T4_T5_mT6_P12ihipStream_tbENKUlT_T0_E_clISt17integral_constantIbLb0EESZ_EEDaSU_SV_EUlSU_E_NS1_11comp_targetILNS1_3genE3ELNS1_11target_archE908ELNS1_3gpuE7ELNS1_3repE0EEENS1_30default_config_static_selectorELNS0_4arch9wavefront6targetE0EEEvT1_.kd
    .uniform_work_group_size: 1
    .uses_dynamic_stack: false
    .vgpr_count:     0
    .vgpr_spill_count: 0
    .wavefront_size: 32
    .workgroup_processor_mode: 1
  - .args:
      - .offset:         0
        .size:           104
        .value_kind:     by_value
    .group_segment_fixed_size: 0
    .kernarg_segment_align: 8
    .kernarg_segment_size: 104
    .language:       OpenCL C
    .language_version:
      - 2
      - 0
    .max_flat_workgroup_size: 64
    .name:           _ZN7rocprim17ROCPRIM_400000_NS6detail17trampoline_kernelINS0_14default_configENS1_20scan_config_selectorIN3c107complexIfEEEEZZNS1_9scan_implILNS1_25lookback_scan_determinismE0ELb0ELb0ES3_PKS7_PS7_S7_ZZZN2at6native31launch_logcumsumexp_cuda_kernelERKNSE_10TensorBaseESI_lENKUlvE_clEvENKUlvE2_clEvEUlS7_S7_E_S7_EEDaPvRmT3_T4_T5_mT6_P12ihipStream_tbENKUlT_T0_E_clISt17integral_constantIbLb0EESZ_EEDaSU_SV_EUlSU_E_NS1_11comp_targetILNS1_3genE2ELNS1_11target_archE906ELNS1_3gpuE6ELNS1_3repE0EEENS1_30default_config_static_selectorELNS0_4arch9wavefront6targetE0EEEvT1_
    .private_segment_fixed_size: 0
    .sgpr_count:     0
    .sgpr_spill_count: 0
    .symbol:         _ZN7rocprim17ROCPRIM_400000_NS6detail17trampoline_kernelINS0_14default_configENS1_20scan_config_selectorIN3c107complexIfEEEEZZNS1_9scan_implILNS1_25lookback_scan_determinismE0ELb0ELb0ES3_PKS7_PS7_S7_ZZZN2at6native31launch_logcumsumexp_cuda_kernelERKNSE_10TensorBaseESI_lENKUlvE_clEvENKUlvE2_clEvEUlS7_S7_E_S7_EEDaPvRmT3_T4_T5_mT6_P12ihipStream_tbENKUlT_T0_E_clISt17integral_constantIbLb0EESZ_EEDaSU_SV_EUlSU_E_NS1_11comp_targetILNS1_3genE2ELNS1_11target_archE906ELNS1_3gpuE6ELNS1_3repE0EEENS1_30default_config_static_selectorELNS0_4arch9wavefront6targetE0EEEvT1_.kd
    .uniform_work_group_size: 1
    .uses_dynamic_stack: false
    .vgpr_count:     0
    .vgpr_spill_count: 0
    .wavefront_size: 32
    .workgroup_processor_mode: 1
  - .args:
      - .offset:         0
        .size:           104
        .value_kind:     by_value
    .group_segment_fixed_size: 0
    .kernarg_segment_align: 8
    .kernarg_segment_size: 104
    .language:       OpenCL C
    .language_version:
      - 2
      - 0
    .max_flat_workgroup_size: 256
    .name:           _ZN7rocprim17ROCPRIM_400000_NS6detail17trampoline_kernelINS0_14default_configENS1_20scan_config_selectorIN3c107complexIfEEEEZZNS1_9scan_implILNS1_25lookback_scan_determinismE0ELb0ELb0ES3_PKS7_PS7_S7_ZZZN2at6native31launch_logcumsumexp_cuda_kernelERKNSE_10TensorBaseESI_lENKUlvE_clEvENKUlvE2_clEvEUlS7_S7_E_S7_EEDaPvRmT3_T4_T5_mT6_P12ihipStream_tbENKUlT_T0_E_clISt17integral_constantIbLb0EESZ_EEDaSU_SV_EUlSU_E_NS1_11comp_targetILNS1_3genE10ELNS1_11target_archE1201ELNS1_3gpuE5ELNS1_3repE0EEENS1_30default_config_static_selectorELNS0_4arch9wavefront6targetE0EEEvT1_
    .private_segment_fixed_size: 0
    .sgpr_count:     0
    .sgpr_spill_count: 0
    .symbol:         _ZN7rocprim17ROCPRIM_400000_NS6detail17trampoline_kernelINS0_14default_configENS1_20scan_config_selectorIN3c107complexIfEEEEZZNS1_9scan_implILNS1_25lookback_scan_determinismE0ELb0ELb0ES3_PKS7_PS7_S7_ZZZN2at6native31launch_logcumsumexp_cuda_kernelERKNSE_10TensorBaseESI_lENKUlvE_clEvENKUlvE2_clEvEUlS7_S7_E_S7_EEDaPvRmT3_T4_T5_mT6_P12ihipStream_tbENKUlT_T0_E_clISt17integral_constantIbLb0EESZ_EEDaSU_SV_EUlSU_E_NS1_11comp_targetILNS1_3genE10ELNS1_11target_archE1201ELNS1_3gpuE5ELNS1_3repE0EEENS1_30default_config_static_selectorELNS0_4arch9wavefront6targetE0EEEvT1_.kd
    .uniform_work_group_size: 1
    .uses_dynamic_stack: false
    .vgpr_count:     0
    .vgpr_spill_count: 0
    .wavefront_size: 32
    .workgroup_processor_mode: 1
  - .args:
      - .offset:         0
        .size:           104
        .value_kind:     by_value
    .group_segment_fixed_size: 0
    .kernarg_segment_align: 8
    .kernarg_segment_size: 104
    .language:       OpenCL C
    .language_version:
      - 2
      - 0
    .max_flat_workgroup_size: 256
    .name:           _ZN7rocprim17ROCPRIM_400000_NS6detail17trampoline_kernelINS0_14default_configENS1_20scan_config_selectorIN3c107complexIfEEEEZZNS1_9scan_implILNS1_25lookback_scan_determinismE0ELb0ELb0ES3_PKS7_PS7_S7_ZZZN2at6native31launch_logcumsumexp_cuda_kernelERKNSE_10TensorBaseESI_lENKUlvE_clEvENKUlvE2_clEvEUlS7_S7_E_S7_EEDaPvRmT3_T4_T5_mT6_P12ihipStream_tbENKUlT_T0_E_clISt17integral_constantIbLb0EESZ_EEDaSU_SV_EUlSU_E_NS1_11comp_targetILNS1_3genE10ELNS1_11target_archE1200ELNS1_3gpuE4ELNS1_3repE0EEENS1_30default_config_static_selectorELNS0_4arch9wavefront6targetE0EEEvT1_
    .private_segment_fixed_size: 0
    .sgpr_count:     0
    .sgpr_spill_count: 0
    .symbol:         _ZN7rocprim17ROCPRIM_400000_NS6detail17trampoline_kernelINS0_14default_configENS1_20scan_config_selectorIN3c107complexIfEEEEZZNS1_9scan_implILNS1_25lookback_scan_determinismE0ELb0ELb0ES3_PKS7_PS7_S7_ZZZN2at6native31launch_logcumsumexp_cuda_kernelERKNSE_10TensorBaseESI_lENKUlvE_clEvENKUlvE2_clEvEUlS7_S7_E_S7_EEDaPvRmT3_T4_T5_mT6_P12ihipStream_tbENKUlT_T0_E_clISt17integral_constantIbLb0EESZ_EEDaSU_SV_EUlSU_E_NS1_11comp_targetILNS1_3genE10ELNS1_11target_archE1200ELNS1_3gpuE4ELNS1_3repE0EEENS1_30default_config_static_selectorELNS0_4arch9wavefront6targetE0EEEvT1_.kd
    .uniform_work_group_size: 1
    .uses_dynamic_stack: false
    .vgpr_count:     0
    .vgpr_spill_count: 0
    .wavefront_size: 32
    .workgroup_processor_mode: 1
  - .args:
      - .offset:         0
        .size:           104
        .value_kind:     by_value
    .group_segment_fixed_size: 0
    .kernarg_segment_align: 8
    .kernarg_segment_size: 104
    .language:       OpenCL C
    .language_version:
      - 2
      - 0
    .max_flat_workgroup_size: 256
    .name:           _ZN7rocprim17ROCPRIM_400000_NS6detail17trampoline_kernelINS0_14default_configENS1_20scan_config_selectorIN3c107complexIfEEEEZZNS1_9scan_implILNS1_25lookback_scan_determinismE0ELb0ELb0ES3_PKS7_PS7_S7_ZZZN2at6native31launch_logcumsumexp_cuda_kernelERKNSE_10TensorBaseESI_lENKUlvE_clEvENKUlvE2_clEvEUlS7_S7_E_S7_EEDaPvRmT3_T4_T5_mT6_P12ihipStream_tbENKUlT_T0_E_clISt17integral_constantIbLb0EESZ_EEDaSU_SV_EUlSU_E_NS1_11comp_targetILNS1_3genE9ELNS1_11target_archE1100ELNS1_3gpuE3ELNS1_3repE0EEENS1_30default_config_static_selectorELNS0_4arch9wavefront6targetE0EEEvT1_
    .private_segment_fixed_size: 0
    .sgpr_count:     0
    .sgpr_spill_count: 0
    .symbol:         _ZN7rocprim17ROCPRIM_400000_NS6detail17trampoline_kernelINS0_14default_configENS1_20scan_config_selectorIN3c107complexIfEEEEZZNS1_9scan_implILNS1_25lookback_scan_determinismE0ELb0ELb0ES3_PKS7_PS7_S7_ZZZN2at6native31launch_logcumsumexp_cuda_kernelERKNSE_10TensorBaseESI_lENKUlvE_clEvENKUlvE2_clEvEUlS7_S7_E_S7_EEDaPvRmT3_T4_T5_mT6_P12ihipStream_tbENKUlT_T0_E_clISt17integral_constantIbLb0EESZ_EEDaSU_SV_EUlSU_E_NS1_11comp_targetILNS1_3genE9ELNS1_11target_archE1100ELNS1_3gpuE3ELNS1_3repE0EEENS1_30default_config_static_selectorELNS0_4arch9wavefront6targetE0EEEvT1_.kd
    .uniform_work_group_size: 1
    .uses_dynamic_stack: false
    .vgpr_count:     0
    .vgpr_spill_count: 0
    .wavefront_size: 32
    .workgroup_processor_mode: 1
  - .args:
      - .offset:         0
        .size:           104
        .value_kind:     by_value
    .group_segment_fixed_size: 8448
    .kernarg_segment_align: 8
    .kernarg_segment_size: 104
    .language:       OpenCL C
    .language_version:
      - 2
      - 0
    .max_flat_workgroup_size: 256
    .name:           _ZN7rocprim17ROCPRIM_400000_NS6detail17trampoline_kernelINS0_14default_configENS1_20scan_config_selectorIN3c107complexIfEEEEZZNS1_9scan_implILNS1_25lookback_scan_determinismE0ELb0ELb0ES3_PKS7_PS7_S7_ZZZN2at6native31launch_logcumsumexp_cuda_kernelERKNSE_10TensorBaseESI_lENKUlvE_clEvENKUlvE2_clEvEUlS7_S7_E_S7_EEDaPvRmT3_T4_T5_mT6_P12ihipStream_tbENKUlT_T0_E_clISt17integral_constantIbLb0EESZ_EEDaSU_SV_EUlSU_E_NS1_11comp_targetILNS1_3genE8ELNS1_11target_archE1030ELNS1_3gpuE2ELNS1_3repE0EEENS1_30default_config_static_selectorELNS0_4arch9wavefront6targetE0EEEvT1_
    .private_segment_fixed_size: 0
    .sgpr_count:     46
    .sgpr_spill_count: 0
    .symbol:         _ZN7rocprim17ROCPRIM_400000_NS6detail17trampoline_kernelINS0_14default_configENS1_20scan_config_selectorIN3c107complexIfEEEEZZNS1_9scan_implILNS1_25lookback_scan_determinismE0ELb0ELb0ES3_PKS7_PS7_S7_ZZZN2at6native31launch_logcumsumexp_cuda_kernelERKNSE_10TensorBaseESI_lENKUlvE_clEvENKUlvE2_clEvEUlS7_S7_E_S7_EEDaPvRmT3_T4_T5_mT6_P12ihipStream_tbENKUlT_T0_E_clISt17integral_constantIbLb0EESZ_EEDaSU_SV_EUlSU_E_NS1_11comp_targetILNS1_3genE8ELNS1_11target_archE1030ELNS1_3gpuE2ELNS1_3repE0EEENS1_30default_config_static_selectorELNS0_4arch9wavefront6targetE0EEEvT1_.kd
    .uniform_work_group_size: 1
    .uses_dynamic_stack: false
    .vgpr_count:     65
    .vgpr_spill_count: 0
    .wavefront_size: 32
    .workgroup_processor_mode: 1
  - .args:
      - .offset:         0
        .size:           40
        .value_kind:     by_value
    .group_segment_fixed_size: 0
    .kernarg_segment_align: 8
    .kernarg_segment_size: 40
    .language:       OpenCL C
    .language_version:
      - 2
      - 0
    .max_flat_workgroup_size: 128
    .name:           _ZN7rocprim17ROCPRIM_400000_NS6detail17trampoline_kernelINS0_14default_configENS1_25transform_config_selectorIN3c107complexIfEELb1EEEZNS1_14transform_implILb1ES3_S8_PS7_SA_NS0_8identityIS7_EEEE10hipError_tT2_T3_mT4_P12ihipStream_tbEUlT_E_NS1_11comp_targetILNS1_3genE0ELNS1_11target_archE4294967295ELNS1_3gpuE0ELNS1_3repE0EEENS1_30default_config_static_selectorELNS0_4arch9wavefront6targetE0EEEvT1_
    .private_segment_fixed_size: 0
    .sgpr_count:     0
    .sgpr_spill_count: 0
    .symbol:         _ZN7rocprim17ROCPRIM_400000_NS6detail17trampoline_kernelINS0_14default_configENS1_25transform_config_selectorIN3c107complexIfEELb1EEEZNS1_14transform_implILb1ES3_S8_PS7_SA_NS0_8identityIS7_EEEE10hipError_tT2_T3_mT4_P12ihipStream_tbEUlT_E_NS1_11comp_targetILNS1_3genE0ELNS1_11target_archE4294967295ELNS1_3gpuE0ELNS1_3repE0EEENS1_30default_config_static_selectorELNS0_4arch9wavefront6targetE0EEEvT1_.kd
    .uniform_work_group_size: 1
    .uses_dynamic_stack: false
    .vgpr_count:     0
    .vgpr_spill_count: 0
    .wavefront_size: 32
    .workgroup_processor_mode: 1
  - .args:
      - .offset:         0
        .size:           40
        .value_kind:     by_value
    .group_segment_fixed_size: 0
    .kernarg_segment_align: 8
    .kernarg_segment_size: 40
    .language:       OpenCL C
    .language_version:
      - 2
      - 0
    .max_flat_workgroup_size: 1024
    .name:           _ZN7rocprim17ROCPRIM_400000_NS6detail17trampoline_kernelINS0_14default_configENS1_25transform_config_selectorIN3c107complexIfEELb1EEEZNS1_14transform_implILb1ES3_S8_PS7_SA_NS0_8identityIS7_EEEE10hipError_tT2_T3_mT4_P12ihipStream_tbEUlT_E_NS1_11comp_targetILNS1_3genE10ELNS1_11target_archE1201ELNS1_3gpuE5ELNS1_3repE0EEENS1_30default_config_static_selectorELNS0_4arch9wavefront6targetE0EEEvT1_
    .private_segment_fixed_size: 0
    .sgpr_count:     0
    .sgpr_spill_count: 0
    .symbol:         _ZN7rocprim17ROCPRIM_400000_NS6detail17trampoline_kernelINS0_14default_configENS1_25transform_config_selectorIN3c107complexIfEELb1EEEZNS1_14transform_implILb1ES3_S8_PS7_SA_NS0_8identityIS7_EEEE10hipError_tT2_T3_mT4_P12ihipStream_tbEUlT_E_NS1_11comp_targetILNS1_3genE10ELNS1_11target_archE1201ELNS1_3gpuE5ELNS1_3repE0EEENS1_30default_config_static_selectorELNS0_4arch9wavefront6targetE0EEEvT1_.kd
    .uniform_work_group_size: 1
    .uses_dynamic_stack: false
    .vgpr_count:     0
    .vgpr_spill_count: 0
    .wavefront_size: 32
    .workgroup_processor_mode: 1
  - .args:
      - .offset:         0
        .size:           40
        .value_kind:     by_value
    .group_segment_fixed_size: 0
    .kernarg_segment_align: 8
    .kernarg_segment_size: 40
    .language:       OpenCL C
    .language_version:
      - 2
      - 0
    .max_flat_workgroup_size: 512
    .name:           _ZN7rocprim17ROCPRIM_400000_NS6detail17trampoline_kernelINS0_14default_configENS1_25transform_config_selectorIN3c107complexIfEELb1EEEZNS1_14transform_implILb1ES3_S8_PS7_SA_NS0_8identityIS7_EEEE10hipError_tT2_T3_mT4_P12ihipStream_tbEUlT_E_NS1_11comp_targetILNS1_3genE5ELNS1_11target_archE942ELNS1_3gpuE9ELNS1_3repE0EEENS1_30default_config_static_selectorELNS0_4arch9wavefront6targetE0EEEvT1_
    .private_segment_fixed_size: 0
    .sgpr_count:     0
    .sgpr_spill_count: 0
    .symbol:         _ZN7rocprim17ROCPRIM_400000_NS6detail17trampoline_kernelINS0_14default_configENS1_25transform_config_selectorIN3c107complexIfEELb1EEEZNS1_14transform_implILb1ES3_S8_PS7_SA_NS0_8identityIS7_EEEE10hipError_tT2_T3_mT4_P12ihipStream_tbEUlT_E_NS1_11comp_targetILNS1_3genE5ELNS1_11target_archE942ELNS1_3gpuE9ELNS1_3repE0EEENS1_30default_config_static_selectorELNS0_4arch9wavefront6targetE0EEEvT1_.kd
    .uniform_work_group_size: 1
    .uses_dynamic_stack: false
    .vgpr_count:     0
    .vgpr_spill_count: 0
    .wavefront_size: 32
    .workgroup_processor_mode: 1
  - .args:
      - .offset:         0
        .size:           40
        .value_kind:     by_value
    .group_segment_fixed_size: 0
    .kernarg_segment_align: 8
    .kernarg_segment_size: 40
    .language:       OpenCL C
    .language_version:
      - 2
      - 0
    .max_flat_workgroup_size: 1024
    .name:           _ZN7rocprim17ROCPRIM_400000_NS6detail17trampoline_kernelINS0_14default_configENS1_25transform_config_selectorIN3c107complexIfEELb1EEEZNS1_14transform_implILb1ES3_S8_PS7_SA_NS0_8identityIS7_EEEE10hipError_tT2_T3_mT4_P12ihipStream_tbEUlT_E_NS1_11comp_targetILNS1_3genE4ELNS1_11target_archE910ELNS1_3gpuE8ELNS1_3repE0EEENS1_30default_config_static_selectorELNS0_4arch9wavefront6targetE0EEEvT1_
    .private_segment_fixed_size: 0
    .sgpr_count:     0
    .sgpr_spill_count: 0
    .symbol:         _ZN7rocprim17ROCPRIM_400000_NS6detail17trampoline_kernelINS0_14default_configENS1_25transform_config_selectorIN3c107complexIfEELb1EEEZNS1_14transform_implILb1ES3_S8_PS7_SA_NS0_8identityIS7_EEEE10hipError_tT2_T3_mT4_P12ihipStream_tbEUlT_E_NS1_11comp_targetILNS1_3genE4ELNS1_11target_archE910ELNS1_3gpuE8ELNS1_3repE0EEENS1_30default_config_static_selectorELNS0_4arch9wavefront6targetE0EEEvT1_.kd
    .uniform_work_group_size: 1
    .uses_dynamic_stack: false
    .vgpr_count:     0
    .vgpr_spill_count: 0
    .wavefront_size: 32
    .workgroup_processor_mode: 1
  - .args:
      - .offset:         0
        .size:           40
        .value_kind:     by_value
    .group_segment_fixed_size: 0
    .kernarg_segment_align: 8
    .kernarg_segment_size: 40
    .language:       OpenCL C
    .language_version:
      - 2
      - 0
    .max_flat_workgroup_size: 128
    .name:           _ZN7rocprim17ROCPRIM_400000_NS6detail17trampoline_kernelINS0_14default_configENS1_25transform_config_selectorIN3c107complexIfEELb1EEEZNS1_14transform_implILb1ES3_S8_PS7_SA_NS0_8identityIS7_EEEE10hipError_tT2_T3_mT4_P12ihipStream_tbEUlT_E_NS1_11comp_targetILNS1_3genE3ELNS1_11target_archE908ELNS1_3gpuE7ELNS1_3repE0EEENS1_30default_config_static_selectorELNS0_4arch9wavefront6targetE0EEEvT1_
    .private_segment_fixed_size: 0
    .sgpr_count:     0
    .sgpr_spill_count: 0
    .symbol:         _ZN7rocprim17ROCPRIM_400000_NS6detail17trampoline_kernelINS0_14default_configENS1_25transform_config_selectorIN3c107complexIfEELb1EEEZNS1_14transform_implILb1ES3_S8_PS7_SA_NS0_8identityIS7_EEEE10hipError_tT2_T3_mT4_P12ihipStream_tbEUlT_E_NS1_11comp_targetILNS1_3genE3ELNS1_11target_archE908ELNS1_3gpuE7ELNS1_3repE0EEENS1_30default_config_static_selectorELNS0_4arch9wavefront6targetE0EEEvT1_.kd
    .uniform_work_group_size: 1
    .uses_dynamic_stack: false
    .vgpr_count:     0
    .vgpr_spill_count: 0
    .wavefront_size: 32
    .workgroup_processor_mode: 1
  - .args:
      - .offset:         0
        .size:           40
        .value_kind:     by_value
    .group_segment_fixed_size: 0
    .kernarg_segment_align: 8
    .kernarg_segment_size: 40
    .language:       OpenCL C
    .language_version:
      - 2
      - 0
    .max_flat_workgroup_size: 512
    .name:           _ZN7rocprim17ROCPRIM_400000_NS6detail17trampoline_kernelINS0_14default_configENS1_25transform_config_selectorIN3c107complexIfEELb1EEEZNS1_14transform_implILb1ES3_S8_PS7_SA_NS0_8identityIS7_EEEE10hipError_tT2_T3_mT4_P12ihipStream_tbEUlT_E_NS1_11comp_targetILNS1_3genE2ELNS1_11target_archE906ELNS1_3gpuE6ELNS1_3repE0EEENS1_30default_config_static_selectorELNS0_4arch9wavefront6targetE0EEEvT1_
    .private_segment_fixed_size: 0
    .sgpr_count:     0
    .sgpr_spill_count: 0
    .symbol:         _ZN7rocprim17ROCPRIM_400000_NS6detail17trampoline_kernelINS0_14default_configENS1_25transform_config_selectorIN3c107complexIfEELb1EEEZNS1_14transform_implILb1ES3_S8_PS7_SA_NS0_8identityIS7_EEEE10hipError_tT2_T3_mT4_P12ihipStream_tbEUlT_E_NS1_11comp_targetILNS1_3genE2ELNS1_11target_archE906ELNS1_3gpuE6ELNS1_3repE0EEENS1_30default_config_static_selectorELNS0_4arch9wavefront6targetE0EEEvT1_.kd
    .uniform_work_group_size: 1
    .uses_dynamic_stack: false
    .vgpr_count:     0
    .vgpr_spill_count: 0
    .wavefront_size: 32
    .workgroup_processor_mode: 1
  - .args:
      - .offset:         0
        .size:           40
        .value_kind:     by_value
    .group_segment_fixed_size: 0
    .kernarg_segment_align: 8
    .kernarg_segment_size: 40
    .language:       OpenCL C
    .language_version:
      - 2
      - 0
    .max_flat_workgroup_size: 1024
    .name:           _ZN7rocprim17ROCPRIM_400000_NS6detail17trampoline_kernelINS0_14default_configENS1_25transform_config_selectorIN3c107complexIfEELb1EEEZNS1_14transform_implILb1ES3_S8_PS7_SA_NS0_8identityIS7_EEEE10hipError_tT2_T3_mT4_P12ihipStream_tbEUlT_E_NS1_11comp_targetILNS1_3genE9ELNS1_11target_archE1100ELNS1_3gpuE3ELNS1_3repE0EEENS1_30default_config_static_selectorELNS0_4arch9wavefront6targetE0EEEvT1_
    .private_segment_fixed_size: 0
    .sgpr_count:     0
    .sgpr_spill_count: 0
    .symbol:         _ZN7rocprim17ROCPRIM_400000_NS6detail17trampoline_kernelINS0_14default_configENS1_25transform_config_selectorIN3c107complexIfEELb1EEEZNS1_14transform_implILb1ES3_S8_PS7_SA_NS0_8identityIS7_EEEE10hipError_tT2_T3_mT4_P12ihipStream_tbEUlT_E_NS1_11comp_targetILNS1_3genE9ELNS1_11target_archE1100ELNS1_3gpuE3ELNS1_3repE0EEENS1_30default_config_static_selectorELNS0_4arch9wavefront6targetE0EEEvT1_.kd
    .uniform_work_group_size: 1
    .uses_dynamic_stack: false
    .vgpr_count:     0
    .vgpr_spill_count: 0
    .wavefront_size: 32
    .workgroup_processor_mode: 1
  - .args:
      - .offset:         0
        .size:           40
        .value_kind:     by_value
      - .offset:         40
        .size:           4
        .value_kind:     hidden_block_count_x
      - .offset:         44
        .size:           4
        .value_kind:     hidden_block_count_y
      - .offset:         48
        .size:           4
        .value_kind:     hidden_block_count_z
      - .offset:         52
        .size:           2
        .value_kind:     hidden_group_size_x
      - .offset:         54
        .size:           2
        .value_kind:     hidden_group_size_y
      - .offset:         56
        .size:           2
        .value_kind:     hidden_group_size_z
      - .offset:         58
        .size:           2
        .value_kind:     hidden_remainder_x
      - .offset:         60
        .size:           2
        .value_kind:     hidden_remainder_y
      - .offset:         62
        .size:           2
        .value_kind:     hidden_remainder_z
      - .offset:         80
        .size:           8
        .value_kind:     hidden_global_offset_x
      - .offset:         88
        .size:           8
        .value_kind:     hidden_global_offset_y
      - .offset:         96
        .size:           8
        .value_kind:     hidden_global_offset_z
      - .offset:         104
        .size:           2
        .value_kind:     hidden_grid_dims
    .group_segment_fixed_size: 0
    .kernarg_segment_align: 8
    .kernarg_segment_size: 296
    .language:       OpenCL C
    .language_version:
      - 2
      - 0
    .max_flat_workgroup_size: 1024
    .name:           _ZN7rocprim17ROCPRIM_400000_NS6detail17trampoline_kernelINS0_14default_configENS1_25transform_config_selectorIN3c107complexIfEELb1EEEZNS1_14transform_implILb1ES3_S8_PS7_SA_NS0_8identityIS7_EEEE10hipError_tT2_T3_mT4_P12ihipStream_tbEUlT_E_NS1_11comp_targetILNS1_3genE8ELNS1_11target_archE1030ELNS1_3gpuE2ELNS1_3repE0EEENS1_30default_config_static_selectorELNS0_4arch9wavefront6targetE0EEEvT1_
    .private_segment_fixed_size: 0
    .sgpr_count:     14
    .sgpr_spill_count: 0
    .symbol:         _ZN7rocprim17ROCPRIM_400000_NS6detail17trampoline_kernelINS0_14default_configENS1_25transform_config_selectorIN3c107complexIfEELb1EEEZNS1_14transform_implILb1ES3_S8_PS7_SA_NS0_8identityIS7_EEEE10hipError_tT2_T3_mT4_P12ihipStream_tbEUlT_E_NS1_11comp_targetILNS1_3genE8ELNS1_11target_archE1030ELNS1_3gpuE2ELNS1_3repE0EEENS1_30default_config_static_selectorELNS0_4arch9wavefront6targetE0EEEvT1_.kd
    .uniform_work_group_size: 1
    .uses_dynamic_stack: false
    .vgpr_count:     3
    .vgpr_spill_count: 0
    .wavefront_size: 32
    .workgroup_processor_mode: 1
  - .args:
      - .offset:         0
        .size:           40
        .value_kind:     by_value
    .group_segment_fixed_size: 0
    .kernarg_segment_align: 8
    .kernarg_segment_size: 40
    .language:       OpenCL C
    .language_version:
      - 2
      - 0
    .max_flat_workgroup_size: 256
    .name:           _ZN7rocprim17ROCPRIM_400000_NS6detail17trampoline_kernelINS0_14default_configENS1_20scan_config_selectorIN3c107complexIfEEEEZZNS1_9scan_implILNS1_25lookback_scan_determinismE0ELb0ELb0ES3_PKS7_PS7_S7_ZZZN2at6native31launch_logcumsumexp_cuda_kernelERKNSE_10TensorBaseESI_lENKUlvE_clEvENKUlvE2_clEvEUlS7_S7_E_S7_EEDaPvRmT3_T4_T5_mT6_P12ihipStream_tbENKUlT_T0_E_clISt17integral_constantIbLb0EESZ_EEDaSU_SV_EUlSU_E0_NS1_11comp_targetILNS1_3genE0ELNS1_11target_archE4294967295ELNS1_3gpuE0ELNS1_3repE0EEENS1_30default_config_static_selectorELNS0_4arch9wavefront6targetE0EEEvT1_
    .private_segment_fixed_size: 0
    .sgpr_count:     0
    .sgpr_spill_count: 0
    .symbol:         _ZN7rocprim17ROCPRIM_400000_NS6detail17trampoline_kernelINS0_14default_configENS1_20scan_config_selectorIN3c107complexIfEEEEZZNS1_9scan_implILNS1_25lookback_scan_determinismE0ELb0ELb0ES3_PKS7_PS7_S7_ZZZN2at6native31launch_logcumsumexp_cuda_kernelERKNSE_10TensorBaseESI_lENKUlvE_clEvENKUlvE2_clEvEUlS7_S7_E_S7_EEDaPvRmT3_T4_T5_mT6_P12ihipStream_tbENKUlT_T0_E_clISt17integral_constantIbLb0EESZ_EEDaSU_SV_EUlSU_E0_NS1_11comp_targetILNS1_3genE0ELNS1_11target_archE4294967295ELNS1_3gpuE0ELNS1_3repE0EEENS1_30default_config_static_selectorELNS0_4arch9wavefront6targetE0EEEvT1_.kd
    .uniform_work_group_size: 1
    .uses_dynamic_stack: false
    .vgpr_count:     0
    .vgpr_spill_count: 0
    .wavefront_size: 32
    .workgroup_processor_mode: 1
  - .args:
      - .offset:         0
        .size:           40
        .value_kind:     by_value
    .group_segment_fixed_size: 0
    .kernarg_segment_align: 8
    .kernarg_segment_size: 40
    .language:       OpenCL C
    .language_version:
      - 2
      - 0
    .max_flat_workgroup_size: 256
    .name:           _ZN7rocprim17ROCPRIM_400000_NS6detail17trampoline_kernelINS0_14default_configENS1_20scan_config_selectorIN3c107complexIfEEEEZZNS1_9scan_implILNS1_25lookback_scan_determinismE0ELb0ELb0ES3_PKS7_PS7_S7_ZZZN2at6native31launch_logcumsumexp_cuda_kernelERKNSE_10TensorBaseESI_lENKUlvE_clEvENKUlvE2_clEvEUlS7_S7_E_S7_EEDaPvRmT3_T4_T5_mT6_P12ihipStream_tbENKUlT_T0_E_clISt17integral_constantIbLb0EESZ_EEDaSU_SV_EUlSU_E0_NS1_11comp_targetILNS1_3genE5ELNS1_11target_archE942ELNS1_3gpuE9ELNS1_3repE0EEENS1_30default_config_static_selectorELNS0_4arch9wavefront6targetE0EEEvT1_
    .private_segment_fixed_size: 0
    .sgpr_count:     0
    .sgpr_spill_count: 0
    .symbol:         _ZN7rocprim17ROCPRIM_400000_NS6detail17trampoline_kernelINS0_14default_configENS1_20scan_config_selectorIN3c107complexIfEEEEZZNS1_9scan_implILNS1_25lookback_scan_determinismE0ELb0ELb0ES3_PKS7_PS7_S7_ZZZN2at6native31launch_logcumsumexp_cuda_kernelERKNSE_10TensorBaseESI_lENKUlvE_clEvENKUlvE2_clEvEUlS7_S7_E_S7_EEDaPvRmT3_T4_T5_mT6_P12ihipStream_tbENKUlT_T0_E_clISt17integral_constantIbLb0EESZ_EEDaSU_SV_EUlSU_E0_NS1_11comp_targetILNS1_3genE5ELNS1_11target_archE942ELNS1_3gpuE9ELNS1_3repE0EEENS1_30default_config_static_selectorELNS0_4arch9wavefront6targetE0EEEvT1_.kd
    .uniform_work_group_size: 1
    .uses_dynamic_stack: false
    .vgpr_count:     0
    .vgpr_spill_count: 0
    .wavefront_size: 32
    .workgroup_processor_mode: 1
  - .args:
      - .offset:         0
        .size:           40
        .value_kind:     by_value
    .group_segment_fixed_size: 0
    .kernarg_segment_align: 8
    .kernarg_segment_size: 40
    .language:       OpenCL C
    .language_version:
      - 2
      - 0
    .max_flat_workgroup_size: 128
    .name:           _ZN7rocprim17ROCPRIM_400000_NS6detail17trampoline_kernelINS0_14default_configENS1_20scan_config_selectorIN3c107complexIfEEEEZZNS1_9scan_implILNS1_25lookback_scan_determinismE0ELb0ELb0ES3_PKS7_PS7_S7_ZZZN2at6native31launch_logcumsumexp_cuda_kernelERKNSE_10TensorBaseESI_lENKUlvE_clEvENKUlvE2_clEvEUlS7_S7_E_S7_EEDaPvRmT3_T4_T5_mT6_P12ihipStream_tbENKUlT_T0_E_clISt17integral_constantIbLb0EESZ_EEDaSU_SV_EUlSU_E0_NS1_11comp_targetILNS1_3genE4ELNS1_11target_archE910ELNS1_3gpuE8ELNS1_3repE0EEENS1_30default_config_static_selectorELNS0_4arch9wavefront6targetE0EEEvT1_
    .private_segment_fixed_size: 0
    .sgpr_count:     0
    .sgpr_spill_count: 0
    .symbol:         _ZN7rocprim17ROCPRIM_400000_NS6detail17trampoline_kernelINS0_14default_configENS1_20scan_config_selectorIN3c107complexIfEEEEZZNS1_9scan_implILNS1_25lookback_scan_determinismE0ELb0ELb0ES3_PKS7_PS7_S7_ZZZN2at6native31launch_logcumsumexp_cuda_kernelERKNSE_10TensorBaseESI_lENKUlvE_clEvENKUlvE2_clEvEUlS7_S7_E_S7_EEDaPvRmT3_T4_T5_mT6_P12ihipStream_tbENKUlT_T0_E_clISt17integral_constantIbLb0EESZ_EEDaSU_SV_EUlSU_E0_NS1_11comp_targetILNS1_3genE4ELNS1_11target_archE910ELNS1_3gpuE8ELNS1_3repE0EEENS1_30default_config_static_selectorELNS0_4arch9wavefront6targetE0EEEvT1_.kd
    .uniform_work_group_size: 1
    .uses_dynamic_stack: false
    .vgpr_count:     0
    .vgpr_spill_count: 0
    .wavefront_size: 32
    .workgroup_processor_mode: 1
  - .args:
      - .offset:         0
        .size:           40
        .value_kind:     by_value
    .group_segment_fixed_size: 0
    .kernarg_segment_align: 8
    .kernarg_segment_size: 40
    .language:       OpenCL C
    .language_version:
      - 2
      - 0
    .max_flat_workgroup_size: 256
    .name:           _ZN7rocprim17ROCPRIM_400000_NS6detail17trampoline_kernelINS0_14default_configENS1_20scan_config_selectorIN3c107complexIfEEEEZZNS1_9scan_implILNS1_25lookback_scan_determinismE0ELb0ELb0ES3_PKS7_PS7_S7_ZZZN2at6native31launch_logcumsumexp_cuda_kernelERKNSE_10TensorBaseESI_lENKUlvE_clEvENKUlvE2_clEvEUlS7_S7_E_S7_EEDaPvRmT3_T4_T5_mT6_P12ihipStream_tbENKUlT_T0_E_clISt17integral_constantIbLb0EESZ_EEDaSU_SV_EUlSU_E0_NS1_11comp_targetILNS1_3genE3ELNS1_11target_archE908ELNS1_3gpuE7ELNS1_3repE0EEENS1_30default_config_static_selectorELNS0_4arch9wavefront6targetE0EEEvT1_
    .private_segment_fixed_size: 0
    .sgpr_count:     0
    .sgpr_spill_count: 0
    .symbol:         _ZN7rocprim17ROCPRIM_400000_NS6detail17trampoline_kernelINS0_14default_configENS1_20scan_config_selectorIN3c107complexIfEEEEZZNS1_9scan_implILNS1_25lookback_scan_determinismE0ELb0ELb0ES3_PKS7_PS7_S7_ZZZN2at6native31launch_logcumsumexp_cuda_kernelERKNSE_10TensorBaseESI_lENKUlvE_clEvENKUlvE2_clEvEUlS7_S7_E_S7_EEDaPvRmT3_T4_T5_mT6_P12ihipStream_tbENKUlT_T0_E_clISt17integral_constantIbLb0EESZ_EEDaSU_SV_EUlSU_E0_NS1_11comp_targetILNS1_3genE3ELNS1_11target_archE908ELNS1_3gpuE7ELNS1_3repE0EEENS1_30default_config_static_selectorELNS0_4arch9wavefront6targetE0EEEvT1_.kd
    .uniform_work_group_size: 1
    .uses_dynamic_stack: false
    .vgpr_count:     0
    .vgpr_spill_count: 0
    .wavefront_size: 32
    .workgroup_processor_mode: 1
  - .args:
      - .offset:         0
        .size:           40
        .value_kind:     by_value
    .group_segment_fixed_size: 0
    .kernarg_segment_align: 8
    .kernarg_segment_size: 40
    .language:       OpenCL C
    .language_version:
      - 2
      - 0
    .max_flat_workgroup_size: 64
    .name:           _ZN7rocprim17ROCPRIM_400000_NS6detail17trampoline_kernelINS0_14default_configENS1_20scan_config_selectorIN3c107complexIfEEEEZZNS1_9scan_implILNS1_25lookback_scan_determinismE0ELb0ELb0ES3_PKS7_PS7_S7_ZZZN2at6native31launch_logcumsumexp_cuda_kernelERKNSE_10TensorBaseESI_lENKUlvE_clEvENKUlvE2_clEvEUlS7_S7_E_S7_EEDaPvRmT3_T4_T5_mT6_P12ihipStream_tbENKUlT_T0_E_clISt17integral_constantIbLb0EESZ_EEDaSU_SV_EUlSU_E0_NS1_11comp_targetILNS1_3genE2ELNS1_11target_archE906ELNS1_3gpuE6ELNS1_3repE0EEENS1_30default_config_static_selectorELNS0_4arch9wavefront6targetE0EEEvT1_
    .private_segment_fixed_size: 0
    .sgpr_count:     0
    .sgpr_spill_count: 0
    .symbol:         _ZN7rocprim17ROCPRIM_400000_NS6detail17trampoline_kernelINS0_14default_configENS1_20scan_config_selectorIN3c107complexIfEEEEZZNS1_9scan_implILNS1_25lookback_scan_determinismE0ELb0ELb0ES3_PKS7_PS7_S7_ZZZN2at6native31launch_logcumsumexp_cuda_kernelERKNSE_10TensorBaseESI_lENKUlvE_clEvENKUlvE2_clEvEUlS7_S7_E_S7_EEDaPvRmT3_T4_T5_mT6_P12ihipStream_tbENKUlT_T0_E_clISt17integral_constantIbLb0EESZ_EEDaSU_SV_EUlSU_E0_NS1_11comp_targetILNS1_3genE2ELNS1_11target_archE906ELNS1_3gpuE6ELNS1_3repE0EEENS1_30default_config_static_selectorELNS0_4arch9wavefront6targetE0EEEvT1_.kd
    .uniform_work_group_size: 1
    .uses_dynamic_stack: false
    .vgpr_count:     0
    .vgpr_spill_count: 0
    .wavefront_size: 32
    .workgroup_processor_mode: 1
  - .args:
      - .offset:         0
        .size:           40
        .value_kind:     by_value
    .group_segment_fixed_size: 0
    .kernarg_segment_align: 8
    .kernarg_segment_size: 40
    .language:       OpenCL C
    .language_version:
      - 2
      - 0
    .max_flat_workgroup_size: 256
    .name:           _ZN7rocprim17ROCPRIM_400000_NS6detail17trampoline_kernelINS0_14default_configENS1_20scan_config_selectorIN3c107complexIfEEEEZZNS1_9scan_implILNS1_25lookback_scan_determinismE0ELb0ELb0ES3_PKS7_PS7_S7_ZZZN2at6native31launch_logcumsumexp_cuda_kernelERKNSE_10TensorBaseESI_lENKUlvE_clEvENKUlvE2_clEvEUlS7_S7_E_S7_EEDaPvRmT3_T4_T5_mT6_P12ihipStream_tbENKUlT_T0_E_clISt17integral_constantIbLb0EESZ_EEDaSU_SV_EUlSU_E0_NS1_11comp_targetILNS1_3genE10ELNS1_11target_archE1201ELNS1_3gpuE5ELNS1_3repE0EEENS1_30default_config_static_selectorELNS0_4arch9wavefront6targetE0EEEvT1_
    .private_segment_fixed_size: 0
    .sgpr_count:     0
    .sgpr_spill_count: 0
    .symbol:         _ZN7rocprim17ROCPRIM_400000_NS6detail17trampoline_kernelINS0_14default_configENS1_20scan_config_selectorIN3c107complexIfEEEEZZNS1_9scan_implILNS1_25lookback_scan_determinismE0ELb0ELb0ES3_PKS7_PS7_S7_ZZZN2at6native31launch_logcumsumexp_cuda_kernelERKNSE_10TensorBaseESI_lENKUlvE_clEvENKUlvE2_clEvEUlS7_S7_E_S7_EEDaPvRmT3_T4_T5_mT6_P12ihipStream_tbENKUlT_T0_E_clISt17integral_constantIbLb0EESZ_EEDaSU_SV_EUlSU_E0_NS1_11comp_targetILNS1_3genE10ELNS1_11target_archE1201ELNS1_3gpuE5ELNS1_3repE0EEENS1_30default_config_static_selectorELNS0_4arch9wavefront6targetE0EEEvT1_.kd
    .uniform_work_group_size: 1
    .uses_dynamic_stack: false
    .vgpr_count:     0
    .vgpr_spill_count: 0
    .wavefront_size: 32
    .workgroup_processor_mode: 1
  - .args:
      - .offset:         0
        .size:           40
        .value_kind:     by_value
    .group_segment_fixed_size: 0
    .kernarg_segment_align: 8
    .kernarg_segment_size: 40
    .language:       OpenCL C
    .language_version:
      - 2
      - 0
    .max_flat_workgroup_size: 256
    .name:           _ZN7rocprim17ROCPRIM_400000_NS6detail17trampoline_kernelINS0_14default_configENS1_20scan_config_selectorIN3c107complexIfEEEEZZNS1_9scan_implILNS1_25lookback_scan_determinismE0ELb0ELb0ES3_PKS7_PS7_S7_ZZZN2at6native31launch_logcumsumexp_cuda_kernelERKNSE_10TensorBaseESI_lENKUlvE_clEvENKUlvE2_clEvEUlS7_S7_E_S7_EEDaPvRmT3_T4_T5_mT6_P12ihipStream_tbENKUlT_T0_E_clISt17integral_constantIbLb0EESZ_EEDaSU_SV_EUlSU_E0_NS1_11comp_targetILNS1_3genE10ELNS1_11target_archE1200ELNS1_3gpuE4ELNS1_3repE0EEENS1_30default_config_static_selectorELNS0_4arch9wavefront6targetE0EEEvT1_
    .private_segment_fixed_size: 0
    .sgpr_count:     0
    .sgpr_spill_count: 0
    .symbol:         _ZN7rocprim17ROCPRIM_400000_NS6detail17trampoline_kernelINS0_14default_configENS1_20scan_config_selectorIN3c107complexIfEEEEZZNS1_9scan_implILNS1_25lookback_scan_determinismE0ELb0ELb0ES3_PKS7_PS7_S7_ZZZN2at6native31launch_logcumsumexp_cuda_kernelERKNSE_10TensorBaseESI_lENKUlvE_clEvENKUlvE2_clEvEUlS7_S7_E_S7_EEDaPvRmT3_T4_T5_mT6_P12ihipStream_tbENKUlT_T0_E_clISt17integral_constantIbLb0EESZ_EEDaSU_SV_EUlSU_E0_NS1_11comp_targetILNS1_3genE10ELNS1_11target_archE1200ELNS1_3gpuE4ELNS1_3repE0EEENS1_30default_config_static_selectorELNS0_4arch9wavefront6targetE0EEEvT1_.kd
    .uniform_work_group_size: 1
    .uses_dynamic_stack: false
    .vgpr_count:     0
    .vgpr_spill_count: 0
    .wavefront_size: 32
    .workgroup_processor_mode: 1
  - .args:
      - .offset:         0
        .size:           40
        .value_kind:     by_value
    .group_segment_fixed_size: 0
    .kernarg_segment_align: 8
    .kernarg_segment_size: 40
    .language:       OpenCL C
    .language_version:
      - 2
      - 0
    .max_flat_workgroup_size: 256
    .name:           _ZN7rocprim17ROCPRIM_400000_NS6detail17trampoline_kernelINS0_14default_configENS1_20scan_config_selectorIN3c107complexIfEEEEZZNS1_9scan_implILNS1_25lookback_scan_determinismE0ELb0ELb0ES3_PKS7_PS7_S7_ZZZN2at6native31launch_logcumsumexp_cuda_kernelERKNSE_10TensorBaseESI_lENKUlvE_clEvENKUlvE2_clEvEUlS7_S7_E_S7_EEDaPvRmT3_T4_T5_mT6_P12ihipStream_tbENKUlT_T0_E_clISt17integral_constantIbLb0EESZ_EEDaSU_SV_EUlSU_E0_NS1_11comp_targetILNS1_3genE9ELNS1_11target_archE1100ELNS1_3gpuE3ELNS1_3repE0EEENS1_30default_config_static_selectorELNS0_4arch9wavefront6targetE0EEEvT1_
    .private_segment_fixed_size: 0
    .sgpr_count:     0
    .sgpr_spill_count: 0
    .symbol:         _ZN7rocprim17ROCPRIM_400000_NS6detail17trampoline_kernelINS0_14default_configENS1_20scan_config_selectorIN3c107complexIfEEEEZZNS1_9scan_implILNS1_25lookback_scan_determinismE0ELb0ELb0ES3_PKS7_PS7_S7_ZZZN2at6native31launch_logcumsumexp_cuda_kernelERKNSE_10TensorBaseESI_lENKUlvE_clEvENKUlvE2_clEvEUlS7_S7_E_S7_EEDaPvRmT3_T4_T5_mT6_P12ihipStream_tbENKUlT_T0_E_clISt17integral_constantIbLb0EESZ_EEDaSU_SV_EUlSU_E0_NS1_11comp_targetILNS1_3genE9ELNS1_11target_archE1100ELNS1_3gpuE3ELNS1_3repE0EEENS1_30default_config_static_selectorELNS0_4arch9wavefront6targetE0EEEvT1_.kd
    .uniform_work_group_size: 1
    .uses_dynamic_stack: false
    .vgpr_count:     0
    .vgpr_spill_count: 0
    .wavefront_size: 32
    .workgroup_processor_mode: 1
  - .args:
      - .offset:         0
        .size:           40
        .value_kind:     by_value
    .group_segment_fixed_size: 8448
    .kernarg_segment_align: 8
    .kernarg_segment_size: 40
    .language:       OpenCL C
    .language_version:
      - 2
      - 0
    .max_flat_workgroup_size: 256
    .name:           _ZN7rocprim17ROCPRIM_400000_NS6detail17trampoline_kernelINS0_14default_configENS1_20scan_config_selectorIN3c107complexIfEEEEZZNS1_9scan_implILNS1_25lookback_scan_determinismE0ELb0ELb0ES3_PKS7_PS7_S7_ZZZN2at6native31launch_logcumsumexp_cuda_kernelERKNSE_10TensorBaseESI_lENKUlvE_clEvENKUlvE2_clEvEUlS7_S7_E_S7_EEDaPvRmT3_T4_T5_mT6_P12ihipStream_tbENKUlT_T0_E_clISt17integral_constantIbLb0EESZ_EEDaSU_SV_EUlSU_E0_NS1_11comp_targetILNS1_3genE8ELNS1_11target_archE1030ELNS1_3gpuE2ELNS1_3repE0EEENS1_30default_config_static_selectorELNS0_4arch9wavefront6targetE0EEEvT1_
    .private_segment_fixed_size: 0
    .sgpr_count:     35
    .sgpr_spill_count: 0
    .symbol:         _ZN7rocprim17ROCPRIM_400000_NS6detail17trampoline_kernelINS0_14default_configENS1_20scan_config_selectorIN3c107complexIfEEEEZZNS1_9scan_implILNS1_25lookback_scan_determinismE0ELb0ELb0ES3_PKS7_PS7_S7_ZZZN2at6native31launch_logcumsumexp_cuda_kernelERKNSE_10TensorBaseESI_lENKUlvE_clEvENKUlvE2_clEvEUlS7_S7_E_S7_EEDaPvRmT3_T4_T5_mT6_P12ihipStream_tbENKUlT_T0_E_clISt17integral_constantIbLb0EESZ_EEDaSU_SV_EUlSU_E0_NS1_11comp_targetILNS1_3genE8ELNS1_11target_archE1030ELNS1_3gpuE2ELNS1_3repE0EEENS1_30default_config_static_selectorELNS0_4arch9wavefront6targetE0EEEvT1_.kd
    .uniform_work_group_size: 1
    .uses_dynamic_stack: false
    .vgpr_count:     50
    .vgpr_spill_count: 0
    .wavefront_size: 32
    .workgroup_processor_mode: 1
  - .args:
      - .address_space:  global
        .offset:         0
        .size:           8
        .value_kind:     global_buffer
      - .offset:         8
        .size:           4
        .value_kind:     by_value
      - .address_space:  global
        .offset:         16
        .size:           8
        .value_kind:     global_buffer
      - .offset:         24
        .size:           4
        .value_kind:     by_value
      - .address_space:  global
        .offset:         32
        .size:           8
        .value_kind:     global_buffer
      - .offset:         40
        .size:           4
        .value_kind:     hidden_block_count_x
      - .offset:         44
        .size:           4
        .value_kind:     hidden_block_count_y
      - .offset:         48
        .size:           4
        .value_kind:     hidden_block_count_z
      - .offset:         52
        .size:           2
        .value_kind:     hidden_group_size_x
      - .offset:         54
        .size:           2
        .value_kind:     hidden_group_size_y
      - .offset:         56
        .size:           2
        .value_kind:     hidden_group_size_z
      - .offset:         58
        .size:           2
        .value_kind:     hidden_remainder_x
      - .offset:         60
        .size:           2
        .value_kind:     hidden_remainder_y
      - .offset:         62
        .size:           2
        .value_kind:     hidden_remainder_z
      - .offset:         80
        .size:           8
        .value_kind:     hidden_global_offset_x
      - .offset:         88
        .size:           8
        .value_kind:     hidden_global_offset_y
      - .offset:         96
        .size:           8
        .value_kind:     hidden_global_offset_z
      - .offset:         104
        .size:           2
        .value_kind:     hidden_grid_dims
    .group_segment_fixed_size: 0
    .kernarg_segment_align: 8
    .kernarg_segment_size: 296
    .language:       OpenCL C
    .language_version:
      - 2
      - 0
    .max_flat_workgroup_size: 256
    .name:           _ZN7rocprim17ROCPRIM_400000_NS6detail31init_lookback_scan_state_kernelINS1_19lookback_scan_stateIN3c107complexIfEELb1ELb1EEENS1_16block_id_wrapperIjLb1EEEEEvT_jT0_jPNSA_10value_typeE
    .private_segment_fixed_size: 0
    .sgpr_count:     14
    .sgpr_spill_count: 0
    .symbol:         _ZN7rocprim17ROCPRIM_400000_NS6detail31init_lookback_scan_state_kernelINS1_19lookback_scan_stateIN3c107complexIfEELb1ELb1EEENS1_16block_id_wrapperIjLb1EEEEEvT_jT0_jPNSA_10value_typeE.kd
    .uniform_work_group_size: 1
    .uses_dynamic_stack: false
    .vgpr_count:     8
    .vgpr_spill_count: 0
    .wavefront_size: 32
    .workgroup_processor_mode: 1
  - .args:
      - .offset:         0
        .size:           104
        .value_kind:     by_value
    .group_segment_fixed_size: 0
    .kernarg_segment_align: 8
    .kernarg_segment_size: 104
    .language:       OpenCL C
    .language_version:
      - 2
      - 0
    .max_flat_workgroup_size: 256
    .name:           _ZN7rocprim17ROCPRIM_400000_NS6detail17trampoline_kernelINS0_14default_configENS1_20scan_config_selectorIN3c107complexIfEEEEZZNS1_9scan_implILNS1_25lookback_scan_determinismE0ELb0ELb0ES3_PKS7_PS7_S7_ZZZN2at6native31launch_logcumsumexp_cuda_kernelERKNSE_10TensorBaseESI_lENKUlvE_clEvENKUlvE2_clEvEUlS7_S7_E_S7_EEDaPvRmT3_T4_T5_mT6_P12ihipStream_tbENKUlT_T0_E_clISt17integral_constantIbLb1EESZ_EEDaSU_SV_EUlSU_E_NS1_11comp_targetILNS1_3genE0ELNS1_11target_archE4294967295ELNS1_3gpuE0ELNS1_3repE0EEENS1_30default_config_static_selectorELNS0_4arch9wavefront6targetE0EEEvT1_
    .private_segment_fixed_size: 0
    .sgpr_count:     0
    .sgpr_spill_count: 0
    .symbol:         _ZN7rocprim17ROCPRIM_400000_NS6detail17trampoline_kernelINS0_14default_configENS1_20scan_config_selectorIN3c107complexIfEEEEZZNS1_9scan_implILNS1_25lookback_scan_determinismE0ELb0ELb0ES3_PKS7_PS7_S7_ZZZN2at6native31launch_logcumsumexp_cuda_kernelERKNSE_10TensorBaseESI_lENKUlvE_clEvENKUlvE2_clEvEUlS7_S7_E_S7_EEDaPvRmT3_T4_T5_mT6_P12ihipStream_tbENKUlT_T0_E_clISt17integral_constantIbLb1EESZ_EEDaSU_SV_EUlSU_E_NS1_11comp_targetILNS1_3genE0ELNS1_11target_archE4294967295ELNS1_3gpuE0ELNS1_3repE0EEENS1_30default_config_static_selectorELNS0_4arch9wavefront6targetE0EEEvT1_.kd
    .uniform_work_group_size: 1
    .uses_dynamic_stack: false
    .vgpr_count:     0
    .vgpr_spill_count: 0
    .wavefront_size: 32
    .workgroup_processor_mode: 1
  - .args:
      - .offset:         0
        .size:           104
        .value_kind:     by_value
    .group_segment_fixed_size: 0
    .kernarg_segment_align: 8
    .kernarg_segment_size: 104
    .language:       OpenCL C
    .language_version:
      - 2
      - 0
    .max_flat_workgroup_size: 256
    .name:           _ZN7rocprim17ROCPRIM_400000_NS6detail17trampoline_kernelINS0_14default_configENS1_20scan_config_selectorIN3c107complexIfEEEEZZNS1_9scan_implILNS1_25lookback_scan_determinismE0ELb0ELb0ES3_PKS7_PS7_S7_ZZZN2at6native31launch_logcumsumexp_cuda_kernelERKNSE_10TensorBaseESI_lENKUlvE_clEvENKUlvE2_clEvEUlS7_S7_E_S7_EEDaPvRmT3_T4_T5_mT6_P12ihipStream_tbENKUlT_T0_E_clISt17integral_constantIbLb1EESZ_EEDaSU_SV_EUlSU_E_NS1_11comp_targetILNS1_3genE5ELNS1_11target_archE942ELNS1_3gpuE9ELNS1_3repE0EEENS1_30default_config_static_selectorELNS0_4arch9wavefront6targetE0EEEvT1_
    .private_segment_fixed_size: 0
    .sgpr_count:     0
    .sgpr_spill_count: 0
    .symbol:         _ZN7rocprim17ROCPRIM_400000_NS6detail17trampoline_kernelINS0_14default_configENS1_20scan_config_selectorIN3c107complexIfEEEEZZNS1_9scan_implILNS1_25lookback_scan_determinismE0ELb0ELb0ES3_PKS7_PS7_S7_ZZZN2at6native31launch_logcumsumexp_cuda_kernelERKNSE_10TensorBaseESI_lENKUlvE_clEvENKUlvE2_clEvEUlS7_S7_E_S7_EEDaPvRmT3_T4_T5_mT6_P12ihipStream_tbENKUlT_T0_E_clISt17integral_constantIbLb1EESZ_EEDaSU_SV_EUlSU_E_NS1_11comp_targetILNS1_3genE5ELNS1_11target_archE942ELNS1_3gpuE9ELNS1_3repE0EEENS1_30default_config_static_selectorELNS0_4arch9wavefront6targetE0EEEvT1_.kd
    .uniform_work_group_size: 1
    .uses_dynamic_stack: false
    .vgpr_count:     0
    .vgpr_spill_count: 0
    .wavefront_size: 32
    .workgroup_processor_mode: 1
  - .args:
      - .offset:         0
        .size:           104
        .value_kind:     by_value
    .group_segment_fixed_size: 0
    .kernarg_segment_align: 8
    .kernarg_segment_size: 104
    .language:       OpenCL C
    .language_version:
      - 2
      - 0
    .max_flat_workgroup_size: 128
    .name:           _ZN7rocprim17ROCPRIM_400000_NS6detail17trampoline_kernelINS0_14default_configENS1_20scan_config_selectorIN3c107complexIfEEEEZZNS1_9scan_implILNS1_25lookback_scan_determinismE0ELb0ELb0ES3_PKS7_PS7_S7_ZZZN2at6native31launch_logcumsumexp_cuda_kernelERKNSE_10TensorBaseESI_lENKUlvE_clEvENKUlvE2_clEvEUlS7_S7_E_S7_EEDaPvRmT3_T4_T5_mT6_P12ihipStream_tbENKUlT_T0_E_clISt17integral_constantIbLb1EESZ_EEDaSU_SV_EUlSU_E_NS1_11comp_targetILNS1_3genE4ELNS1_11target_archE910ELNS1_3gpuE8ELNS1_3repE0EEENS1_30default_config_static_selectorELNS0_4arch9wavefront6targetE0EEEvT1_
    .private_segment_fixed_size: 0
    .sgpr_count:     0
    .sgpr_spill_count: 0
    .symbol:         _ZN7rocprim17ROCPRIM_400000_NS6detail17trampoline_kernelINS0_14default_configENS1_20scan_config_selectorIN3c107complexIfEEEEZZNS1_9scan_implILNS1_25lookback_scan_determinismE0ELb0ELb0ES3_PKS7_PS7_S7_ZZZN2at6native31launch_logcumsumexp_cuda_kernelERKNSE_10TensorBaseESI_lENKUlvE_clEvENKUlvE2_clEvEUlS7_S7_E_S7_EEDaPvRmT3_T4_T5_mT6_P12ihipStream_tbENKUlT_T0_E_clISt17integral_constantIbLb1EESZ_EEDaSU_SV_EUlSU_E_NS1_11comp_targetILNS1_3genE4ELNS1_11target_archE910ELNS1_3gpuE8ELNS1_3repE0EEENS1_30default_config_static_selectorELNS0_4arch9wavefront6targetE0EEEvT1_.kd
    .uniform_work_group_size: 1
    .uses_dynamic_stack: false
    .vgpr_count:     0
    .vgpr_spill_count: 0
    .wavefront_size: 32
    .workgroup_processor_mode: 1
  - .args:
      - .offset:         0
        .size:           104
        .value_kind:     by_value
    .group_segment_fixed_size: 0
    .kernarg_segment_align: 8
    .kernarg_segment_size: 104
    .language:       OpenCL C
    .language_version:
      - 2
      - 0
    .max_flat_workgroup_size: 256
    .name:           _ZN7rocprim17ROCPRIM_400000_NS6detail17trampoline_kernelINS0_14default_configENS1_20scan_config_selectorIN3c107complexIfEEEEZZNS1_9scan_implILNS1_25lookback_scan_determinismE0ELb0ELb0ES3_PKS7_PS7_S7_ZZZN2at6native31launch_logcumsumexp_cuda_kernelERKNSE_10TensorBaseESI_lENKUlvE_clEvENKUlvE2_clEvEUlS7_S7_E_S7_EEDaPvRmT3_T4_T5_mT6_P12ihipStream_tbENKUlT_T0_E_clISt17integral_constantIbLb1EESZ_EEDaSU_SV_EUlSU_E_NS1_11comp_targetILNS1_3genE3ELNS1_11target_archE908ELNS1_3gpuE7ELNS1_3repE0EEENS1_30default_config_static_selectorELNS0_4arch9wavefront6targetE0EEEvT1_
    .private_segment_fixed_size: 0
    .sgpr_count:     0
    .sgpr_spill_count: 0
    .symbol:         _ZN7rocprim17ROCPRIM_400000_NS6detail17trampoline_kernelINS0_14default_configENS1_20scan_config_selectorIN3c107complexIfEEEEZZNS1_9scan_implILNS1_25lookback_scan_determinismE0ELb0ELb0ES3_PKS7_PS7_S7_ZZZN2at6native31launch_logcumsumexp_cuda_kernelERKNSE_10TensorBaseESI_lENKUlvE_clEvENKUlvE2_clEvEUlS7_S7_E_S7_EEDaPvRmT3_T4_T5_mT6_P12ihipStream_tbENKUlT_T0_E_clISt17integral_constantIbLb1EESZ_EEDaSU_SV_EUlSU_E_NS1_11comp_targetILNS1_3genE3ELNS1_11target_archE908ELNS1_3gpuE7ELNS1_3repE0EEENS1_30default_config_static_selectorELNS0_4arch9wavefront6targetE0EEEvT1_.kd
    .uniform_work_group_size: 1
    .uses_dynamic_stack: false
    .vgpr_count:     0
    .vgpr_spill_count: 0
    .wavefront_size: 32
    .workgroup_processor_mode: 1
  - .args:
      - .offset:         0
        .size:           104
        .value_kind:     by_value
    .group_segment_fixed_size: 0
    .kernarg_segment_align: 8
    .kernarg_segment_size: 104
    .language:       OpenCL C
    .language_version:
      - 2
      - 0
    .max_flat_workgroup_size: 64
    .name:           _ZN7rocprim17ROCPRIM_400000_NS6detail17trampoline_kernelINS0_14default_configENS1_20scan_config_selectorIN3c107complexIfEEEEZZNS1_9scan_implILNS1_25lookback_scan_determinismE0ELb0ELb0ES3_PKS7_PS7_S7_ZZZN2at6native31launch_logcumsumexp_cuda_kernelERKNSE_10TensorBaseESI_lENKUlvE_clEvENKUlvE2_clEvEUlS7_S7_E_S7_EEDaPvRmT3_T4_T5_mT6_P12ihipStream_tbENKUlT_T0_E_clISt17integral_constantIbLb1EESZ_EEDaSU_SV_EUlSU_E_NS1_11comp_targetILNS1_3genE2ELNS1_11target_archE906ELNS1_3gpuE6ELNS1_3repE0EEENS1_30default_config_static_selectorELNS0_4arch9wavefront6targetE0EEEvT1_
    .private_segment_fixed_size: 0
    .sgpr_count:     0
    .sgpr_spill_count: 0
    .symbol:         _ZN7rocprim17ROCPRIM_400000_NS6detail17trampoline_kernelINS0_14default_configENS1_20scan_config_selectorIN3c107complexIfEEEEZZNS1_9scan_implILNS1_25lookback_scan_determinismE0ELb0ELb0ES3_PKS7_PS7_S7_ZZZN2at6native31launch_logcumsumexp_cuda_kernelERKNSE_10TensorBaseESI_lENKUlvE_clEvENKUlvE2_clEvEUlS7_S7_E_S7_EEDaPvRmT3_T4_T5_mT6_P12ihipStream_tbENKUlT_T0_E_clISt17integral_constantIbLb1EESZ_EEDaSU_SV_EUlSU_E_NS1_11comp_targetILNS1_3genE2ELNS1_11target_archE906ELNS1_3gpuE6ELNS1_3repE0EEENS1_30default_config_static_selectorELNS0_4arch9wavefront6targetE0EEEvT1_.kd
    .uniform_work_group_size: 1
    .uses_dynamic_stack: false
    .vgpr_count:     0
    .vgpr_spill_count: 0
    .wavefront_size: 32
    .workgroup_processor_mode: 1
  - .args:
      - .offset:         0
        .size:           104
        .value_kind:     by_value
    .group_segment_fixed_size: 0
    .kernarg_segment_align: 8
    .kernarg_segment_size: 104
    .language:       OpenCL C
    .language_version:
      - 2
      - 0
    .max_flat_workgroup_size: 256
    .name:           _ZN7rocprim17ROCPRIM_400000_NS6detail17trampoline_kernelINS0_14default_configENS1_20scan_config_selectorIN3c107complexIfEEEEZZNS1_9scan_implILNS1_25lookback_scan_determinismE0ELb0ELb0ES3_PKS7_PS7_S7_ZZZN2at6native31launch_logcumsumexp_cuda_kernelERKNSE_10TensorBaseESI_lENKUlvE_clEvENKUlvE2_clEvEUlS7_S7_E_S7_EEDaPvRmT3_T4_T5_mT6_P12ihipStream_tbENKUlT_T0_E_clISt17integral_constantIbLb1EESZ_EEDaSU_SV_EUlSU_E_NS1_11comp_targetILNS1_3genE10ELNS1_11target_archE1201ELNS1_3gpuE5ELNS1_3repE0EEENS1_30default_config_static_selectorELNS0_4arch9wavefront6targetE0EEEvT1_
    .private_segment_fixed_size: 0
    .sgpr_count:     0
    .sgpr_spill_count: 0
    .symbol:         _ZN7rocprim17ROCPRIM_400000_NS6detail17trampoline_kernelINS0_14default_configENS1_20scan_config_selectorIN3c107complexIfEEEEZZNS1_9scan_implILNS1_25lookback_scan_determinismE0ELb0ELb0ES3_PKS7_PS7_S7_ZZZN2at6native31launch_logcumsumexp_cuda_kernelERKNSE_10TensorBaseESI_lENKUlvE_clEvENKUlvE2_clEvEUlS7_S7_E_S7_EEDaPvRmT3_T4_T5_mT6_P12ihipStream_tbENKUlT_T0_E_clISt17integral_constantIbLb1EESZ_EEDaSU_SV_EUlSU_E_NS1_11comp_targetILNS1_3genE10ELNS1_11target_archE1201ELNS1_3gpuE5ELNS1_3repE0EEENS1_30default_config_static_selectorELNS0_4arch9wavefront6targetE0EEEvT1_.kd
    .uniform_work_group_size: 1
    .uses_dynamic_stack: false
    .vgpr_count:     0
    .vgpr_spill_count: 0
    .wavefront_size: 32
    .workgroup_processor_mode: 1
  - .args:
      - .offset:         0
        .size:           104
        .value_kind:     by_value
    .group_segment_fixed_size: 0
    .kernarg_segment_align: 8
    .kernarg_segment_size: 104
    .language:       OpenCL C
    .language_version:
      - 2
      - 0
    .max_flat_workgroup_size: 256
    .name:           _ZN7rocprim17ROCPRIM_400000_NS6detail17trampoline_kernelINS0_14default_configENS1_20scan_config_selectorIN3c107complexIfEEEEZZNS1_9scan_implILNS1_25lookback_scan_determinismE0ELb0ELb0ES3_PKS7_PS7_S7_ZZZN2at6native31launch_logcumsumexp_cuda_kernelERKNSE_10TensorBaseESI_lENKUlvE_clEvENKUlvE2_clEvEUlS7_S7_E_S7_EEDaPvRmT3_T4_T5_mT6_P12ihipStream_tbENKUlT_T0_E_clISt17integral_constantIbLb1EESZ_EEDaSU_SV_EUlSU_E_NS1_11comp_targetILNS1_3genE10ELNS1_11target_archE1200ELNS1_3gpuE4ELNS1_3repE0EEENS1_30default_config_static_selectorELNS0_4arch9wavefront6targetE0EEEvT1_
    .private_segment_fixed_size: 0
    .sgpr_count:     0
    .sgpr_spill_count: 0
    .symbol:         _ZN7rocprim17ROCPRIM_400000_NS6detail17trampoline_kernelINS0_14default_configENS1_20scan_config_selectorIN3c107complexIfEEEEZZNS1_9scan_implILNS1_25lookback_scan_determinismE0ELb0ELb0ES3_PKS7_PS7_S7_ZZZN2at6native31launch_logcumsumexp_cuda_kernelERKNSE_10TensorBaseESI_lENKUlvE_clEvENKUlvE2_clEvEUlS7_S7_E_S7_EEDaPvRmT3_T4_T5_mT6_P12ihipStream_tbENKUlT_T0_E_clISt17integral_constantIbLb1EESZ_EEDaSU_SV_EUlSU_E_NS1_11comp_targetILNS1_3genE10ELNS1_11target_archE1200ELNS1_3gpuE4ELNS1_3repE0EEENS1_30default_config_static_selectorELNS0_4arch9wavefront6targetE0EEEvT1_.kd
    .uniform_work_group_size: 1
    .uses_dynamic_stack: false
    .vgpr_count:     0
    .vgpr_spill_count: 0
    .wavefront_size: 32
    .workgroup_processor_mode: 1
  - .args:
      - .offset:         0
        .size:           104
        .value_kind:     by_value
    .group_segment_fixed_size: 0
    .kernarg_segment_align: 8
    .kernarg_segment_size: 104
    .language:       OpenCL C
    .language_version:
      - 2
      - 0
    .max_flat_workgroup_size: 256
    .name:           _ZN7rocprim17ROCPRIM_400000_NS6detail17trampoline_kernelINS0_14default_configENS1_20scan_config_selectorIN3c107complexIfEEEEZZNS1_9scan_implILNS1_25lookback_scan_determinismE0ELb0ELb0ES3_PKS7_PS7_S7_ZZZN2at6native31launch_logcumsumexp_cuda_kernelERKNSE_10TensorBaseESI_lENKUlvE_clEvENKUlvE2_clEvEUlS7_S7_E_S7_EEDaPvRmT3_T4_T5_mT6_P12ihipStream_tbENKUlT_T0_E_clISt17integral_constantIbLb1EESZ_EEDaSU_SV_EUlSU_E_NS1_11comp_targetILNS1_3genE9ELNS1_11target_archE1100ELNS1_3gpuE3ELNS1_3repE0EEENS1_30default_config_static_selectorELNS0_4arch9wavefront6targetE0EEEvT1_
    .private_segment_fixed_size: 0
    .sgpr_count:     0
    .sgpr_spill_count: 0
    .symbol:         _ZN7rocprim17ROCPRIM_400000_NS6detail17trampoline_kernelINS0_14default_configENS1_20scan_config_selectorIN3c107complexIfEEEEZZNS1_9scan_implILNS1_25lookback_scan_determinismE0ELb0ELb0ES3_PKS7_PS7_S7_ZZZN2at6native31launch_logcumsumexp_cuda_kernelERKNSE_10TensorBaseESI_lENKUlvE_clEvENKUlvE2_clEvEUlS7_S7_E_S7_EEDaPvRmT3_T4_T5_mT6_P12ihipStream_tbENKUlT_T0_E_clISt17integral_constantIbLb1EESZ_EEDaSU_SV_EUlSU_E_NS1_11comp_targetILNS1_3genE9ELNS1_11target_archE1100ELNS1_3gpuE3ELNS1_3repE0EEENS1_30default_config_static_selectorELNS0_4arch9wavefront6targetE0EEEvT1_.kd
    .uniform_work_group_size: 1
    .uses_dynamic_stack: false
    .vgpr_count:     0
    .vgpr_spill_count: 0
    .wavefront_size: 32
    .workgroup_processor_mode: 1
  - .args:
      - .offset:         0
        .size:           104
        .value_kind:     by_value
    .group_segment_fixed_size: 0
    .kernarg_segment_align: 8
    .kernarg_segment_size: 104
    .language:       OpenCL C
    .language_version:
      - 2
      - 0
    .max_flat_workgroup_size: 256
    .name:           _ZN7rocprim17ROCPRIM_400000_NS6detail17trampoline_kernelINS0_14default_configENS1_20scan_config_selectorIN3c107complexIfEEEEZZNS1_9scan_implILNS1_25lookback_scan_determinismE0ELb0ELb0ES3_PKS7_PS7_S7_ZZZN2at6native31launch_logcumsumexp_cuda_kernelERKNSE_10TensorBaseESI_lENKUlvE_clEvENKUlvE2_clEvEUlS7_S7_E_S7_EEDaPvRmT3_T4_T5_mT6_P12ihipStream_tbENKUlT_T0_E_clISt17integral_constantIbLb1EESZ_EEDaSU_SV_EUlSU_E_NS1_11comp_targetILNS1_3genE8ELNS1_11target_archE1030ELNS1_3gpuE2ELNS1_3repE0EEENS1_30default_config_static_selectorELNS0_4arch9wavefront6targetE0EEEvT1_
    .private_segment_fixed_size: 0
    .sgpr_count:     0
    .sgpr_spill_count: 0
    .symbol:         _ZN7rocprim17ROCPRIM_400000_NS6detail17trampoline_kernelINS0_14default_configENS1_20scan_config_selectorIN3c107complexIfEEEEZZNS1_9scan_implILNS1_25lookback_scan_determinismE0ELb0ELb0ES3_PKS7_PS7_S7_ZZZN2at6native31launch_logcumsumexp_cuda_kernelERKNSE_10TensorBaseESI_lENKUlvE_clEvENKUlvE2_clEvEUlS7_S7_E_S7_EEDaPvRmT3_T4_T5_mT6_P12ihipStream_tbENKUlT_T0_E_clISt17integral_constantIbLb1EESZ_EEDaSU_SV_EUlSU_E_NS1_11comp_targetILNS1_3genE8ELNS1_11target_archE1030ELNS1_3gpuE2ELNS1_3repE0EEENS1_30default_config_static_selectorELNS0_4arch9wavefront6targetE0EEEvT1_.kd
    .uniform_work_group_size: 1
    .uses_dynamic_stack: false
    .vgpr_count:     0
    .vgpr_spill_count: 0
    .wavefront_size: 32
    .workgroup_processor_mode: 1
  - .args:
      - .offset:         0
        .size:           40
        .value_kind:     by_value
    .group_segment_fixed_size: 0
    .kernarg_segment_align: 8
    .kernarg_segment_size: 40
    .language:       OpenCL C
    .language_version:
      - 2
      - 0
    .max_flat_workgroup_size: 256
    .name:           _ZN7rocprim17ROCPRIM_400000_NS6detail17trampoline_kernelINS0_14default_configENS1_20scan_config_selectorIN3c107complexIfEEEEZZNS1_9scan_implILNS1_25lookback_scan_determinismE0ELb0ELb0ES3_PKS7_PS7_S7_ZZZN2at6native31launch_logcumsumexp_cuda_kernelERKNSE_10TensorBaseESI_lENKUlvE_clEvENKUlvE2_clEvEUlS7_S7_E_S7_EEDaPvRmT3_T4_T5_mT6_P12ihipStream_tbENKUlT_T0_E_clISt17integral_constantIbLb1EESZ_EEDaSU_SV_EUlSU_E0_NS1_11comp_targetILNS1_3genE0ELNS1_11target_archE4294967295ELNS1_3gpuE0ELNS1_3repE0EEENS1_30default_config_static_selectorELNS0_4arch9wavefront6targetE0EEEvT1_
    .private_segment_fixed_size: 0
    .sgpr_count:     0
    .sgpr_spill_count: 0
    .symbol:         _ZN7rocprim17ROCPRIM_400000_NS6detail17trampoline_kernelINS0_14default_configENS1_20scan_config_selectorIN3c107complexIfEEEEZZNS1_9scan_implILNS1_25lookback_scan_determinismE0ELb0ELb0ES3_PKS7_PS7_S7_ZZZN2at6native31launch_logcumsumexp_cuda_kernelERKNSE_10TensorBaseESI_lENKUlvE_clEvENKUlvE2_clEvEUlS7_S7_E_S7_EEDaPvRmT3_T4_T5_mT6_P12ihipStream_tbENKUlT_T0_E_clISt17integral_constantIbLb1EESZ_EEDaSU_SV_EUlSU_E0_NS1_11comp_targetILNS1_3genE0ELNS1_11target_archE4294967295ELNS1_3gpuE0ELNS1_3repE0EEENS1_30default_config_static_selectorELNS0_4arch9wavefront6targetE0EEEvT1_.kd
    .uniform_work_group_size: 1
    .uses_dynamic_stack: false
    .vgpr_count:     0
    .vgpr_spill_count: 0
    .wavefront_size: 32
    .workgroup_processor_mode: 1
  - .args:
      - .offset:         0
        .size:           40
        .value_kind:     by_value
    .group_segment_fixed_size: 0
    .kernarg_segment_align: 8
    .kernarg_segment_size: 40
    .language:       OpenCL C
    .language_version:
      - 2
      - 0
    .max_flat_workgroup_size: 256
    .name:           _ZN7rocprim17ROCPRIM_400000_NS6detail17trampoline_kernelINS0_14default_configENS1_20scan_config_selectorIN3c107complexIfEEEEZZNS1_9scan_implILNS1_25lookback_scan_determinismE0ELb0ELb0ES3_PKS7_PS7_S7_ZZZN2at6native31launch_logcumsumexp_cuda_kernelERKNSE_10TensorBaseESI_lENKUlvE_clEvENKUlvE2_clEvEUlS7_S7_E_S7_EEDaPvRmT3_T4_T5_mT6_P12ihipStream_tbENKUlT_T0_E_clISt17integral_constantIbLb1EESZ_EEDaSU_SV_EUlSU_E0_NS1_11comp_targetILNS1_3genE5ELNS1_11target_archE942ELNS1_3gpuE9ELNS1_3repE0EEENS1_30default_config_static_selectorELNS0_4arch9wavefront6targetE0EEEvT1_
    .private_segment_fixed_size: 0
    .sgpr_count:     0
    .sgpr_spill_count: 0
    .symbol:         _ZN7rocprim17ROCPRIM_400000_NS6detail17trampoline_kernelINS0_14default_configENS1_20scan_config_selectorIN3c107complexIfEEEEZZNS1_9scan_implILNS1_25lookback_scan_determinismE0ELb0ELb0ES3_PKS7_PS7_S7_ZZZN2at6native31launch_logcumsumexp_cuda_kernelERKNSE_10TensorBaseESI_lENKUlvE_clEvENKUlvE2_clEvEUlS7_S7_E_S7_EEDaPvRmT3_T4_T5_mT6_P12ihipStream_tbENKUlT_T0_E_clISt17integral_constantIbLb1EESZ_EEDaSU_SV_EUlSU_E0_NS1_11comp_targetILNS1_3genE5ELNS1_11target_archE942ELNS1_3gpuE9ELNS1_3repE0EEENS1_30default_config_static_selectorELNS0_4arch9wavefront6targetE0EEEvT1_.kd
    .uniform_work_group_size: 1
    .uses_dynamic_stack: false
    .vgpr_count:     0
    .vgpr_spill_count: 0
    .wavefront_size: 32
    .workgroup_processor_mode: 1
  - .args:
      - .offset:         0
        .size:           40
        .value_kind:     by_value
    .group_segment_fixed_size: 0
    .kernarg_segment_align: 8
    .kernarg_segment_size: 40
    .language:       OpenCL C
    .language_version:
      - 2
      - 0
    .max_flat_workgroup_size: 128
    .name:           _ZN7rocprim17ROCPRIM_400000_NS6detail17trampoline_kernelINS0_14default_configENS1_20scan_config_selectorIN3c107complexIfEEEEZZNS1_9scan_implILNS1_25lookback_scan_determinismE0ELb0ELb0ES3_PKS7_PS7_S7_ZZZN2at6native31launch_logcumsumexp_cuda_kernelERKNSE_10TensorBaseESI_lENKUlvE_clEvENKUlvE2_clEvEUlS7_S7_E_S7_EEDaPvRmT3_T4_T5_mT6_P12ihipStream_tbENKUlT_T0_E_clISt17integral_constantIbLb1EESZ_EEDaSU_SV_EUlSU_E0_NS1_11comp_targetILNS1_3genE4ELNS1_11target_archE910ELNS1_3gpuE8ELNS1_3repE0EEENS1_30default_config_static_selectorELNS0_4arch9wavefront6targetE0EEEvT1_
    .private_segment_fixed_size: 0
    .sgpr_count:     0
    .sgpr_spill_count: 0
    .symbol:         _ZN7rocprim17ROCPRIM_400000_NS6detail17trampoline_kernelINS0_14default_configENS1_20scan_config_selectorIN3c107complexIfEEEEZZNS1_9scan_implILNS1_25lookback_scan_determinismE0ELb0ELb0ES3_PKS7_PS7_S7_ZZZN2at6native31launch_logcumsumexp_cuda_kernelERKNSE_10TensorBaseESI_lENKUlvE_clEvENKUlvE2_clEvEUlS7_S7_E_S7_EEDaPvRmT3_T4_T5_mT6_P12ihipStream_tbENKUlT_T0_E_clISt17integral_constantIbLb1EESZ_EEDaSU_SV_EUlSU_E0_NS1_11comp_targetILNS1_3genE4ELNS1_11target_archE910ELNS1_3gpuE8ELNS1_3repE0EEENS1_30default_config_static_selectorELNS0_4arch9wavefront6targetE0EEEvT1_.kd
    .uniform_work_group_size: 1
    .uses_dynamic_stack: false
    .vgpr_count:     0
    .vgpr_spill_count: 0
    .wavefront_size: 32
    .workgroup_processor_mode: 1
  - .args:
      - .offset:         0
        .size:           40
        .value_kind:     by_value
    .group_segment_fixed_size: 0
    .kernarg_segment_align: 8
    .kernarg_segment_size: 40
    .language:       OpenCL C
    .language_version:
      - 2
      - 0
    .max_flat_workgroup_size: 256
    .name:           _ZN7rocprim17ROCPRIM_400000_NS6detail17trampoline_kernelINS0_14default_configENS1_20scan_config_selectorIN3c107complexIfEEEEZZNS1_9scan_implILNS1_25lookback_scan_determinismE0ELb0ELb0ES3_PKS7_PS7_S7_ZZZN2at6native31launch_logcumsumexp_cuda_kernelERKNSE_10TensorBaseESI_lENKUlvE_clEvENKUlvE2_clEvEUlS7_S7_E_S7_EEDaPvRmT3_T4_T5_mT6_P12ihipStream_tbENKUlT_T0_E_clISt17integral_constantIbLb1EESZ_EEDaSU_SV_EUlSU_E0_NS1_11comp_targetILNS1_3genE3ELNS1_11target_archE908ELNS1_3gpuE7ELNS1_3repE0EEENS1_30default_config_static_selectorELNS0_4arch9wavefront6targetE0EEEvT1_
    .private_segment_fixed_size: 0
    .sgpr_count:     0
    .sgpr_spill_count: 0
    .symbol:         _ZN7rocprim17ROCPRIM_400000_NS6detail17trampoline_kernelINS0_14default_configENS1_20scan_config_selectorIN3c107complexIfEEEEZZNS1_9scan_implILNS1_25lookback_scan_determinismE0ELb0ELb0ES3_PKS7_PS7_S7_ZZZN2at6native31launch_logcumsumexp_cuda_kernelERKNSE_10TensorBaseESI_lENKUlvE_clEvENKUlvE2_clEvEUlS7_S7_E_S7_EEDaPvRmT3_T4_T5_mT6_P12ihipStream_tbENKUlT_T0_E_clISt17integral_constantIbLb1EESZ_EEDaSU_SV_EUlSU_E0_NS1_11comp_targetILNS1_3genE3ELNS1_11target_archE908ELNS1_3gpuE7ELNS1_3repE0EEENS1_30default_config_static_selectorELNS0_4arch9wavefront6targetE0EEEvT1_.kd
    .uniform_work_group_size: 1
    .uses_dynamic_stack: false
    .vgpr_count:     0
    .vgpr_spill_count: 0
    .wavefront_size: 32
    .workgroup_processor_mode: 1
  - .args:
      - .offset:         0
        .size:           40
        .value_kind:     by_value
    .group_segment_fixed_size: 0
    .kernarg_segment_align: 8
    .kernarg_segment_size: 40
    .language:       OpenCL C
    .language_version:
      - 2
      - 0
    .max_flat_workgroup_size: 64
    .name:           _ZN7rocprim17ROCPRIM_400000_NS6detail17trampoline_kernelINS0_14default_configENS1_20scan_config_selectorIN3c107complexIfEEEEZZNS1_9scan_implILNS1_25lookback_scan_determinismE0ELb0ELb0ES3_PKS7_PS7_S7_ZZZN2at6native31launch_logcumsumexp_cuda_kernelERKNSE_10TensorBaseESI_lENKUlvE_clEvENKUlvE2_clEvEUlS7_S7_E_S7_EEDaPvRmT3_T4_T5_mT6_P12ihipStream_tbENKUlT_T0_E_clISt17integral_constantIbLb1EESZ_EEDaSU_SV_EUlSU_E0_NS1_11comp_targetILNS1_3genE2ELNS1_11target_archE906ELNS1_3gpuE6ELNS1_3repE0EEENS1_30default_config_static_selectorELNS0_4arch9wavefront6targetE0EEEvT1_
    .private_segment_fixed_size: 0
    .sgpr_count:     0
    .sgpr_spill_count: 0
    .symbol:         _ZN7rocprim17ROCPRIM_400000_NS6detail17trampoline_kernelINS0_14default_configENS1_20scan_config_selectorIN3c107complexIfEEEEZZNS1_9scan_implILNS1_25lookback_scan_determinismE0ELb0ELb0ES3_PKS7_PS7_S7_ZZZN2at6native31launch_logcumsumexp_cuda_kernelERKNSE_10TensorBaseESI_lENKUlvE_clEvENKUlvE2_clEvEUlS7_S7_E_S7_EEDaPvRmT3_T4_T5_mT6_P12ihipStream_tbENKUlT_T0_E_clISt17integral_constantIbLb1EESZ_EEDaSU_SV_EUlSU_E0_NS1_11comp_targetILNS1_3genE2ELNS1_11target_archE906ELNS1_3gpuE6ELNS1_3repE0EEENS1_30default_config_static_selectorELNS0_4arch9wavefront6targetE0EEEvT1_.kd
    .uniform_work_group_size: 1
    .uses_dynamic_stack: false
    .vgpr_count:     0
    .vgpr_spill_count: 0
    .wavefront_size: 32
    .workgroup_processor_mode: 1
  - .args:
      - .offset:         0
        .size:           40
        .value_kind:     by_value
    .group_segment_fixed_size: 0
    .kernarg_segment_align: 8
    .kernarg_segment_size: 40
    .language:       OpenCL C
    .language_version:
      - 2
      - 0
    .max_flat_workgroup_size: 256
    .name:           _ZN7rocprim17ROCPRIM_400000_NS6detail17trampoline_kernelINS0_14default_configENS1_20scan_config_selectorIN3c107complexIfEEEEZZNS1_9scan_implILNS1_25lookback_scan_determinismE0ELb0ELb0ES3_PKS7_PS7_S7_ZZZN2at6native31launch_logcumsumexp_cuda_kernelERKNSE_10TensorBaseESI_lENKUlvE_clEvENKUlvE2_clEvEUlS7_S7_E_S7_EEDaPvRmT3_T4_T5_mT6_P12ihipStream_tbENKUlT_T0_E_clISt17integral_constantIbLb1EESZ_EEDaSU_SV_EUlSU_E0_NS1_11comp_targetILNS1_3genE10ELNS1_11target_archE1201ELNS1_3gpuE5ELNS1_3repE0EEENS1_30default_config_static_selectorELNS0_4arch9wavefront6targetE0EEEvT1_
    .private_segment_fixed_size: 0
    .sgpr_count:     0
    .sgpr_spill_count: 0
    .symbol:         _ZN7rocprim17ROCPRIM_400000_NS6detail17trampoline_kernelINS0_14default_configENS1_20scan_config_selectorIN3c107complexIfEEEEZZNS1_9scan_implILNS1_25lookback_scan_determinismE0ELb0ELb0ES3_PKS7_PS7_S7_ZZZN2at6native31launch_logcumsumexp_cuda_kernelERKNSE_10TensorBaseESI_lENKUlvE_clEvENKUlvE2_clEvEUlS7_S7_E_S7_EEDaPvRmT3_T4_T5_mT6_P12ihipStream_tbENKUlT_T0_E_clISt17integral_constantIbLb1EESZ_EEDaSU_SV_EUlSU_E0_NS1_11comp_targetILNS1_3genE10ELNS1_11target_archE1201ELNS1_3gpuE5ELNS1_3repE0EEENS1_30default_config_static_selectorELNS0_4arch9wavefront6targetE0EEEvT1_.kd
    .uniform_work_group_size: 1
    .uses_dynamic_stack: false
    .vgpr_count:     0
    .vgpr_spill_count: 0
    .wavefront_size: 32
    .workgroup_processor_mode: 1
  - .args:
      - .offset:         0
        .size:           40
        .value_kind:     by_value
    .group_segment_fixed_size: 0
    .kernarg_segment_align: 8
    .kernarg_segment_size: 40
    .language:       OpenCL C
    .language_version:
      - 2
      - 0
    .max_flat_workgroup_size: 256
    .name:           _ZN7rocprim17ROCPRIM_400000_NS6detail17trampoline_kernelINS0_14default_configENS1_20scan_config_selectorIN3c107complexIfEEEEZZNS1_9scan_implILNS1_25lookback_scan_determinismE0ELb0ELb0ES3_PKS7_PS7_S7_ZZZN2at6native31launch_logcumsumexp_cuda_kernelERKNSE_10TensorBaseESI_lENKUlvE_clEvENKUlvE2_clEvEUlS7_S7_E_S7_EEDaPvRmT3_T4_T5_mT6_P12ihipStream_tbENKUlT_T0_E_clISt17integral_constantIbLb1EESZ_EEDaSU_SV_EUlSU_E0_NS1_11comp_targetILNS1_3genE10ELNS1_11target_archE1200ELNS1_3gpuE4ELNS1_3repE0EEENS1_30default_config_static_selectorELNS0_4arch9wavefront6targetE0EEEvT1_
    .private_segment_fixed_size: 0
    .sgpr_count:     0
    .sgpr_spill_count: 0
    .symbol:         _ZN7rocprim17ROCPRIM_400000_NS6detail17trampoline_kernelINS0_14default_configENS1_20scan_config_selectorIN3c107complexIfEEEEZZNS1_9scan_implILNS1_25lookback_scan_determinismE0ELb0ELb0ES3_PKS7_PS7_S7_ZZZN2at6native31launch_logcumsumexp_cuda_kernelERKNSE_10TensorBaseESI_lENKUlvE_clEvENKUlvE2_clEvEUlS7_S7_E_S7_EEDaPvRmT3_T4_T5_mT6_P12ihipStream_tbENKUlT_T0_E_clISt17integral_constantIbLb1EESZ_EEDaSU_SV_EUlSU_E0_NS1_11comp_targetILNS1_3genE10ELNS1_11target_archE1200ELNS1_3gpuE4ELNS1_3repE0EEENS1_30default_config_static_selectorELNS0_4arch9wavefront6targetE0EEEvT1_.kd
    .uniform_work_group_size: 1
    .uses_dynamic_stack: false
    .vgpr_count:     0
    .vgpr_spill_count: 0
    .wavefront_size: 32
    .workgroup_processor_mode: 1
  - .args:
      - .offset:         0
        .size:           40
        .value_kind:     by_value
    .group_segment_fixed_size: 0
    .kernarg_segment_align: 8
    .kernarg_segment_size: 40
    .language:       OpenCL C
    .language_version:
      - 2
      - 0
    .max_flat_workgroup_size: 256
    .name:           _ZN7rocprim17ROCPRIM_400000_NS6detail17trampoline_kernelINS0_14default_configENS1_20scan_config_selectorIN3c107complexIfEEEEZZNS1_9scan_implILNS1_25lookback_scan_determinismE0ELb0ELb0ES3_PKS7_PS7_S7_ZZZN2at6native31launch_logcumsumexp_cuda_kernelERKNSE_10TensorBaseESI_lENKUlvE_clEvENKUlvE2_clEvEUlS7_S7_E_S7_EEDaPvRmT3_T4_T5_mT6_P12ihipStream_tbENKUlT_T0_E_clISt17integral_constantIbLb1EESZ_EEDaSU_SV_EUlSU_E0_NS1_11comp_targetILNS1_3genE9ELNS1_11target_archE1100ELNS1_3gpuE3ELNS1_3repE0EEENS1_30default_config_static_selectorELNS0_4arch9wavefront6targetE0EEEvT1_
    .private_segment_fixed_size: 0
    .sgpr_count:     0
    .sgpr_spill_count: 0
    .symbol:         _ZN7rocprim17ROCPRIM_400000_NS6detail17trampoline_kernelINS0_14default_configENS1_20scan_config_selectorIN3c107complexIfEEEEZZNS1_9scan_implILNS1_25lookback_scan_determinismE0ELb0ELb0ES3_PKS7_PS7_S7_ZZZN2at6native31launch_logcumsumexp_cuda_kernelERKNSE_10TensorBaseESI_lENKUlvE_clEvENKUlvE2_clEvEUlS7_S7_E_S7_EEDaPvRmT3_T4_T5_mT6_P12ihipStream_tbENKUlT_T0_E_clISt17integral_constantIbLb1EESZ_EEDaSU_SV_EUlSU_E0_NS1_11comp_targetILNS1_3genE9ELNS1_11target_archE1100ELNS1_3gpuE3ELNS1_3repE0EEENS1_30default_config_static_selectorELNS0_4arch9wavefront6targetE0EEEvT1_.kd
    .uniform_work_group_size: 1
    .uses_dynamic_stack: false
    .vgpr_count:     0
    .vgpr_spill_count: 0
    .wavefront_size: 32
    .workgroup_processor_mode: 1
  - .args:
      - .offset:         0
        .size:           40
        .value_kind:     by_value
    .group_segment_fixed_size: 8448
    .kernarg_segment_align: 8
    .kernarg_segment_size: 40
    .language:       OpenCL C
    .language_version:
      - 2
      - 0
    .max_flat_workgroup_size: 256
    .name:           _ZN7rocprim17ROCPRIM_400000_NS6detail17trampoline_kernelINS0_14default_configENS1_20scan_config_selectorIN3c107complexIfEEEEZZNS1_9scan_implILNS1_25lookback_scan_determinismE0ELb0ELb0ES3_PKS7_PS7_S7_ZZZN2at6native31launch_logcumsumexp_cuda_kernelERKNSE_10TensorBaseESI_lENKUlvE_clEvENKUlvE2_clEvEUlS7_S7_E_S7_EEDaPvRmT3_T4_T5_mT6_P12ihipStream_tbENKUlT_T0_E_clISt17integral_constantIbLb1EESZ_EEDaSU_SV_EUlSU_E0_NS1_11comp_targetILNS1_3genE8ELNS1_11target_archE1030ELNS1_3gpuE2ELNS1_3repE0EEENS1_30default_config_static_selectorELNS0_4arch9wavefront6targetE0EEEvT1_
    .private_segment_fixed_size: 0
    .sgpr_count:     35
    .sgpr_spill_count: 0
    .symbol:         _ZN7rocprim17ROCPRIM_400000_NS6detail17trampoline_kernelINS0_14default_configENS1_20scan_config_selectorIN3c107complexIfEEEEZZNS1_9scan_implILNS1_25lookback_scan_determinismE0ELb0ELb0ES3_PKS7_PS7_S7_ZZZN2at6native31launch_logcumsumexp_cuda_kernelERKNSE_10TensorBaseESI_lENKUlvE_clEvENKUlvE2_clEvEUlS7_S7_E_S7_EEDaPvRmT3_T4_T5_mT6_P12ihipStream_tbENKUlT_T0_E_clISt17integral_constantIbLb1EESZ_EEDaSU_SV_EUlSU_E0_NS1_11comp_targetILNS1_3genE8ELNS1_11target_archE1030ELNS1_3gpuE2ELNS1_3repE0EEENS1_30default_config_static_selectorELNS0_4arch9wavefront6targetE0EEEvT1_.kd
    .uniform_work_group_size: 1
    .uses_dynamic_stack: false
    .vgpr_count:     50
    .vgpr_spill_count: 0
    .wavefront_size: 32
    .workgroup_processor_mode: 1
  - .args:
      - .address_space:  global
        .offset:         0
        .size:           8
        .value_kind:     global_buffer
      - .offset:         8
        .size:           4
        .value_kind:     by_value
      - .offset:         12
        .size:           1
        .value_kind:     by_value
      - .offset:         16
        .size:           4
        .value_kind:     by_value
      - .address_space:  global
        .offset:         24
        .size:           8
        .value_kind:     global_buffer
      - .offset:         32
        .size:           4
        .value_kind:     hidden_block_count_x
      - .offset:         36
        .size:           4
        .value_kind:     hidden_block_count_y
      - .offset:         40
        .size:           4
        .value_kind:     hidden_block_count_z
      - .offset:         44
        .size:           2
        .value_kind:     hidden_group_size_x
      - .offset:         46
        .size:           2
        .value_kind:     hidden_group_size_y
      - .offset:         48
        .size:           2
        .value_kind:     hidden_group_size_z
      - .offset:         50
        .size:           2
        .value_kind:     hidden_remainder_x
      - .offset:         52
        .size:           2
        .value_kind:     hidden_remainder_y
      - .offset:         54
        .size:           2
        .value_kind:     hidden_remainder_z
      - .offset:         72
        .size:           8
        .value_kind:     hidden_global_offset_x
      - .offset:         80
        .size:           8
        .value_kind:     hidden_global_offset_y
      - .offset:         88
        .size:           8
        .value_kind:     hidden_global_offset_z
      - .offset:         96
        .size:           2
        .value_kind:     hidden_grid_dims
    .group_segment_fixed_size: 0
    .kernarg_segment_align: 8
    .kernarg_segment_size: 288
    .language:       OpenCL C
    .language_version:
      - 2
      - 0
    .max_flat_workgroup_size: 256
    .name:           _ZN7rocprim17ROCPRIM_400000_NS6detail31init_lookback_scan_state_kernelINS1_19lookback_scan_stateIN3c107complexIfEELb1ELb1EEENS1_16block_id_wrapperIjLb0EEEEEvT_jT0_jPNSA_10value_typeE
    .private_segment_fixed_size: 0
    .sgpr_count:     12
    .sgpr_spill_count: 0
    .symbol:         _ZN7rocprim17ROCPRIM_400000_NS6detail31init_lookback_scan_state_kernelINS1_19lookback_scan_stateIN3c107complexIfEELb1ELb1EEENS1_16block_id_wrapperIjLb0EEEEEvT_jT0_jPNSA_10value_typeE.kd
    .uniform_work_group_size: 1
    .uses_dynamic_stack: false
    .vgpr_count:     8
    .vgpr_spill_count: 0
    .wavefront_size: 32
    .workgroup_processor_mode: 1
  - .args:
      - .offset:         0
        .size:           104
        .value_kind:     by_value
    .group_segment_fixed_size: 0
    .kernarg_segment_align: 8
    .kernarg_segment_size: 104
    .language:       OpenCL C
    .language_version:
      - 2
      - 0
    .max_flat_workgroup_size: 256
    .name:           _ZN7rocprim17ROCPRIM_400000_NS6detail17trampoline_kernelINS0_14default_configENS1_20scan_config_selectorIN3c107complexIfEEEEZZNS1_9scan_implILNS1_25lookback_scan_determinismE0ELb0ELb0ES3_PKS7_PS7_S7_ZZZN2at6native31launch_logcumsumexp_cuda_kernelERKNSE_10TensorBaseESI_lENKUlvE_clEvENKUlvE2_clEvEUlS7_S7_E_S7_EEDaPvRmT3_T4_T5_mT6_P12ihipStream_tbENKUlT_T0_E_clISt17integral_constantIbLb1EESY_IbLb0EEEEDaSU_SV_EUlSU_E_NS1_11comp_targetILNS1_3genE0ELNS1_11target_archE4294967295ELNS1_3gpuE0ELNS1_3repE0EEENS1_30default_config_static_selectorELNS0_4arch9wavefront6targetE0EEEvT1_
    .private_segment_fixed_size: 0
    .sgpr_count:     0
    .sgpr_spill_count: 0
    .symbol:         _ZN7rocprim17ROCPRIM_400000_NS6detail17trampoline_kernelINS0_14default_configENS1_20scan_config_selectorIN3c107complexIfEEEEZZNS1_9scan_implILNS1_25lookback_scan_determinismE0ELb0ELb0ES3_PKS7_PS7_S7_ZZZN2at6native31launch_logcumsumexp_cuda_kernelERKNSE_10TensorBaseESI_lENKUlvE_clEvENKUlvE2_clEvEUlS7_S7_E_S7_EEDaPvRmT3_T4_T5_mT6_P12ihipStream_tbENKUlT_T0_E_clISt17integral_constantIbLb1EESY_IbLb0EEEEDaSU_SV_EUlSU_E_NS1_11comp_targetILNS1_3genE0ELNS1_11target_archE4294967295ELNS1_3gpuE0ELNS1_3repE0EEENS1_30default_config_static_selectorELNS0_4arch9wavefront6targetE0EEEvT1_.kd
    .uniform_work_group_size: 1
    .uses_dynamic_stack: false
    .vgpr_count:     0
    .vgpr_spill_count: 0
    .wavefront_size: 32
    .workgroup_processor_mode: 1
  - .args:
      - .offset:         0
        .size:           104
        .value_kind:     by_value
    .group_segment_fixed_size: 0
    .kernarg_segment_align: 8
    .kernarg_segment_size: 104
    .language:       OpenCL C
    .language_version:
      - 2
      - 0
    .max_flat_workgroup_size: 256
    .name:           _ZN7rocprim17ROCPRIM_400000_NS6detail17trampoline_kernelINS0_14default_configENS1_20scan_config_selectorIN3c107complexIfEEEEZZNS1_9scan_implILNS1_25lookback_scan_determinismE0ELb0ELb0ES3_PKS7_PS7_S7_ZZZN2at6native31launch_logcumsumexp_cuda_kernelERKNSE_10TensorBaseESI_lENKUlvE_clEvENKUlvE2_clEvEUlS7_S7_E_S7_EEDaPvRmT3_T4_T5_mT6_P12ihipStream_tbENKUlT_T0_E_clISt17integral_constantIbLb1EESY_IbLb0EEEEDaSU_SV_EUlSU_E_NS1_11comp_targetILNS1_3genE5ELNS1_11target_archE942ELNS1_3gpuE9ELNS1_3repE0EEENS1_30default_config_static_selectorELNS0_4arch9wavefront6targetE0EEEvT1_
    .private_segment_fixed_size: 0
    .sgpr_count:     0
    .sgpr_spill_count: 0
    .symbol:         _ZN7rocprim17ROCPRIM_400000_NS6detail17trampoline_kernelINS0_14default_configENS1_20scan_config_selectorIN3c107complexIfEEEEZZNS1_9scan_implILNS1_25lookback_scan_determinismE0ELb0ELb0ES3_PKS7_PS7_S7_ZZZN2at6native31launch_logcumsumexp_cuda_kernelERKNSE_10TensorBaseESI_lENKUlvE_clEvENKUlvE2_clEvEUlS7_S7_E_S7_EEDaPvRmT3_T4_T5_mT6_P12ihipStream_tbENKUlT_T0_E_clISt17integral_constantIbLb1EESY_IbLb0EEEEDaSU_SV_EUlSU_E_NS1_11comp_targetILNS1_3genE5ELNS1_11target_archE942ELNS1_3gpuE9ELNS1_3repE0EEENS1_30default_config_static_selectorELNS0_4arch9wavefront6targetE0EEEvT1_.kd
    .uniform_work_group_size: 1
    .uses_dynamic_stack: false
    .vgpr_count:     0
    .vgpr_spill_count: 0
    .wavefront_size: 32
    .workgroup_processor_mode: 1
  - .args:
      - .offset:         0
        .size:           104
        .value_kind:     by_value
    .group_segment_fixed_size: 0
    .kernarg_segment_align: 8
    .kernarg_segment_size: 104
    .language:       OpenCL C
    .language_version:
      - 2
      - 0
    .max_flat_workgroup_size: 128
    .name:           _ZN7rocprim17ROCPRIM_400000_NS6detail17trampoline_kernelINS0_14default_configENS1_20scan_config_selectorIN3c107complexIfEEEEZZNS1_9scan_implILNS1_25lookback_scan_determinismE0ELb0ELb0ES3_PKS7_PS7_S7_ZZZN2at6native31launch_logcumsumexp_cuda_kernelERKNSE_10TensorBaseESI_lENKUlvE_clEvENKUlvE2_clEvEUlS7_S7_E_S7_EEDaPvRmT3_T4_T5_mT6_P12ihipStream_tbENKUlT_T0_E_clISt17integral_constantIbLb1EESY_IbLb0EEEEDaSU_SV_EUlSU_E_NS1_11comp_targetILNS1_3genE4ELNS1_11target_archE910ELNS1_3gpuE8ELNS1_3repE0EEENS1_30default_config_static_selectorELNS0_4arch9wavefront6targetE0EEEvT1_
    .private_segment_fixed_size: 0
    .sgpr_count:     0
    .sgpr_spill_count: 0
    .symbol:         _ZN7rocprim17ROCPRIM_400000_NS6detail17trampoline_kernelINS0_14default_configENS1_20scan_config_selectorIN3c107complexIfEEEEZZNS1_9scan_implILNS1_25lookback_scan_determinismE0ELb0ELb0ES3_PKS7_PS7_S7_ZZZN2at6native31launch_logcumsumexp_cuda_kernelERKNSE_10TensorBaseESI_lENKUlvE_clEvENKUlvE2_clEvEUlS7_S7_E_S7_EEDaPvRmT3_T4_T5_mT6_P12ihipStream_tbENKUlT_T0_E_clISt17integral_constantIbLb1EESY_IbLb0EEEEDaSU_SV_EUlSU_E_NS1_11comp_targetILNS1_3genE4ELNS1_11target_archE910ELNS1_3gpuE8ELNS1_3repE0EEENS1_30default_config_static_selectorELNS0_4arch9wavefront6targetE0EEEvT1_.kd
    .uniform_work_group_size: 1
    .uses_dynamic_stack: false
    .vgpr_count:     0
    .vgpr_spill_count: 0
    .wavefront_size: 32
    .workgroup_processor_mode: 1
  - .args:
      - .offset:         0
        .size:           104
        .value_kind:     by_value
    .group_segment_fixed_size: 0
    .kernarg_segment_align: 8
    .kernarg_segment_size: 104
    .language:       OpenCL C
    .language_version:
      - 2
      - 0
    .max_flat_workgroup_size: 256
    .name:           _ZN7rocprim17ROCPRIM_400000_NS6detail17trampoline_kernelINS0_14default_configENS1_20scan_config_selectorIN3c107complexIfEEEEZZNS1_9scan_implILNS1_25lookback_scan_determinismE0ELb0ELb0ES3_PKS7_PS7_S7_ZZZN2at6native31launch_logcumsumexp_cuda_kernelERKNSE_10TensorBaseESI_lENKUlvE_clEvENKUlvE2_clEvEUlS7_S7_E_S7_EEDaPvRmT3_T4_T5_mT6_P12ihipStream_tbENKUlT_T0_E_clISt17integral_constantIbLb1EESY_IbLb0EEEEDaSU_SV_EUlSU_E_NS1_11comp_targetILNS1_3genE3ELNS1_11target_archE908ELNS1_3gpuE7ELNS1_3repE0EEENS1_30default_config_static_selectorELNS0_4arch9wavefront6targetE0EEEvT1_
    .private_segment_fixed_size: 0
    .sgpr_count:     0
    .sgpr_spill_count: 0
    .symbol:         _ZN7rocprim17ROCPRIM_400000_NS6detail17trampoline_kernelINS0_14default_configENS1_20scan_config_selectorIN3c107complexIfEEEEZZNS1_9scan_implILNS1_25lookback_scan_determinismE0ELb0ELb0ES3_PKS7_PS7_S7_ZZZN2at6native31launch_logcumsumexp_cuda_kernelERKNSE_10TensorBaseESI_lENKUlvE_clEvENKUlvE2_clEvEUlS7_S7_E_S7_EEDaPvRmT3_T4_T5_mT6_P12ihipStream_tbENKUlT_T0_E_clISt17integral_constantIbLb1EESY_IbLb0EEEEDaSU_SV_EUlSU_E_NS1_11comp_targetILNS1_3genE3ELNS1_11target_archE908ELNS1_3gpuE7ELNS1_3repE0EEENS1_30default_config_static_selectorELNS0_4arch9wavefront6targetE0EEEvT1_.kd
    .uniform_work_group_size: 1
    .uses_dynamic_stack: false
    .vgpr_count:     0
    .vgpr_spill_count: 0
    .wavefront_size: 32
    .workgroup_processor_mode: 1
  - .args:
      - .offset:         0
        .size:           104
        .value_kind:     by_value
    .group_segment_fixed_size: 0
    .kernarg_segment_align: 8
    .kernarg_segment_size: 104
    .language:       OpenCL C
    .language_version:
      - 2
      - 0
    .max_flat_workgroup_size: 64
    .name:           _ZN7rocprim17ROCPRIM_400000_NS6detail17trampoline_kernelINS0_14default_configENS1_20scan_config_selectorIN3c107complexIfEEEEZZNS1_9scan_implILNS1_25lookback_scan_determinismE0ELb0ELb0ES3_PKS7_PS7_S7_ZZZN2at6native31launch_logcumsumexp_cuda_kernelERKNSE_10TensorBaseESI_lENKUlvE_clEvENKUlvE2_clEvEUlS7_S7_E_S7_EEDaPvRmT3_T4_T5_mT6_P12ihipStream_tbENKUlT_T0_E_clISt17integral_constantIbLb1EESY_IbLb0EEEEDaSU_SV_EUlSU_E_NS1_11comp_targetILNS1_3genE2ELNS1_11target_archE906ELNS1_3gpuE6ELNS1_3repE0EEENS1_30default_config_static_selectorELNS0_4arch9wavefront6targetE0EEEvT1_
    .private_segment_fixed_size: 0
    .sgpr_count:     0
    .sgpr_spill_count: 0
    .symbol:         _ZN7rocprim17ROCPRIM_400000_NS6detail17trampoline_kernelINS0_14default_configENS1_20scan_config_selectorIN3c107complexIfEEEEZZNS1_9scan_implILNS1_25lookback_scan_determinismE0ELb0ELb0ES3_PKS7_PS7_S7_ZZZN2at6native31launch_logcumsumexp_cuda_kernelERKNSE_10TensorBaseESI_lENKUlvE_clEvENKUlvE2_clEvEUlS7_S7_E_S7_EEDaPvRmT3_T4_T5_mT6_P12ihipStream_tbENKUlT_T0_E_clISt17integral_constantIbLb1EESY_IbLb0EEEEDaSU_SV_EUlSU_E_NS1_11comp_targetILNS1_3genE2ELNS1_11target_archE906ELNS1_3gpuE6ELNS1_3repE0EEENS1_30default_config_static_selectorELNS0_4arch9wavefront6targetE0EEEvT1_.kd
    .uniform_work_group_size: 1
    .uses_dynamic_stack: false
    .vgpr_count:     0
    .vgpr_spill_count: 0
    .wavefront_size: 32
    .workgroup_processor_mode: 1
  - .args:
      - .offset:         0
        .size:           104
        .value_kind:     by_value
    .group_segment_fixed_size: 0
    .kernarg_segment_align: 8
    .kernarg_segment_size: 104
    .language:       OpenCL C
    .language_version:
      - 2
      - 0
    .max_flat_workgroup_size: 256
    .name:           _ZN7rocprim17ROCPRIM_400000_NS6detail17trampoline_kernelINS0_14default_configENS1_20scan_config_selectorIN3c107complexIfEEEEZZNS1_9scan_implILNS1_25lookback_scan_determinismE0ELb0ELb0ES3_PKS7_PS7_S7_ZZZN2at6native31launch_logcumsumexp_cuda_kernelERKNSE_10TensorBaseESI_lENKUlvE_clEvENKUlvE2_clEvEUlS7_S7_E_S7_EEDaPvRmT3_T4_T5_mT6_P12ihipStream_tbENKUlT_T0_E_clISt17integral_constantIbLb1EESY_IbLb0EEEEDaSU_SV_EUlSU_E_NS1_11comp_targetILNS1_3genE10ELNS1_11target_archE1201ELNS1_3gpuE5ELNS1_3repE0EEENS1_30default_config_static_selectorELNS0_4arch9wavefront6targetE0EEEvT1_
    .private_segment_fixed_size: 0
    .sgpr_count:     0
    .sgpr_spill_count: 0
    .symbol:         _ZN7rocprim17ROCPRIM_400000_NS6detail17trampoline_kernelINS0_14default_configENS1_20scan_config_selectorIN3c107complexIfEEEEZZNS1_9scan_implILNS1_25lookback_scan_determinismE0ELb0ELb0ES3_PKS7_PS7_S7_ZZZN2at6native31launch_logcumsumexp_cuda_kernelERKNSE_10TensorBaseESI_lENKUlvE_clEvENKUlvE2_clEvEUlS7_S7_E_S7_EEDaPvRmT3_T4_T5_mT6_P12ihipStream_tbENKUlT_T0_E_clISt17integral_constantIbLb1EESY_IbLb0EEEEDaSU_SV_EUlSU_E_NS1_11comp_targetILNS1_3genE10ELNS1_11target_archE1201ELNS1_3gpuE5ELNS1_3repE0EEENS1_30default_config_static_selectorELNS0_4arch9wavefront6targetE0EEEvT1_.kd
    .uniform_work_group_size: 1
    .uses_dynamic_stack: false
    .vgpr_count:     0
    .vgpr_spill_count: 0
    .wavefront_size: 32
    .workgroup_processor_mode: 1
  - .args:
      - .offset:         0
        .size:           104
        .value_kind:     by_value
    .group_segment_fixed_size: 0
    .kernarg_segment_align: 8
    .kernarg_segment_size: 104
    .language:       OpenCL C
    .language_version:
      - 2
      - 0
    .max_flat_workgroup_size: 256
    .name:           _ZN7rocprim17ROCPRIM_400000_NS6detail17trampoline_kernelINS0_14default_configENS1_20scan_config_selectorIN3c107complexIfEEEEZZNS1_9scan_implILNS1_25lookback_scan_determinismE0ELb0ELb0ES3_PKS7_PS7_S7_ZZZN2at6native31launch_logcumsumexp_cuda_kernelERKNSE_10TensorBaseESI_lENKUlvE_clEvENKUlvE2_clEvEUlS7_S7_E_S7_EEDaPvRmT3_T4_T5_mT6_P12ihipStream_tbENKUlT_T0_E_clISt17integral_constantIbLb1EESY_IbLb0EEEEDaSU_SV_EUlSU_E_NS1_11comp_targetILNS1_3genE10ELNS1_11target_archE1200ELNS1_3gpuE4ELNS1_3repE0EEENS1_30default_config_static_selectorELNS0_4arch9wavefront6targetE0EEEvT1_
    .private_segment_fixed_size: 0
    .sgpr_count:     0
    .sgpr_spill_count: 0
    .symbol:         _ZN7rocprim17ROCPRIM_400000_NS6detail17trampoline_kernelINS0_14default_configENS1_20scan_config_selectorIN3c107complexIfEEEEZZNS1_9scan_implILNS1_25lookback_scan_determinismE0ELb0ELb0ES3_PKS7_PS7_S7_ZZZN2at6native31launch_logcumsumexp_cuda_kernelERKNSE_10TensorBaseESI_lENKUlvE_clEvENKUlvE2_clEvEUlS7_S7_E_S7_EEDaPvRmT3_T4_T5_mT6_P12ihipStream_tbENKUlT_T0_E_clISt17integral_constantIbLb1EESY_IbLb0EEEEDaSU_SV_EUlSU_E_NS1_11comp_targetILNS1_3genE10ELNS1_11target_archE1200ELNS1_3gpuE4ELNS1_3repE0EEENS1_30default_config_static_selectorELNS0_4arch9wavefront6targetE0EEEvT1_.kd
    .uniform_work_group_size: 1
    .uses_dynamic_stack: false
    .vgpr_count:     0
    .vgpr_spill_count: 0
    .wavefront_size: 32
    .workgroup_processor_mode: 1
  - .args:
      - .offset:         0
        .size:           104
        .value_kind:     by_value
    .group_segment_fixed_size: 0
    .kernarg_segment_align: 8
    .kernarg_segment_size: 104
    .language:       OpenCL C
    .language_version:
      - 2
      - 0
    .max_flat_workgroup_size: 256
    .name:           _ZN7rocprim17ROCPRIM_400000_NS6detail17trampoline_kernelINS0_14default_configENS1_20scan_config_selectorIN3c107complexIfEEEEZZNS1_9scan_implILNS1_25lookback_scan_determinismE0ELb0ELb0ES3_PKS7_PS7_S7_ZZZN2at6native31launch_logcumsumexp_cuda_kernelERKNSE_10TensorBaseESI_lENKUlvE_clEvENKUlvE2_clEvEUlS7_S7_E_S7_EEDaPvRmT3_T4_T5_mT6_P12ihipStream_tbENKUlT_T0_E_clISt17integral_constantIbLb1EESY_IbLb0EEEEDaSU_SV_EUlSU_E_NS1_11comp_targetILNS1_3genE9ELNS1_11target_archE1100ELNS1_3gpuE3ELNS1_3repE0EEENS1_30default_config_static_selectorELNS0_4arch9wavefront6targetE0EEEvT1_
    .private_segment_fixed_size: 0
    .sgpr_count:     0
    .sgpr_spill_count: 0
    .symbol:         _ZN7rocprim17ROCPRIM_400000_NS6detail17trampoline_kernelINS0_14default_configENS1_20scan_config_selectorIN3c107complexIfEEEEZZNS1_9scan_implILNS1_25lookback_scan_determinismE0ELb0ELb0ES3_PKS7_PS7_S7_ZZZN2at6native31launch_logcumsumexp_cuda_kernelERKNSE_10TensorBaseESI_lENKUlvE_clEvENKUlvE2_clEvEUlS7_S7_E_S7_EEDaPvRmT3_T4_T5_mT6_P12ihipStream_tbENKUlT_T0_E_clISt17integral_constantIbLb1EESY_IbLb0EEEEDaSU_SV_EUlSU_E_NS1_11comp_targetILNS1_3genE9ELNS1_11target_archE1100ELNS1_3gpuE3ELNS1_3repE0EEENS1_30default_config_static_selectorELNS0_4arch9wavefront6targetE0EEEvT1_.kd
    .uniform_work_group_size: 1
    .uses_dynamic_stack: false
    .vgpr_count:     0
    .vgpr_spill_count: 0
    .wavefront_size: 32
    .workgroup_processor_mode: 1
  - .args:
      - .offset:         0
        .size:           104
        .value_kind:     by_value
    .group_segment_fixed_size: 0
    .kernarg_segment_align: 8
    .kernarg_segment_size: 104
    .language:       OpenCL C
    .language_version:
      - 2
      - 0
    .max_flat_workgroup_size: 256
    .name:           _ZN7rocprim17ROCPRIM_400000_NS6detail17trampoline_kernelINS0_14default_configENS1_20scan_config_selectorIN3c107complexIfEEEEZZNS1_9scan_implILNS1_25lookback_scan_determinismE0ELb0ELb0ES3_PKS7_PS7_S7_ZZZN2at6native31launch_logcumsumexp_cuda_kernelERKNSE_10TensorBaseESI_lENKUlvE_clEvENKUlvE2_clEvEUlS7_S7_E_S7_EEDaPvRmT3_T4_T5_mT6_P12ihipStream_tbENKUlT_T0_E_clISt17integral_constantIbLb1EESY_IbLb0EEEEDaSU_SV_EUlSU_E_NS1_11comp_targetILNS1_3genE8ELNS1_11target_archE1030ELNS1_3gpuE2ELNS1_3repE0EEENS1_30default_config_static_selectorELNS0_4arch9wavefront6targetE0EEEvT1_
    .private_segment_fixed_size: 0
    .sgpr_count:     0
    .sgpr_spill_count: 0
    .symbol:         _ZN7rocprim17ROCPRIM_400000_NS6detail17trampoline_kernelINS0_14default_configENS1_20scan_config_selectorIN3c107complexIfEEEEZZNS1_9scan_implILNS1_25lookback_scan_determinismE0ELb0ELb0ES3_PKS7_PS7_S7_ZZZN2at6native31launch_logcumsumexp_cuda_kernelERKNSE_10TensorBaseESI_lENKUlvE_clEvENKUlvE2_clEvEUlS7_S7_E_S7_EEDaPvRmT3_T4_T5_mT6_P12ihipStream_tbENKUlT_T0_E_clISt17integral_constantIbLb1EESY_IbLb0EEEEDaSU_SV_EUlSU_E_NS1_11comp_targetILNS1_3genE8ELNS1_11target_archE1030ELNS1_3gpuE2ELNS1_3repE0EEENS1_30default_config_static_selectorELNS0_4arch9wavefront6targetE0EEEvT1_.kd
    .uniform_work_group_size: 1
    .uses_dynamic_stack: false
    .vgpr_count:     0
    .vgpr_spill_count: 0
    .wavefront_size: 32
    .workgroup_processor_mode: 1
  - .args:
      - .offset:         0
        .size:           40
        .value_kind:     by_value
    .group_segment_fixed_size: 0
    .kernarg_segment_align: 8
    .kernarg_segment_size: 40
    .language:       OpenCL C
    .language_version:
      - 2
      - 0
    .max_flat_workgroup_size: 256
    .name:           _ZN7rocprim17ROCPRIM_400000_NS6detail17trampoline_kernelINS0_14default_configENS1_20scan_config_selectorIN3c107complexIfEEEEZZNS1_9scan_implILNS1_25lookback_scan_determinismE0ELb0ELb0ES3_PKS7_PS7_S7_ZZZN2at6native31launch_logcumsumexp_cuda_kernelERKNSE_10TensorBaseESI_lENKUlvE_clEvENKUlvE2_clEvEUlS7_S7_E_S7_EEDaPvRmT3_T4_T5_mT6_P12ihipStream_tbENKUlT_T0_E_clISt17integral_constantIbLb1EESY_IbLb0EEEEDaSU_SV_EUlSU_E0_NS1_11comp_targetILNS1_3genE0ELNS1_11target_archE4294967295ELNS1_3gpuE0ELNS1_3repE0EEENS1_30default_config_static_selectorELNS0_4arch9wavefront6targetE0EEEvT1_
    .private_segment_fixed_size: 0
    .sgpr_count:     0
    .sgpr_spill_count: 0
    .symbol:         _ZN7rocprim17ROCPRIM_400000_NS6detail17trampoline_kernelINS0_14default_configENS1_20scan_config_selectorIN3c107complexIfEEEEZZNS1_9scan_implILNS1_25lookback_scan_determinismE0ELb0ELb0ES3_PKS7_PS7_S7_ZZZN2at6native31launch_logcumsumexp_cuda_kernelERKNSE_10TensorBaseESI_lENKUlvE_clEvENKUlvE2_clEvEUlS7_S7_E_S7_EEDaPvRmT3_T4_T5_mT6_P12ihipStream_tbENKUlT_T0_E_clISt17integral_constantIbLb1EESY_IbLb0EEEEDaSU_SV_EUlSU_E0_NS1_11comp_targetILNS1_3genE0ELNS1_11target_archE4294967295ELNS1_3gpuE0ELNS1_3repE0EEENS1_30default_config_static_selectorELNS0_4arch9wavefront6targetE0EEEvT1_.kd
    .uniform_work_group_size: 1
    .uses_dynamic_stack: false
    .vgpr_count:     0
    .vgpr_spill_count: 0
    .wavefront_size: 32
    .workgroup_processor_mode: 1
  - .args:
      - .offset:         0
        .size:           40
        .value_kind:     by_value
    .group_segment_fixed_size: 0
    .kernarg_segment_align: 8
    .kernarg_segment_size: 40
    .language:       OpenCL C
    .language_version:
      - 2
      - 0
    .max_flat_workgroup_size: 256
    .name:           _ZN7rocprim17ROCPRIM_400000_NS6detail17trampoline_kernelINS0_14default_configENS1_20scan_config_selectorIN3c107complexIfEEEEZZNS1_9scan_implILNS1_25lookback_scan_determinismE0ELb0ELb0ES3_PKS7_PS7_S7_ZZZN2at6native31launch_logcumsumexp_cuda_kernelERKNSE_10TensorBaseESI_lENKUlvE_clEvENKUlvE2_clEvEUlS7_S7_E_S7_EEDaPvRmT3_T4_T5_mT6_P12ihipStream_tbENKUlT_T0_E_clISt17integral_constantIbLb1EESY_IbLb0EEEEDaSU_SV_EUlSU_E0_NS1_11comp_targetILNS1_3genE5ELNS1_11target_archE942ELNS1_3gpuE9ELNS1_3repE0EEENS1_30default_config_static_selectorELNS0_4arch9wavefront6targetE0EEEvT1_
    .private_segment_fixed_size: 0
    .sgpr_count:     0
    .sgpr_spill_count: 0
    .symbol:         _ZN7rocprim17ROCPRIM_400000_NS6detail17trampoline_kernelINS0_14default_configENS1_20scan_config_selectorIN3c107complexIfEEEEZZNS1_9scan_implILNS1_25lookback_scan_determinismE0ELb0ELb0ES3_PKS7_PS7_S7_ZZZN2at6native31launch_logcumsumexp_cuda_kernelERKNSE_10TensorBaseESI_lENKUlvE_clEvENKUlvE2_clEvEUlS7_S7_E_S7_EEDaPvRmT3_T4_T5_mT6_P12ihipStream_tbENKUlT_T0_E_clISt17integral_constantIbLb1EESY_IbLb0EEEEDaSU_SV_EUlSU_E0_NS1_11comp_targetILNS1_3genE5ELNS1_11target_archE942ELNS1_3gpuE9ELNS1_3repE0EEENS1_30default_config_static_selectorELNS0_4arch9wavefront6targetE0EEEvT1_.kd
    .uniform_work_group_size: 1
    .uses_dynamic_stack: false
    .vgpr_count:     0
    .vgpr_spill_count: 0
    .wavefront_size: 32
    .workgroup_processor_mode: 1
  - .args:
      - .offset:         0
        .size:           40
        .value_kind:     by_value
    .group_segment_fixed_size: 0
    .kernarg_segment_align: 8
    .kernarg_segment_size: 40
    .language:       OpenCL C
    .language_version:
      - 2
      - 0
    .max_flat_workgroup_size: 128
    .name:           _ZN7rocprim17ROCPRIM_400000_NS6detail17trampoline_kernelINS0_14default_configENS1_20scan_config_selectorIN3c107complexIfEEEEZZNS1_9scan_implILNS1_25lookback_scan_determinismE0ELb0ELb0ES3_PKS7_PS7_S7_ZZZN2at6native31launch_logcumsumexp_cuda_kernelERKNSE_10TensorBaseESI_lENKUlvE_clEvENKUlvE2_clEvEUlS7_S7_E_S7_EEDaPvRmT3_T4_T5_mT6_P12ihipStream_tbENKUlT_T0_E_clISt17integral_constantIbLb1EESY_IbLb0EEEEDaSU_SV_EUlSU_E0_NS1_11comp_targetILNS1_3genE4ELNS1_11target_archE910ELNS1_3gpuE8ELNS1_3repE0EEENS1_30default_config_static_selectorELNS0_4arch9wavefront6targetE0EEEvT1_
    .private_segment_fixed_size: 0
    .sgpr_count:     0
    .sgpr_spill_count: 0
    .symbol:         _ZN7rocprim17ROCPRIM_400000_NS6detail17trampoline_kernelINS0_14default_configENS1_20scan_config_selectorIN3c107complexIfEEEEZZNS1_9scan_implILNS1_25lookback_scan_determinismE0ELb0ELb0ES3_PKS7_PS7_S7_ZZZN2at6native31launch_logcumsumexp_cuda_kernelERKNSE_10TensorBaseESI_lENKUlvE_clEvENKUlvE2_clEvEUlS7_S7_E_S7_EEDaPvRmT3_T4_T5_mT6_P12ihipStream_tbENKUlT_T0_E_clISt17integral_constantIbLb1EESY_IbLb0EEEEDaSU_SV_EUlSU_E0_NS1_11comp_targetILNS1_3genE4ELNS1_11target_archE910ELNS1_3gpuE8ELNS1_3repE0EEENS1_30default_config_static_selectorELNS0_4arch9wavefront6targetE0EEEvT1_.kd
    .uniform_work_group_size: 1
    .uses_dynamic_stack: false
    .vgpr_count:     0
    .vgpr_spill_count: 0
    .wavefront_size: 32
    .workgroup_processor_mode: 1
  - .args:
      - .offset:         0
        .size:           40
        .value_kind:     by_value
    .group_segment_fixed_size: 0
    .kernarg_segment_align: 8
    .kernarg_segment_size: 40
    .language:       OpenCL C
    .language_version:
      - 2
      - 0
    .max_flat_workgroup_size: 256
    .name:           _ZN7rocprim17ROCPRIM_400000_NS6detail17trampoline_kernelINS0_14default_configENS1_20scan_config_selectorIN3c107complexIfEEEEZZNS1_9scan_implILNS1_25lookback_scan_determinismE0ELb0ELb0ES3_PKS7_PS7_S7_ZZZN2at6native31launch_logcumsumexp_cuda_kernelERKNSE_10TensorBaseESI_lENKUlvE_clEvENKUlvE2_clEvEUlS7_S7_E_S7_EEDaPvRmT3_T4_T5_mT6_P12ihipStream_tbENKUlT_T0_E_clISt17integral_constantIbLb1EESY_IbLb0EEEEDaSU_SV_EUlSU_E0_NS1_11comp_targetILNS1_3genE3ELNS1_11target_archE908ELNS1_3gpuE7ELNS1_3repE0EEENS1_30default_config_static_selectorELNS0_4arch9wavefront6targetE0EEEvT1_
    .private_segment_fixed_size: 0
    .sgpr_count:     0
    .sgpr_spill_count: 0
    .symbol:         _ZN7rocprim17ROCPRIM_400000_NS6detail17trampoline_kernelINS0_14default_configENS1_20scan_config_selectorIN3c107complexIfEEEEZZNS1_9scan_implILNS1_25lookback_scan_determinismE0ELb0ELb0ES3_PKS7_PS7_S7_ZZZN2at6native31launch_logcumsumexp_cuda_kernelERKNSE_10TensorBaseESI_lENKUlvE_clEvENKUlvE2_clEvEUlS7_S7_E_S7_EEDaPvRmT3_T4_T5_mT6_P12ihipStream_tbENKUlT_T0_E_clISt17integral_constantIbLb1EESY_IbLb0EEEEDaSU_SV_EUlSU_E0_NS1_11comp_targetILNS1_3genE3ELNS1_11target_archE908ELNS1_3gpuE7ELNS1_3repE0EEENS1_30default_config_static_selectorELNS0_4arch9wavefront6targetE0EEEvT1_.kd
    .uniform_work_group_size: 1
    .uses_dynamic_stack: false
    .vgpr_count:     0
    .vgpr_spill_count: 0
    .wavefront_size: 32
    .workgroup_processor_mode: 1
  - .args:
      - .offset:         0
        .size:           40
        .value_kind:     by_value
    .group_segment_fixed_size: 0
    .kernarg_segment_align: 8
    .kernarg_segment_size: 40
    .language:       OpenCL C
    .language_version:
      - 2
      - 0
    .max_flat_workgroup_size: 64
    .name:           _ZN7rocprim17ROCPRIM_400000_NS6detail17trampoline_kernelINS0_14default_configENS1_20scan_config_selectorIN3c107complexIfEEEEZZNS1_9scan_implILNS1_25lookback_scan_determinismE0ELb0ELb0ES3_PKS7_PS7_S7_ZZZN2at6native31launch_logcumsumexp_cuda_kernelERKNSE_10TensorBaseESI_lENKUlvE_clEvENKUlvE2_clEvEUlS7_S7_E_S7_EEDaPvRmT3_T4_T5_mT6_P12ihipStream_tbENKUlT_T0_E_clISt17integral_constantIbLb1EESY_IbLb0EEEEDaSU_SV_EUlSU_E0_NS1_11comp_targetILNS1_3genE2ELNS1_11target_archE906ELNS1_3gpuE6ELNS1_3repE0EEENS1_30default_config_static_selectorELNS0_4arch9wavefront6targetE0EEEvT1_
    .private_segment_fixed_size: 0
    .sgpr_count:     0
    .sgpr_spill_count: 0
    .symbol:         _ZN7rocprim17ROCPRIM_400000_NS6detail17trampoline_kernelINS0_14default_configENS1_20scan_config_selectorIN3c107complexIfEEEEZZNS1_9scan_implILNS1_25lookback_scan_determinismE0ELb0ELb0ES3_PKS7_PS7_S7_ZZZN2at6native31launch_logcumsumexp_cuda_kernelERKNSE_10TensorBaseESI_lENKUlvE_clEvENKUlvE2_clEvEUlS7_S7_E_S7_EEDaPvRmT3_T4_T5_mT6_P12ihipStream_tbENKUlT_T0_E_clISt17integral_constantIbLb1EESY_IbLb0EEEEDaSU_SV_EUlSU_E0_NS1_11comp_targetILNS1_3genE2ELNS1_11target_archE906ELNS1_3gpuE6ELNS1_3repE0EEENS1_30default_config_static_selectorELNS0_4arch9wavefront6targetE0EEEvT1_.kd
    .uniform_work_group_size: 1
    .uses_dynamic_stack: false
    .vgpr_count:     0
    .vgpr_spill_count: 0
    .wavefront_size: 32
    .workgroup_processor_mode: 1
  - .args:
      - .offset:         0
        .size:           40
        .value_kind:     by_value
    .group_segment_fixed_size: 0
    .kernarg_segment_align: 8
    .kernarg_segment_size: 40
    .language:       OpenCL C
    .language_version:
      - 2
      - 0
    .max_flat_workgroup_size: 256
    .name:           _ZN7rocprim17ROCPRIM_400000_NS6detail17trampoline_kernelINS0_14default_configENS1_20scan_config_selectorIN3c107complexIfEEEEZZNS1_9scan_implILNS1_25lookback_scan_determinismE0ELb0ELb0ES3_PKS7_PS7_S7_ZZZN2at6native31launch_logcumsumexp_cuda_kernelERKNSE_10TensorBaseESI_lENKUlvE_clEvENKUlvE2_clEvEUlS7_S7_E_S7_EEDaPvRmT3_T4_T5_mT6_P12ihipStream_tbENKUlT_T0_E_clISt17integral_constantIbLb1EESY_IbLb0EEEEDaSU_SV_EUlSU_E0_NS1_11comp_targetILNS1_3genE10ELNS1_11target_archE1201ELNS1_3gpuE5ELNS1_3repE0EEENS1_30default_config_static_selectorELNS0_4arch9wavefront6targetE0EEEvT1_
    .private_segment_fixed_size: 0
    .sgpr_count:     0
    .sgpr_spill_count: 0
    .symbol:         _ZN7rocprim17ROCPRIM_400000_NS6detail17trampoline_kernelINS0_14default_configENS1_20scan_config_selectorIN3c107complexIfEEEEZZNS1_9scan_implILNS1_25lookback_scan_determinismE0ELb0ELb0ES3_PKS7_PS7_S7_ZZZN2at6native31launch_logcumsumexp_cuda_kernelERKNSE_10TensorBaseESI_lENKUlvE_clEvENKUlvE2_clEvEUlS7_S7_E_S7_EEDaPvRmT3_T4_T5_mT6_P12ihipStream_tbENKUlT_T0_E_clISt17integral_constantIbLb1EESY_IbLb0EEEEDaSU_SV_EUlSU_E0_NS1_11comp_targetILNS1_3genE10ELNS1_11target_archE1201ELNS1_3gpuE5ELNS1_3repE0EEENS1_30default_config_static_selectorELNS0_4arch9wavefront6targetE0EEEvT1_.kd
    .uniform_work_group_size: 1
    .uses_dynamic_stack: false
    .vgpr_count:     0
    .vgpr_spill_count: 0
    .wavefront_size: 32
    .workgroup_processor_mode: 1
  - .args:
      - .offset:         0
        .size:           40
        .value_kind:     by_value
    .group_segment_fixed_size: 0
    .kernarg_segment_align: 8
    .kernarg_segment_size: 40
    .language:       OpenCL C
    .language_version:
      - 2
      - 0
    .max_flat_workgroup_size: 256
    .name:           _ZN7rocprim17ROCPRIM_400000_NS6detail17trampoline_kernelINS0_14default_configENS1_20scan_config_selectorIN3c107complexIfEEEEZZNS1_9scan_implILNS1_25lookback_scan_determinismE0ELb0ELb0ES3_PKS7_PS7_S7_ZZZN2at6native31launch_logcumsumexp_cuda_kernelERKNSE_10TensorBaseESI_lENKUlvE_clEvENKUlvE2_clEvEUlS7_S7_E_S7_EEDaPvRmT3_T4_T5_mT6_P12ihipStream_tbENKUlT_T0_E_clISt17integral_constantIbLb1EESY_IbLb0EEEEDaSU_SV_EUlSU_E0_NS1_11comp_targetILNS1_3genE10ELNS1_11target_archE1200ELNS1_3gpuE4ELNS1_3repE0EEENS1_30default_config_static_selectorELNS0_4arch9wavefront6targetE0EEEvT1_
    .private_segment_fixed_size: 0
    .sgpr_count:     0
    .sgpr_spill_count: 0
    .symbol:         _ZN7rocprim17ROCPRIM_400000_NS6detail17trampoline_kernelINS0_14default_configENS1_20scan_config_selectorIN3c107complexIfEEEEZZNS1_9scan_implILNS1_25lookback_scan_determinismE0ELb0ELb0ES3_PKS7_PS7_S7_ZZZN2at6native31launch_logcumsumexp_cuda_kernelERKNSE_10TensorBaseESI_lENKUlvE_clEvENKUlvE2_clEvEUlS7_S7_E_S7_EEDaPvRmT3_T4_T5_mT6_P12ihipStream_tbENKUlT_T0_E_clISt17integral_constantIbLb1EESY_IbLb0EEEEDaSU_SV_EUlSU_E0_NS1_11comp_targetILNS1_3genE10ELNS1_11target_archE1200ELNS1_3gpuE4ELNS1_3repE0EEENS1_30default_config_static_selectorELNS0_4arch9wavefront6targetE0EEEvT1_.kd
    .uniform_work_group_size: 1
    .uses_dynamic_stack: false
    .vgpr_count:     0
    .vgpr_spill_count: 0
    .wavefront_size: 32
    .workgroup_processor_mode: 1
  - .args:
      - .offset:         0
        .size:           40
        .value_kind:     by_value
    .group_segment_fixed_size: 0
    .kernarg_segment_align: 8
    .kernarg_segment_size: 40
    .language:       OpenCL C
    .language_version:
      - 2
      - 0
    .max_flat_workgroup_size: 256
    .name:           _ZN7rocprim17ROCPRIM_400000_NS6detail17trampoline_kernelINS0_14default_configENS1_20scan_config_selectorIN3c107complexIfEEEEZZNS1_9scan_implILNS1_25lookback_scan_determinismE0ELb0ELb0ES3_PKS7_PS7_S7_ZZZN2at6native31launch_logcumsumexp_cuda_kernelERKNSE_10TensorBaseESI_lENKUlvE_clEvENKUlvE2_clEvEUlS7_S7_E_S7_EEDaPvRmT3_T4_T5_mT6_P12ihipStream_tbENKUlT_T0_E_clISt17integral_constantIbLb1EESY_IbLb0EEEEDaSU_SV_EUlSU_E0_NS1_11comp_targetILNS1_3genE9ELNS1_11target_archE1100ELNS1_3gpuE3ELNS1_3repE0EEENS1_30default_config_static_selectorELNS0_4arch9wavefront6targetE0EEEvT1_
    .private_segment_fixed_size: 0
    .sgpr_count:     0
    .sgpr_spill_count: 0
    .symbol:         _ZN7rocprim17ROCPRIM_400000_NS6detail17trampoline_kernelINS0_14default_configENS1_20scan_config_selectorIN3c107complexIfEEEEZZNS1_9scan_implILNS1_25lookback_scan_determinismE0ELb0ELb0ES3_PKS7_PS7_S7_ZZZN2at6native31launch_logcumsumexp_cuda_kernelERKNSE_10TensorBaseESI_lENKUlvE_clEvENKUlvE2_clEvEUlS7_S7_E_S7_EEDaPvRmT3_T4_T5_mT6_P12ihipStream_tbENKUlT_T0_E_clISt17integral_constantIbLb1EESY_IbLb0EEEEDaSU_SV_EUlSU_E0_NS1_11comp_targetILNS1_3genE9ELNS1_11target_archE1100ELNS1_3gpuE3ELNS1_3repE0EEENS1_30default_config_static_selectorELNS0_4arch9wavefront6targetE0EEEvT1_.kd
    .uniform_work_group_size: 1
    .uses_dynamic_stack: false
    .vgpr_count:     0
    .vgpr_spill_count: 0
    .wavefront_size: 32
    .workgroup_processor_mode: 1
  - .args:
      - .offset:         0
        .size:           40
        .value_kind:     by_value
    .group_segment_fixed_size: 8448
    .kernarg_segment_align: 8
    .kernarg_segment_size: 40
    .language:       OpenCL C
    .language_version:
      - 2
      - 0
    .max_flat_workgroup_size: 256
    .name:           _ZN7rocprim17ROCPRIM_400000_NS6detail17trampoline_kernelINS0_14default_configENS1_20scan_config_selectorIN3c107complexIfEEEEZZNS1_9scan_implILNS1_25lookback_scan_determinismE0ELb0ELb0ES3_PKS7_PS7_S7_ZZZN2at6native31launch_logcumsumexp_cuda_kernelERKNSE_10TensorBaseESI_lENKUlvE_clEvENKUlvE2_clEvEUlS7_S7_E_S7_EEDaPvRmT3_T4_T5_mT6_P12ihipStream_tbENKUlT_T0_E_clISt17integral_constantIbLb1EESY_IbLb0EEEEDaSU_SV_EUlSU_E0_NS1_11comp_targetILNS1_3genE8ELNS1_11target_archE1030ELNS1_3gpuE2ELNS1_3repE0EEENS1_30default_config_static_selectorELNS0_4arch9wavefront6targetE0EEEvT1_
    .private_segment_fixed_size: 0
    .sgpr_count:     35
    .sgpr_spill_count: 0
    .symbol:         _ZN7rocprim17ROCPRIM_400000_NS6detail17trampoline_kernelINS0_14default_configENS1_20scan_config_selectorIN3c107complexIfEEEEZZNS1_9scan_implILNS1_25lookback_scan_determinismE0ELb0ELb0ES3_PKS7_PS7_S7_ZZZN2at6native31launch_logcumsumexp_cuda_kernelERKNSE_10TensorBaseESI_lENKUlvE_clEvENKUlvE2_clEvEUlS7_S7_E_S7_EEDaPvRmT3_T4_T5_mT6_P12ihipStream_tbENKUlT_T0_E_clISt17integral_constantIbLb1EESY_IbLb0EEEEDaSU_SV_EUlSU_E0_NS1_11comp_targetILNS1_3genE8ELNS1_11target_archE1030ELNS1_3gpuE2ELNS1_3repE0EEENS1_30default_config_static_selectorELNS0_4arch9wavefront6targetE0EEEvT1_.kd
    .uniform_work_group_size: 1
    .uses_dynamic_stack: false
    .vgpr_count:     50
    .vgpr_spill_count: 0
    .wavefront_size: 32
    .workgroup_processor_mode: 1
  - .args:
      - .address_space:  global
        .offset:         0
        .size:           8
        .value_kind:     global_buffer
      - .offset:         8
        .size:           4
        .value_kind:     by_value
      - .address_space:  global
        .offset:         16
        .size:           8
        .value_kind:     global_buffer
      - .offset:         24
        .size:           4
        .value_kind:     by_value
      - .address_space:  global
        .offset:         32
        .size:           8
        .value_kind:     global_buffer
      - .offset:         40
        .size:           4
        .value_kind:     hidden_block_count_x
      - .offset:         44
        .size:           4
        .value_kind:     hidden_block_count_y
      - .offset:         48
        .size:           4
        .value_kind:     hidden_block_count_z
      - .offset:         52
        .size:           2
        .value_kind:     hidden_group_size_x
      - .offset:         54
        .size:           2
        .value_kind:     hidden_group_size_y
      - .offset:         56
        .size:           2
        .value_kind:     hidden_group_size_z
      - .offset:         58
        .size:           2
        .value_kind:     hidden_remainder_x
      - .offset:         60
        .size:           2
        .value_kind:     hidden_remainder_y
      - .offset:         62
        .size:           2
        .value_kind:     hidden_remainder_z
      - .offset:         80
        .size:           8
        .value_kind:     hidden_global_offset_x
      - .offset:         88
        .size:           8
        .value_kind:     hidden_global_offset_y
      - .offset:         96
        .size:           8
        .value_kind:     hidden_global_offset_z
      - .offset:         104
        .size:           2
        .value_kind:     hidden_grid_dims
    .group_segment_fixed_size: 0
    .kernarg_segment_align: 8
    .kernarg_segment_size: 296
    .language:       OpenCL C
    .language_version:
      - 2
      - 0
    .max_flat_workgroup_size: 256
    .name:           _ZN7rocprim17ROCPRIM_400000_NS6detail31init_lookback_scan_state_kernelINS1_19lookback_scan_stateIN3c107complexIfEELb0ELb1EEENS1_16block_id_wrapperIjLb1EEEEEvT_jT0_jPNSA_10value_typeE
    .private_segment_fixed_size: 0
    .sgpr_count:     13
    .sgpr_spill_count: 0
    .symbol:         _ZN7rocprim17ROCPRIM_400000_NS6detail31init_lookback_scan_state_kernelINS1_19lookback_scan_stateIN3c107complexIfEELb0ELb1EEENS1_16block_id_wrapperIjLb1EEEEEvT_jT0_jPNSA_10value_typeE.kd
    .uniform_work_group_size: 1
    .uses_dynamic_stack: false
    .vgpr_count:     8
    .vgpr_spill_count: 0
    .wavefront_size: 32
    .workgroup_processor_mode: 1
  - .args:
      - .offset:         0
        .size:           104
        .value_kind:     by_value
    .group_segment_fixed_size: 0
    .kernarg_segment_align: 8
    .kernarg_segment_size: 104
    .language:       OpenCL C
    .language_version:
      - 2
      - 0
    .max_flat_workgroup_size: 256
    .name:           _ZN7rocprim17ROCPRIM_400000_NS6detail17trampoline_kernelINS0_14default_configENS1_20scan_config_selectorIN3c107complexIfEEEEZZNS1_9scan_implILNS1_25lookback_scan_determinismE0ELb0ELb0ES3_PKS7_PS7_S7_ZZZN2at6native31launch_logcumsumexp_cuda_kernelERKNSE_10TensorBaseESI_lENKUlvE_clEvENKUlvE2_clEvEUlS7_S7_E_S7_EEDaPvRmT3_T4_T5_mT6_P12ihipStream_tbENKUlT_T0_E_clISt17integral_constantIbLb0EESY_IbLb1EEEEDaSU_SV_EUlSU_E_NS1_11comp_targetILNS1_3genE0ELNS1_11target_archE4294967295ELNS1_3gpuE0ELNS1_3repE0EEENS1_30default_config_static_selectorELNS0_4arch9wavefront6targetE0EEEvT1_
    .private_segment_fixed_size: 0
    .sgpr_count:     0
    .sgpr_spill_count: 0
    .symbol:         _ZN7rocprim17ROCPRIM_400000_NS6detail17trampoline_kernelINS0_14default_configENS1_20scan_config_selectorIN3c107complexIfEEEEZZNS1_9scan_implILNS1_25lookback_scan_determinismE0ELb0ELb0ES3_PKS7_PS7_S7_ZZZN2at6native31launch_logcumsumexp_cuda_kernelERKNSE_10TensorBaseESI_lENKUlvE_clEvENKUlvE2_clEvEUlS7_S7_E_S7_EEDaPvRmT3_T4_T5_mT6_P12ihipStream_tbENKUlT_T0_E_clISt17integral_constantIbLb0EESY_IbLb1EEEEDaSU_SV_EUlSU_E_NS1_11comp_targetILNS1_3genE0ELNS1_11target_archE4294967295ELNS1_3gpuE0ELNS1_3repE0EEENS1_30default_config_static_selectorELNS0_4arch9wavefront6targetE0EEEvT1_.kd
    .uniform_work_group_size: 1
    .uses_dynamic_stack: false
    .vgpr_count:     0
    .vgpr_spill_count: 0
    .wavefront_size: 32
    .workgroup_processor_mode: 1
  - .args:
      - .offset:         0
        .size:           104
        .value_kind:     by_value
    .group_segment_fixed_size: 0
    .kernarg_segment_align: 8
    .kernarg_segment_size: 104
    .language:       OpenCL C
    .language_version:
      - 2
      - 0
    .max_flat_workgroup_size: 256
    .name:           _ZN7rocprim17ROCPRIM_400000_NS6detail17trampoline_kernelINS0_14default_configENS1_20scan_config_selectorIN3c107complexIfEEEEZZNS1_9scan_implILNS1_25lookback_scan_determinismE0ELb0ELb0ES3_PKS7_PS7_S7_ZZZN2at6native31launch_logcumsumexp_cuda_kernelERKNSE_10TensorBaseESI_lENKUlvE_clEvENKUlvE2_clEvEUlS7_S7_E_S7_EEDaPvRmT3_T4_T5_mT6_P12ihipStream_tbENKUlT_T0_E_clISt17integral_constantIbLb0EESY_IbLb1EEEEDaSU_SV_EUlSU_E_NS1_11comp_targetILNS1_3genE5ELNS1_11target_archE942ELNS1_3gpuE9ELNS1_3repE0EEENS1_30default_config_static_selectorELNS0_4arch9wavefront6targetE0EEEvT1_
    .private_segment_fixed_size: 0
    .sgpr_count:     0
    .sgpr_spill_count: 0
    .symbol:         _ZN7rocprim17ROCPRIM_400000_NS6detail17trampoline_kernelINS0_14default_configENS1_20scan_config_selectorIN3c107complexIfEEEEZZNS1_9scan_implILNS1_25lookback_scan_determinismE0ELb0ELb0ES3_PKS7_PS7_S7_ZZZN2at6native31launch_logcumsumexp_cuda_kernelERKNSE_10TensorBaseESI_lENKUlvE_clEvENKUlvE2_clEvEUlS7_S7_E_S7_EEDaPvRmT3_T4_T5_mT6_P12ihipStream_tbENKUlT_T0_E_clISt17integral_constantIbLb0EESY_IbLb1EEEEDaSU_SV_EUlSU_E_NS1_11comp_targetILNS1_3genE5ELNS1_11target_archE942ELNS1_3gpuE9ELNS1_3repE0EEENS1_30default_config_static_selectorELNS0_4arch9wavefront6targetE0EEEvT1_.kd
    .uniform_work_group_size: 1
    .uses_dynamic_stack: false
    .vgpr_count:     0
    .vgpr_spill_count: 0
    .wavefront_size: 32
    .workgroup_processor_mode: 1
  - .args:
      - .offset:         0
        .size:           104
        .value_kind:     by_value
    .group_segment_fixed_size: 0
    .kernarg_segment_align: 8
    .kernarg_segment_size: 104
    .language:       OpenCL C
    .language_version:
      - 2
      - 0
    .max_flat_workgroup_size: 128
    .name:           _ZN7rocprim17ROCPRIM_400000_NS6detail17trampoline_kernelINS0_14default_configENS1_20scan_config_selectorIN3c107complexIfEEEEZZNS1_9scan_implILNS1_25lookback_scan_determinismE0ELb0ELb0ES3_PKS7_PS7_S7_ZZZN2at6native31launch_logcumsumexp_cuda_kernelERKNSE_10TensorBaseESI_lENKUlvE_clEvENKUlvE2_clEvEUlS7_S7_E_S7_EEDaPvRmT3_T4_T5_mT6_P12ihipStream_tbENKUlT_T0_E_clISt17integral_constantIbLb0EESY_IbLb1EEEEDaSU_SV_EUlSU_E_NS1_11comp_targetILNS1_3genE4ELNS1_11target_archE910ELNS1_3gpuE8ELNS1_3repE0EEENS1_30default_config_static_selectorELNS0_4arch9wavefront6targetE0EEEvT1_
    .private_segment_fixed_size: 0
    .sgpr_count:     0
    .sgpr_spill_count: 0
    .symbol:         _ZN7rocprim17ROCPRIM_400000_NS6detail17trampoline_kernelINS0_14default_configENS1_20scan_config_selectorIN3c107complexIfEEEEZZNS1_9scan_implILNS1_25lookback_scan_determinismE0ELb0ELb0ES3_PKS7_PS7_S7_ZZZN2at6native31launch_logcumsumexp_cuda_kernelERKNSE_10TensorBaseESI_lENKUlvE_clEvENKUlvE2_clEvEUlS7_S7_E_S7_EEDaPvRmT3_T4_T5_mT6_P12ihipStream_tbENKUlT_T0_E_clISt17integral_constantIbLb0EESY_IbLb1EEEEDaSU_SV_EUlSU_E_NS1_11comp_targetILNS1_3genE4ELNS1_11target_archE910ELNS1_3gpuE8ELNS1_3repE0EEENS1_30default_config_static_selectorELNS0_4arch9wavefront6targetE0EEEvT1_.kd
    .uniform_work_group_size: 1
    .uses_dynamic_stack: false
    .vgpr_count:     0
    .vgpr_spill_count: 0
    .wavefront_size: 32
    .workgroup_processor_mode: 1
  - .args:
      - .offset:         0
        .size:           104
        .value_kind:     by_value
    .group_segment_fixed_size: 0
    .kernarg_segment_align: 8
    .kernarg_segment_size: 104
    .language:       OpenCL C
    .language_version:
      - 2
      - 0
    .max_flat_workgroup_size: 256
    .name:           _ZN7rocprim17ROCPRIM_400000_NS6detail17trampoline_kernelINS0_14default_configENS1_20scan_config_selectorIN3c107complexIfEEEEZZNS1_9scan_implILNS1_25lookback_scan_determinismE0ELb0ELb0ES3_PKS7_PS7_S7_ZZZN2at6native31launch_logcumsumexp_cuda_kernelERKNSE_10TensorBaseESI_lENKUlvE_clEvENKUlvE2_clEvEUlS7_S7_E_S7_EEDaPvRmT3_T4_T5_mT6_P12ihipStream_tbENKUlT_T0_E_clISt17integral_constantIbLb0EESY_IbLb1EEEEDaSU_SV_EUlSU_E_NS1_11comp_targetILNS1_3genE3ELNS1_11target_archE908ELNS1_3gpuE7ELNS1_3repE0EEENS1_30default_config_static_selectorELNS0_4arch9wavefront6targetE0EEEvT1_
    .private_segment_fixed_size: 0
    .sgpr_count:     0
    .sgpr_spill_count: 0
    .symbol:         _ZN7rocprim17ROCPRIM_400000_NS6detail17trampoline_kernelINS0_14default_configENS1_20scan_config_selectorIN3c107complexIfEEEEZZNS1_9scan_implILNS1_25lookback_scan_determinismE0ELb0ELb0ES3_PKS7_PS7_S7_ZZZN2at6native31launch_logcumsumexp_cuda_kernelERKNSE_10TensorBaseESI_lENKUlvE_clEvENKUlvE2_clEvEUlS7_S7_E_S7_EEDaPvRmT3_T4_T5_mT6_P12ihipStream_tbENKUlT_T0_E_clISt17integral_constantIbLb0EESY_IbLb1EEEEDaSU_SV_EUlSU_E_NS1_11comp_targetILNS1_3genE3ELNS1_11target_archE908ELNS1_3gpuE7ELNS1_3repE0EEENS1_30default_config_static_selectorELNS0_4arch9wavefront6targetE0EEEvT1_.kd
    .uniform_work_group_size: 1
    .uses_dynamic_stack: false
    .vgpr_count:     0
    .vgpr_spill_count: 0
    .wavefront_size: 32
    .workgroup_processor_mode: 1
  - .args:
      - .offset:         0
        .size:           104
        .value_kind:     by_value
    .group_segment_fixed_size: 0
    .kernarg_segment_align: 8
    .kernarg_segment_size: 104
    .language:       OpenCL C
    .language_version:
      - 2
      - 0
    .max_flat_workgroup_size: 64
    .name:           _ZN7rocprim17ROCPRIM_400000_NS6detail17trampoline_kernelINS0_14default_configENS1_20scan_config_selectorIN3c107complexIfEEEEZZNS1_9scan_implILNS1_25lookback_scan_determinismE0ELb0ELb0ES3_PKS7_PS7_S7_ZZZN2at6native31launch_logcumsumexp_cuda_kernelERKNSE_10TensorBaseESI_lENKUlvE_clEvENKUlvE2_clEvEUlS7_S7_E_S7_EEDaPvRmT3_T4_T5_mT6_P12ihipStream_tbENKUlT_T0_E_clISt17integral_constantIbLb0EESY_IbLb1EEEEDaSU_SV_EUlSU_E_NS1_11comp_targetILNS1_3genE2ELNS1_11target_archE906ELNS1_3gpuE6ELNS1_3repE0EEENS1_30default_config_static_selectorELNS0_4arch9wavefront6targetE0EEEvT1_
    .private_segment_fixed_size: 0
    .sgpr_count:     0
    .sgpr_spill_count: 0
    .symbol:         _ZN7rocprim17ROCPRIM_400000_NS6detail17trampoline_kernelINS0_14default_configENS1_20scan_config_selectorIN3c107complexIfEEEEZZNS1_9scan_implILNS1_25lookback_scan_determinismE0ELb0ELb0ES3_PKS7_PS7_S7_ZZZN2at6native31launch_logcumsumexp_cuda_kernelERKNSE_10TensorBaseESI_lENKUlvE_clEvENKUlvE2_clEvEUlS7_S7_E_S7_EEDaPvRmT3_T4_T5_mT6_P12ihipStream_tbENKUlT_T0_E_clISt17integral_constantIbLb0EESY_IbLb1EEEEDaSU_SV_EUlSU_E_NS1_11comp_targetILNS1_3genE2ELNS1_11target_archE906ELNS1_3gpuE6ELNS1_3repE0EEENS1_30default_config_static_selectorELNS0_4arch9wavefront6targetE0EEEvT1_.kd
    .uniform_work_group_size: 1
    .uses_dynamic_stack: false
    .vgpr_count:     0
    .vgpr_spill_count: 0
    .wavefront_size: 32
    .workgroup_processor_mode: 1
  - .args:
      - .offset:         0
        .size:           104
        .value_kind:     by_value
    .group_segment_fixed_size: 0
    .kernarg_segment_align: 8
    .kernarg_segment_size: 104
    .language:       OpenCL C
    .language_version:
      - 2
      - 0
    .max_flat_workgroup_size: 256
    .name:           _ZN7rocprim17ROCPRIM_400000_NS6detail17trampoline_kernelINS0_14default_configENS1_20scan_config_selectorIN3c107complexIfEEEEZZNS1_9scan_implILNS1_25lookback_scan_determinismE0ELb0ELb0ES3_PKS7_PS7_S7_ZZZN2at6native31launch_logcumsumexp_cuda_kernelERKNSE_10TensorBaseESI_lENKUlvE_clEvENKUlvE2_clEvEUlS7_S7_E_S7_EEDaPvRmT3_T4_T5_mT6_P12ihipStream_tbENKUlT_T0_E_clISt17integral_constantIbLb0EESY_IbLb1EEEEDaSU_SV_EUlSU_E_NS1_11comp_targetILNS1_3genE10ELNS1_11target_archE1201ELNS1_3gpuE5ELNS1_3repE0EEENS1_30default_config_static_selectorELNS0_4arch9wavefront6targetE0EEEvT1_
    .private_segment_fixed_size: 0
    .sgpr_count:     0
    .sgpr_spill_count: 0
    .symbol:         _ZN7rocprim17ROCPRIM_400000_NS6detail17trampoline_kernelINS0_14default_configENS1_20scan_config_selectorIN3c107complexIfEEEEZZNS1_9scan_implILNS1_25lookback_scan_determinismE0ELb0ELb0ES3_PKS7_PS7_S7_ZZZN2at6native31launch_logcumsumexp_cuda_kernelERKNSE_10TensorBaseESI_lENKUlvE_clEvENKUlvE2_clEvEUlS7_S7_E_S7_EEDaPvRmT3_T4_T5_mT6_P12ihipStream_tbENKUlT_T0_E_clISt17integral_constantIbLb0EESY_IbLb1EEEEDaSU_SV_EUlSU_E_NS1_11comp_targetILNS1_3genE10ELNS1_11target_archE1201ELNS1_3gpuE5ELNS1_3repE0EEENS1_30default_config_static_selectorELNS0_4arch9wavefront6targetE0EEEvT1_.kd
    .uniform_work_group_size: 1
    .uses_dynamic_stack: false
    .vgpr_count:     0
    .vgpr_spill_count: 0
    .wavefront_size: 32
    .workgroup_processor_mode: 1
  - .args:
      - .offset:         0
        .size:           104
        .value_kind:     by_value
    .group_segment_fixed_size: 0
    .kernarg_segment_align: 8
    .kernarg_segment_size: 104
    .language:       OpenCL C
    .language_version:
      - 2
      - 0
    .max_flat_workgroup_size: 256
    .name:           _ZN7rocprim17ROCPRIM_400000_NS6detail17trampoline_kernelINS0_14default_configENS1_20scan_config_selectorIN3c107complexIfEEEEZZNS1_9scan_implILNS1_25lookback_scan_determinismE0ELb0ELb0ES3_PKS7_PS7_S7_ZZZN2at6native31launch_logcumsumexp_cuda_kernelERKNSE_10TensorBaseESI_lENKUlvE_clEvENKUlvE2_clEvEUlS7_S7_E_S7_EEDaPvRmT3_T4_T5_mT6_P12ihipStream_tbENKUlT_T0_E_clISt17integral_constantIbLb0EESY_IbLb1EEEEDaSU_SV_EUlSU_E_NS1_11comp_targetILNS1_3genE10ELNS1_11target_archE1200ELNS1_3gpuE4ELNS1_3repE0EEENS1_30default_config_static_selectorELNS0_4arch9wavefront6targetE0EEEvT1_
    .private_segment_fixed_size: 0
    .sgpr_count:     0
    .sgpr_spill_count: 0
    .symbol:         _ZN7rocprim17ROCPRIM_400000_NS6detail17trampoline_kernelINS0_14default_configENS1_20scan_config_selectorIN3c107complexIfEEEEZZNS1_9scan_implILNS1_25lookback_scan_determinismE0ELb0ELb0ES3_PKS7_PS7_S7_ZZZN2at6native31launch_logcumsumexp_cuda_kernelERKNSE_10TensorBaseESI_lENKUlvE_clEvENKUlvE2_clEvEUlS7_S7_E_S7_EEDaPvRmT3_T4_T5_mT6_P12ihipStream_tbENKUlT_T0_E_clISt17integral_constantIbLb0EESY_IbLb1EEEEDaSU_SV_EUlSU_E_NS1_11comp_targetILNS1_3genE10ELNS1_11target_archE1200ELNS1_3gpuE4ELNS1_3repE0EEENS1_30default_config_static_selectorELNS0_4arch9wavefront6targetE0EEEvT1_.kd
    .uniform_work_group_size: 1
    .uses_dynamic_stack: false
    .vgpr_count:     0
    .vgpr_spill_count: 0
    .wavefront_size: 32
    .workgroup_processor_mode: 1
  - .args:
      - .offset:         0
        .size:           104
        .value_kind:     by_value
    .group_segment_fixed_size: 0
    .kernarg_segment_align: 8
    .kernarg_segment_size: 104
    .language:       OpenCL C
    .language_version:
      - 2
      - 0
    .max_flat_workgroup_size: 256
    .name:           _ZN7rocprim17ROCPRIM_400000_NS6detail17trampoline_kernelINS0_14default_configENS1_20scan_config_selectorIN3c107complexIfEEEEZZNS1_9scan_implILNS1_25lookback_scan_determinismE0ELb0ELb0ES3_PKS7_PS7_S7_ZZZN2at6native31launch_logcumsumexp_cuda_kernelERKNSE_10TensorBaseESI_lENKUlvE_clEvENKUlvE2_clEvEUlS7_S7_E_S7_EEDaPvRmT3_T4_T5_mT6_P12ihipStream_tbENKUlT_T0_E_clISt17integral_constantIbLb0EESY_IbLb1EEEEDaSU_SV_EUlSU_E_NS1_11comp_targetILNS1_3genE9ELNS1_11target_archE1100ELNS1_3gpuE3ELNS1_3repE0EEENS1_30default_config_static_selectorELNS0_4arch9wavefront6targetE0EEEvT1_
    .private_segment_fixed_size: 0
    .sgpr_count:     0
    .sgpr_spill_count: 0
    .symbol:         _ZN7rocprim17ROCPRIM_400000_NS6detail17trampoline_kernelINS0_14default_configENS1_20scan_config_selectorIN3c107complexIfEEEEZZNS1_9scan_implILNS1_25lookback_scan_determinismE0ELb0ELb0ES3_PKS7_PS7_S7_ZZZN2at6native31launch_logcumsumexp_cuda_kernelERKNSE_10TensorBaseESI_lENKUlvE_clEvENKUlvE2_clEvEUlS7_S7_E_S7_EEDaPvRmT3_T4_T5_mT6_P12ihipStream_tbENKUlT_T0_E_clISt17integral_constantIbLb0EESY_IbLb1EEEEDaSU_SV_EUlSU_E_NS1_11comp_targetILNS1_3genE9ELNS1_11target_archE1100ELNS1_3gpuE3ELNS1_3repE0EEENS1_30default_config_static_selectorELNS0_4arch9wavefront6targetE0EEEvT1_.kd
    .uniform_work_group_size: 1
    .uses_dynamic_stack: false
    .vgpr_count:     0
    .vgpr_spill_count: 0
    .wavefront_size: 32
    .workgroup_processor_mode: 1
  - .args:
      - .offset:         0
        .size:           104
        .value_kind:     by_value
    .group_segment_fixed_size: 8448
    .kernarg_segment_align: 8
    .kernarg_segment_size: 104
    .language:       OpenCL C
    .language_version:
      - 2
      - 0
    .max_flat_workgroup_size: 256
    .name:           _ZN7rocprim17ROCPRIM_400000_NS6detail17trampoline_kernelINS0_14default_configENS1_20scan_config_selectorIN3c107complexIfEEEEZZNS1_9scan_implILNS1_25lookback_scan_determinismE0ELb0ELb0ES3_PKS7_PS7_S7_ZZZN2at6native31launch_logcumsumexp_cuda_kernelERKNSE_10TensorBaseESI_lENKUlvE_clEvENKUlvE2_clEvEUlS7_S7_E_S7_EEDaPvRmT3_T4_T5_mT6_P12ihipStream_tbENKUlT_T0_E_clISt17integral_constantIbLb0EESY_IbLb1EEEEDaSU_SV_EUlSU_E_NS1_11comp_targetILNS1_3genE8ELNS1_11target_archE1030ELNS1_3gpuE2ELNS1_3repE0EEENS1_30default_config_static_selectorELNS0_4arch9wavefront6targetE0EEEvT1_
    .private_segment_fixed_size: 0
    .sgpr_count:     42
    .sgpr_spill_count: 0
    .symbol:         _ZN7rocprim17ROCPRIM_400000_NS6detail17trampoline_kernelINS0_14default_configENS1_20scan_config_selectorIN3c107complexIfEEEEZZNS1_9scan_implILNS1_25lookback_scan_determinismE0ELb0ELb0ES3_PKS7_PS7_S7_ZZZN2at6native31launch_logcumsumexp_cuda_kernelERKNSE_10TensorBaseESI_lENKUlvE_clEvENKUlvE2_clEvEUlS7_S7_E_S7_EEDaPvRmT3_T4_T5_mT6_P12ihipStream_tbENKUlT_T0_E_clISt17integral_constantIbLb0EESY_IbLb1EEEEDaSU_SV_EUlSU_E_NS1_11comp_targetILNS1_3genE8ELNS1_11target_archE1030ELNS1_3gpuE2ELNS1_3repE0EEENS1_30default_config_static_selectorELNS0_4arch9wavefront6targetE0EEEvT1_.kd
    .uniform_work_group_size: 1
    .uses_dynamic_stack: false
    .vgpr_count:     65
    .vgpr_spill_count: 0
    .wavefront_size: 32
    .workgroup_processor_mode: 1
  - .args:
      - .offset:         0
        .size:           40
        .value_kind:     by_value
    .group_segment_fixed_size: 0
    .kernarg_segment_align: 8
    .kernarg_segment_size: 40
    .language:       OpenCL C
    .language_version:
      - 2
      - 0
    .max_flat_workgroup_size: 256
    .name:           _ZN7rocprim17ROCPRIM_400000_NS6detail17trampoline_kernelINS0_14default_configENS1_20scan_config_selectorIN3c107complexIfEEEEZZNS1_9scan_implILNS1_25lookback_scan_determinismE0ELb0ELb0ES3_PKS7_PS7_S7_ZZZN2at6native31launch_logcumsumexp_cuda_kernelERKNSE_10TensorBaseESI_lENKUlvE_clEvENKUlvE2_clEvEUlS7_S7_E_S7_EEDaPvRmT3_T4_T5_mT6_P12ihipStream_tbENKUlT_T0_E_clISt17integral_constantIbLb0EESY_IbLb1EEEEDaSU_SV_EUlSU_E0_NS1_11comp_targetILNS1_3genE0ELNS1_11target_archE4294967295ELNS1_3gpuE0ELNS1_3repE0EEENS1_30default_config_static_selectorELNS0_4arch9wavefront6targetE0EEEvT1_
    .private_segment_fixed_size: 0
    .sgpr_count:     0
    .sgpr_spill_count: 0
    .symbol:         _ZN7rocprim17ROCPRIM_400000_NS6detail17trampoline_kernelINS0_14default_configENS1_20scan_config_selectorIN3c107complexIfEEEEZZNS1_9scan_implILNS1_25lookback_scan_determinismE0ELb0ELb0ES3_PKS7_PS7_S7_ZZZN2at6native31launch_logcumsumexp_cuda_kernelERKNSE_10TensorBaseESI_lENKUlvE_clEvENKUlvE2_clEvEUlS7_S7_E_S7_EEDaPvRmT3_T4_T5_mT6_P12ihipStream_tbENKUlT_T0_E_clISt17integral_constantIbLb0EESY_IbLb1EEEEDaSU_SV_EUlSU_E0_NS1_11comp_targetILNS1_3genE0ELNS1_11target_archE4294967295ELNS1_3gpuE0ELNS1_3repE0EEENS1_30default_config_static_selectorELNS0_4arch9wavefront6targetE0EEEvT1_.kd
    .uniform_work_group_size: 1
    .uses_dynamic_stack: false
    .vgpr_count:     0
    .vgpr_spill_count: 0
    .wavefront_size: 32
    .workgroup_processor_mode: 1
  - .args:
      - .offset:         0
        .size:           40
        .value_kind:     by_value
    .group_segment_fixed_size: 0
    .kernarg_segment_align: 8
    .kernarg_segment_size: 40
    .language:       OpenCL C
    .language_version:
      - 2
      - 0
    .max_flat_workgroup_size: 256
    .name:           _ZN7rocprim17ROCPRIM_400000_NS6detail17trampoline_kernelINS0_14default_configENS1_20scan_config_selectorIN3c107complexIfEEEEZZNS1_9scan_implILNS1_25lookback_scan_determinismE0ELb0ELb0ES3_PKS7_PS7_S7_ZZZN2at6native31launch_logcumsumexp_cuda_kernelERKNSE_10TensorBaseESI_lENKUlvE_clEvENKUlvE2_clEvEUlS7_S7_E_S7_EEDaPvRmT3_T4_T5_mT6_P12ihipStream_tbENKUlT_T0_E_clISt17integral_constantIbLb0EESY_IbLb1EEEEDaSU_SV_EUlSU_E0_NS1_11comp_targetILNS1_3genE5ELNS1_11target_archE942ELNS1_3gpuE9ELNS1_3repE0EEENS1_30default_config_static_selectorELNS0_4arch9wavefront6targetE0EEEvT1_
    .private_segment_fixed_size: 0
    .sgpr_count:     0
    .sgpr_spill_count: 0
    .symbol:         _ZN7rocprim17ROCPRIM_400000_NS6detail17trampoline_kernelINS0_14default_configENS1_20scan_config_selectorIN3c107complexIfEEEEZZNS1_9scan_implILNS1_25lookback_scan_determinismE0ELb0ELb0ES3_PKS7_PS7_S7_ZZZN2at6native31launch_logcumsumexp_cuda_kernelERKNSE_10TensorBaseESI_lENKUlvE_clEvENKUlvE2_clEvEUlS7_S7_E_S7_EEDaPvRmT3_T4_T5_mT6_P12ihipStream_tbENKUlT_T0_E_clISt17integral_constantIbLb0EESY_IbLb1EEEEDaSU_SV_EUlSU_E0_NS1_11comp_targetILNS1_3genE5ELNS1_11target_archE942ELNS1_3gpuE9ELNS1_3repE0EEENS1_30default_config_static_selectorELNS0_4arch9wavefront6targetE0EEEvT1_.kd
    .uniform_work_group_size: 1
    .uses_dynamic_stack: false
    .vgpr_count:     0
    .vgpr_spill_count: 0
    .wavefront_size: 32
    .workgroup_processor_mode: 1
  - .args:
      - .offset:         0
        .size:           40
        .value_kind:     by_value
    .group_segment_fixed_size: 0
    .kernarg_segment_align: 8
    .kernarg_segment_size: 40
    .language:       OpenCL C
    .language_version:
      - 2
      - 0
    .max_flat_workgroup_size: 128
    .name:           _ZN7rocprim17ROCPRIM_400000_NS6detail17trampoline_kernelINS0_14default_configENS1_20scan_config_selectorIN3c107complexIfEEEEZZNS1_9scan_implILNS1_25lookback_scan_determinismE0ELb0ELb0ES3_PKS7_PS7_S7_ZZZN2at6native31launch_logcumsumexp_cuda_kernelERKNSE_10TensorBaseESI_lENKUlvE_clEvENKUlvE2_clEvEUlS7_S7_E_S7_EEDaPvRmT3_T4_T5_mT6_P12ihipStream_tbENKUlT_T0_E_clISt17integral_constantIbLb0EESY_IbLb1EEEEDaSU_SV_EUlSU_E0_NS1_11comp_targetILNS1_3genE4ELNS1_11target_archE910ELNS1_3gpuE8ELNS1_3repE0EEENS1_30default_config_static_selectorELNS0_4arch9wavefront6targetE0EEEvT1_
    .private_segment_fixed_size: 0
    .sgpr_count:     0
    .sgpr_spill_count: 0
    .symbol:         _ZN7rocprim17ROCPRIM_400000_NS6detail17trampoline_kernelINS0_14default_configENS1_20scan_config_selectorIN3c107complexIfEEEEZZNS1_9scan_implILNS1_25lookback_scan_determinismE0ELb0ELb0ES3_PKS7_PS7_S7_ZZZN2at6native31launch_logcumsumexp_cuda_kernelERKNSE_10TensorBaseESI_lENKUlvE_clEvENKUlvE2_clEvEUlS7_S7_E_S7_EEDaPvRmT3_T4_T5_mT6_P12ihipStream_tbENKUlT_T0_E_clISt17integral_constantIbLb0EESY_IbLb1EEEEDaSU_SV_EUlSU_E0_NS1_11comp_targetILNS1_3genE4ELNS1_11target_archE910ELNS1_3gpuE8ELNS1_3repE0EEENS1_30default_config_static_selectorELNS0_4arch9wavefront6targetE0EEEvT1_.kd
    .uniform_work_group_size: 1
    .uses_dynamic_stack: false
    .vgpr_count:     0
    .vgpr_spill_count: 0
    .wavefront_size: 32
    .workgroup_processor_mode: 1
  - .args:
      - .offset:         0
        .size:           40
        .value_kind:     by_value
    .group_segment_fixed_size: 0
    .kernarg_segment_align: 8
    .kernarg_segment_size: 40
    .language:       OpenCL C
    .language_version:
      - 2
      - 0
    .max_flat_workgroup_size: 256
    .name:           _ZN7rocprim17ROCPRIM_400000_NS6detail17trampoline_kernelINS0_14default_configENS1_20scan_config_selectorIN3c107complexIfEEEEZZNS1_9scan_implILNS1_25lookback_scan_determinismE0ELb0ELb0ES3_PKS7_PS7_S7_ZZZN2at6native31launch_logcumsumexp_cuda_kernelERKNSE_10TensorBaseESI_lENKUlvE_clEvENKUlvE2_clEvEUlS7_S7_E_S7_EEDaPvRmT3_T4_T5_mT6_P12ihipStream_tbENKUlT_T0_E_clISt17integral_constantIbLb0EESY_IbLb1EEEEDaSU_SV_EUlSU_E0_NS1_11comp_targetILNS1_3genE3ELNS1_11target_archE908ELNS1_3gpuE7ELNS1_3repE0EEENS1_30default_config_static_selectorELNS0_4arch9wavefront6targetE0EEEvT1_
    .private_segment_fixed_size: 0
    .sgpr_count:     0
    .sgpr_spill_count: 0
    .symbol:         _ZN7rocprim17ROCPRIM_400000_NS6detail17trampoline_kernelINS0_14default_configENS1_20scan_config_selectorIN3c107complexIfEEEEZZNS1_9scan_implILNS1_25lookback_scan_determinismE0ELb0ELb0ES3_PKS7_PS7_S7_ZZZN2at6native31launch_logcumsumexp_cuda_kernelERKNSE_10TensorBaseESI_lENKUlvE_clEvENKUlvE2_clEvEUlS7_S7_E_S7_EEDaPvRmT3_T4_T5_mT6_P12ihipStream_tbENKUlT_T0_E_clISt17integral_constantIbLb0EESY_IbLb1EEEEDaSU_SV_EUlSU_E0_NS1_11comp_targetILNS1_3genE3ELNS1_11target_archE908ELNS1_3gpuE7ELNS1_3repE0EEENS1_30default_config_static_selectorELNS0_4arch9wavefront6targetE0EEEvT1_.kd
    .uniform_work_group_size: 1
    .uses_dynamic_stack: false
    .vgpr_count:     0
    .vgpr_spill_count: 0
    .wavefront_size: 32
    .workgroup_processor_mode: 1
  - .args:
      - .offset:         0
        .size:           40
        .value_kind:     by_value
    .group_segment_fixed_size: 0
    .kernarg_segment_align: 8
    .kernarg_segment_size: 40
    .language:       OpenCL C
    .language_version:
      - 2
      - 0
    .max_flat_workgroup_size: 64
    .name:           _ZN7rocprim17ROCPRIM_400000_NS6detail17trampoline_kernelINS0_14default_configENS1_20scan_config_selectorIN3c107complexIfEEEEZZNS1_9scan_implILNS1_25lookback_scan_determinismE0ELb0ELb0ES3_PKS7_PS7_S7_ZZZN2at6native31launch_logcumsumexp_cuda_kernelERKNSE_10TensorBaseESI_lENKUlvE_clEvENKUlvE2_clEvEUlS7_S7_E_S7_EEDaPvRmT3_T4_T5_mT6_P12ihipStream_tbENKUlT_T0_E_clISt17integral_constantIbLb0EESY_IbLb1EEEEDaSU_SV_EUlSU_E0_NS1_11comp_targetILNS1_3genE2ELNS1_11target_archE906ELNS1_3gpuE6ELNS1_3repE0EEENS1_30default_config_static_selectorELNS0_4arch9wavefront6targetE0EEEvT1_
    .private_segment_fixed_size: 0
    .sgpr_count:     0
    .sgpr_spill_count: 0
    .symbol:         _ZN7rocprim17ROCPRIM_400000_NS6detail17trampoline_kernelINS0_14default_configENS1_20scan_config_selectorIN3c107complexIfEEEEZZNS1_9scan_implILNS1_25lookback_scan_determinismE0ELb0ELb0ES3_PKS7_PS7_S7_ZZZN2at6native31launch_logcumsumexp_cuda_kernelERKNSE_10TensorBaseESI_lENKUlvE_clEvENKUlvE2_clEvEUlS7_S7_E_S7_EEDaPvRmT3_T4_T5_mT6_P12ihipStream_tbENKUlT_T0_E_clISt17integral_constantIbLb0EESY_IbLb1EEEEDaSU_SV_EUlSU_E0_NS1_11comp_targetILNS1_3genE2ELNS1_11target_archE906ELNS1_3gpuE6ELNS1_3repE0EEENS1_30default_config_static_selectorELNS0_4arch9wavefront6targetE0EEEvT1_.kd
    .uniform_work_group_size: 1
    .uses_dynamic_stack: false
    .vgpr_count:     0
    .vgpr_spill_count: 0
    .wavefront_size: 32
    .workgroup_processor_mode: 1
  - .args:
      - .offset:         0
        .size:           40
        .value_kind:     by_value
    .group_segment_fixed_size: 0
    .kernarg_segment_align: 8
    .kernarg_segment_size: 40
    .language:       OpenCL C
    .language_version:
      - 2
      - 0
    .max_flat_workgroup_size: 256
    .name:           _ZN7rocprim17ROCPRIM_400000_NS6detail17trampoline_kernelINS0_14default_configENS1_20scan_config_selectorIN3c107complexIfEEEEZZNS1_9scan_implILNS1_25lookback_scan_determinismE0ELb0ELb0ES3_PKS7_PS7_S7_ZZZN2at6native31launch_logcumsumexp_cuda_kernelERKNSE_10TensorBaseESI_lENKUlvE_clEvENKUlvE2_clEvEUlS7_S7_E_S7_EEDaPvRmT3_T4_T5_mT6_P12ihipStream_tbENKUlT_T0_E_clISt17integral_constantIbLb0EESY_IbLb1EEEEDaSU_SV_EUlSU_E0_NS1_11comp_targetILNS1_3genE10ELNS1_11target_archE1201ELNS1_3gpuE5ELNS1_3repE0EEENS1_30default_config_static_selectorELNS0_4arch9wavefront6targetE0EEEvT1_
    .private_segment_fixed_size: 0
    .sgpr_count:     0
    .sgpr_spill_count: 0
    .symbol:         _ZN7rocprim17ROCPRIM_400000_NS6detail17trampoline_kernelINS0_14default_configENS1_20scan_config_selectorIN3c107complexIfEEEEZZNS1_9scan_implILNS1_25lookback_scan_determinismE0ELb0ELb0ES3_PKS7_PS7_S7_ZZZN2at6native31launch_logcumsumexp_cuda_kernelERKNSE_10TensorBaseESI_lENKUlvE_clEvENKUlvE2_clEvEUlS7_S7_E_S7_EEDaPvRmT3_T4_T5_mT6_P12ihipStream_tbENKUlT_T0_E_clISt17integral_constantIbLb0EESY_IbLb1EEEEDaSU_SV_EUlSU_E0_NS1_11comp_targetILNS1_3genE10ELNS1_11target_archE1201ELNS1_3gpuE5ELNS1_3repE0EEENS1_30default_config_static_selectorELNS0_4arch9wavefront6targetE0EEEvT1_.kd
    .uniform_work_group_size: 1
    .uses_dynamic_stack: false
    .vgpr_count:     0
    .vgpr_spill_count: 0
    .wavefront_size: 32
    .workgroup_processor_mode: 1
  - .args:
      - .offset:         0
        .size:           40
        .value_kind:     by_value
    .group_segment_fixed_size: 0
    .kernarg_segment_align: 8
    .kernarg_segment_size: 40
    .language:       OpenCL C
    .language_version:
      - 2
      - 0
    .max_flat_workgroup_size: 256
    .name:           _ZN7rocprim17ROCPRIM_400000_NS6detail17trampoline_kernelINS0_14default_configENS1_20scan_config_selectorIN3c107complexIfEEEEZZNS1_9scan_implILNS1_25lookback_scan_determinismE0ELb0ELb0ES3_PKS7_PS7_S7_ZZZN2at6native31launch_logcumsumexp_cuda_kernelERKNSE_10TensorBaseESI_lENKUlvE_clEvENKUlvE2_clEvEUlS7_S7_E_S7_EEDaPvRmT3_T4_T5_mT6_P12ihipStream_tbENKUlT_T0_E_clISt17integral_constantIbLb0EESY_IbLb1EEEEDaSU_SV_EUlSU_E0_NS1_11comp_targetILNS1_3genE10ELNS1_11target_archE1200ELNS1_3gpuE4ELNS1_3repE0EEENS1_30default_config_static_selectorELNS0_4arch9wavefront6targetE0EEEvT1_
    .private_segment_fixed_size: 0
    .sgpr_count:     0
    .sgpr_spill_count: 0
    .symbol:         _ZN7rocprim17ROCPRIM_400000_NS6detail17trampoline_kernelINS0_14default_configENS1_20scan_config_selectorIN3c107complexIfEEEEZZNS1_9scan_implILNS1_25lookback_scan_determinismE0ELb0ELb0ES3_PKS7_PS7_S7_ZZZN2at6native31launch_logcumsumexp_cuda_kernelERKNSE_10TensorBaseESI_lENKUlvE_clEvENKUlvE2_clEvEUlS7_S7_E_S7_EEDaPvRmT3_T4_T5_mT6_P12ihipStream_tbENKUlT_T0_E_clISt17integral_constantIbLb0EESY_IbLb1EEEEDaSU_SV_EUlSU_E0_NS1_11comp_targetILNS1_3genE10ELNS1_11target_archE1200ELNS1_3gpuE4ELNS1_3repE0EEENS1_30default_config_static_selectorELNS0_4arch9wavefront6targetE0EEEvT1_.kd
    .uniform_work_group_size: 1
    .uses_dynamic_stack: false
    .vgpr_count:     0
    .vgpr_spill_count: 0
    .wavefront_size: 32
    .workgroup_processor_mode: 1
  - .args:
      - .offset:         0
        .size:           40
        .value_kind:     by_value
    .group_segment_fixed_size: 0
    .kernarg_segment_align: 8
    .kernarg_segment_size: 40
    .language:       OpenCL C
    .language_version:
      - 2
      - 0
    .max_flat_workgroup_size: 256
    .name:           _ZN7rocprim17ROCPRIM_400000_NS6detail17trampoline_kernelINS0_14default_configENS1_20scan_config_selectorIN3c107complexIfEEEEZZNS1_9scan_implILNS1_25lookback_scan_determinismE0ELb0ELb0ES3_PKS7_PS7_S7_ZZZN2at6native31launch_logcumsumexp_cuda_kernelERKNSE_10TensorBaseESI_lENKUlvE_clEvENKUlvE2_clEvEUlS7_S7_E_S7_EEDaPvRmT3_T4_T5_mT6_P12ihipStream_tbENKUlT_T0_E_clISt17integral_constantIbLb0EESY_IbLb1EEEEDaSU_SV_EUlSU_E0_NS1_11comp_targetILNS1_3genE9ELNS1_11target_archE1100ELNS1_3gpuE3ELNS1_3repE0EEENS1_30default_config_static_selectorELNS0_4arch9wavefront6targetE0EEEvT1_
    .private_segment_fixed_size: 0
    .sgpr_count:     0
    .sgpr_spill_count: 0
    .symbol:         _ZN7rocprim17ROCPRIM_400000_NS6detail17trampoline_kernelINS0_14default_configENS1_20scan_config_selectorIN3c107complexIfEEEEZZNS1_9scan_implILNS1_25lookback_scan_determinismE0ELb0ELb0ES3_PKS7_PS7_S7_ZZZN2at6native31launch_logcumsumexp_cuda_kernelERKNSE_10TensorBaseESI_lENKUlvE_clEvENKUlvE2_clEvEUlS7_S7_E_S7_EEDaPvRmT3_T4_T5_mT6_P12ihipStream_tbENKUlT_T0_E_clISt17integral_constantIbLb0EESY_IbLb1EEEEDaSU_SV_EUlSU_E0_NS1_11comp_targetILNS1_3genE9ELNS1_11target_archE1100ELNS1_3gpuE3ELNS1_3repE0EEENS1_30default_config_static_selectorELNS0_4arch9wavefront6targetE0EEEvT1_.kd
    .uniform_work_group_size: 1
    .uses_dynamic_stack: false
    .vgpr_count:     0
    .vgpr_spill_count: 0
    .wavefront_size: 32
    .workgroup_processor_mode: 1
  - .args:
      - .offset:         0
        .size:           40
        .value_kind:     by_value
    .group_segment_fixed_size: 8448
    .kernarg_segment_align: 8
    .kernarg_segment_size: 40
    .language:       OpenCL C
    .language_version:
      - 2
      - 0
    .max_flat_workgroup_size: 256
    .name:           _ZN7rocprim17ROCPRIM_400000_NS6detail17trampoline_kernelINS0_14default_configENS1_20scan_config_selectorIN3c107complexIfEEEEZZNS1_9scan_implILNS1_25lookback_scan_determinismE0ELb0ELb0ES3_PKS7_PS7_S7_ZZZN2at6native31launch_logcumsumexp_cuda_kernelERKNSE_10TensorBaseESI_lENKUlvE_clEvENKUlvE2_clEvEUlS7_S7_E_S7_EEDaPvRmT3_T4_T5_mT6_P12ihipStream_tbENKUlT_T0_E_clISt17integral_constantIbLb0EESY_IbLb1EEEEDaSU_SV_EUlSU_E0_NS1_11comp_targetILNS1_3genE8ELNS1_11target_archE1030ELNS1_3gpuE2ELNS1_3repE0EEENS1_30default_config_static_selectorELNS0_4arch9wavefront6targetE0EEEvT1_
    .private_segment_fixed_size: 0
    .sgpr_count:     35
    .sgpr_spill_count: 0
    .symbol:         _ZN7rocprim17ROCPRIM_400000_NS6detail17trampoline_kernelINS0_14default_configENS1_20scan_config_selectorIN3c107complexIfEEEEZZNS1_9scan_implILNS1_25lookback_scan_determinismE0ELb0ELb0ES3_PKS7_PS7_S7_ZZZN2at6native31launch_logcumsumexp_cuda_kernelERKNSE_10TensorBaseESI_lENKUlvE_clEvENKUlvE2_clEvEUlS7_S7_E_S7_EEDaPvRmT3_T4_T5_mT6_P12ihipStream_tbENKUlT_T0_E_clISt17integral_constantIbLb0EESY_IbLb1EEEEDaSU_SV_EUlSU_E0_NS1_11comp_targetILNS1_3genE8ELNS1_11target_archE1030ELNS1_3gpuE2ELNS1_3repE0EEENS1_30default_config_static_selectorELNS0_4arch9wavefront6targetE0EEEvT1_.kd
    .uniform_work_group_size: 1
    .uses_dynamic_stack: false
    .vgpr_count:     50
    .vgpr_spill_count: 0
    .wavefront_size: 32
    .workgroup_processor_mode: 1
  - .args:
      - .address_space:  global
        .offset:         0
        .size:           8
        .value_kind:     global_buffer
      - .address_space:  global
        .offset:         8
        .size:           8
        .value_kind:     global_buffer
      - .offset:         16
        .size:           4
        .value_kind:     by_value
      - .offset:         20
        .size:           4
        .value_kind:     by_value
      - .offset:         24
        .size:           4
        .value_kind:     by_value
      - .offset:         32
        .size:           8
        .value_kind:     by_value
      - .offset:         40
        .size:           1
        .value_kind:     by_value
      - .offset:         48
        .size:           4
        .value_kind:     hidden_block_count_x
      - .offset:         52
        .size:           4
        .value_kind:     hidden_block_count_y
      - .offset:         56
        .size:           4
        .value_kind:     hidden_block_count_z
      - .offset:         60
        .size:           2
        .value_kind:     hidden_group_size_x
      - .offset:         62
        .size:           2
        .value_kind:     hidden_group_size_y
      - .offset:         64
        .size:           2
        .value_kind:     hidden_group_size_z
      - .offset:         66
        .size:           2
        .value_kind:     hidden_remainder_x
      - .offset:         68
        .size:           2
        .value_kind:     hidden_remainder_y
      - .offset:         70
        .size:           2
        .value_kind:     hidden_remainder_z
      - .offset:         88
        .size:           8
        .value_kind:     hidden_global_offset_x
      - .offset:         96
        .size:           8
        .value_kind:     hidden_global_offset_y
      - .offset:         104
        .size:           8
        .value_kind:     hidden_global_offset_z
      - .offset:         112
        .size:           2
        .value_kind:     hidden_grid_dims
      - .offset:         168
        .size:           4
        .value_kind:     hidden_dynamic_lds_size
    .group_segment_fixed_size: 0
    .kernarg_segment_align: 8
    .kernarg_segment_size: 304
    .language:       OpenCL C
    .language_version:
      - 2
      - 0
    .max_flat_workgroup_size: 1024
    .name:           _ZN2at6native32tensor_kernel_scan_innermost_dimIN3c107complexIfEEZZZNS0_31launch_logcumsumexp_cuda_kernelERKNS_10TensorBaseES7_lENKUlvE_clEvENKUlvE2_clEvEUlS4_S4_E_EEvPT_PKSB_jjjSB_T0_
    .private_segment_fixed_size: 0
    .sgpr_count:     41
    .sgpr_spill_count: 0
    .symbol:         _ZN2at6native32tensor_kernel_scan_innermost_dimIN3c107complexIfEEZZZNS0_31launch_logcumsumexp_cuda_kernelERKNS_10TensorBaseES7_lENKUlvE_clEvENKUlvE2_clEvEUlS4_S4_E_EEvPT_PKSB_jjjSB_T0_.kd
    .uniform_work_group_size: 1
    .uses_dynamic_stack: false
    .vgpr_count:     41
    .vgpr_spill_count: 0
    .wavefront_size: 32
    .workgroup_processor_mode: 1
  - .args:
      - .address_space:  global
        .offset:         0
        .size:           8
        .value_kind:     global_buffer
      - .address_space:  global
        .offset:         8
        .size:           8
        .value_kind:     global_buffer
      - .offset:         16
        .size:           4
        .value_kind:     by_value
      - .offset:         20
        .size:           4
        .value_kind:     by_value
      - .offset:         24
        .size:           4
        .value_kind:     by_value
      - .offset:         32
        .size:           8
        .value_kind:     by_value
      - .offset:         40
        .size:           1
        .value_kind:     by_value
      - .offset:         48
        .size:           4
        .value_kind:     hidden_block_count_x
      - .offset:         52
        .size:           4
        .value_kind:     hidden_block_count_y
      - .offset:         56
        .size:           4
        .value_kind:     hidden_block_count_z
      - .offset:         60
        .size:           2
        .value_kind:     hidden_group_size_x
      - .offset:         62
        .size:           2
        .value_kind:     hidden_group_size_y
      - .offset:         64
        .size:           2
        .value_kind:     hidden_group_size_z
      - .offset:         66
        .size:           2
        .value_kind:     hidden_remainder_x
      - .offset:         68
        .size:           2
        .value_kind:     hidden_remainder_y
      - .offset:         70
        .size:           2
        .value_kind:     hidden_remainder_z
      - .offset:         88
        .size:           8
        .value_kind:     hidden_global_offset_x
      - .offset:         96
        .size:           8
        .value_kind:     hidden_global_offset_y
      - .offset:         104
        .size:           8
        .value_kind:     hidden_global_offset_z
      - .offset:         112
        .size:           2
        .value_kind:     hidden_grid_dims
    .group_segment_fixed_size: 0
    .kernarg_segment_align: 8
    .kernarg_segment_size: 304
    .language:       OpenCL C
    .language_version:
      - 2
      - 0
    .max_flat_workgroup_size: 1024
    .name:           _ZN2at6native28tensor_kernel_scan_outer_dimIN3c107complexIfEEjZZZNS0_31launch_logcumsumexp_cuda_kernelERKNS_10TensorBaseES7_lENKUlvE_clEvENKUlvE2_clEvEUlS4_S4_E_EEvPT_PKSB_jjjSB_T1_
    .private_segment_fixed_size: 0
    .sgpr_count:     42
    .sgpr_spill_count: 0
    .symbol:         _ZN2at6native28tensor_kernel_scan_outer_dimIN3c107complexIfEEjZZZNS0_31launch_logcumsumexp_cuda_kernelERKNS_10TensorBaseES7_lENKUlvE_clEvENKUlvE2_clEvEUlS4_S4_E_EEvPT_PKSB_jjjSB_T1_.kd
    .uniform_work_group_size: 1
    .uses_dynamic_stack: false
    .vgpr_count:     28
    .vgpr_spill_count: 0
    .wavefront_size: 32
    .workgroup_processor_mode: 1
  - .args:
      - .address_space:  global
        .offset:         0
        .size:           8
        .value_kind:     global_buffer
      - .address_space:  global
        .offset:         8
        .size:           8
        .value_kind:     global_buffer
      - .offset:         16
        .size:           4
        .value_kind:     by_value
      - .offset:         20
        .size:           4
        .value_kind:     by_value
      - .offset:         24
        .size:           4
        .value_kind:     by_value
      - .offset:         32
        .size:           8
        .value_kind:     by_value
      - .offset:         40
        .size:           1
        .value_kind:     by_value
      - .offset:         48
        .size:           4
        .value_kind:     hidden_block_count_x
      - .offset:         52
        .size:           4
        .value_kind:     hidden_block_count_y
      - .offset:         56
        .size:           4
        .value_kind:     hidden_block_count_z
      - .offset:         60
        .size:           2
        .value_kind:     hidden_group_size_x
      - .offset:         62
        .size:           2
        .value_kind:     hidden_group_size_y
      - .offset:         64
        .size:           2
        .value_kind:     hidden_group_size_z
      - .offset:         66
        .size:           2
        .value_kind:     hidden_remainder_x
      - .offset:         68
        .size:           2
        .value_kind:     hidden_remainder_y
      - .offset:         70
        .size:           2
        .value_kind:     hidden_remainder_z
      - .offset:         88
        .size:           8
        .value_kind:     hidden_global_offset_x
      - .offset:         96
        .size:           8
        .value_kind:     hidden_global_offset_y
      - .offset:         104
        .size:           8
        .value_kind:     hidden_global_offset_z
      - .offset:         112
        .size:           2
        .value_kind:     hidden_grid_dims
    .group_segment_fixed_size: 0
    .kernarg_segment_align: 8
    .kernarg_segment_size: 304
    .language:       OpenCL C
    .language_version:
      - 2
      - 0
    .max_flat_workgroup_size: 1024
    .name:           _ZN2at6native28tensor_kernel_scan_outer_dimIN3c107complexIfEEmZZZNS0_31launch_logcumsumexp_cuda_kernelERKNS_10TensorBaseES7_lENKUlvE_clEvENKUlvE2_clEvEUlS4_S4_E_EEvPT_PKSB_jjjSB_T1_
    .private_segment_fixed_size: 0
    .sgpr_count:     41
    .sgpr_spill_count: 0
    .symbol:         _ZN2at6native28tensor_kernel_scan_outer_dimIN3c107complexIfEEmZZZNS0_31launch_logcumsumexp_cuda_kernelERKNS_10TensorBaseES7_lENKUlvE_clEvENKUlvE2_clEvEUlS4_S4_E_EEvPT_PKSB_jjjSB_T1_.kd
    .uniform_work_group_size: 1
    .uses_dynamic_stack: false
    .vgpr_count:     28
    .vgpr_spill_count: 0
    .wavefront_size: 32
    .workgroup_processor_mode: 1
  - .args:
      - .address_space:  global
        .offset:         0
        .size:           8
        .value_kind:     global_buffer
      - .offset:         8
        .size:           4
        .value_kind:     by_value
      - .offset:         12
        .size:           1
        .value_kind:     by_value
      - .offset:         16
        .size:           4
        .value_kind:     by_value
      - .address_space:  global
        .offset:         24
        .size:           8
        .value_kind:     global_buffer
      - .offset:         32
        .size:           4
        .value_kind:     hidden_block_count_x
      - .offset:         36
        .size:           4
        .value_kind:     hidden_block_count_y
      - .offset:         40
        .size:           4
        .value_kind:     hidden_block_count_z
      - .offset:         44
        .size:           2
        .value_kind:     hidden_group_size_x
      - .offset:         46
        .size:           2
        .value_kind:     hidden_group_size_y
      - .offset:         48
        .size:           2
        .value_kind:     hidden_group_size_z
      - .offset:         50
        .size:           2
        .value_kind:     hidden_remainder_x
      - .offset:         52
        .size:           2
        .value_kind:     hidden_remainder_y
      - .offset:         54
        .size:           2
        .value_kind:     hidden_remainder_z
      - .offset:         72
        .size:           8
        .value_kind:     hidden_global_offset_x
      - .offset:         80
        .size:           8
        .value_kind:     hidden_global_offset_y
      - .offset:         88
        .size:           8
        .value_kind:     hidden_global_offset_z
      - .offset:         96
        .size:           2
        .value_kind:     hidden_grid_dims
    .group_segment_fixed_size: 0
    .kernarg_segment_align: 8
    .kernarg_segment_size: 288
    .language:       OpenCL C
    .language_version:
      - 2
      - 0
    .max_flat_workgroup_size: 256
    .name:           _ZN7rocprim17ROCPRIM_400000_NS6detail31init_lookback_scan_state_kernelINS1_19lookback_scan_stateIN3c104HalfELb0ELb1EEENS1_16block_id_wrapperIjLb0EEEEEvT_jT0_jPNS9_10value_typeE
    .private_segment_fixed_size: 0
    .sgpr_count:     11
    .sgpr_spill_count: 0
    .symbol:         _ZN7rocprim17ROCPRIM_400000_NS6detail31init_lookback_scan_state_kernelINS1_19lookback_scan_stateIN3c104HalfELb0ELb1EEENS1_16block_id_wrapperIjLb0EEEEEvT_jT0_jPNS9_10value_typeE.kd
    .uniform_work_group_size: 1
    .uses_dynamic_stack: false
    .vgpr_count:     5
    .vgpr_spill_count: 0
    .wavefront_size: 32
    .workgroup_processor_mode: 1
  - .args:
      - .offset:         0
        .size:           96
        .value_kind:     by_value
    .group_segment_fixed_size: 0
    .kernarg_segment_align: 8
    .kernarg_segment_size: 96
    .language:       OpenCL C
    .language_version:
      - 2
      - 0
    .max_flat_workgroup_size: 128
    .name:           _ZN7rocprim17ROCPRIM_400000_NS6detail17trampoline_kernelINS0_14default_configENS1_20scan_config_selectorIN3c104HalfEEEZZNS1_9scan_implILNS1_25lookback_scan_determinismE0ELb0ELb0ES3_PKS6_PS6_S6_ZZZN2at6native31launch_logcumsumexp_cuda_kernelERKNSD_10TensorBaseESH_lENKUlvE_clEvENKUlvE3_clEvEUlS6_S6_E_S6_EEDaPvRmT3_T4_T5_mT6_P12ihipStream_tbENKUlT_T0_E_clISt17integral_constantIbLb0EESY_EEDaST_SU_EUlST_E_NS1_11comp_targetILNS1_3genE0ELNS1_11target_archE4294967295ELNS1_3gpuE0ELNS1_3repE0EEENS1_30default_config_static_selectorELNS0_4arch9wavefront6targetE0EEEvT1_
    .private_segment_fixed_size: 0
    .sgpr_count:     0
    .sgpr_spill_count: 0
    .symbol:         _ZN7rocprim17ROCPRIM_400000_NS6detail17trampoline_kernelINS0_14default_configENS1_20scan_config_selectorIN3c104HalfEEEZZNS1_9scan_implILNS1_25lookback_scan_determinismE0ELb0ELb0ES3_PKS6_PS6_S6_ZZZN2at6native31launch_logcumsumexp_cuda_kernelERKNSD_10TensorBaseESH_lENKUlvE_clEvENKUlvE3_clEvEUlS6_S6_E_S6_EEDaPvRmT3_T4_T5_mT6_P12ihipStream_tbENKUlT_T0_E_clISt17integral_constantIbLb0EESY_EEDaST_SU_EUlST_E_NS1_11comp_targetILNS1_3genE0ELNS1_11target_archE4294967295ELNS1_3gpuE0ELNS1_3repE0EEENS1_30default_config_static_selectorELNS0_4arch9wavefront6targetE0EEEvT1_.kd
    .uniform_work_group_size: 1
    .uses_dynamic_stack: false
    .vgpr_count:     0
    .vgpr_spill_count: 0
    .wavefront_size: 32
    .workgroup_processor_mode: 1
  - .args:
      - .offset:         0
        .size:           96
        .value_kind:     by_value
    .group_segment_fixed_size: 0
    .kernarg_segment_align: 8
    .kernarg_segment_size: 96
    .language:       OpenCL C
    .language_version:
      - 2
      - 0
    .max_flat_workgroup_size: 256
    .name:           _ZN7rocprim17ROCPRIM_400000_NS6detail17trampoline_kernelINS0_14default_configENS1_20scan_config_selectorIN3c104HalfEEEZZNS1_9scan_implILNS1_25lookback_scan_determinismE0ELb0ELb0ES3_PKS6_PS6_S6_ZZZN2at6native31launch_logcumsumexp_cuda_kernelERKNSD_10TensorBaseESH_lENKUlvE_clEvENKUlvE3_clEvEUlS6_S6_E_S6_EEDaPvRmT3_T4_T5_mT6_P12ihipStream_tbENKUlT_T0_E_clISt17integral_constantIbLb0EESY_EEDaST_SU_EUlST_E_NS1_11comp_targetILNS1_3genE5ELNS1_11target_archE942ELNS1_3gpuE9ELNS1_3repE0EEENS1_30default_config_static_selectorELNS0_4arch9wavefront6targetE0EEEvT1_
    .private_segment_fixed_size: 0
    .sgpr_count:     0
    .sgpr_spill_count: 0
    .symbol:         _ZN7rocprim17ROCPRIM_400000_NS6detail17trampoline_kernelINS0_14default_configENS1_20scan_config_selectorIN3c104HalfEEEZZNS1_9scan_implILNS1_25lookback_scan_determinismE0ELb0ELb0ES3_PKS6_PS6_S6_ZZZN2at6native31launch_logcumsumexp_cuda_kernelERKNSD_10TensorBaseESH_lENKUlvE_clEvENKUlvE3_clEvEUlS6_S6_E_S6_EEDaPvRmT3_T4_T5_mT6_P12ihipStream_tbENKUlT_T0_E_clISt17integral_constantIbLb0EESY_EEDaST_SU_EUlST_E_NS1_11comp_targetILNS1_3genE5ELNS1_11target_archE942ELNS1_3gpuE9ELNS1_3repE0EEENS1_30default_config_static_selectorELNS0_4arch9wavefront6targetE0EEEvT1_.kd
    .uniform_work_group_size: 1
    .uses_dynamic_stack: false
    .vgpr_count:     0
    .vgpr_spill_count: 0
    .wavefront_size: 32
    .workgroup_processor_mode: 1
  - .args:
      - .offset:         0
        .size:           96
        .value_kind:     by_value
    .group_segment_fixed_size: 0
    .kernarg_segment_align: 8
    .kernarg_segment_size: 96
    .language:       OpenCL C
    .language_version:
      - 2
      - 0
    .max_flat_workgroup_size: 64
    .name:           _ZN7rocprim17ROCPRIM_400000_NS6detail17trampoline_kernelINS0_14default_configENS1_20scan_config_selectorIN3c104HalfEEEZZNS1_9scan_implILNS1_25lookback_scan_determinismE0ELb0ELb0ES3_PKS6_PS6_S6_ZZZN2at6native31launch_logcumsumexp_cuda_kernelERKNSD_10TensorBaseESH_lENKUlvE_clEvENKUlvE3_clEvEUlS6_S6_E_S6_EEDaPvRmT3_T4_T5_mT6_P12ihipStream_tbENKUlT_T0_E_clISt17integral_constantIbLb0EESY_EEDaST_SU_EUlST_E_NS1_11comp_targetILNS1_3genE4ELNS1_11target_archE910ELNS1_3gpuE8ELNS1_3repE0EEENS1_30default_config_static_selectorELNS0_4arch9wavefront6targetE0EEEvT1_
    .private_segment_fixed_size: 0
    .sgpr_count:     0
    .sgpr_spill_count: 0
    .symbol:         _ZN7rocprim17ROCPRIM_400000_NS6detail17trampoline_kernelINS0_14default_configENS1_20scan_config_selectorIN3c104HalfEEEZZNS1_9scan_implILNS1_25lookback_scan_determinismE0ELb0ELb0ES3_PKS6_PS6_S6_ZZZN2at6native31launch_logcumsumexp_cuda_kernelERKNSD_10TensorBaseESH_lENKUlvE_clEvENKUlvE3_clEvEUlS6_S6_E_S6_EEDaPvRmT3_T4_T5_mT6_P12ihipStream_tbENKUlT_T0_E_clISt17integral_constantIbLb0EESY_EEDaST_SU_EUlST_E_NS1_11comp_targetILNS1_3genE4ELNS1_11target_archE910ELNS1_3gpuE8ELNS1_3repE0EEENS1_30default_config_static_selectorELNS0_4arch9wavefront6targetE0EEEvT1_.kd
    .uniform_work_group_size: 1
    .uses_dynamic_stack: false
    .vgpr_count:     0
    .vgpr_spill_count: 0
    .wavefront_size: 32
    .workgroup_processor_mode: 1
  - .args:
      - .offset:         0
        .size:           96
        .value_kind:     by_value
    .group_segment_fixed_size: 0
    .kernarg_segment_align: 8
    .kernarg_segment_size: 96
    .language:       OpenCL C
    .language_version:
      - 2
      - 0
    .max_flat_workgroup_size: 128
    .name:           _ZN7rocprim17ROCPRIM_400000_NS6detail17trampoline_kernelINS0_14default_configENS1_20scan_config_selectorIN3c104HalfEEEZZNS1_9scan_implILNS1_25lookback_scan_determinismE0ELb0ELb0ES3_PKS6_PS6_S6_ZZZN2at6native31launch_logcumsumexp_cuda_kernelERKNSD_10TensorBaseESH_lENKUlvE_clEvENKUlvE3_clEvEUlS6_S6_E_S6_EEDaPvRmT3_T4_T5_mT6_P12ihipStream_tbENKUlT_T0_E_clISt17integral_constantIbLb0EESY_EEDaST_SU_EUlST_E_NS1_11comp_targetILNS1_3genE3ELNS1_11target_archE908ELNS1_3gpuE7ELNS1_3repE0EEENS1_30default_config_static_selectorELNS0_4arch9wavefront6targetE0EEEvT1_
    .private_segment_fixed_size: 0
    .sgpr_count:     0
    .sgpr_spill_count: 0
    .symbol:         _ZN7rocprim17ROCPRIM_400000_NS6detail17trampoline_kernelINS0_14default_configENS1_20scan_config_selectorIN3c104HalfEEEZZNS1_9scan_implILNS1_25lookback_scan_determinismE0ELb0ELb0ES3_PKS6_PS6_S6_ZZZN2at6native31launch_logcumsumexp_cuda_kernelERKNSD_10TensorBaseESH_lENKUlvE_clEvENKUlvE3_clEvEUlS6_S6_E_S6_EEDaPvRmT3_T4_T5_mT6_P12ihipStream_tbENKUlT_T0_E_clISt17integral_constantIbLb0EESY_EEDaST_SU_EUlST_E_NS1_11comp_targetILNS1_3genE3ELNS1_11target_archE908ELNS1_3gpuE7ELNS1_3repE0EEENS1_30default_config_static_selectorELNS0_4arch9wavefront6targetE0EEEvT1_.kd
    .uniform_work_group_size: 1
    .uses_dynamic_stack: false
    .vgpr_count:     0
    .vgpr_spill_count: 0
    .wavefront_size: 32
    .workgroup_processor_mode: 1
  - .args:
      - .offset:         0
        .size:           96
        .value_kind:     by_value
    .group_segment_fixed_size: 0
    .kernarg_segment_align: 8
    .kernarg_segment_size: 96
    .language:       OpenCL C
    .language_version:
      - 2
      - 0
    .max_flat_workgroup_size: 256
    .name:           _ZN7rocprim17ROCPRIM_400000_NS6detail17trampoline_kernelINS0_14default_configENS1_20scan_config_selectorIN3c104HalfEEEZZNS1_9scan_implILNS1_25lookback_scan_determinismE0ELb0ELb0ES3_PKS6_PS6_S6_ZZZN2at6native31launch_logcumsumexp_cuda_kernelERKNSD_10TensorBaseESH_lENKUlvE_clEvENKUlvE3_clEvEUlS6_S6_E_S6_EEDaPvRmT3_T4_T5_mT6_P12ihipStream_tbENKUlT_T0_E_clISt17integral_constantIbLb0EESY_EEDaST_SU_EUlST_E_NS1_11comp_targetILNS1_3genE2ELNS1_11target_archE906ELNS1_3gpuE6ELNS1_3repE0EEENS1_30default_config_static_selectorELNS0_4arch9wavefront6targetE0EEEvT1_
    .private_segment_fixed_size: 0
    .sgpr_count:     0
    .sgpr_spill_count: 0
    .symbol:         _ZN7rocprim17ROCPRIM_400000_NS6detail17trampoline_kernelINS0_14default_configENS1_20scan_config_selectorIN3c104HalfEEEZZNS1_9scan_implILNS1_25lookback_scan_determinismE0ELb0ELb0ES3_PKS6_PS6_S6_ZZZN2at6native31launch_logcumsumexp_cuda_kernelERKNSD_10TensorBaseESH_lENKUlvE_clEvENKUlvE3_clEvEUlS6_S6_E_S6_EEDaPvRmT3_T4_T5_mT6_P12ihipStream_tbENKUlT_T0_E_clISt17integral_constantIbLb0EESY_EEDaST_SU_EUlST_E_NS1_11comp_targetILNS1_3genE2ELNS1_11target_archE906ELNS1_3gpuE6ELNS1_3repE0EEENS1_30default_config_static_selectorELNS0_4arch9wavefront6targetE0EEEvT1_.kd
    .uniform_work_group_size: 1
    .uses_dynamic_stack: false
    .vgpr_count:     0
    .vgpr_spill_count: 0
    .wavefront_size: 32
    .workgroup_processor_mode: 1
  - .args:
      - .offset:         0
        .size:           96
        .value_kind:     by_value
    .group_segment_fixed_size: 0
    .kernarg_segment_align: 8
    .kernarg_segment_size: 96
    .language:       OpenCL C
    .language_version:
      - 2
      - 0
    .max_flat_workgroup_size: 256
    .name:           _ZN7rocprim17ROCPRIM_400000_NS6detail17trampoline_kernelINS0_14default_configENS1_20scan_config_selectorIN3c104HalfEEEZZNS1_9scan_implILNS1_25lookback_scan_determinismE0ELb0ELb0ES3_PKS6_PS6_S6_ZZZN2at6native31launch_logcumsumexp_cuda_kernelERKNSD_10TensorBaseESH_lENKUlvE_clEvENKUlvE3_clEvEUlS6_S6_E_S6_EEDaPvRmT3_T4_T5_mT6_P12ihipStream_tbENKUlT_T0_E_clISt17integral_constantIbLb0EESY_EEDaST_SU_EUlST_E_NS1_11comp_targetILNS1_3genE10ELNS1_11target_archE1201ELNS1_3gpuE5ELNS1_3repE0EEENS1_30default_config_static_selectorELNS0_4arch9wavefront6targetE0EEEvT1_
    .private_segment_fixed_size: 0
    .sgpr_count:     0
    .sgpr_spill_count: 0
    .symbol:         _ZN7rocprim17ROCPRIM_400000_NS6detail17trampoline_kernelINS0_14default_configENS1_20scan_config_selectorIN3c104HalfEEEZZNS1_9scan_implILNS1_25lookback_scan_determinismE0ELb0ELb0ES3_PKS6_PS6_S6_ZZZN2at6native31launch_logcumsumexp_cuda_kernelERKNSD_10TensorBaseESH_lENKUlvE_clEvENKUlvE3_clEvEUlS6_S6_E_S6_EEDaPvRmT3_T4_T5_mT6_P12ihipStream_tbENKUlT_T0_E_clISt17integral_constantIbLb0EESY_EEDaST_SU_EUlST_E_NS1_11comp_targetILNS1_3genE10ELNS1_11target_archE1201ELNS1_3gpuE5ELNS1_3repE0EEENS1_30default_config_static_selectorELNS0_4arch9wavefront6targetE0EEEvT1_.kd
    .uniform_work_group_size: 1
    .uses_dynamic_stack: false
    .vgpr_count:     0
    .vgpr_spill_count: 0
    .wavefront_size: 32
    .workgroup_processor_mode: 1
  - .args:
      - .offset:         0
        .size:           96
        .value_kind:     by_value
    .group_segment_fixed_size: 0
    .kernarg_segment_align: 8
    .kernarg_segment_size: 96
    .language:       OpenCL C
    .language_version:
      - 2
      - 0
    .max_flat_workgroup_size: 256
    .name:           _ZN7rocprim17ROCPRIM_400000_NS6detail17trampoline_kernelINS0_14default_configENS1_20scan_config_selectorIN3c104HalfEEEZZNS1_9scan_implILNS1_25lookback_scan_determinismE0ELb0ELb0ES3_PKS6_PS6_S6_ZZZN2at6native31launch_logcumsumexp_cuda_kernelERKNSD_10TensorBaseESH_lENKUlvE_clEvENKUlvE3_clEvEUlS6_S6_E_S6_EEDaPvRmT3_T4_T5_mT6_P12ihipStream_tbENKUlT_T0_E_clISt17integral_constantIbLb0EESY_EEDaST_SU_EUlST_E_NS1_11comp_targetILNS1_3genE10ELNS1_11target_archE1200ELNS1_3gpuE4ELNS1_3repE0EEENS1_30default_config_static_selectorELNS0_4arch9wavefront6targetE0EEEvT1_
    .private_segment_fixed_size: 0
    .sgpr_count:     0
    .sgpr_spill_count: 0
    .symbol:         _ZN7rocprim17ROCPRIM_400000_NS6detail17trampoline_kernelINS0_14default_configENS1_20scan_config_selectorIN3c104HalfEEEZZNS1_9scan_implILNS1_25lookback_scan_determinismE0ELb0ELb0ES3_PKS6_PS6_S6_ZZZN2at6native31launch_logcumsumexp_cuda_kernelERKNSD_10TensorBaseESH_lENKUlvE_clEvENKUlvE3_clEvEUlS6_S6_E_S6_EEDaPvRmT3_T4_T5_mT6_P12ihipStream_tbENKUlT_T0_E_clISt17integral_constantIbLb0EESY_EEDaST_SU_EUlST_E_NS1_11comp_targetILNS1_3genE10ELNS1_11target_archE1200ELNS1_3gpuE4ELNS1_3repE0EEENS1_30default_config_static_selectorELNS0_4arch9wavefront6targetE0EEEvT1_.kd
    .uniform_work_group_size: 1
    .uses_dynamic_stack: false
    .vgpr_count:     0
    .vgpr_spill_count: 0
    .wavefront_size: 32
    .workgroup_processor_mode: 1
  - .args:
      - .offset:         0
        .size:           96
        .value_kind:     by_value
    .group_segment_fixed_size: 0
    .kernarg_segment_align: 8
    .kernarg_segment_size: 96
    .language:       OpenCL C
    .language_version:
      - 2
      - 0
    .max_flat_workgroup_size: 64
    .name:           _ZN7rocprim17ROCPRIM_400000_NS6detail17trampoline_kernelINS0_14default_configENS1_20scan_config_selectorIN3c104HalfEEEZZNS1_9scan_implILNS1_25lookback_scan_determinismE0ELb0ELb0ES3_PKS6_PS6_S6_ZZZN2at6native31launch_logcumsumexp_cuda_kernelERKNSD_10TensorBaseESH_lENKUlvE_clEvENKUlvE3_clEvEUlS6_S6_E_S6_EEDaPvRmT3_T4_T5_mT6_P12ihipStream_tbENKUlT_T0_E_clISt17integral_constantIbLb0EESY_EEDaST_SU_EUlST_E_NS1_11comp_targetILNS1_3genE9ELNS1_11target_archE1100ELNS1_3gpuE3ELNS1_3repE0EEENS1_30default_config_static_selectorELNS0_4arch9wavefront6targetE0EEEvT1_
    .private_segment_fixed_size: 0
    .sgpr_count:     0
    .sgpr_spill_count: 0
    .symbol:         _ZN7rocprim17ROCPRIM_400000_NS6detail17trampoline_kernelINS0_14default_configENS1_20scan_config_selectorIN3c104HalfEEEZZNS1_9scan_implILNS1_25lookback_scan_determinismE0ELb0ELb0ES3_PKS6_PS6_S6_ZZZN2at6native31launch_logcumsumexp_cuda_kernelERKNSD_10TensorBaseESH_lENKUlvE_clEvENKUlvE3_clEvEUlS6_S6_E_S6_EEDaPvRmT3_T4_T5_mT6_P12ihipStream_tbENKUlT_T0_E_clISt17integral_constantIbLb0EESY_EEDaST_SU_EUlST_E_NS1_11comp_targetILNS1_3genE9ELNS1_11target_archE1100ELNS1_3gpuE3ELNS1_3repE0EEENS1_30default_config_static_selectorELNS0_4arch9wavefront6targetE0EEEvT1_.kd
    .uniform_work_group_size: 1
    .uses_dynamic_stack: false
    .vgpr_count:     0
    .vgpr_spill_count: 0
    .wavefront_size: 32
    .workgroup_processor_mode: 1
  - .args:
      - .offset:         0
        .size:           96
        .value_kind:     by_value
    .group_segment_fixed_size: 1536
    .kernarg_segment_align: 8
    .kernarg_segment_size: 96
    .language:       OpenCL C
    .language_version:
      - 2
      - 0
    .max_flat_workgroup_size: 64
    .name:           _ZN7rocprim17ROCPRIM_400000_NS6detail17trampoline_kernelINS0_14default_configENS1_20scan_config_selectorIN3c104HalfEEEZZNS1_9scan_implILNS1_25lookback_scan_determinismE0ELb0ELb0ES3_PKS6_PS6_S6_ZZZN2at6native31launch_logcumsumexp_cuda_kernelERKNSD_10TensorBaseESH_lENKUlvE_clEvENKUlvE3_clEvEUlS6_S6_E_S6_EEDaPvRmT3_T4_T5_mT6_P12ihipStream_tbENKUlT_T0_E_clISt17integral_constantIbLb0EESY_EEDaST_SU_EUlST_E_NS1_11comp_targetILNS1_3genE8ELNS1_11target_archE1030ELNS1_3gpuE2ELNS1_3repE0EEENS1_30default_config_static_selectorELNS0_4arch9wavefront6targetE0EEEvT1_
    .private_segment_fixed_size: 0
    .sgpr_count:     40
    .sgpr_spill_count: 0
    .symbol:         _ZN7rocprim17ROCPRIM_400000_NS6detail17trampoline_kernelINS0_14default_configENS1_20scan_config_selectorIN3c104HalfEEEZZNS1_9scan_implILNS1_25lookback_scan_determinismE0ELb0ELb0ES3_PKS6_PS6_S6_ZZZN2at6native31launch_logcumsumexp_cuda_kernelERKNSD_10TensorBaseESH_lENKUlvE_clEvENKUlvE3_clEvEUlS6_S6_E_S6_EEDaPvRmT3_T4_T5_mT6_P12ihipStream_tbENKUlT_T0_E_clISt17integral_constantIbLb0EESY_EEDaST_SU_EUlST_E_NS1_11comp_targetILNS1_3genE8ELNS1_11target_archE1030ELNS1_3gpuE2ELNS1_3repE0EEENS1_30default_config_static_selectorELNS0_4arch9wavefront6targetE0EEEvT1_.kd
    .uniform_work_group_size: 1
    .uses_dynamic_stack: false
    .vgpr_count:     54
    .vgpr_spill_count: 0
    .wavefront_size: 32
    .workgroup_processor_mode: 1
  - .args:
      - .offset:         0
        .size:           40
        .value_kind:     by_value
    .group_segment_fixed_size: 0
    .kernarg_segment_align: 8
    .kernarg_segment_size: 40
    .language:       OpenCL C
    .language_version:
      - 2
      - 0
    .max_flat_workgroup_size: 128
    .name:           _ZN7rocprim17ROCPRIM_400000_NS6detail17trampoline_kernelINS0_14default_configENS1_25transform_config_selectorIN3c104HalfELb1EEEZNS1_14transform_implILb1ES3_S7_PS6_S9_NS0_8identityIS6_EEEE10hipError_tT2_T3_mT4_P12ihipStream_tbEUlT_E_NS1_11comp_targetILNS1_3genE0ELNS1_11target_archE4294967295ELNS1_3gpuE0ELNS1_3repE0EEENS1_30default_config_static_selectorELNS0_4arch9wavefront6targetE0EEEvT1_
    .private_segment_fixed_size: 0
    .sgpr_count:     0
    .sgpr_spill_count: 0
    .symbol:         _ZN7rocprim17ROCPRIM_400000_NS6detail17trampoline_kernelINS0_14default_configENS1_25transform_config_selectorIN3c104HalfELb1EEEZNS1_14transform_implILb1ES3_S7_PS6_S9_NS0_8identityIS6_EEEE10hipError_tT2_T3_mT4_P12ihipStream_tbEUlT_E_NS1_11comp_targetILNS1_3genE0ELNS1_11target_archE4294967295ELNS1_3gpuE0ELNS1_3repE0EEENS1_30default_config_static_selectorELNS0_4arch9wavefront6targetE0EEEvT1_.kd
    .uniform_work_group_size: 1
    .uses_dynamic_stack: false
    .vgpr_count:     0
    .vgpr_spill_count: 0
    .wavefront_size: 32
    .workgroup_processor_mode: 1
  - .args:
      - .offset:         0
        .size:           40
        .value_kind:     by_value
    .group_segment_fixed_size: 0
    .kernarg_segment_align: 8
    .kernarg_segment_size: 40
    .language:       OpenCL C
    .language_version:
      - 2
      - 0
    .max_flat_workgroup_size: 64
    .name:           _ZN7rocprim17ROCPRIM_400000_NS6detail17trampoline_kernelINS0_14default_configENS1_25transform_config_selectorIN3c104HalfELb1EEEZNS1_14transform_implILb1ES3_S7_PS6_S9_NS0_8identityIS6_EEEE10hipError_tT2_T3_mT4_P12ihipStream_tbEUlT_E_NS1_11comp_targetILNS1_3genE10ELNS1_11target_archE1201ELNS1_3gpuE5ELNS1_3repE0EEENS1_30default_config_static_selectorELNS0_4arch9wavefront6targetE0EEEvT1_
    .private_segment_fixed_size: 0
    .sgpr_count:     0
    .sgpr_spill_count: 0
    .symbol:         _ZN7rocprim17ROCPRIM_400000_NS6detail17trampoline_kernelINS0_14default_configENS1_25transform_config_selectorIN3c104HalfELb1EEEZNS1_14transform_implILb1ES3_S7_PS6_S9_NS0_8identityIS6_EEEE10hipError_tT2_T3_mT4_P12ihipStream_tbEUlT_E_NS1_11comp_targetILNS1_3genE10ELNS1_11target_archE1201ELNS1_3gpuE5ELNS1_3repE0EEENS1_30default_config_static_selectorELNS0_4arch9wavefront6targetE0EEEvT1_.kd
    .uniform_work_group_size: 1
    .uses_dynamic_stack: false
    .vgpr_count:     0
    .vgpr_spill_count: 0
    .wavefront_size: 32
    .workgroup_processor_mode: 1
  - .args:
      - .offset:         0
        .size:           40
        .value_kind:     by_value
    .group_segment_fixed_size: 0
    .kernarg_segment_align: 8
    .kernarg_segment_size: 40
    .language:       OpenCL C
    .language_version:
      - 2
      - 0
    .max_flat_workgroup_size: 256
    .name:           _ZN7rocprim17ROCPRIM_400000_NS6detail17trampoline_kernelINS0_14default_configENS1_25transform_config_selectorIN3c104HalfELb1EEEZNS1_14transform_implILb1ES3_S7_PS6_S9_NS0_8identityIS6_EEEE10hipError_tT2_T3_mT4_P12ihipStream_tbEUlT_E_NS1_11comp_targetILNS1_3genE5ELNS1_11target_archE942ELNS1_3gpuE9ELNS1_3repE0EEENS1_30default_config_static_selectorELNS0_4arch9wavefront6targetE0EEEvT1_
    .private_segment_fixed_size: 0
    .sgpr_count:     0
    .sgpr_spill_count: 0
    .symbol:         _ZN7rocprim17ROCPRIM_400000_NS6detail17trampoline_kernelINS0_14default_configENS1_25transform_config_selectorIN3c104HalfELb1EEEZNS1_14transform_implILb1ES3_S7_PS6_S9_NS0_8identityIS6_EEEE10hipError_tT2_T3_mT4_P12ihipStream_tbEUlT_E_NS1_11comp_targetILNS1_3genE5ELNS1_11target_archE942ELNS1_3gpuE9ELNS1_3repE0EEENS1_30default_config_static_selectorELNS0_4arch9wavefront6targetE0EEEvT1_.kd
    .uniform_work_group_size: 1
    .uses_dynamic_stack: false
    .vgpr_count:     0
    .vgpr_spill_count: 0
    .wavefront_size: 32
    .workgroup_processor_mode: 1
  - .args:
      - .offset:         0
        .size:           40
        .value_kind:     by_value
    .group_segment_fixed_size: 0
    .kernarg_segment_align: 8
    .kernarg_segment_size: 40
    .language:       OpenCL C
    .language_version:
      - 2
      - 0
    .max_flat_workgroup_size: 1024
    .name:           _ZN7rocprim17ROCPRIM_400000_NS6detail17trampoline_kernelINS0_14default_configENS1_25transform_config_selectorIN3c104HalfELb1EEEZNS1_14transform_implILb1ES3_S7_PS6_S9_NS0_8identityIS6_EEEE10hipError_tT2_T3_mT4_P12ihipStream_tbEUlT_E_NS1_11comp_targetILNS1_3genE4ELNS1_11target_archE910ELNS1_3gpuE8ELNS1_3repE0EEENS1_30default_config_static_selectorELNS0_4arch9wavefront6targetE0EEEvT1_
    .private_segment_fixed_size: 0
    .sgpr_count:     0
    .sgpr_spill_count: 0
    .symbol:         _ZN7rocprim17ROCPRIM_400000_NS6detail17trampoline_kernelINS0_14default_configENS1_25transform_config_selectorIN3c104HalfELb1EEEZNS1_14transform_implILb1ES3_S7_PS6_S9_NS0_8identityIS6_EEEE10hipError_tT2_T3_mT4_P12ihipStream_tbEUlT_E_NS1_11comp_targetILNS1_3genE4ELNS1_11target_archE910ELNS1_3gpuE8ELNS1_3repE0EEENS1_30default_config_static_selectorELNS0_4arch9wavefront6targetE0EEEvT1_.kd
    .uniform_work_group_size: 1
    .uses_dynamic_stack: false
    .vgpr_count:     0
    .vgpr_spill_count: 0
    .wavefront_size: 32
    .workgroup_processor_mode: 1
  - .args:
      - .offset:         0
        .size:           40
        .value_kind:     by_value
    .group_segment_fixed_size: 0
    .kernarg_segment_align: 8
    .kernarg_segment_size: 40
    .language:       OpenCL C
    .language_version:
      - 2
      - 0
    .max_flat_workgroup_size: 128
    .name:           _ZN7rocprim17ROCPRIM_400000_NS6detail17trampoline_kernelINS0_14default_configENS1_25transform_config_selectorIN3c104HalfELb1EEEZNS1_14transform_implILb1ES3_S7_PS6_S9_NS0_8identityIS6_EEEE10hipError_tT2_T3_mT4_P12ihipStream_tbEUlT_E_NS1_11comp_targetILNS1_3genE3ELNS1_11target_archE908ELNS1_3gpuE7ELNS1_3repE0EEENS1_30default_config_static_selectorELNS0_4arch9wavefront6targetE0EEEvT1_
    .private_segment_fixed_size: 0
    .sgpr_count:     0
    .sgpr_spill_count: 0
    .symbol:         _ZN7rocprim17ROCPRIM_400000_NS6detail17trampoline_kernelINS0_14default_configENS1_25transform_config_selectorIN3c104HalfELb1EEEZNS1_14transform_implILb1ES3_S7_PS6_S9_NS0_8identityIS6_EEEE10hipError_tT2_T3_mT4_P12ihipStream_tbEUlT_E_NS1_11comp_targetILNS1_3genE3ELNS1_11target_archE908ELNS1_3gpuE7ELNS1_3repE0EEENS1_30default_config_static_selectorELNS0_4arch9wavefront6targetE0EEEvT1_.kd
    .uniform_work_group_size: 1
    .uses_dynamic_stack: false
    .vgpr_count:     0
    .vgpr_spill_count: 0
    .wavefront_size: 32
    .workgroup_processor_mode: 1
  - .args:
      - .offset:         0
        .size:           40
        .value_kind:     by_value
    .group_segment_fixed_size: 0
    .kernarg_segment_align: 8
    .kernarg_segment_size: 40
    .language:       OpenCL C
    .language_version:
      - 2
      - 0
    .max_flat_workgroup_size: 1024
    .name:           _ZN7rocprim17ROCPRIM_400000_NS6detail17trampoline_kernelINS0_14default_configENS1_25transform_config_selectorIN3c104HalfELb1EEEZNS1_14transform_implILb1ES3_S7_PS6_S9_NS0_8identityIS6_EEEE10hipError_tT2_T3_mT4_P12ihipStream_tbEUlT_E_NS1_11comp_targetILNS1_3genE2ELNS1_11target_archE906ELNS1_3gpuE6ELNS1_3repE0EEENS1_30default_config_static_selectorELNS0_4arch9wavefront6targetE0EEEvT1_
    .private_segment_fixed_size: 0
    .sgpr_count:     0
    .sgpr_spill_count: 0
    .symbol:         _ZN7rocprim17ROCPRIM_400000_NS6detail17trampoline_kernelINS0_14default_configENS1_25transform_config_selectorIN3c104HalfELb1EEEZNS1_14transform_implILb1ES3_S7_PS6_S9_NS0_8identityIS6_EEEE10hipError_tT2_T3_mT4_P12ihipStream_tbEUlT_E_NS1_11comp_targetILNS1_3genE2ELNS1_11target_archE906ELNS1_3gpuE6ELNS1_3repE0EEENS1_30default_config_static_selectorELNS0_4arch9wavefront6targetE0EEEvT1_.kd
    .uniform_work_group_size: 1
    .uses_dynamic_stack: false
    .vgpr_count:     0
    .vgpr_spill_count: 0
    .wavefront_size: 32
    .workgroup_processor_mode: 1
  - .args:
      - .offset:         0
        .size:           40
        .value_kind:     by_value
    .group_segment_fixed_size: 0
    .kernarg_segment_align: 8
    .kernarg_segment_size: 40
    .language:       OpenCL C
    .language_version:
      - 2
      - 0
    .max_flat_workgroup_size: 1024
    .name:           _ZN7rocprim17ROCPRIM_400000_NS6detail17trampoline_kernelINS0_14default_configENS1_25transform_config_selectorIN3c104HalfELb1EEEZNS1_14transform_implILb1ES3_S7_PS6_S9_NS0_8identityIS6_EEEE10hipError_tT2_T3_mT4_P12ihipStream_tbEUlT_E_NS1_11comp_targetILNS1_3genE9ELNS1_11target_archE1100ELNS1_3gpuE3ELNS1_3repE0EEENS1_30default_config_static_selectorELNS0_4arch9wavefront6targetE0EEEvT1_
    .private_segment_fixed_size: 0
    .sgpr_count:     0
    .sgpr_spill_count: 0
    .symbol:         _ZN7rocprim17ROCPRIM_400000_NS6detail17trampoline_kernelINS0_14default_configENS1_25transform_config_selectorIN3c104HalfELb1EEEZNS1_14transform_implILb1ES3_S7_PS6_S9_NS0_8identityIS6_EEEE10hipError_tT2_T3_mT4_P12ihipStream_tbEUlT_E_NS1_11comp_targetILNS1_3genE9ELNS1_11target_archE1100ELNS1_3gpuE3ELNS1_3repE0EEENS1_30default_config_static_selectorELNS0_4arch9wavefront6targetE0EEEvT1_.kd
    .uniform_work_group_size: 1
    .uses_dynamic_stack: false
    .vgpr_count:     0
    .vgpr_spill_count: 0
    .wavefront_size: 32
    .workgroup_processor_mode: 1
  - .args:
      - .offset:         0
        .size:           40
        .value_kind:     by_value
      - .offset:         40
        .size:           4
        .value_kind:     hidden_block_count_x
      - .offset:         44
        .size:           4
        .value_kind:     hidden_block_count_y
      - .offset:         48
        .size:           4
        .value_kind:     hidden_block_count_z
      - .offset:         52
        .size:           2
        .value_kind:     hidden_group_size_x
      - .offset:         54
        .size:           2
        .value_kind:     hidden_group_size_y
      - .offset:         56
        .size:           2
        .value_kind:     hidden_group_size_z
      - .offset:         58
        .size:           2
        .value_kind:     hidden_remainder_x
      - .offset:         60
        .size:           2
        .value_kind:     hidden_remainder_y
      - .offset:         62
        .size:           2
        .value_kind:     hidden_remainder_z
      - .offset:         80
        .size:           8
        .value_kind:     hidden_global_offset_x
      - .offset:         88
        .size:           8
        .value_kind:     hidden_global_offset_y
      - .offset:         96
        .size:           8
        .value_kind:     hidden_global_offset_z
      - .offset:         104
        .size:           2
        .value_kind:     hidden_grid_dims
    .group_segment_fixed_size: 0
    .kernarg_segment_align: 8
    .kernarg_segment_size: 296
    .language:       OpenCL C
    .language_version:
      - 2
      - 0
    .max_flat_workgroup_size: 1024
    .name:           _ZN7rocprim17ROCPRIM_400000_NS6detail17trampoline_kernelINS0_14default_configENS1_25transform_config_selectorIN3c104HalfELb1EEEZNS1_14transform_implILb1ES3_S7_PS6_S9_NS0_8identityIS6_EEEE10hipError_tT2_T3_mT4_P12ihipStream_tbEUlT_E_NS1_11comp_targetILNS1_3genE8ELNS1_11target_archE1030ELNS1_3gpuE2ELNS1_3repE0EEENS1_30default_config_static_selectorELNS0_4arch9wavefront6targetE0EEEvT1_
    .private_segment_fixed_size: 0
    .sgpr_count:     14
    .sgpr_spill_count: 0
    .symbol:         _ZN7rocprim17ROCPRIM_400000_NS6detail17trampoline_kernelINS0_14default_configENS1_25transform_config_selectorIN3c104HalfELb1EEEZNS1_14transform_implILb1ES3_S7_PS6_S9_NS0_8identityIS6_EEEE10hipError_tT2_T3_mT4_P12ihipStream_tbEUlT_E_NS1_11comp_targetILNS1_3genE8ELNS1_11target_archE1030ELNS1_3gpuE2ELNS1_3repE0EEENS1_30default_config_static_selectorELNS0_4arch9wavefront6targetE0EEEvT1_.kd
    .uniform_work_group_size: 1
    .uses_dynamic_stack: false
    .vgpr_count:     2
    .vgpr_spill_count: 0
    .wavefront_size: 32
    .workgroup_processor_mode: 1
  - .args:
      - .offset:         0
        .size:           32
        .value_kind:     by_value
    .group_segment_fixed_size: 0
    .kernarg_segment_align: 8
    .kernarg_segment_size: 32
    .language:       OpenCL C
    .language_version:
      - 2
      - 0
    .max_flat_workgroup_size: 128
    .name:           _ZN7rocprim17ROCPRIM_400000_NS6detail17trampoline_kernelINS0_14default_configENS1_20scan_config_selectorIN3c104HalfEEEZZNS1_9scan_implILNS1_25lookback_scan_determinismE0ELb0ELb0ES3_PKS6_PS6_S6_ZZZN2at6native31launch_logcumsumexp_cuda_kernelERKNSD_10TensorBaseESH_lENKUlvE_clEvENKUlvE3_clEvEUlS6_S6_E_S6_EEDaPvRmT3_T4_T5_mT6_P12ihipStream_tbENKUlT_T0_E_clISt17integral_constantIbLb0EESY_EEDaST_SU_EUlST_E0_NS1_11comp_targetILNS1_3genE0ELNS1_11target_archE4294967295ELNS1_3gpuE0ELNS1_3repE0EEENS1_30default_config_static_selectorELNS0_4arch9wavefront6targetE0EEEvT1_
    .private_segment_fixed_size: 0
    .sgpr_count:     0
    .sgpr_spill_count: 0
    .symbol:         _ZN7rocprim17ROCPRIM_400000_NS6detail17trampoline_kernelINS0_14default_configENS1_20scan_config_selectorIN3c104HalfEEEZZNS1_9scan_implILNS1_25lookback_scan_determinismE0ELb0ELb0ES3_PKS6_PS6_S6_ZZZN2at6native31launch_logcumsumexp_cuda_kernelERKNSD_10TensorBaseESH_lENKUlvE_clEvENKUlvE3_clEvEUlS6_S6_E_S6_EEDaPvRmT3_T4_T5_mT6_P12ihipStream_tbENKUlT_T0_E_clISt17integral_constantIbLb0EESY_EEDaST_SU_EUlST_E0_NS1_11comp_targetILNS1_3genE0ELNS1_11target_archE4294967295ELNS1_3gpuE0ELNS1_3repE0EEENS1_30default_config_static_selectorELNS0_4arch9wavefront6targetE0EEEvT1_.kd
    .uniform_work_group_size: 1
    .uses_dynamic_stack: false
    .vgpr_count:     0
    .vgpr_spill_count: 0
    .wavefront_size: 32
    .workgroup_processor_mode: 1
  - .args:
      - .offset:         0
        .size:           32
        .value_kind:     by_value
    .group_segment_fixed_size: 0
    .kernarg_segment_align: 8
    .kernarg_segment_size: 32
    .language:       OpenCL C
    .language_version:
      - 2
      - 0
    .max_flat_workgroup_size: 256
    .name:           _ZN7rocprim17ROCPRIM_400000_NS6detail17trampoline_kernelINS0_14default_configENS1_20scan_config_selectorIN3c104HalfEEEZZNS1_9scan_implILNS1_25lookback_scan_determinismE0ELb0ELb0ES3_PKS6_PS6_S6_ZZZN2at6native31launch_logcumsumexp_cuda_kernelERKNSD_10TensorBaseESH_lENKUlvE_clEvENKUlvE3_clEvEUlS6_S6_E_S6_EEDaPvRmT3_T4_T5_mT6_P12ihipStream_tbENKUlT_T0_E_clISt17integral_constantIbLb0EESY_EEDaST_SU_EUlST_E0_NS1_11comp_targetILNS1_3genE5ELNS1_11target_archE942ELNS1_3gpuE9ELNS1_3repE0EEENS1_30default_config_static_selectorELNS0_4arch9wavefront6targetE0EEEvT1_
    .private_segment_fixed_size: 0
    .sgpr_count:     0
    .sgpr_spill_count: 0
    .symbol:         _ZN7rocprim17ROCPRIM_400000_NS6detail17trampoline_kernelINS0_14default_configENS1_20scan_config_selectorIN3c104HalfEEEZZNS1_9scan_implILNS1_25lookback_scan_determinismE0ELb0ELb0ES3_PKS6_PS6_S6_ZZZN2at6native31launch_logcumsumexp_cuda_kernelERKNSD_10TensorBaseESH_lENKUlvE_clEvENKUlvE3_clEvEUlS6_S6_E_S6_EEDaPvRmT3_T4_T5_mT6_P12ihipStream_tbENKUlT_T0_E_clISt17integral_constantIbLb0EESY_EEDaST_SU_EUlST_E0_NS1_11comp_targetILNS1_3genE5ELNS1_11target_archE942ELNS1_3gpuE9ELNS1_3repE0EEENS1_30default_config_static_selectorELNS0_4arch9wavefront6targetE0EEEvT1_.kd
    .uniform_work_group_size: 1
    .uses_dynamic_stack: false
    .vgpr_count:     0
    .vgpr_spill_count: 0
    .wavefront_size: 32
    .workgroup_processor_mode: 1
  - .args:
      - .offset:         0
        .size:           32
        .value_kind:     by_value
    .group_segment_fixed_size: 0
    .kernarg_segment_align: 8
    .kernarg_segment_size: 32
    .language:       OpenCL C
    .language_version:
      - 2
      - 0
    .max_flat_workgroup_size: 64
    .name:           _ZN7rocprim17ROCPRIM_400000_NS6detail17trampoline_kernelINS0_14default_configENS1_20scan_config_selectorIN3c104HalfEEEZZNS1_9scan_implILNS1_25lookback_scan_determinismE0ELb0ELb0ES3_PKS6_PS6_S6_ZZZN2at6native31launch_logcumsumexp_cuda_kernelERKNSD_10TensorBaseESH_lENKUlvE_clEvENKUlvE3_clEvEUlS6_S6_E_S6_EEDaPvRmT3_T4_T5_mT6_P12ihipStream_tbENKUlT_T0_E_clISt17integral_constantIbLb0EESY_EEDaST_SU_EUlST_E0_NS1_11comp_targetILNS1_3genE4ELNS1_11target_archE910ELNS1_3gpuE8ELNS1_3repE0EEENS1_30default_config_static_selectorELNS0_4arch9wavefront6targetE0EEEvT1_
    .private_segment_fixed_size: 0
    .sgpr_count:     0
    .sgpr_spill_count: 0
    .symbol:         _ZN7rocprim17ROCPRIM_400000_NS6detail17trampoline_kernelINS0_14default_configENS1_20scan_config_selectorIN3c104HalfEEEZZNS1_9scan_implILNS1_25lookback_scan_determinismE0ELb0ELb0ES3_PKS6_PS6_S6_ZZZN2at6native31launch_logcumsumexp_cuda_kernelERKNSD_10TensorBaseESH_lENKUlvE_clEvENKUlvE3_clEvEUlS6_S6_E_S6_EEDaPvRmT3_T4_T5_mT6_P12ihipStream_tbENKUlT_T0_E_clISt17integral_constantIbLb0EESY_EEDaST_SU_EUlST_E0_NS1_11comp_targetILNS1_3genE4ELNS1_11target_archE910ELNS1_3gpuE8ELNS1_3repE0EEENS1_30default_config_static_selectorELNS0_4arch9wavefront6targetE0EEEvT1_.kd
    .uniform_work_group_size: 1
    .uses_dynamic_stack: false
    .vgpr_count:     0
    .vgpr_spill_count: 0
    .wavefront_size: 32
    .workgroup_processor_mode: 1
  - .args:
      - .offset:         0
        .size:           32
        .value_kind:     by_value
    .group_segment_fixed_size: 0
    .kernarg_segment_align: 8
    .kernarg_segment_size: 32
    .language:       OpenCL C
    .language_version:
      - 2
      - 0
    .max_flat_workgroup_size: 128
    .name:           _ZN7rocprim17ROCPRIM_400000_NS6detail17trampoline_kernelINS0_14default_configENS1_20scan_config_selectorIN3c104HalfEEEZZNS1_9scan_implILNS1_25lookback_scan_determinismE0ELb0ELb0ES3_PKS6_PS6_S6_ZZZN2at6native31launch_logcumsumexp_cuda_kernelERKNSD_10TensorBaseESH_lENKUlvE_clEvENKUlvE3_clEvEUlS6_S6_E_S6_EEDaPvRmT3_T4_T5_mT6_P12ihipStream_tbENKUlT_T0_E_clISt17integral_constantIbLb0EESY_EEDaST_SU_EUlST_E0_NS1_11comp_targetILNS1_3genE3ELNS1_11target_archE908ELNS1_3gpuE7ELNS1_3repE0EEENS1_30default_config_static_selectorELNS0_4arch9wavefront6targetE0EEEvT1_
    .private_segment_fixed_size: 0
    .sgpr_count:     0
    .sgpr_spill_count: 0
    .symbol:         _ZN7rocprim17ROCPRIM_400000_NS6detail17trampoline_kernelINS0_14default_configENS1_20scan_config_selectorIN3c104HalfEEEZZNS1_9scan_implILNS1_25lookback_scan_determinismE0ELb0ELb0ES3_PKS6_PS6_S6_ZZZN2at6native31launch_logcumsumexp_cuda_kernelERKNSD_10TensorBaseESH_lENKUlvE_clEvENKUlvE3_clEvEUlS6_S6_E_S6_EEDaPvRmT3_T4_T5_mT6_P12ihipStream_tbENKUlT_T0_E_clISt17integral_constantIbLb0EESY_EEDaST_SU_EUlST_E0_NS1_11comp_targetILNS1_3genE3ELNS1_11target_archE908ELNS1_3gpuE7ELNS1_3repE0EEENS1_30default_config_static_selectorELNS0_4arch9wavefront6targetE0EEEvT1_.kd
    .uniform_work_group_size: 1
    .uses_dynamic_stack: false
    .vgpr_count:     0
    .vgpr_spill_count: 0
    .wavefront_size: 32
    .workgroup_processor_mode: 1
  - .args:
      - .offset:         0
        .size:           32
        .value_kind:     by_value
    .group_segment_fixed_size: 0
    .kernarg_segment_align: 8
    .kernarg_segment_size: 32
    .language:       OpenCL C
    .language_version:
      - 2
      - 0
    .max_flat_workgroup_size: 256
    .name:           _ZN7rocprim17ROCPRIM_400000_NS6detail17trampoline_kernelINS0_14default_configENS1_20scan_config_selectorIN3c104HalfEEEZZNS1_9scan_implILNS1_25lookback_scan_determinismE0ELb0ELb0ES3_PKS6_PS6_S6_ZZZN2at6native31launch_logcumsumexp_cuda_kernelERKNSD_10TensorBaseESH_lENKUlvE_clEvENKUlvE3_clEvEUlS6_S6_E_S6_EEDaPvRmT3_T4_T5_mT6_P12ihipStream_tbENKUlT_T0_E_clISt17integral_constantIbLb0EESY_EEDaST_SU_EUlST_E0_NS1_11comp_targetILNS1_3genE2ELNS1_11target_archE906ELNS1_3gpuE6ELNS1_3repE0EEENS1_30default_config_static_selectorELNS0_4arch9wavefront6targetE0EEEvT1_
    .private_segment_fixed_size: 0
    .sgpr_count:     0
    .sgpr_spill_count: 0
    .symbol:         _ZN7rocprim17ROCPRIM_400000_NS6detail17trampoline_kernelINS0_14default_configENS1_20scan_config_selectorIN3c104HalfEEEZZNS1_9scan_implILNS1_25lookback_scan_determinismE0ELb0ELb0ES3_PKS6_PS6_S6_ZZZN2at6native31launch_logcumsumexp_cuda_kernelERKNSD_10TensorBaseESH_lENKUlvE_clEvENKUlvE3_clEvEUlS6_S6_E_S6_EEDaPvRmT3_T4_T5_mT6_P12ihipStream_tbENKUlT_T0_E_clISt17integral_constantIbLb0EESY_EEDaST_SU_EUlST_E0_NS1_11comp_targetILNS1_3genE2ELNS1_11target_archE906ELNS1_3gpuE6ELNS1_3repE0EEENS1_30default_config_static_selectorELNS0_4arch9wavefront6targetE0EEEvT1_.kd
    .uniform_work_group_size: 1
    .uses_dynamic_stack: false
    .vgpr_count:     0
    .vgpr_spill_count: 0
    .wavefront_size: 32
    .workgroup_processor_mode: 1
  - .args:
      - .offset:         0
        .size:           32
        .value_kind:     by_value
    .group_segment_fixed_size: 0
    .kernarg_segment_align: 8
    .kernarg_segment_size: 32
    .language:       OpenCL C
    .language_version:
      - 2
      - 0
    .max_flat_workgroup_size: 256
    .name:           _ZN7rocprim17ROCPRIM_400000_NS6detail17trampoline_kernelINS0_14default_configENS1_20scan_config_selectorIN3c104HalfEEEZZNS1_9scan_implILNS1_25lookback_scan_determinismE0ELb0ELb0ES3_PKS6_PS6_S6_ZZZN2at6native31launch_logcumsumexp_cuda_kernelERKNSD_10TensorBaseESH_lENKUlvE_clEvENKUlvE3_clEvEUlS6_S6_E_S6_EEDaPvRmT3_T4_T5_mT6_P12ihipStream_tbENKUlT_T0_E_clISt17integral_constantIbLb0EESY_EEDaST_SU_EUlST_E0_NS1_11comp_targetILNS1_3genE10ELNS1_11target_archE1201ELNS1_3gpuE5ELNS1_3repE0EEENS1_30default_config_static_selectorELNS0_4arch9wavefront6targetE0EEEvT1_
    .private_segment_fixed_size: 0
    .sgpr_count:     0
    .sgpr_spill_count: 0
    .symbol:         _ZN7rocprim17ROCPRIM_400000_NS6detail17trampoline_kernelINS0_14default_configENS1_20scan_config_selectorIN3c104HalfEEEZZNS1_9scan_implILNS1_25lookback_scan_determinismE0ELb0ELb0ES3_PKS6_PS6_S6_ZZZN2at6native31launch_logcumsumexp_cuda_kernelERKNSD_10TensorBaseESH_lENKUlvE_clEvENKUlvE3_clEvEUlS6_S6_E_S6_EEDaPvRmT3_T4_T5_mT6_P12ihipStream_tbENKUlT_T0_E_clISt17integral_constantIbLb0EESY_EEDaST_SU_EUlST_E0_NS1_11comp_targetILNS1_3genE10ELNS1_11target_archE1201ELNS1_3gpuE5ELNS1_3repE0EEENS1_30default_config_static_selectorELNS0_4arch9wavefront6targetE0EEEvT1_.kd
    .uniform_work_group_size: 1
    .uses_dynamic_stack: false
    .vgpr_count:     0
    .vgpr_spill_count: 0
    .wavefront_size: 32
    .workgroup_processor_mode: 1
  - .args:
      - .offset:         0
        .size:           32
        .value_kind:     by_value
    .group_segment_fixed_size: 0
    .kernarg_segment_align: 8
    .kernarg_segment_size: 32
    .language:       OpenCL C
    .language_version:
      - 2
      - 0
    .max_flat_workgroup_size: 256
    .name:           _ZN7rocprim17ROCPRIM_400000_NS6detail17trampoline_kernelINS0_14default_configENS1_20scan_config_selectorIN3c104HalfEEEZZNS1_9scan_implILNS1_25lookback_scan_determinismE0ELb0ELb0ES3_PKS6_PS6_S6_ZZZN2at6native31launch_logcumsumexp_cuda_kernelERKNSD_10TensorBaseESH_lENKUlvE_clEvENKUlvE3_clEvEUlS6_S6_E_S6_EEDaPvRmT3_T4_T5_mT6_P12ihipStream_tbENKUlT_T0_E_clISt17integral_constantIbLb0EESY_EEDaST_SU_EUlST_E0_NS1_11comp_targetILNS1_3genE10ELNS1_11target_archE1200ELNS1_3gpuE4ELNS1_3repE0EEENS1_30default_config_static_selectorELNS0_4arch9wavefront6targetE0EEEvT1_
    .private_segment_fixed_size: 0
    .sgpr_count:     0
    .sgpr_spill_count: 0
    .symbol:         _ZN7rocprim17ROCPRIM_400000_NS6detail17trampoline_kernelINS0_14default_configENS1_20scan_config_selectorIN3c104HalfEEEZZNS1_9scan_implILNS1_25lookback_scan_determinismE0ELb0ELb0ES3_PKS6_PS6_S6_ZZZN2at6native31launch_logcumsumexp_cuda_kernelERKNSD_10TensorBaseESH_lENKUlvE_clEvENKUlvE3_clEvEUlS6_S6_E_S6_EEDaPvRmT3_T4_T5_mT6_P12ihipStream_tbENKUlT_T0_E_clISt17integral_constantIbLb0EESY_EEDaST_SU_EUlST_E0_NS1_11comp_targetILNS1_3genE10ELNS1_11target_archE1200ELNS1_3gpuE4ELNS1_3repE0EEENS1_30default_config_static_selectorELNS0_4arch9wavefront6targetE0EEEvT1_.kd
    .uniform_work_group_size: 1
    .uses_dynamic_stack: false
    .vgpr_count:     0
    .vgpr_spill_count: 0
    .wavefront_size: 32
    .workgroup_processor_mode: 1
  - .args:
      - .offset:         0
        .size:           32
        .value_kind:     by_value
    .group_segment_fixed_size: 0
    .kernarg_segment_align: 8
    .kernarg_segment_size: 32
    .language:       OpenCL C
    .language_version:
      - 2
      - 0
    .max_flat_workgroup_size: 64
    .name:           _ZN7rocprim17ROCPRIM_400000_NS6detail17trampoline_kernelINS0_14default_configENS1_20scan_config_selectorIN3c104HalfEEEZZNS1_9scan_implILNS1_25lookback_scan_determinismE0ELb0ELb0ES3_PKS6_PS6_S6_ZZZN2at6native31launch_logcumsumexp_cuda_kernelERKNSD_10TensorBaseESH_lENKUlvE_clEvENKUlvE3_clEvEUlS6_S6_E_S6_EEDaPvRmT3_T4_T5_mT6_P12ihipStream_tbENKUlT_T0_E_clISt17integral_constantIbLb0EESY_EEDaST_SU_EUlST_E0_NS1_11comp_targetILNS1_3genE9ELNS1_11target_archE1100ELNS1_3gpuE3ELNS1_3repE0EEENS1_30default_config_static_selectorELNS0_4arch9wavefront6targetE0EEEvT1_
    .private_segment_fixed_size: 0
    .sgpr_count:     0
    .sgpr_spill_count: 0
    .symbol:         _ZN7rocprim17ROCPRIM_400000_NS6detail17trampoline_kernelINS0_14default_configENS1_20scan_config_selectorIN3c104HalfEEEZZNS1_9scan_implILNS1_25lookback_scan_determinismE0ELb0ELb0ES3_PKS6_PS6_S6_ZZZN2at6native31launch_logcumsumexp_cuda_kernelERKNSD_10TensorBaseESH_lENKUlvE_clEvENKUlvE3_clEvEUlS6_S6_E_S6_EEDaPvRmT3_T4_T5_mT6_P12ihipStream_tbENKUlT_T0_E_clISt17integral_constantIbLb0EESY_EEDaST_SU_EUlST_E0_NS1_11comp_targetILNS1_3genE9ELNS1_11target_archE1100ELNS1_3gpuE3ELNS1_3repE0EEENS1_30default_config_static_selectorELNS0_4arch9wavefront6targetE0EEEvT1_.kd
    .uniform_work_group_size: 1
    .uses_dynamic_stack: false
    .vgpr_count:     0
    .vgpr_spill_count: 0
    .wavefront_size: 32
    .workgroup_processor_mode: 1
  - .args:
      - .offset:         0
        .size:           32
        .value_kind:     by_value
    .group_segment_fixed_size: 1536
    .kernarg_segment_align: 8
    .kernarg_segment_size: 32
    .language:       OpenCL C
    .language_version:
      - 2
      - 0
    .max_flat_workgroup_size: 64
    .name:           _ZN7rocprim17ROCPRIM_400000_NS6detail17trampoline_kernelINS0_14default_configENS1_20scan_config_selectorIN3c104HalfEEEZZNS1_9scan_implILNS1_25lookback_scan_determinismE0ELb0ELb0ES3_PKS6_PS6_S6_ZZZN2at6native31launch_logcumsumexp_cuda_kernelERKNSD_10TensorBaseESH_lENKUlvE_clEvENKUlvE3_clEvEUlS6_S6_E_S6_EEDaPvRmT3_T4_T5_mT6_P12ihipStream_tbENKUlT_T0_E_clISt17integral_constantIbLb0EESY_EEDaST_SU_EUlST_E0_NS1_11comp_targetILNS1_3genE8ELNS1_11target_archE1030ELNS1_3gpuE2ELNS1_3repE0EEENS1_30default_config_static_selectorELNS0_4arch9wavefront6targetE0EEEvT1_
    .private_segment_fixed_size: 0
    .sgpr_count:     32
    .sgpr_spill_count: 0
    .symbol:         _ZN7rocprim17ROCPRIM_400000_NS6detail17trampoline_kernelINS0_14default_configENS1_20scan_config_selectorIN3c104HalfEEEZZNS1_9scan_implILNS1_25lookback_scan_determinismE0ELb0ELb0ES3_PKS6_PS6_S6_ZZZN2at6native31launch_logcumsumexp_cuda_kernelERKNSD_10TensorBaseESH_lENKUlvE_clEvENKUlvE3_clEvEUlS6_S6_E_S6_EEDaPvRmT3_T4_T5_mT6_P12ihipStream_tbENKUlT_T0_E_clISt17integral_constantIbLb0EESY_EEDaST_SU_EUlST_E0_NS1_11comp_targetILNS1_3genE8ELNS1_11target_archE1030ELNS1_3gpuE2ELNS1_3repE0EEENS1_30default_config_static_selectorELNS0_4arch9wavefront6targetE0EEEvT1_.kd
    .uniform_work_group_size: 1
    .uses_dynamic_stack: false
    .vgpr_count:     36
    .vgpr_spill_count: 0
    .wavefront_size: 32
    .workgroup_processor_mode: 1
  - .args:
      - .address_space:  global
        .offset:         0
        .size:           8
        .value_kind:     global_buffer
      - .offset:         8
        .size:           4
        .value_kind:     by_value
      - .address_space:  global
        .offset:         16
        .size:           8
        .value_kind:     global_buffer
      - .offset:         24
        .size:           4
        .value_kind:     by_value
      - .address_space:  global
        .offset:         32
        .size:           8
        .value_kind:     global_buffer
      - .offset:         40
        .size:           4
        .value_kind:     hidden_block_count_x
      - .offset:         44
        .size:           4
        .value_kind:     hidden_block_count_y
      - .offset:         48
        .size:           4
        .value_kind:     hidden_block_count_z
      - .offset:         52
        .size:           2
        .value_kind:     hidden_group_size_x
      - .offset:         54
        .size:           2
        .value_kind:     hidden_group_size_y
      - .offset:         56
        .size:           2
        .value_kind:     hidden_group_size_z
      - .offset:         58
        .size:           2
        .value_kind:     hidden_remainder_x
      - .offset:         60
        .size:           2
        .value_kind:     hidden_remainder_y
      - .offset:         62
        .size:           2
        .value_kind:     hidden_remainder_z
      - .offset:         80
        .size:           8
        .value_kind:     hidden_global_offset_x
      - .offset:         88
        .size:           8
        .value_kind:     hidden_global_offset_y
      - .offset:         96
        .size:           8
        .value_kind:     hidden_global_offset_z
      - .offset:         104
        .size:           2
        .value_kind:     hidden_grid_dims
    .group_segment_fixed_size: 0
    .kernarg_segment_align: 8
    .kernarg_segment_size: 296
    .language:       OpenCL C
    .language_version:
      - 2
      - 0
    .max_flat_workgroup_size: 256
    .name:           _ZN7rocprim17ROCPRIM_400000_NS6detail31init_lookback_scan_state_kernelINS1_19lookback_scan_stateIN3c104HalfELb1ELb1EEENS1_16block_id_wrapperIjLb1EEEEEvT_jT0_jPNS9_10value_typeE
    .private_segment_fixed_size: 0
    .sgpr_count:     14
    .sgpr_spill_count: 0
    .symbol:         _ZN7rocprim17ROCPRIM_400000_NS6detail31init_lookback_scan_state_kernelINS1_19lookback_scan_stateIN3c104HalfELb1ELb1EEENS1_16block_id_wrapperIjLb1EEEEEvT_jT0_jPNS9_10value_typeE.kd
    .uniform_work_group_size: 1
    .uses_dynamic_stack: false
    .vgpr_count:     5
    .vgpr_spill_count: 0
    .wavefront_size: 32
    .workgroup_processor_mode: 1
  - .args:
      - .offset:         0
        .size:           96
        .value_kind:     by_value
    .group_segment_fixed_size: 0
    .kernarg_segment_align: 8
    .kernarg_segment_size: 96
    .language:       OpenCL C
    .language_version:
      - 2
      - 0
    .max_flat_workgroup_size: 128
    .name:           _ZN7rocprim17ROCPRIM_400000_NS6detail17trampoline_kernelINS0_14default_configENS1_20scan_config_selectorIN3c104HalfEEEZZNS1_9scan_implILNS1_25lookback_scan_determinismE0ELb0ELb0ES3_PKS6_PS6_S6_ZZZN2at6native31launch_logcumsumexp_cuda_kernelERKNSD_10TensorBaseESH_lENKUlvE_clEvENKUlvE3_clEvEUlS6_S6_E_S6_EEDaPvRmT3_T4_T5_mT6_P12ihipStream_tbENKUlT_T0_E_clISt17integral_constantIbLb1EESY_EEDaST_SU_EUlST_E_NS1_11comp_targetILNS1_3genE0ELNS1_11target_archE4294967295ELNS1_3gpuE0ELNS1_3repE0EEENS1_30default_config_static_selectorELNS0_4arch9wavefront6targetE0EEEvT1_
    .private_segment_fixed_size: 0
    .sgpr_count:     0
    .sgpr_spill_count: 0
    .symbol:         _ZN7rocprim17ROCPRIM_400000_NS6detail17trampoline_kernelINS0_14default_configENS1_20scan_config_selectorIN3c104HalfEEEZZNS1_9scan_implILNS1_25lookback_scan_determinismE0ELb0ELb0ES3_PKS6_PS6_S6_ZZZN2at6native31launch_logcumsumexp_cuda_kernelERKNSD_10TensorBaseESH_lENKUlvE_clEvENKUlvE3_clEvEUlS6_S6_E_S6_EEDaPvRmT3_T4_T5_mT6_P12ihipStream_tbENKUlT_T0_E_clISt17integral_constantIbLb1EESY_EEDaST_SU_EUlST_E_NS1_11comp_targetILNS1_3genE0ELNS1_11target_archE4294967295ELNS1_3gpuE0ELNS1_3repE0EEENS1_30default_config_static_selectorELNS0_4arch9wavefront6targetE0EEEvT1_.kd
    .uniform_work_group_size: 1
    .uses_dynamic_stack: false
    .vgpr_count:     0
    .vgpr_spill_count: 0
    .wavefront_size: 32
    .workgroup_processor_mode: 1
  - .args:
      - .offset:         0
        .size:           96
        .value_kind:     by_value
    .group_segment_fixed_size: 0
    .kernarg_segment_align: 8
    .kernarg_segment_size: 96
    .language:       OpenCL C
    .language_version:
      - 2
      - 0
    .max_flat_workgroup_size: 256
    .name:           _ZN7rocprim17ROCPRIM_400000_NS6detail17trampoline_kernelINS0_14default_configENS1_20scan_config_selectorIN3c104HalfEEEZZNS1_9scan_implILNS1_25lookback_scan_determinismE0ELb0ELb0ES3_PKS6_PS6_S6_ZZZN2at6native31launch_logcumsumexp_cuda_kernelERKNSD_10TensorBaseESH_lENKUlvE_clEvENKUlvE3_clEvEUlS6_S6_E_S6_EEDaPvRmT3_T4_T5_mT6_P12ihipStream_tbENKUlT_T0_E_clISt17integral_constantIbLb1EESY_EEDaST_SU_EUlST_E_NS1_11comp_targetILNS1_3genE5ELNS1_11target_archE942ELNS1_3gpuE9ELNS1_3repE0EEENS1_30default_config_static_selectorELNS0_4arch9wavefront6targetE0EEEvT1_
    .private_segment_fixed_size: 0
    .sgpr_count:     0
    .sgpr_spill_count: 0
    .symbol:         _ZN7rocprim17ROCPRIM_400000_NS6detail17trampoline_kernelINS0_14default_configENS1_20scan_config_selectorIN3c104HalfEEEZZNS1_9scan_implILNS1_25lookback_scan_determinismE0ELb0ELb0ES3_PKS6_PS6_S6_ZZZN2at6native31launch_logcumsumexp_cuda_kernelERKNSD_10TensorBaseESH_lENKUlvE_clEvENKUlvE3_clEvEUlS6_S6_E_S6_EEDaPvRmT3_T4_T5_mT6_P12ihipStream_tbENKUlT_T0_E_clISt17integral_constantIbLb1EESY_EEDaST_SU_EUlST_E_NS1_11comp_targetILNS1_3genE5ELNS1_11target_archE942ELNS1_3gpuE9ELNS1_3repE0EEENS1_30default_config_static_selectorELNS0_4arch9wavefront6targetE0EEEvT1_.kd
    .uniform_work_group_size: 1
    .uses_dynamic_stack: false
    .vgpr_count:     0
    .vgpr_spill_count: 0
    .wavefront_size: 32
    .workgroup_processor_mode: 1
  - .args:
      - .offset:         0
        .size:           96
        .value_kind:     by_value
    .group_segment_fixed_size: 0
    .kernarg_segment_align: 8
    .kernarg_segment_size: 96
    .language:       OpenCL C
    .language_version:
      - 2
      - 0
    .max_flat_workgroup_size: 64
    .name:           _ZN7rocprim17ROCPRIM_400000_NS6detail17trampoline_kernelINS0_14default_configENS1_20scan_config_selectorIN3c104HalfEEEZZNS1_9scan_implILNS1_25lookback_scan_determinismE0ELb0ELb0ES3_PKS6_PS6_S6_ZZZN2at6native31launch_logcumsumexp_cuda_kernelERKNSD_10TensorBaseESH_lENKUlvE_clEvENKUlvE3_clEvEUlS6_S6_E_S6_EEDaPvRmT3_T4_T5_mT6_P12ihipStream_tbENKUlT_T0_E_clISt17integral_constantIbLb1EESY_EEDaST_SU_EUlST_E_NS1_11comp_targetILNS1_3genE4ELNS1_11target_archE910ELNS1_3gpuE8ELNS1_3repE0EEENS1_30default_config_static_selectorELNS0_4arch9wavefront6targetE0EEEvT1_
    .private_segment_fixed_size: 0
    .sgpr_count:     0
    .sgpr_spill_count: 0
    .symbol:         _ZN7rocprim17ROCPRIM_400000_NS6detail17trampoline_kernelINS0_14default_configENS1_20scan_config_selectorIN3c104HalfEEEZZNS1_9scan_implILNS1_25lookback_scan_determinismE0ELb0ELb0ES3_PKS6_PS6_S6_ZZZN2at6native31launch_logcumsumexp_cuda_kernelERKNSD_10TensorBaseESH_lENKUlvE_clEvENKUlvE3_clEvEUlS6_S6_E_S6_EEDaPvRmT3_T4_T5_mT6_P12ihipStream_tbENKUlT_T0_E_clISt17integral_constantIbLb1EESY_EEDaST_SU_EUlST_E_NS1_11comp_targetILNS1_3genE4ELNS1_11target_archE910ELNS1_3gpuE8ELNS1_3repE0EEENS1_30default_config_static_selectorELNS0_4arch9wavefront6targetE0EEEvT1_.kd
    .uniform_work_group_size: 1
    .uses_dynamic_stack: false
    .vgpr_count:     0
    .vgpr_spill_count: 0
    .wavefront_size: 32
    .workgroup_processor_mode: 1
  - .args:
      - .offset:         0
        .size:           96
        .value_kind:     by_value
    .group_segment_fixed_size: 0
    .kernarg_segment_align: 8
    .kernarg_segment_size: 96
    .language:       OpenCL C
    .language_version:
      - 2
      - 0
    .max_flat_workgroup_size: 128
    .name:           _ZN7rocprim17ROCPRIM_400000_NS6detail17trampoline_kernelINS0_14default_configENS1_20scan_config_selectorIN3c104HalfEEEZZNS1_9scan_implILNS1_25lookback_scan_determinismE0ELb0ELb0ES3_PKS6_PS6_S6_ZZZN2at6native31launch_logcumsumexp_cuda_kernelERKNSD_10TensorBaseESH_lENKUlvE_clEvENKUlvE3_clEvEUlS6_S6_E_S6_EEDaPvRmT3_T4_T5_mT6_P12ihipStream_tbENKUlT_T0_E_clISt17integral_constantIbLb1EESY_EEDaST_SU_EUlST_E_NS1_11comp_targetILNS1_3genE3ELNS1_11target_archE908ELNS1_3gpuE7ELNS1_3repE0EEENS1_30default_config_static_selectorELNS0_4arch9wavefront6targetE0EEEvT1_
    .private_segment_fixed_size: 0
    .sgpr_count:     0
    .sgpr_spill_count: 0
    .symbol:         _ZN7rocprim17ROCPRIM_400000_NS6detail17trampoline_kernelINS0_14default_configENS1_20scan_config_selectorIN3c104HalfEEEZZNS1_9scan_implILNS1_25lookback_scan_determinismE0ELb0ELb0ES3_PKS6_PS6_S6_ZZZN2at6native31launch_logcumsumexp_cuda_kernelERKNSD_10TensorBaseESH_lENKUlvE_clEvENKUlvE3_clEvEUlS6_S6_E_S6_EEDaPvRmT3_T4_T5_mT6_P12ihipStream_tbENKUlT_T0_E_clISt17integral_constantIbLb1EESY_EEDaST_SU_EUlST_E_NS1_11comp_targetILNS1_3genE3ELNS1_11target_archE908ELNS1_3gpuE7ELNS1_3repE0EEENS1_30default_config_static_selectorELNS0_4arch9wavefront6targetE0EEEvT1_.kd
    .uniform_work_group_size: 1
    .uses_dynamic_stack: false
    .vgpr_count:     0
    .vgpr_spill_count: 0
    .wavefront_size: 32
    .workgroup_processor_mode: 1
  - .args:
      - .offset:         0
        .size:           96
        .value_kind:     by_value
    .group_segment_fixed_size: 0
    .kernarg_segment_align: 8
    .kernarg_segment_size: 96
    .language:       OpenCL C
    .language_version:
      - 2
      - 0
    .max_flat_workgroup_size: 256
    .name:           _ZN7rocprim17ROCPRIM_400000_NS6detail17trampoline_kernelINS0_14default_configENS1_20scan_config_selectorIN3c104HalfEEEZZNS1_9scan_implILNS1_25lookback_scan_determinismE0ELb0ELb0ES3_PKS6_PS6_S6_ZZZN2at6native31launch_logcumsumexp_cuda_kernelERKNSD_10TensorBaseESH_lENKUlvE_clEvENKUlvE3_clEvEUlS6_S6_E_S6_EEDaPvRmT3_T4_T5_mT6_P12ihipStream_tbENKUlT_T0_E_clISt17integral_constantIbLb1EESY_EEDaST_SU_EUlST_E_NS1_11comp_targetILNS1_3genE2ELNS1_11target_archE906ELNS1_3gpuE6ELNS1_3repE0EEENS1_30default_config_static_selectorELNS0_4arch9wavefront6targetE0EEEvT1_
    .private_segment_fixed_size: 0
    .sgpr_count:     0
    .sgpr_spill_count: 0
    .symbol:         _ZN7rocprim17ROCPRIM_400000_NS6detail17trampoline_kernelINS0_14default_configENS1_20scan_config_selectorIN3c104HalfEEEZZNS1_9scan_implILNS1_25lookback_scan_determinismE0ELb0ELb0ES3_PKS6_PS6_S6_ZZZN2at6native31launch_logcumsumexp_cuda_kernelERKNSD_10TensorBaseESH_lENKUlvE_clEvENKUlvE3_clEvEUlS6_S6_E_S6_EEDaPvRmT3_T4_T5_mT6_P12ihipStream_tbENKUlT_T0_E_clISt17integral_constantIbLb1EESY_EEDaST_SU_EUlST_E_NS1_11comp_targetILNS1_3genE2ELNS1_11target_archE906ELNS1_3gpuE6ELNS1_3repE0EEENS1_30default_config_static_selectorELNS0_4arch9wavefront6targetE0EEEvT1_.kd
    .uniform_work_group_size: 1
    .uses_dynamic_stack: false
    .vgpr_count:     0
    .vgpr_spill_count: 0
    .wavefront_size: 32
    .workgroup_processor_mode: 1
  - .args:
      - .offset:         0
        .size:           96
        .value_kind:     by_value
    .group_segment_fixed_size: 0
    .kernarg_segment_align: 8
    .kernarg_segment_size: 96
    .language:       OpenCL C
    .language_version:
      - 2
      - 0
    .max_flat_workgroup_size: 256
    .name:           _ZN7rocprim17ROCPRIM_400000_NS6detail17trampoline_kernelINS0_14default_configENS1_20scan_config_selectorIN3c104HalfEEEZZNS1_9scan_implILNS1_25lookback_scan_determinismE0ELb0ELb0ES3_PKS6_PS6_S6_ZZZN2at6native31launch_logcumsumexp_cuda_kernelERKNSD_10TensorBaseESH_lENKUlvE_clEvENKUlvE3_clEvEUlS6_S6_E_S6_EEDaPvRmT3_T4_T5_mT6_P12ihipStream_tbENKUlT_T0_E_clISt17integral_constantIbLb1EESY_EEDaST_SU_EUlST_E_NS1_11comp_targetILNS1_3genE10ELNS1_11target_archE1201ELNS1_3gpuE5ELNS1_3repE0EEENS1_30default_config_static_selectorELNS0_4arch9wavefront6targetE0EEEvT1_
    .private_segment_fixed_size: 0
    .sgpr_count:     0
    .sgpr_spill_count: 0
    .symbol:         _ZN7rocprim17ROCPRIM_400000_NS6detail17trampoline_kernelINS0_14default_configENS1_20scan_config_selectorIN3c104HalfEEEZZNS1_9scan_implILNS1_25lookback_scan_determinismE0ELb0ELb0ES3_PKS6_PS6_S6_ZZZN2at6native31launch_logcumsumexp_cuda_kernelERKNSD_10TensorBaseESH_lENKUlvE_clEvENKUlvE3_clEvEUlS6_S6_E_S6_EEDaPvRmT3_T4_T5_mT6_P12ihipStream_tbENKUlT_T0_E_clISt17integral_constantIbLb1EESY_EEDaST_SU_EUlST_E_NS1_11comp_targetILNS1_3genE10ELNS1_11target_archE1201ELNS1_3gpuE5ELNS1_3repE0EEENS1_30default_config_static_selectorELNS0_4arch9wavefront6targetE0EEEvT1_.kd
    .uniform_work_group_size: 1
    .uses_dynamic_stack: false
    .vgpr_count:     0
    .vgpr_spill_count: 0
    .wavefront_size: 32
    .workgroup_processor_mode: 1
  - .args:
      - .offset:         0
        .size:           96
        .value_kind:     by_value
    .group_segment_fixed_size: 0
    .kernarg_segment_align: 8
    .kernarg_segment_size: 96
    .language:       OpenCL C
    .language_version:
      - 2
      - 0
    .max_flat_workgroup_size: 256
    .name:           _ZN7rocprim17ROCPRIM_400000_NS6detail17trampoline_kernelINS0_14default_configENS1_20scan_config_selectorIN3c104HalfEEEZZNS1_9scan_implILNS1_25lookback_scan_determinismE0ELb0ELb0ES3_PKS6_PS6_S6_ZZZN2at6native31launch_logcumsumexp_cuda_kernelERKNSD_10TensorBaseESH_lENKUlvE_clEvENKUlvE3_clEvEUlS6_S6_E_S6_EEDaPvRmT3_T4_T5_mT6_P12ihipStream_tbENKUlT_T0_E_clISt17integral_constantIbLb1EESY_EEDaST_SU_EUlST_E_NS1_11comp_targetILNS1_3genE10ELNS1_11target_archE1200ELNS1_3gpuE4ELNS1_3repE0EEENS1_30default_config_static_selectorELNS0_4arch9wavefront6targetE0EEEvT1_
    .private_segment_fixed_size: 0
    .sgpr_count:     0
    .sgpr_spill_count: 0
    .symbol:         _ZN7rocprim17ROCPRIM_400000_NS6detail17trampoline_kernelINS0_14default_configENS1_20scan_config_selectorIN3c104HalfEEEZZNS1_9scan_implILNS1_25lookback_scan_determinismE0ELb0ELb0ES3_PKS6_PS6_S6_ZZZN2at6native31launch_logcumsumexp_cuda_kernelERKNSD_10TensorBaseESH_lENKUlvE_clEvENKUlvE3_clEvEUlS6_S6_E_S6_EEDaPvRmT3_T4_T5_mT6_P12ihipStream_tbENKUlT_T0_E_clISt17integral_constantIbLb1EESY_EEDaST_SU_EUlST_E_NS1_11comp_targetILNS1_3genE10ELNS1_11target_archE1200ELNS1_3gpuE4ELNS1_3repE0EEENS1_30default_config_static_selectorELNS0_4arch9wavefront6targetE0EEEvT1_.kd
    .uniform_work_group_size: 1
    .uses_dynamic_stack: false
    .vgpr_count:     0
    .vgpr_spill_count: 0
    .wavefront_size: 32
    .workgroup_processor_mode: 1
  - .args:
      - .offset:         0
        .size:           96
        .value_kind:     by_value
    .group_segment_fixed_size: 0
    .kernarg_segment_align: 8
    .kernarg_segment_size: 96
    .language:       OpenCL C
    .language_version:
      - 2
      - 0
    .max_flat_workgroup_size: 64
    .name:           _ZN7rocprim17ROCPRIM_400000_NS6detail17trampoline_kernelINS0_14default_configENS1_20scan_config_selectorIN3c104HalfEEEZZNS1_9scan_implILNS1_25lookback_scan_determinismE0ELb0ELb0ES3_PKS6_PS6_S6_ZZZN2at6native31launch_logcumsumexp_cuda_kernelERKNSD_10TensorBaseESH_lENKUlvE_clEvENKUlvE3_clEvEUlS6_S6_E_S6_EEDaPvRmT3_T4_T5_mT6_P12ihipStream_tbENKUlT_T0_E_clISt17integral_constantIbLb1EESY_EEDaST_SU_EUlST_E_NS1_11comp_targetILNS1_3genE9ELNS1_11target_archE1100ELNS1_3gpuE3ELNS1_3repE0EEENS1_30default_config_static_selectorELNS0_4arch9wavefront6targetE0EEEvT1_
    .private_segment_fixed_size: 0
    .sgpr_count:     0
    .sgpr_spill_count: 0
    .symbol:         _ZN7rocprim17ROCPRIM_400000_NS6detail17trampoline_kernelINS0_14default_configENS1_20scan_config_selectorIN3c104HalfEEEZZNS1_9scan_implILNS1_25lookback_scan_determinismE0ELb0ELb0ES3_PKS6_PS6_S6_ZZZN2at6native31launch_logcumsumexp_cuda_kernelERKNSD_10TensorBaseESH_lENKUlvE_clEvENKUlvE3_clEvEUlS6_S6_E_S6_EEDaPvRmT3_T4_T5_mT6_P12ihipStream_tbENKUlT_T0_E_clISt17integral_constantIbLb1EESY_EEDaST_SU_EUlST_E_NS1_11comp_targetILNS1_3genE9ELNS1_11target_archE1100ELNS1_3gpuE3ELNS1_3repE0EEENS1_30default_config_static_selectorELNS0_4arch9wavefront6targetE0EEEvT1_.kd
    .uniform_work_group_size: 1
    .uses_dynamic_stack: false
    .vgpr_count:     0
    .vgpr_spill_count: 0
    .wavefront_size: 32
    .workgroup_processor_mode: 1
  - .args:
      - .offset:         0
        .size:           96
        .value_kind:     by_value
    .group_segment_fixed_size: 0
    .kernarg_segment_align: 8
    .kernarg_segment_size: 96
    .language:       OpenCL C
    .language_version:
      - 2
      - 0
    .max_flat_workgroup_size: 64
    .name:           _ZN7rocprim17ROCPRIM_400000_NS6detail17trampoline_kernelINS0_14default_configENS1_20scan_config_selectorIN3c104HalfEEEZZNS1_9scan_implILNS1_25lookback_scan_determinismE0ELb0ELb0ES3_PKS6_PS6_S6_ZZZN2at6native31launch_logcumsumexp_cuda_kernelERKNSD_10TensorBaseESH_lENKUlvE_clEvENKUlvE3_clEvEUlS6_S6_E_S6_EEDaPvRmT3_T4_T5_mT6_P12ihipStream_tbENKUlT_T0_E_clISt17integral_constantIbLb1EESY_EEDaST_SU_EUlST_E_NS1_11comp_targetILNS1_3genE8ELNS1_11target_archE1030ELNS1_3gpuE2ELNS1_3repE0EEENS1_30default_config_static_selectorELNS0_4arch9wavefront6targetE0EEEvT1_
    .private_segment_fixed_size: 0
    .sgpr_count:     0
    .sgpr_spill_count: 0
    .symbol:         _ZN7rocprim17ROCPRIM_400000_NS6detail17trampoline_kernelINS0_14default_configENS1_20scan_config_selectorIN3c104HalfEEEZZNS1_9scan_implILNS1_25lookback_scan_determinismE0ELb0ELb0ES3_PKS6_PS6_S6_ZZZN2at6native31launch_logcumsumexp_cuda_kernelERKNSD_10TensorBaseESH_lENKUlvE_clEvENKUlvE3_clEvEUlS6_S6_E_S6_EEDaPvRmT3_T4_T5_mT6_P12ihipStream_tbENKUlT_T0_E_clISt17integral_constantIbLb1EESY_EEDaST_SU_EUlST_E_NS1_11comp_targetILNS1_3genE8ELNS1_11target_archE1030ELNS1_3gpuE2ELNS1_3repE0EEENS1_30default_config_static_selectorELNS0_4arch9wavefront6targetE0EEEvT1_.kd
    .uniform_work_group_size: 1
    .uses_dynamic_stack: false
    .vgpr_count:     0
    .vgpr_spill_count: 0
    .wavefront_size: 32
    .workgroup_processor_mode: 1
  - .args:
      - .offset:         0
        .size:           32
        .value_kind:     by_value
    .group_segment_fixed_size: 0
    .kernarg_segment_align: 8
    .kernarg_segment_size: 32
    .language:       OpenCL C
    .language_version:
      - 2
      - 0
    .max_flat_workgroup_size: 128
    .name:           _ZN7rocprim17ROCPRIM_400000_NS6detail17trampoline_kernelINS0_14default_configENS1_20scan_config_selectorIN3c104HalfEEEZZNS1_9scan_implILNS1_25lookback_scan_determinismE0ELb0ELb0ES3_PKS6_PS6_S6_ZZZN2at6native31launch_logcumsumexp_cuda_kernelERKNSD_10TensorBaseESH_lENKUlvE_clEvENKUlvE3_clEvEUlS6_S6_E_S6_EEDaPvRmT3_T4_T5_mT6_P12ihipStream_tbENKUlT_T0_E_clISt17integral_constantIbLb1EESY_EEDaST_SU_EUlST_E0_NS1_11comp_targetILNS1_3genE0ELNS1_11target_archE4294967295ELNS1_3gpuE0ELNS1_3repE0EEENS1_30default_config_static_selectorELNS0_4arch9wavefront6targetE0EEEvT1_
    .private_segment_fixed_size: 0
    .sgpr_count:     0
    .sgpr_spill_count: 0
    .symbol:         _ZN7rocprim17ROCPRIM_400000_NS6detail17trampoline_kernelINS0_14default_configENS1_20scan_config_selectorIN3c104HalfEEEZZNS1_9scan_implILNS1_25lookback_scan_determinismE0ELb0ELb0ES3_PKS6_PS6_S6_ZZZN2at6native31launch_logcumsumexp_cuda_kernelERKNSD_10TensorBaseESH_lENKUlvE_clEvENKUlvE3_clEvEUlS6_S6_E_S6_EEDaPvRmT3_T4_T5_mT6_P12ihipStream_tbENKUlT_T0_E_clISt17integral_constantIbLb1EESY_EEDaST_SU_EUlST_E0_NS1_11comp_targetILNS1_3genE0ELNS1_11target_archE4294967295ELNS1_3gpuE0ELNS1_3repE0EEENS1_30default_config_static_selectorELNS0_4arch9wavefront6targetE0EEEvT1_.kd
    .uniform_work_group_size: 1
    .uses_dynamic_stack: false
    .vgpr_count:     0
    .vgpr_spill_count: 0
    .wavefront_size: 32
    .workgroup_processor_mode: 1
  - .args:
      - .offset:         0
        .size:           32
        .value_kind:     by_value
    .group_segment_fixed_size: 0
    .kernarg_segment_align: 8
    .kernarg_segment_size: 32
    .language:       OpenCL C
    .language_version:
      - 2
      - 0
    .max_flat_workgroup_size: 256
    .name:           _ZN7rocprim17ROCPRIM_400000_NS6detail17trampoline_kernelINS0_14default_configENS1_20scan_config_selectorIN3c104HalfEEEZZNS1_9scan_implILNS1_25lookback_scan_determinismE0ELb0ELb0ES3_PKS6_PS6_S6_ZZZN2at6native31launch_logcumsumexp_cuda_kernelERKNSD_10TensorBaseESH_lENKUlvE_clEvENKUlvE3_clEvEUlS6_S6_E_S6_EEDaPvRmT3_T4_T5_mT6_P12ihipStream_tbENKUlT_T0_E_clISt17integral_constantIbLb1EESY_EEDaST_SU_EUlST_E0_NS1_11comp_targetILNS1_3genE5ELNS1_11target_archE942ELNS1_3gpuE9ELNS1_3repE0EEENS1_30default_config_static_selectorELNS0_4arch9wavefront6targetE0EEEvT1_
    .private_segment_fixed_size: 0
    .sgpr_count:     0
    .sgpr_spill_count: 0
    .symbol:         _ZN7rocprim17ROCPRIM_400000_NS6detail17trampoline_kernelINS0_14default_configENS1_20scan_config_selectorIN3c104HalfEEEZZNS1_9scan_implILNS1_25lookback_scan_determinismE0ELb0ELb0ES3_PKS6_PS6_S6_ZZZN2at6native31launch_logcumsumexp_cuda_kernelERKNSD_10TensorBaseESH_lENKUlvE_clEvENKUlvE3_clEvEUlS6_S6_E_S6_EEDaPvRmT3_T4_T5_mT6_P12ihipStream_tbENKUlT_T0_E_clISt17integral_constantIbLb1EESY_EEDaST_SU_EUlST_E0_NS1_11comp_targetILNS1_3genE5ELNS1_11target_archE942ELNS1_3gpuE9ELNS1_3repE0EEENS1_30default_config_static_selectorELNS0_4arch9wavefront6targetE0EEEvT1_.kd
    .uniform_work_group_size: 1
    .uses_dynamic_stack: false
    .vgpr_count:     0
    .vgpr_spill_count: 0
    .wavefront_size: 32
    .workgroup_processor_mode: 1
  - .args:
      - .offset:         0
        .size:           32
        .value_kind:     by_value
    .group_segment_fixed_size: 0
    .kernarg_segment_align: 8
    .kernarg_segment_size: 32
    .language:       OpenCL C
    .language_version:
      - 2
      - 0
    .max_flat_workgroup_size: 64
    .name:           _ZN7rocprim17ROCPRIM_400000_NS6detail17trampoline_kernelINS0_14default_configENS1_20scan_config_selectorIN3c104HalfEEEZZNS1_9scan_implILNS1_25lookback_scan_determinismE0ELb0ELb0ES3_PKS6_PS6_S6_ZZZN2at6native31launch_logcumsumexp_cuda_kernelERKNSD_10TensorBaseESH_lENKUlvE_clEvENKUlvE3_clEvEUlS6_S6_E_S6_EEDaPvRmT3_T4_T5_mT6_P12ihipStream_tbENKUlT_T0_E_clISt17integral_constantIbLb1EESY_EEDaST_SU_EUlST_E0_NS1_11comp_targetILNS1_3genE4ELNS1_11target_archE910ELNS1_3gpuE8ELNS1_3repE0EEENS1_30default_config_static_selectorELNS0_4arch9wavefront6targetE0EEEvT1_
    .private_segment_fixed_size: 0
    .sgpr_count:     0
    .sgpr_spill_count: 0
    .symbol:         _ZN7rocprim17ROCPRIM_400000_NS6detail17trampoline_kernelINS0_14default_configENS1_20scan_config_selectorIN3c104HalfEEEZZNS1_9scan_implILNS1_25lookback_scan_determinismE0ELb0ELb0ES3_PKS6_PS6_S6_ZZZN2at6native31launch_logcumsumexp_cuda_kernelERKNSD_10TensorBaseESH_lENKUlvE_clEvENKUlvE3_clEvEUlS6_S6_E_S6_EEDaPvRmT3_T4_T5_mT6_P12ihipStream_tbENKUlT_T0_E_clISt17integral_constantIbLb1EESY_EEDaST_SU_EUlST_E0_NS1_11comp_targetILNS1_3genE4ELNS1_11target_archE910ELNS1_3gpuE8ELNS1_3repE0EEENS1_30default_config_static_selectorELNS0_4arch9wavefront6targetE0EEEvT1_.kd
    .uniform_work_group_size: 1
    .uses_dynamic_stack: false
    .vgpr_count:     0
    .vgpr_spill_count: 0
    .wavefront_size: 32
    .workgroup_processor_mode: 1
  - .args:
      - .offset:         0
        .size:           32
        .value_kind:     by_value
    .group_segment_fixed_size: 0
    .kernarg_segment_align: 8
    .kernarg_segment_size: 32
    .language:       OpenCL C
    .language_version:
      - 2
      - 0
    .max_flat_workgroup_size: 128
    .name:           _ZN7rocprim17ROCPRIM_400000_NS6detail17trampoline_kernelINS0_14default_configENS1_20scan_config_selectorIN3c104HalfEEEZZNS1_9scan_implILNS1_25lookback_scan_determinismE0ELb0ELb0ES3_PKS6_PS6_S6_ZZZN2at6native31launch_logcumsumexp_cuda_kernelERKNSD_10TensorBaseESH_lENKUlvE_clEvENKUlvE3_clEvEUlS6_S6_E_S6_EEDaPvRmT3_T4_T5_mT6_P12ihipStream_tbENKUlT_T0_E_clISt17integral_constantIbLb1EESY_EEDaST_SU_EUlST_E0_NS1_11comp_targetILNS1_3genE3ELNS1_11target_archE908ELNS1_3gpuE7ELNS1_3repE0EEENS1_30default_config_static_selectorELNS0_4arch9wavefront6targetE0EEEvT1_
    .private_segment_fixed_size: 0
    .sgpr_count:     0
    .sgpr_spill_count: 0
    .symbol:         _ZN7rocprim17ROCPRIM_400000_NS6detail17trampoline_kernelINS0_14default_configENS1_20scan_config_selectorIN3c104HalfEEEZZNS1_9scan_implILNS1_25lookback_scan_determinismE0ELb0ELb0ES3_PKS6_PS6_S6_ZZZN2at6native31launch_logcumsumexp_cuda_kernelERKNSD_10TensorBaseESH_lENKUlvE_clEvENKUlvE3_clEvEUlS6_S6_E_S6_EEDaPvRmT3_T4_T5_mT6_P12ihipStream_tbENKUlT_T0_E_clISt17integral_constantIbLb1EESY_EEDaST_SU_EUlST_E0_NS1_11comp_targetILNS1_3genE3ELNS1_11target_archE908ELNS1_3gpuE7ELNS1_3repE0EEENS1_30default_config_static_selectorELNS0_4arch9wavefront6targetE0EEEvT1_.kd
    .uniform_work_group_size: 1
    .uses_dynamic_stack: false
    .vgpr_count:     0
    .vgpr_spill_count: 0
    .wavefront_size: 32
    .workgroup_processor_mode: 1
  - .args:
      - .offset:         0
        .size:           32
        .value_kind:     by_value
    .group_segment_fixed_size: 0
    .kernarg_segment_align: 8
    .kernarg_segment_size: 32
    .language:       OpenCL C
    .language_version:
      - 2
      - 0
    .max_flat_workgroup_size: 256
    .name:           _ZN7rocprim17ROCPRIM_400000_NS6detail17trampoline_kernelINS0_14default_configENS1_20scan_config_selectorIN3c104HalfEEEZZNS1_9scan_implILNS1_25lookback_scan_determinismE0ELb0ELb0ES3_PKS6_PS6_S6_ZZZN2at6native31launch_logcumsumexp_cuda_kernelERKNSD_10TensorBaseESH_lENKUlvE_clEvENKUlvE3_clEvEUlS6_S6_E_S6_EEDaPvRmT3_T4_T5_mT6_P12ihipStream_tbENKUlT_T0_E_clISt17integral_constantIbLb1EESY_EEDaST_SU_EUlST_E0_NS1_11comp_targetILNS1_3genE2ELNS1_11target_archE906ELNS1_3gpuE6ELNS1_3repE0EEENS1_30default_config_static_selectorELNS0_4arch9wavefront6targetE0EEEvT1_
    .private_segment_fixed_size: 0
    .sgpr_count:     0
    .sgpr_spill_count: 0
    .symbol:         _ZN7rocprim17ROCPRIM_400000_NS6detail17trampoline_kernelINS0_14default_configENS1_20scan_config_selectorIN3c104HalfEEEZZNS1_9scan_implILNS1_25lookback_scan_determinismE0ELb0ELb0ES3_PKS6_PS6_S6_ZZZN2at6native31launch_logcumsumexp_cuda_kernelERKNSD_10TensorBaseESH_lENKUlvE_clEvENKUlvE3_clEvEUlS6_S6_E_S6_EEDaPvRmT3_T4_T5_mT6_P12ihipStream_tbENKUlT_T0_E_clISt17integral_constantIbLb1EESY_EEDaST_SU_EUlST_E0_NS1_11comp_targetILNS1_3genE2ELNS1_11target_archE906ELNS1_3gpuE6ELNS1_3repE0EEENS1_30default_config_static_selectorELNS0_4arch9wavefront6targetE0EEEvT1_.kd
    .uniform_work_group_size: 1
    .uses_dynamic_stack: false
    .vgpr_count:     0
    .vgpr_spill_count: 0
    .wavefront_size: 32
    .workgroup_processor_mode: 1
  - .args:
      - .offset:         0
        .size:           32
        .value_kind:     by_value
    .group_segment_fixed_size: 0
    .kernarg_segment_align: 8
    .kernarg_segment_size: 32
    .language:       OpenCL C
    .language_version:
      - 2
      - 0
    .max_flat_workgroup_size: 256
    .name:           _ZN7rocprim17ROCPRIM_400000_NS6detail17trampoline_kernelINS0_14default_configENS1_20scan_config_selectorIN3c104HalfEEEZZNS1_9scan_implILNS1_25lookback_scan_determinismE0ELb0ELb0ES3_PKS6_PS6_S6_ZZZN2at6native31launch_logcumsumexp_cuda_kernelERKNSD_10TensorBaseESH_lENKUlvE_clEvENKUlvE3_clEvEUlS6_S6_E_S6_EEDaPvRmT3_T4_T5_mT6_P12ihipStream_tbENKUlT_T0_E_clISt17integral_constantIbLb1EESY_EEDaST_SU_EUlST_E0_NS1_11comp_targetILNS1_3genE10ELNS1_11target_archE1201ELNS1_3gpuE5ELNS1_3repE0EEENS1_30default_config_static_selectorELNS0_4arch9wavefront6targetE0EEEvT1_
    .private_segment_fixed_size: 0
    .sgpr_count:     0
    .sgpr_spill_count: 0
    .symbol:         _ZN7rocprim17ROCPRIM_400000_NS6detail17trampoline_kernelINS0_14default_configENS1_20scan_config_selectorIN3c104HalfEEEZZNS1_9scan_implILNS1_25lookback_scan_determinismE0ELb0ELb0ES3_PKS6_PS6_S6_ZZZN2at6native31launch_logcumsumexp_cuda_kernelERKNSD_10TensorBaseESH_lENKUlvE_clEvENKUlvE3_clEvEUlS6_S6_E_S6_EEDaPvRmT3_T4_T5_mT6_P12ihipStream_tbENKUlT_T0_E_clISt17integral_constantIbLb1EESY_EEDaST_SU_EUlST_E0_NS1_11comp_targetILNS1_3genE10ELNS1_11target_archE1201ELNS1_3gpuE5ELNS1_3repE0EEENS1_30default_config_static_selectorELNS0_4arch9wavefront6targetE0EEEvT1_.kd
    .uniform_work_group_size: 1
    .uses_dynamic_stack: false
    .vgpr_count:     0
    .vgpr_spill_count: 0
    .wavefront_size: 32
    .workgroup_processor_mode: 1
  - .args:
      - .offset:         0
        .size:           32
        .value_kind:     by_value
    .group_segment_fixed_size: 0
    .kernarg_segment_align: 8
    .kernarg_segment_size: 32
    .language:       OpenCL C
    .language_version:
      - 2
      - 0
    .max_flat_workgroup_size: 256
    .name:           _ZN7rocprim17ROCPRIM_400000_NS6detail17trampoline_kernelINS0_14default_configENS1_20scan_config_selectorIN3c104HalfEEEZZNS1_9scan_implILNS1_25lookback_scan_determinismE0ELb0ELb0ES3_PKS6_PS6_S6_ZZZN2at6native31launch_logcumsumexp_cuda_kernelERKNSD_10TensorBaseESH_lENKUlvE_clEvENKUlvE3_clEvEUlS6_S6_E_S6_EEDaPvRmT3_T4_T5_mT6_P12ihipStream_tbENKUlT_T0_E_clISt17integral_constantIbLb1EESY_EEDaST_SU_EUlST_E0_NS1_11comp_targetILNS1_3genE10ELNS1_11target_archE1200ELNS1_3gpuE4ELNS1_3repE0EEENS1_30default_config_static_selectorELNS0_4arch9wavefront6targetE0EEEvT1_
    .private_segment_fixed_size: 0
    .sgpr_count:     0
    .sgpr_spill_count: 0
    .symbol:         _ZN7rocprim17ROCPRIM_400000_NS6detail17trampoline_kernelINS0_14default_configENS1_20scan_config_selectorIN3c104HalfEEEZZNS1_9scan_implILNS1_25lookback_scan_determinismE0ELb0ELb0ES3_PKS6_PS6_S6_ZZZN2at6native31launch_logcumsumexp_cuda_kernelERKNSD_10TensorBaseESH_lENKUlvE_clEvENKUlvE3_clEvEUlS6_S6_E_S6_EEDaPvRmT3_T4_T5_mT6_P12ihipStream_tbENKUlT_T0_E_clISt17integral_constantIbLb1EESY_EEDaST_SU_EUlST_E0_NS1_11comp_targetILNS1_3genE10ELNS1_11target_archE1200ELNS1_3gpuE4ELNS1_3repE0EEENS1_30default_config_static_selectorELNS0_4arch9wavefront6targetE0EEEvT1_.kd
    .uniform_work_group_size: 1
    .uses_dynamic_stack: false
    .vgpr_count:     0
    .vgpr_spill_count: 0
    .wavefront_size: 32
    .workgroup_processor_mode: 1
  - .args:
      - .offset:         0
        .size:           32
        .value_kind:     by_value
    .group_segment_fixed_size: 0
    .kernarg_segment_align: 8
    .kernarg_segment_size: 32
    .language:       OpenCL C
    .language_version:
      - 2
      - 0
    .max_flat_workgroup_size: 64
    .name:           _ZN7rocprim17ROCPRIM_400000_NS6detail17trampoline_kernelINS0_14default_configENS1_20scan_config_selectorIN3c104HalfEEEZZNS1_9scan_implILNS1_25lookback_scan_determinismE0ELb0ELb0ES3_PKS6_PS6_S6_ZZZN2at6native31launch_logcumsumexp_cuda_kernelERKNSD_10TensorBaseESH_lENKUlvE_clEvENKUlvE3_clEvEUlS6_S6_E_S6_EEDaPvRmT3_T4_T5_mT6_P12ihipStream_tbENKUlT_T0_E_clISt17integral_constantIbLb1EESY_EEDaST_SU_EUlST_E0_NS1_11comp_targetILNS1_3genE9ELNS1_11target_archE1100ELNS1_3gpuE3ELNS1_3repE0EEENS1_30default_config_static_selectorELNS0_4arch9wavefront6targetE0EEEvT1_
    .private_segment_fixed_size: 0
    .sgpr_count:     0
    .sgpr_spill_count: 0
    .symbol:         _ZN7rocprim17ROCPRIM_400000_NS6detail17trampoline_kernelINS0_14default_configENS1_20scan_config_selectorIN3c104HalfEEEZZNS1_9scan_implILNS1_25lookback_scan_determinismE0ELb0ELb0ES3_PKS6_PS6_S6_ZZZN2at6native31launch_logcumsumexp_cuda_kernelERKNSD_10TensorBaseESH_lENKUlvE_clEvENKUlvE3_clEvEUlS6_S6_E_S6_EEDaPvRmT3_T4_T5_mT6_P12ihipStream_tbENKUlT_T0_E_clISt17integral_constantIbLb1EESY_EEDaST_SU_EUlST_E0_NS1_11comp_targetILNS1_3genE9ELNS1_11target_archE1100ELNS1_3gpuE3ELNS1_3repE0EEENS1_30default_config_static_selectorELNS0_4arch9wavefront6targetE0EEEvT1_.kd
    .uniform_work_group_size: 1
    .uses_dynamic_stack: false
    .vgpr_count:     0
    .vgpr_spill_count: 0
    .wavefront_size: 32
    .workgroup_processor_mode: 1
  - .args:
      - .offset:         0
        .size:           32
        .value_kind:     by_value
    .group_segment_fixed_size: 1536
    .kernarg_segment_align: 8
    .kernarg_segment_size: 32
    .language:       OpenCL C
    .language_version:
      - 2
      - 0
    .max_flat_workgroup_size: 64
    .name:           _ZN7rocprim17ROCPRIM_400000_NS6detail17trampoline_kernelINS0_14default_configENS1_20scan_config_selectorIN3c104HalfEEEZZNS1_9scan_implILNS1_25lookback_scan_determinismE0ELb0ELb0ES3_PKS6_PS6_S6_ZZZN2at6native31launch_logcumsumexp_cuda_kernelERKNSD_10TensorBaseESH_lENKUlvE_clEvENKUlvE3_clEvEUlS6_S6_E_S6_EEDaPvRmT3_T4_T5_mT6_P12ihipStream_tbENKUlT_T0_E_clISt17integral_constantIbLb1EESY_EEDaST_SU_EUlST_E0_NS1_11comp_targetILNS1_3genE8ELNS1_11target_archE1030ELNS1_3gpuE2ELNS1_3repE0EEENS1_30default_config_static_selectorELNS0_4arch9wavefront6targetE0EEEvT1_
    .private_segment_fixed_size: 0
    .sgpr_count:     32
    .sgpr_spill_count: 0
    .symbol:         _ZN7rocprim17ROCPRIM_400000_NS6detail17trampoline_kernelINS0_14default_configENS1_20scan_config_selectorIN3c104HalfEEEZZNS1_9scan_implILNS1_25lookback_scan_determinismE0ELb0ELb0ES3_PKS6_PS6_S6_ZZZN2at6native31launch_logcumsumexp_cuda_kernelERKNSD_10TensorBaseESH_lENKUlvE_clEvENKUlvE3_clEvEUlS6_S6_E_S6_EEDaPvRmT3_T4_T5_mT6_P12ihipStream_tbENKUlT_T0_E_clISt17integral_constantIbLb1EESY_EEDaST_SU_EUlST_E0_NS1_11comp_targetILNS1_3genE8ELNS1_11target_archE1030ELNS1_3gpuE2ELNS1_3repE0EEENS1_30default_config_static_selectorELNS0_4arch9wavefront6targetE0EEEvT1_.kd
    .uniform_work_group_size: 1
    .uses_dynamic_stack: false
    .vgpr_count:     36
    .vgpr_spill_count: 0
    .wavefront_size: 32
    .workgroup_processor_mode: 1
  - .args:
      - .address_space:  global
        .offset:         0
        .size:           8
        .value_kind:     global_buffer
      - .offset:         8
        .size:           4
        .value_kind:     by_value
      - .offset:         12
        .size:           1
        .value_kind:     by_value
      - .offset:         16
        .size:           4
        .value_kind:     by_value
      - .address_space:  global
        .offset:         24
        .size:           8
        .value_kind:     global_buffer
      - .offset:         32
        .size:           4
        .value_kind:     hidden_block_count_x
      - .offset:         36
        .size:           4
        .value_kind:     hidden_block_count_y
      - .offset:         40
        .size:           4
        .value_kind:     hidden_block_count_z
      - .offset:         44
        .size:           2
        .value_kind:     hidden_group_size_x
      - .offset:         46
        .size:           2
        .value_kind:     hidden_group_size_y
      - .offset:         48
        .size:           2
        .value_kind:     hidden_group_size_z
      - .offset:         50
        .size:           2
        .value_kind:     hidden_remainder_x
      - .offset:         52
        .size:           2
        .value_kind:     hidden_remainder_y
      - .offset:         54
        .size:           2
        .value_kind:     hidden_remainder_z
      - .offset:         72
        .size:           8
        .value_kind:     hidden_global_offset_x
      - .offset:         80
        .size:           8
        .value_kind:     hidden_global_offset_y
      - .offset:         88
        .size:           8
        .value_kind:     hidden_global_offset_z
      - .offset:         96
        .size:           2
        .value_kind:     hidden_grid_dims
    .group_segment_fixed_size: 0
    .kernarg_segment_align: 8
    .kernarg_segment_size: 288
    .language:       OpenCL C
    .language_version:
      - 2
      - 0
    .max_flat_workgroup_size: 256
    .name:           _ZN7rocprim17ROCPRIM_400000_NS6detail31init_lookback_scan_state_kernelINS1_19lookback_scan_stateIN3c104HalfELb1ELb1EEENS1_16block_id_wrapperIjLb0EEEEEvT_jT0_jPNS9_10value_typeE
    .private_segment_fixed_size: 0
    .sgpr_count:     12
    .sgpr_spill_count: 0
    .symbol:         _ZN7rocprim17ROCPRIM_400000_NS6detail31init_lookback_scan_state_kernelINS1_19lookback_scan_stateIN3c104HalfELb1ELb1EEENS1_16block_id_wrapperIjLb0EEEEEvT_jT0_jPNS9_10value_typeE.kd
    .uniform_work_group_size: 1
    .uses_dynamic_stack: false
    .vgpr_count:     5
    .vgpr_spill_count: 0
    .wavefront_size: 32
    .workgroup_processor_mode: 1
  - .args:
      - .offset:         0
        .size:           96
        .value_kind:     by_value
    .group_segment_fixed_size: 0
    .kernarg_segment_align: 8
    .kernarg_segment_size: 96
    .language:       OpenCL C
    .language_version:
      - 2
      - 0
    .max_flat_workgroup_size: 128
    .name:           _ZN7rocprim17ROCPRIM_400000_NS6detail17trampoline_kernelINS0_14default_configENS1_20scan_config_selectorIN3c104HalfEEEZZNS1_9scan_implILNS1_25lookback_scan_determinismE0ELb0ELb0ES3_PKS6_PS6_S6_ZZZN2at6native31launch_logcumsumexp_cuda_kernelERKNSD_10TensorBaseESH_lENKUlvE_clEvENKUlvE3_clEvEUlS6_S6_E_S6_EEDaPvRmT3_T4_T5_mT6_P12ihipStream_tbENKUlT_T0_E_clISt17integral_constantIbLb1EESX_IbLb0EEEEDaST_SU_EUlST_E_NS1_11comp_targetILNS1_3genE0ELNS1_11target_archE4294967295ELNS1_3gpuE0ELNS1_3repE0EEENS1_30default_config_static_selectorELNS0_4arch9wavefront6targetE0EEEvT1_
    .private_segment_fixed_size: 0
    .sgpr_count:     0
    .sgpr_spill_count: 0
    .symbol:         _ZN7rocprim17ROCPRIM_400000_NS6detail17trampoline_kernelINS0_14default_configENS1_20scan_config_selectorIN3c104HalfEEEZZNS1_9scan_implILNS1_25lookback_scan_determinismE0ELb0ELb0ES3_PKS6_PS6_S6_ZZZN2at6native31launch_logcumsumexp_cuda_kernelERKNSD_10TensorBaseESH_lENKUlvE_clEvENKUlvE3_clEvEUlS6_S6_E_S6_EEDaPvRmT3_T4_T5_mT6_P12ihipStream_tbENKUlT_T0_E_clISt17integral_constantIbLb1EESX_IbLb0EEEEDaST_SU_EUlST_E_NS1_11comp_targetILNS1_3genE0ELNS1_11target_archE4294967295ELNS1_3gpuE0ELNS1_3repE0EEENS1_30default_config_static_selectorELNS0_4arch9wavefront6targetE0EEEvT1_.kd
    .uniform_work_group_size: 1
    .uses_dynamic_stack: false
    .vgpr_count:     0
    .vgpr_spill_count: 0
    .wavefront_size: 32
    .workgroup_processor_mode: 1
  - .args:
      - .offset:         0
        .size:           96
        .value_kind:     by_value
    .group_segment_fixed_size: 0
    .kernarg_segment_align: 8
    .kernarg_segment_size: 96
    .language:       OpenCL C
    .language_version:
      - 2
      - 0
    .max_flat_workgroup_size: 256
    .name:           _ZN7rocprim17ROCPRIM_400000_NS6detail17trampoline_kernelINS0_14default_configENS1_20scan_config_selectorIN3c104HalfEEEZZNS1_9scan_implILNS1_25lookback_scan_determinismE0ELb0ELb0ES3_PKS6_PS6_S6_ZZZN2at6native31launch_logcumsumexp_cuda_kernelERKNSD_10TensorBaseESH_lENKUlvE_clEvENKUlvE3_clEvEUlS6_S6_E_S6_EEDaPvRmT3_T4_T5_mT6_P12ihipStream_tbENKUlT_T0_E_clISt17integral_constantIbLb1EESX_IbLb0EEEEDaST_SU_EUlST_E_NS1_11comp_targetILNS1_3genE5ELNS1_11target_archE942ELNS1_3gpuE9ELNS1_3repE0EEENS1_30default_config_static_selectorELNS0_4arch9wavefront6targetE0EEEvT1_
    .private_segment_fixed_size: 0
    .sgpr_count:     0
    .sgpr_spill_count: 0
    .symbol:         _ZN7rocprim17ROCPRIM_400000_NS6detail17trampoline_kernelINS0_14default_configENS1_20scan_config_selectorIN3c104HalfEEEZZNS1_9scan_implILNS1_25lookback_scan_determinismE0ELb0ELb0ES3_PKS6_PS6_S6_ZZZN2at6native31launch_logcumsumexp_cuda_kernelERKNSD_10TensorBaseESH_lENKUlvE_clEvENKUlvE3_clEvEUlS6_S6_E_S6_EEDaPvRmT3_T4_T5_mT6_P12ihipStream_tbENKUlT_T0_E_clISt17integral_constantIbLb1EESX_IbLb0EEEEDaST_SU_EUlST_E_NS1_11comp_targetILNS1_3genE5ELNS1_11target_archE942ELNS1_3gpuE9ELNS1_3repE0EEENS1_30default_config_static_selectorELNS0_4arch9wavefront6targetE0EEEvT1_.kd
    .uniform_work_group_size: 1
    .uses_dynamic_stack: false
    .vgpr_count:     0
    .vgpr_spill_count: 0
    .wavefront_size: 32
    .workgroup_processor_mode: 1
  - .args:
      - .offset:         0
        .size:           96
        .value_kind:     by_value
    .group_segment_fixed_size: 0
    .kernarg_segment_align: 8
    .kernarg_segment_size: 96
    .language:       OpenCL C
    .language_version:
      - 2
      - 0
    .max_flat_workgroup_size: 64
    .name:           _ZN7rocprim17ROCPRIM_400000_NS6detail17trampoline_kernelINS0_14default_configENS1_20scan_config_selectorIN3c104HalfEEEZZNS1_9scan_implILNS1_25lookback_scan_determinismE0ELb0ELb0ES3_PKS6_PS6_S6_ZZZN2at6native31launch_logcumsumexp_cuda_kernelERKNSD_10TensorBaseESH_lENKUlvE_clEvENKUlvE3_clEvEUlS6_S6_E_S6_EEDaPvRmT3_T4_T5_mT6_P12ihipStream_tbENKUlT_T0_E_clISt17integral_constantIbLb1EESX_IbLb0EEEEDaST_SU_EUlST_E_NS1_11comp_targetILNS1_3genE4ELNS1_11target_archE910ELNS1_3gpuE8ELNS1_3repE0EEENS1_30default_config_static_selectorELNS0_4arch9wavefront6targetE0EEEvT1_
    .private_segment_fixed_size: 0
    .sgpr_count:     0
    .sgpr_spill_count: 0
    .symbol:         _ZN7rocprim17ROCPRIM_400000_NS6detail17trampoline_kernelINS0_14default_configENS1_20scan_config_selectorIN3c104HalfEEEZZNS1_9scan_implILNS1_25lookback_scan_determinismE0ELb0ELb0ES3_PKS6_PS6_S6_ZZZN2at6native31launch_logcumsumexp_cuda_kernelERKNSD_10TensorBaseESH_lENKUlvE_clEvENKUlvE3_clEvEUlS6_S6_E_S6_EEDaPvRmT3_T4_T5_mT6_P12ihipStream_tbENKUlT_T0_E_clISt17integral_constantIbLb1EESX_IbLb0EEEEDaST_SU_EUlST_E_NS1_11comp_targetILNS1_3genE4ELNS1_11target_archE910ELNS1_3gpuE8ELNS1_3repE0EEENS1_30default_config_static_selectorELNS0_4arch9wavefront6targetE0EEEvT1_.kd
    .uniform_work_group_size: 1
    .uses_dynamic_stack: false
    .vgpr_count:     0
    .vgpr_spill_count: 0
    .wavefront_size: 32
    .workgroup_processor_mode: 1
  - .args:
      - .offset:         0
        .size:           96
        .value_kind:     by_value
    .group_segment_fixed_size: 0
    .kernarg_segment_align: 8
    .kernarg_segment_size: 96
    .language:       OpenCL C
    .language_version:
      - 2
      - 0
    .max_flat_workgroup_size: 128
    .name:           _ZN7rocprim17ROCPRIM_400000_NS6detail17trampoline_kernelINS0_14default_configENS1_20scan_config_selectorIN3c104HalfEEEZZNS1_9scan_implILNS1_25lookback_scan_determinismE0ELb0ELb0ES3_PKS6_PS6_S6_ZZZN2at6native31launch_logcumsumexp_cuda_kernelERKNSD_10TensorBaseESH_lENKUlvE_clEvENKUlvE3_clEvEUlS6_S6_E_S6_EEDaPvRmT3_T4_T5_mT6_P12ihipStream_tbENKUlT_T0_E_clISt17integral_constantIbLb1EESX_IbLb0EEEEDaST_SU_EUlST_E_NS1_11comp_targetILNS1_3genE3ELNS1_11target_archE908ELNS1_3gpuE7ELNS1_3repE0EEENS1_30default_config_static_selectorELNS0_4arch9wavefront6targetE0EEEvT1_
    .private_segment_fixed_size: 0
    .sgpr_count:     0
    .sgpr_spill_count: 0
    .symbol:         _ZN7rocprim17ROCPRIM_400000_NS6detail17trampoline_kernelINS0_14default_configENS1_20scan_config_selectorIN3c104HalfEEEZZNS1_9scan_implILNS1_25lookback_scan_determinismE0ELb0ELb0ES3_PKS6_PS6_S6_ZZZN2at6native31launch_logcumsumexp_cuda_kernelERKNSD_10TensorBaseESH_lENKUlvE_clEvENKUlvE3_clEvEUlS6_S6_E_S6_EEDaPvRmT3_T4_T5_mT6_P12ihipStream_tbENKUlT_T0_E_clISt17integral_constantIbLb1EESX_IbLb0EEEEDaST_SU_EUlST_E_NS1_11comp_targetILNS1_3genE3ELNS1_11target_archE908ELNS1_3gpuE7ELNS1_3repE0EEENS1_30default_config_static_selectorELNS0_4arch9wavefront6targetE0EEEvT1_.kd
    .uniform_work_group_size: 1
    .uses_dynamic_stack: false
    .vgpr_count:     0
    .vgpr_spill_count: 0
    .wavefront_size: 32
    .workgroup_processor_mode: 1
  - .args:
      - .offset:         0
        .size:           96
        .value_kind:     by_value
    .group_segment_fixed_size: 0
    .kernarg_segment_align: 8
    .kernarg_segment_size: 96
    .language:       OpenCL C
    .language_version:
      - 2
      - 0
    .max_flat_workgroup_size: 256
    .name:           _ZN7rocprim17ROCPRIM_400000_NS6detail17trampoline_kernelINS0_14default_configENS1_20scan_config_selectorIN3c104HalfEEEZZNS1_9scan_implILNS1_25lookback_scan_determinismE0ELb0ELb0ES3_PKS6_PS6_S6_ZZZN2at6native31launch_logcumsumexp_cuda_kernelERKNSD_10TensorBaseESH_lENKUlvE_clEvENKUlvE3_clEvEUlS6_S6_E_S6_EEDaPvRmT3_T4_T5_mT6_P12ihipStream_tbENKUlT_T0_E_clISt17integral_constantIbLb1EESX_IbLb0EEEEDaST_SU_EUlST_E_NS1_11comp_targetILNS1_3genE2ELNS1_11target_archE906ELNS1_3gpuE6ELNS1_3repE0EEENS1_30default_config_static_selectorELNS0_4arch9wavefront6targetE0EEEvT1_
    .private_segment_fixed_size: 0
    .sgpr_count:     0
    .sgpr_spill_count: 0
    .symbol:         _ZN7rocprim17ROCPRIM_400000_NS6detail17trampoline_kernelINS0_14default_configENS1_20scan_config_selectorIN3c104HalfEEEZZNS1_9scan_implILNS1_25lookback_scan_determinismE0ELb0ELb0ES3_PKS6_PS6_S6_ZZZN2at6native31launch_logcumsumexp_cuda_kernelERKNSD_10TensorBaseESH_lENKUlvE_clEvENKUlvE3_clEvEUlS6_S6_E_S6_EEDaPvRmT3_T4_T5_mT6_P12ihipStream_tbENKUlT_T0_E_clISt17integral_constantIbLb1EESX_IbLb0EEEEDaST_SU_EUlST_E_NS1_11comp_targetILNS1_3genE2ELNS1_11target_archE906ELNS1_3gpuE6ELNS1_3repE0EEENS1_30default_config_static_selectorELNS0_4arch9wavefront6targetE0EEEvT1_.kd
    .uniform_work_group_size: 1
    .uses_dynamic_stack: false
    .vgpr_count:     0
    .vgpr_spill_count: 0
    .wavefront_size: 32
    .workgroup_processor_mode: 1
  - .args:
      - .offset:         0
        .size:           96
        .value_kind:     by_value
    .group_segment_fixed_size: 0
    .kernarg_segment_align: 8
    .kernarg_segment_size: 96
    .language:       OpenCL C
    .language_version:
      - 2
      - 0
    .max_flat_workgroup_size: 256
    .name:           _ZN7rocprim17ROCPRIM_400000_NS6detail17trampoline_kernelINS0_14default_configENS1_20scan_config_selectorIN3c104HalfEEEZZNS1_9scan_implILNS1_25lookback_scan_determinismE0ELb0ELb0ES3_PKS6_PS6_S6_ZZZN2at6native31launch_logcumsumexp_cuda_kernelERKNSD_10TensorBaseESH_lENKUlvE_clEvENKUlvE3_clEvEUlS6_S6_E_S6_EEDaPvRmT3_T4_T5_mT6_P12ihipStream_tbENKUlT_T0_E_clISt17integral_constantIbLb1EESX_IbLb0EEEEDaST_SU_EUlST_E_NS1_11comp_targetILNS1_3genE10ELNS1_11target_archE1201ELNS1_3gpuE5ELNS1_3repE0EEENS1_30default_config_static_selectorELNS0_4arch9wavefront6targetE0EEEvT1_
    .private_segment_fixed_size: 0
    .sgpr_count:     0
    .sgpr_spill_count: 0
    .symbol:         _ZN7rocprim17ROCPRIM_400000_NS6detail17trampoline_kernelINS0_14default_configENS1_20scan_config_selectorIN3c104HalfEEEZZNS1_9scan_implILNS1_25lookback_scan_determinismE0ELb0ELb0ES3_PKS6_PS6_S6_ZZZN2at6native31launch_logcumsumexp_cuda_kernelERKNSD_10TensorBaseESH_lENKUlvE_clEvENKUlvE3_clEvEUlS6_S6_E_S6_EEDaPvRmT3_T4_T5_mT6_P12ihipStream_tbENKUlT_T0_E_clISt17integral_constantIbLb1EESX_IbLb0EEEEDaST_SU_EUlST_E_NS1_11comp_targetILNS1_3genE10ELNS1_11target_archE1201ELNS1_3gpuE5ELNS1_3repE0EEENS1_30default_config_static_selectorELNS0_4arch9wavefront6targetE0EEEvT1_.kd
    .uniform_work_group_size: 1
    .uses_dynamic_stack: false
    .vgpr_count:     0
    .vgpr_spill_count: 0
    .wavefront_size: 32
    .workgroup_processor_mode: 1
  - .args:
      - .offset:         0
        .size:           96
        .value_kind:     by_value
    .group_segment_fixed_size: 0
    .kernarg_segment_align: 8
    .kernarg_segment_size: 96
    .language:       OpenCL C
    .language_version:
      - 2
      - 0
    .max_flat_workgroup_size: 256
    .name:           _ZN7rocprim17ROCPRIM_400000_NS6detail17trampoline_kernelINS0_14default_configENS1_20scan_config_selectorIN3c104HalfEEEZZNS1_9scan_implILNS1_25lookback_scan_determinismE0ELb0ELb0ES3_PKS6_PS6_S6_ZZZN2at6native31launch_logcumsumexp_cuda_kernelERKNSD_10TensorBaseESH_lENKUlvE_clEvENKUlvE3_clEvEUlS6_S6_E_S6_EEDaPvRmT3_T4_T5_mT6_P12ihipStream_tbENKUlT_T0_E_clISt17integral_constantIbLb1EESX_IbLb0EEEEDaST_SU_EUlST_E_NS1_11comp_targetILNS1_3genE10ELNS1_11target_archE1200ELNS1_3gpuE4ELNS1_3repE0EEENS1_30default_config_static_selectorELNS0_4arch9wavefront6targetE0EEEvT1_
    .private_segment_fixed_size: 0
    .sgpr_count:     0
    .sgpr_spill_count: 0
    .symbol:         _ZN7rocprim17ROCPRIM_400000_NS6detail17trampoline_kernelINS0_14default_configENS1_20scan_config_selectorIN3c104HalfEEEZZNS1_9scan_implILNS1_25lookback_scan_determinismE0ELb0ELb0ES3_PKS6_PS6_S6_ZZZN2at6native31launch_logcumsumexp_cuda_kernelERKNSD_10TensorBaseESH_lENKUlvE_clEvENKUlvE3_clEvEUlS6_S6_E_S6_EEDaPvRmT3_T4_T5_mT6_P12ihipStream_tbENKUlT_T0_E_clISt17integral_constantIbLb1EESX_IbLb0EEEEDaST_SU_EUlST_E_NS1_11comp_targetILNS1_3genE10ELNS1_11target_archE1200ELNS1_3gpuE4ELNS1_3repE0EEENS1_30default_config_static_selectorELNS0_4arch9wavefront6targetE0EEEvT1_.kd
    .uniform_work_group_size: 1
    .uses_dynamic_stack: false
    .vgpr_count:     0
    .vgpr_spill_count: 0
    .wavefront_size: 32
    .workgroup_processor_mode: 1
  - .args:
      - .offset:         0
        .size:           96
        .value_kind:     by_value
    .group_segment_fixed_size: 0
    .kernarg_segment_align: 8
    .kernarg_segment_size: 96
    .language:       OpenCL C
    .language_version:
      - 2
      - 0
    .max_flat_workgroup_size: 64
    .name:           _ZN7rocprim17ROCPRIM_400000_NS6detail17trampoline_kernelINS0_14default_configENS1_20scan_config_selectorIN3c104HalfEEEZZNS1_9scan_implILNS1_25lookback_scan_determinismE0ELb0ELb0ES3_PKS6_PS6_S6_ZZZN2at6native31launch_logcumsumexp_cuda_kernelERKNSD_10TensorBaseESH_lENKUlvE_clEvENKUlvE3_clEvEUlS6_S6_E_S6_EEDaPvRmT3_T4_T5_mT6_P12ihipStream_tbENKUlT_T0_E_clISt17integral_constantIbLb1EESX_IbLb0EEEEDaST_SU_EUlST_E_NS1_11comp_targetILNS1_3genE9ELNS1_11target_archE1100ELNS1_3gpuE3ELNS1_3repE0EEENS1_30default_config_static_selectorELNS0_4arch9wavefront6targetE0EEEvT1_
    .private_segment_fixed_size: 0
    .sgpr_count:     0
    .sgpr_spill_count: 0
    .symbol:         _ZN7rocprim17ROCPRIM_400000_NS6detail17trampoline_kernelINS0_14default_configENS1_20scan_config_selectorIN3c104HalfEEEZZNS1_9scan_implILNS1_25lookback_scan_determinismE0ELb0ELb0ES3_PKS6_PS6_S6_ZZZN2at6native31launch_logcumsumexp_cuda_kernelERKNSD_10TensorBaseESH_lENKUlvE_clEvENKUlvE3_clEvEUlS6_S6_E_S6_EEDaPvRmT3_T4_T5_mT6_P12ihipStream_tbENKUlT_T0_E_clISt17integral_constantIbLb1EESX_IbLb0EEEEDaST_SU_EUlST_E_NS1_11comp_targetILNS1_3genE9ELNS1_11target_archE1100ELNS1_3gpuE3ELNS1_3repE0EEENS1_30default_config_static_selectorELNS0_4arch9wavefront6targetE0EEEvT1_.kd
    .uniform_work_group_size: 1
    .uses_dynamic_stack: false
    .vgpr_count:     0
    .vgpr_spill_count: 0
    .wavefront_size: 32
    .workgroup_processor_mode: 1
  - .args:
      - .offset:         0
        .size:           96
        .value_kind:     by_value
    .group_segment_fixed_size: 0
    .kernarg_segment_align: 8
    .kernarg_segment_size: 96
    .language:       OpenCL C
    .language_version:
      - 2
      - 0
    .max_flat_workgroup_size: 64
    .name:           _ZN7rocprim17ROCPRIM_400000_NS6detail17trampoline_kernelINS0_14default_configENS1_20scan_config_selectorIN3c104HalfEEEZZNS1_9scan_implILNS1_25lookback_scan_determinismE0ELb0ELb0ES3_PKS6_PS6_S6_ZZZN2at6native31launch_logcumsumexp_cuda_kernelERKNSD_10TensorBaseESH_lENKUlvE_clEvENKUlvE3_clEvEUlS6_S6_E_S6_EEDaPvRmT3_T4_T5_mT6_P12ihipStream_tbENKUlT_T0_E_clISt17integral_constantIbLb1EESX_IbLb0EEEEDaST_SU_EUlST_E_NS1_11comp_targetILNS1_3genE8ELNS1_11target_archE1030ELNS1_3gpuE2ELNS1_3repE0EEENS1_30default_config_static_selectorELNS0_4arch9wavefront6targetE0EEEvT1_
    .private_segment_fixed_size: 0
    .sgpr_count:     0
    .sgpr_spill_count: 0
    .symbol:         _ZN7rocprim17ROCPRIM_400000_NS6detail17trampoline_kernelINS0_14default_configENS1_20scan_config_selectorIN3c104HalfEEEZZNS1_9scan_implILNS1_25lookback_scan_determinismE0ELb0ELb0ES3_PKS6_PS6_S6_ZZZN2at6native31launch_logcumsumexp_cuda_kernelERKNSD_10TensorBaseESH_lENKUlvE_clEvENKUlvE3_clEvEUlS6_S6_E_S6_EEDaPvRmT3_T4_T5_mT6_P12ihipStream_tbENKUlT_T0_E_clISt17integral_constantIbLb1EESX_IbLb0EEEEDaST_SU_EUlST_E_NS1_11comp_targetILNS1_3genE8ELNS1_11target_archE1030ELNS1_3gpuE2ELNS1_3repE0EEENS1_30default_config_static_selectorELNS0_4arch9wavefront6targetE0EEEvT1_.kd
    .uniform_work_group_size: 1
    .uses_dynamic_stack: false
    .vgpr_count:     0
    .vgpr_spill_count: 0
    .wavefront_size: 32
    .workgroup_processor_mode: 1
  - .args:
      - .offset:         0
        .size:           32
        .value_kind:     by_value
    .group_segment_fixed_size: 0
    .kernarg_segment_align: 8
    .kernarg_segment_size: 32
    .language:       OpenCL C
    .language_version:
      - 2
      - 0
    .max_flat_workgroup_size: 128
    .name:           _ZN7rocprim17ROCPRIM_400000_NS6detail17trampoline_kernelINS0_14default_configENS1_20scan_config_selectorIN3c104HalfEEEZZNS1_9scan_implILNS1_25lookback_scan_determinismE0ELb0ELb0ES3_PKS6_PS6_S6_ZZZN2at6native31launch_logcumsumexp_cuda_kernelERKNSD_10TensorBaseESH_lENKUlvE_clEvENKUlvE3_clEvEUlS6_S6_E_S6_EEDaPvRmT3_T4_T5_mT6_P12ihipStream_tbENKUlT_T0_E_clISt17integral_constantIbLb1EESX_IbLb0EEEEDaST_SU_EUlST_E0_NS1_11comp_targetILNS1_3genE0ELNS1_11target_archE4294967295ELNS1_3gpuE0ELNS1_3repE0EEENS1_30default_config_static_selectorELNS0_4arch9wavefront6targetE0EEEvT1_
    .private_segment_fixed_size: 0
    .sgpr_count:     0
    .sgpr_spill_count: 0
    .symbol:         _ZN7rocprim17ROCPRIM_400000_NS6detail17trampoline_kernelINS0_14default_configENS1_20scan_config_selectorIN3c104HalfEEEZZNS1_9scan_implILNS1_25lookback_scan_determinismE0ELb0ELb0ES3_PKS6_PS6_S6_ZZZN2at6native31launch_logcumsumexp_cuda_kernelERKNSD_10TensorBaseESH_lENKUlvE_clEvENKUlvE3_clEvEUlS6_S6_E_S6_EEDaPvRmT3_T4_T5_mT6_P12ihipStream_tbENKUlT_T0_E_clISt17integral_constantIbLb1EESX_IbLb0EEEEDaST_SU_EUlST_E0_NS1_11comp_targetILNS1_3genE0ELNS1_11target_archE4294967295ELNS1_3gpuE0ELNS1_3repE0EEENS1_30default_config_static_selectorELNS0_4arch9wavefront6targetE0EEEvT1_.kd
    .uniform_work_group_size: 1
    .uses_dynamic_stack: false
    .vgpr_count:     0
    .vgpr_spill_count: 0
    .wavefront_size: 32
    .workgroup_processor_mode: 1
  - .args:
      - .offset:         0
        .size:           32
        .value_kind:     by_value
    .group_segment_fixed_size: 0
    .kernarg_segment_align: 8
    .kernarg_segment_size: 32
    .language:       OpenCL C
    .language_version:
      - 2
      - 0
    .max_flat_workgroup_size: 256
    .name:           _ZN7rocprim17ROCPRIM_400000_NS6detail17trampoline_kernelINS0_14default_configENS1_20scan_config_selectorIN3c104HalfEEEZZNS1_9scan_implILNS1_25lookback_scan_determinismE0ELb0ELb0ES3_PKS6_PS6_S6_ZZZN2at6native31launch_logcumsumexp_cuda_kernelERKNSD_10TensorBaseESH_lENKUlvE_clEvENKUlvE3_clEvEUlS6_S6_E_S6_EEDaPvRmT3_T4_T5_mT6_P12ihipStream_tbENKUlT_T0_E_clISt17integral_constantIbLb1EESX_IbLb0EEEEDaST_SU_EUlST_E0_NS1_11comp_targetILNS1_3genE5ELNS1_11target_archE942ELNS1_3gpuE9ELNS1_3repE0EEENS1_30default_config_static_selectorELNS0_4arch9wavefront6targetE0EEEvT1_
    .private_segment_fixed_size: 0
    .sgpr_count:     0
    .sgpr_spill_count: 0
    .symbol:         _ZN7rocprim17ROCPRIM_400000_NS6detail17trampoline_kernelINS0_14default_configENS1_20scan_config_selectorIN3c104HalfEEEZZNS1_9scan_implILNS1_25lookback_scan_determinismE0ELb0ELb0ES3_PKS6_PS6_S6_ZZZN2at6native31launch_logcumsumexp_cuda_kernelERKNSD_10TensorBaseESH_lENKUlvE_clEvENKUlvE3_clEvEUlS6_S6_E_S6_EEDaPvRmT3_T4_T5_mT6_P12ihipStream_tbENKUlT_T0_E_clISt17integral_constantIbLb1EESX_IbLb0EEEEDaST_SU_EUlST_E0_NS1_11comp_targetILNS1_3genE5ELNS1_11target_archE942ELNS1_3gpuE9ELNS1_3repE0EEENS1_30default_config_static_selectorELNS0_4arch9wavefront6targetE0EEEvT1_.kd
    .uniform_work_group_size: 1
    .uses_dynamic_stack: false
    .vgpr_count:     0
    .vgpr_spill_count: 0
    .wavefront_size: 32
    .workgroup_processor_mode: 1
  - .args:
      - .offset:         0
        .size:           32
        .value_kind:     by_value
    .group_segment_fixed_size: 0
    .kernarg_segment_align: 8
    .kernarg_segment_size: 32
    .language:       OpenCL C
    .language_version:
      - 2
      - 0
    .max_flat_workgroup_size: 64
    .name:           _ZN7rocprim17ROCPRIM_400000_NS6detail17trampoline_kernelINS0_14default_configENS1_20scan_config_selectorIN3c104HalfEEEZZNS1_9scan_implILNS1_25lookback_scan_determinismE0ELb0ELb0ES3_PKS6_PS6_S6_ZZZN2at6native31launch_logcumsumexp_cuda_kernelERKNSD_10TensorBaseESH_lENKUlvE_clEvENKUlvE3_clEvEUlS6_S6_E_S6_EEDaPvRmT3_T4_T5_mT6_P12ihipStream_tbENKUlT_T0_E_clISt17integral_constantIbLb1EESX_IbLb0EEEEDaST_SU_EUlST_E0_NS1_11comp_targetILNS1_3genE4ELNS1_11target_archE910ELNS1_3gpuE8ELNS1_3repE0EEENS1_30default_config_static_selectorELNS0_4arch9wavefront6targetE0EEEvT1_
    .private_segment_fixed_size: 0
    .sgpr_count:     0
    .sgpr_spill_count: 0
    .symbol:         _ZN7rocprim17ROCPRIM_400000_NS6detail17trampoline_kernelINS0_14default_configENS1_20scan_config_selectorIN3c104HalfEEEZZNS1_9scan_implILNS1_25lookback_scan_determinismE0ELb0ELb0ES3_PKS6_PS6_S6_ZZZN2at6native31launch_logcumsumexp_cuda_kernelERKNSD_10TensorBaseESH_lENKUlvE_clEvENKUlvE3_clEvEUlS6_S6_E_S6_EEDaPvRmT3_T4_T5_mT6_P12ihipStream_tbENKUlT_T0_E_clISt17integral_constantIbLb1EESX_IbLb0EEEEDaST_SU_EUlST_E0_NS1_11comp_targetILNS1_3genE4ELNS1_11target_archE910ELNS1_3gpuE8ELNS1_3repE0EEENS1_30default_config_static_selectorELNS0_4arch9wavefront6targetE0EEEvT1_.kd
    .uniform_work_group_size: 1
    .uses_dynamic_stack: false
    .vgpr_count:     0
    .vgpr_spill_count: 0
    .wavefront_size: 32
    .workgroup_processor_mode: 1
  - .args:
      - .offset:         0
        .size:           32
        .value_kind:     by_value
    .group_segment_fixed_size: 0
    .kernarg_segment_align: 8
    .kernarg_segment_size: 32
    .language:       OpenCL C
    .language_version:
      - 2
      - 0
    .max_flat_workgroup_size: 128
    .name:           _ZN7rocprim17ROCPRIM_400000_NS6detail17trampoline_kernelINS0_14default_configENS1_20scan_config_selectorIN3c104HalfEEEZZNS1_9scan_implILNS1_25lookback_scan_determinismE0ELb0ELb0ES3_PKS6_PS6_S6_ZZZN2at6native31launch_logcumsumexp_cuda_kernelERKNSD_10TensorBaseESH_lENKUlvE_clEvENKUlvE3_clEvEUlS6_S6_E_S6_EEDaPvRmT3_T4_T5_mT6_P12ihipStream_tbENKUlT_T0_E_clISt17integral_constantIbLb1EESX_IbLb0EEEEDaST_SU_EUlST_E0_NS1_11comp_targetILNS1_3genE3ELNS1_11target_archE908ELNS1_3gpuE7ELNS1_3repE0EEENS1_30default_config_static_selectorELNS0_4arch9wavefront6targetE0EEEvT1_
    .private_segment_fixed_size: 0
    .sgpr_count:     0
    .sgpr_spill_count: 0
    .symbol:         _ZN7rocprim17ROCPRIM_400000_NS6detail17trampoline_kernelINS0_14default_configENS1_20scan_config_selectorIN3c104HalfEEEZZNS1_9scan_implILNS1_25lookback_scan_determinismE0ELb0ELb0ES3_PKS6_PS6_S6_ZZZN2at6native31launch_logcumsumexp_cuda_kernelERKNSD_10TensorBaseESH_lENKUlvE_clEvENKUlvE3_clEvEUlS6_S6_E_S6_EEDaPvRmT3_T4_T5_mT6_P12ihipStream_tbENKUlT_T0_E_clISt17integral_constantIbLb1EESX_IbLb0EEEEDaST_SU_EUlST_E0_NS1_11comp_targetILNS1_3genE3ELNS1_11target_archE908ELNS1_3gpuE7ELNS1_3repE0EEENS1_30default_config_static_selectorELNS0_4arch9wavefront6targetE0EEEvT1_.kd
    .uniform_work_group_size: 1
    .uses_dynamic_stack: false
    .vgpr_count:     0
    .vgpr_spill_count: 0
    .wavefront_size: 32
    .workgroup_processor_mode: 1
  - .args:
      - .offset:         0
        .size:           32
        .value_kind:     by_value
    .group_segment_fixed_size: 0
    .kernarg_segment_align: 8
    .kernarg_segment_size: 32
    .language:       OpenCL C
    .language_version:
      - 2
      - 0
    .max_flat_workgroup_size: 256
    .name:           _ZN7rocprim17ROCPRIM_400000_NS6detail17trampoline_kernelINS0_14default_configENS1_20scan_config_selectorIN3c104HalfEEEZZNS1_9scan_implILNS1_25lookback_scan_determinismE0ELb0ELb0ES3_PKS6_PS6_S6_ZZZN2at6native31launch_logcumsumexp_cuda_kernelERKNSD_10TensorBaseESH_lENKUlvE_clEvENKUlvE3_clEvEUlS6_S6_E_S6_EEDaPvRmT3_T4_T5_mT6_P12ihipStream_tbENKUlT_T0_E_clISt17integral_constantIbLb1EESX_IbLb0EEEEDaST_SU_EUlST_E0_NS1_11comp_targetILNS1_3genE2ELNS1_11target_archE906ELNS1_3gpuE6ELNS1_3repE0EEENS1_30default_config_static_selectorELNS0_4arch9wavefront6targetE0EEEvT1_
    .private_segment_fixed_size: 0
    .sgpr_count:     0
    .sgpr_spill_count: 0
    .symbol:         _ZN7rocprim17ROCPRIM_400000_NS6detail17trampoline_kernelINS0_14default_configENS1_20scan_config_selectorIN3c104HalfEEEZZNS1_9scan_implILNS1_25lookback_scan_determinismE0ELb0ELb0ES3_PKS6_PS6_S6_ZZZN2at6native31launch_logcumsumexp_cuda_kernelERKNSD_10TensorBaseESH_lENKUlvE_clEvENKUlvE3_clEvEUlS6_S6_E_S6_EEDaPvRmT3_T4_T5_mT6_P12ihipStream_tbENKUlT_T0_E_clISt17integral_constantIbLb1EESX_IbLb0EEEEDaST_SU_EUlST_E0_NS1_11comp_targetILNS1_3genE2ELNS1_11target_archE906ELNS1_3gpuE6ELNS1_3repE0EEENS1_30default_config_static_selectorELNS0_4arch9wavefront6targetE0EEEvT1_.kd
    .uniform_work_group_size: 1
    .uses_dynamic_stack: false
    .vgpr_count:     0
    .vgpr_spill_count: 0
    .wavefront_size: 32
    .workgroup_processor_mode: 1
  - .args:
      - .offset:         0
        .size:           32
        .value_kind:     by_value
    .group_segment_fixed_size: 0
    .kernarg_segment_align: 8
    .kernarg_segment_size: 32
    .language:       OpenCL C
    .language_version:
      - 2
      - 0
    .max_flat_workgroup_size: 256
    .name:           _ZN7rocprim17ROCPRIM_400000_NS6detail17trampoline_kernelINS0_14default_configENS1_20scan_config_selectorIN3c104HalfEEEZZNS1_9scan_implILNS1_25lookback_scan_determinismE0ELb0ELb0ES3_PKS6_PS6_S6_ZZZN2at6native31launch_logcumsumexp_cuda_kernelERKNSD_10TensorBaseESH_lENKUlvE_clEvENKUlvE3_clEvEUlS6_S6_E_S6_EEDaPvRmT3_T4_T5_mT6_P12ihipStream_tbENKUlT_T0_E_clISt17integral_constantIbLb1EESX_IbLb0EEEEDaST_SU_EUlST_E0_NS1_11comp_targetILNS1_3genE10ELNS1_11target_archE1201ELNS1_3gpuE5ELNS1_3repE0EEENS1_30default_config_static_selectorELNS0_4arch9wavefront6targetE0EEEvT1_
    .private_segment_fixed_size: 0
    .sgpr_count:     0
    .sgpr_spill_count: 0
    .symbol:         _ZN7rocprim17ROCPRIM_400000_NS6detail17trampoline_kernelINS0_14default_configENS1_20scan_config_selectorIN3c104HalfEEEZZNS1_9scan_implILNS1_25lookback_scan_determinismE0ELb0ELb0ES3_PKS6_PS6_S6_ZZZN2at6native31launch_logcumsumexp_cuda_kernelERKNSD_10TensorBaseESH_lENKUlvE_clEvENKUlvE3_clEvEUlS6_S6_E_S6_EEDaPvRmT3_T4_T5_mT6_P12ihipStream_tbENKUlT_T0_E_clISt17integral_constantIbLb1EESX_IbLb0EEEEDaST_SU_EUlST_E0_NS1_11comp_targetILNS1_3genE10ELNS1_11target_archE1201ELNS1_3gpuE5ELNS1_3repE0EEENS1_30default_config_static_selectorELNS0_4arch9wavefront6targetE0EEEvT1_.kd
    .uniform_work_group_size: 1
    .uses_dynamic_stack: false
    .vgpr_count:     0
    .vgpr_spill_count: 0
    .wavefront_size: 32
    .workgroup_processor_mode: 1
  - .args:
      - .offset:         0
        .size:           32
        .value_kind:     by_value
    .group_segment_fixed_size: 0
    .kernarg_segment_align: 8
    .kernarg_segment_size: 32
    .language:       OpenCL C
    .language_version:
      - 2
      - 0
    .max_flat_workgroup_size: 256
    .name:           _ZN7rocprim17ROCPRIM_400000_NS6detail17trampoline_kernelINS0_14default_configENS1_20scan_config_selectorIN3c104HalfEEEZZNS1_9scan_implILNS1_25lookback_scan_determinismE0ELb0ELb0ES3_PKS6_PS6_S6_ZZZN2at6native31launch_logcumsumexp_cuda_kernelERKNSD_10TensorBaseESH_lENKUlvE_clEvENKUlvE3_clEvEUlS6_S6_E_S6_EEDaPvRmT3_T4_T5_mT6_P12ihipStream_tbENKUlT_T0_E_clISt17integral_constantIbLb1EESX_IbLb0EEEEDaST_SU_EUlST_E0_NS1_11comp_targetILNS1_3genE10ELNS1_11target_archE1200ELNS1_3gpuE4ELNS1_3repE0EEENS1_30default_config_static_selectorELNS0_4arch9wavefront6targetE0EEEvT1_
    .private_segment_fixed_size: 0
    .sgpr_count:     0
    .sgpr_spill_count: 0
    .symbol:         _ZN7rocprim17ROCPRIM_400000_NS6detail17trampoline_kernelINS0_14default_configENS1_20scan_config_selectorIN3c104HalfEEEZZNS1_9scan_implILNS1_25lookback_scan_determinismE0ELb0ELb0ES3_PKS6_PS6_S6_ZZZN2at6native31launch_logcumsumexp_cuda_kernelERKNSD_10TensorBaseESH_lENKUlvE_clEvENKUlvE3_clEvEUlS6_S6_E_S6_EEDaPvRmT3_T4_T5_mT6_P12ihipStream_tbENKUlT_T0_E_clISt17integral_constantIbLb1EESX_IbLb0EEEEDaST_SU_EUlST_E0_NS1_11comp_targetILNS1_3genE10ELNS1_11target_archE1200ELNS1_3gpuE4ELNS1_3repE0EEENS1_30default_config_static_selectorELNS0_4arch9wavefront6targetE0EEEvT1_.kd
    .uniform_work_group_size: 1
    .uses_dynamic_stack: false
    .vgpr_count:     0
    .vgpr_spill_count: 0
    .wavefront_size: 32
    .workgroup_processor_mode: 1
  - .args:
      - .offset:         0
        .size:           32
        .value_kind:     by_value
    .group_segment_fixed_size: 0
    .kernarg_segment_align: 8
    .kernarg_segment_size: 32
    .language:       OpenCL C
    .language_version:
      - 2
      - 0
    .max_flat_workgroup_size: 64
    .name:           _ZN7rocprim17ROCPRIM_400000_NS6detail17trampoline_kernelINS0_14default_configENS1_20scan_config_selectorIN3c104HalfEEEZZNS1_9scan_implILNS1_25lookback_scan_determinismE0ELb0ELb0ES3_PKS6_PS6_S6_ZZZN2at6native31launch_logcumsumexp_cuda_kernelERKNSD_10TensorBaseESH_lENKUlvE_clEvENKUlvE3_clEvEUlS6_S6_E_S6_EEDaPvRmT3_T4_T5_mT6_P12ihipStream_tbENKUlT_T0_E_clISt17integral_constantIbLb1EESX_IbLb0EEEEDaST_SU_EUlST_E0_NS1_11comp_targetILNS1_3genE9ELNS1_11target_archE1100ELNS1_3gpuE3ELNS1_3repE0EEENS1_30default_config_static_selectorELNS0_4arch9wavefront6targetE0EEEvT1_
    .private_segment_fixed_size: 0
    .sgpr_count:     0
    .sgpr_spill_count: 0
    .symbol:         _ZN7rocprim17ROCPRIM_400000_NS6detail17trampoline_kernelINS0_14default_configENS1_20scan_config_selectorIN3c104HalfEEEZZNS1_9scan_implILNS1_25lookback_scan_determinismE0ELb0ELb0ES3_PKS6_PS6_S6_ZZZN2at6native31launch_logcumsumexp_cuda_kernelERKNSD_10TensorBaseESH_lENKUlvE_clEvENKUlvE3_clEvEUlS6_S6_E_S6_EEDaPvRmT3_T4_T5_mT6_P12ihipStream_tbENKUlT_T0_E_clISt17integral_constantIbLb1EESX_IbLb0EEEEDaST_SU_EUlST_E0_NS1_11comp_targetILNS1_3genE9ELNS1_11target_archE1100ELNS1_3gpuE3ELNS1_3repE0EEENS1_30default_config_static_selectorELNS0_4arch9wavefront6targetE0EEEvT1_.kd
    .uniform_work_group_size: 1
    .uses_dynamic_stack: false
    .vgpr_count:     0
    .vgpr_spill_count: 0
    .wavefront_size: 32
    .workgroup_processor_mode: 1
  - .args:
      - .offset:         0
        .size:           32
        .value_kind:     by_value
    .group_segment_fixed_size: 1536
    .kernarg_segment_align: 8
    .kernarg_segment_size: 32
    .language:       OpenCL C
    .language_version:
      - 2
      - 0
    .max_flat_workgroup_size: 64
    .name:           _ZN7rocprim17ROCPRIM_400000_NS6detail17trampoline_kernelINS0_14default_configENS1_20scan_config_selectorIN3c104HalfEEEZZNS1_9scan_implILNS1_25lookback_scan_determinismE0ELb0ELb0ES3_PKS6_PS6_S6_ZZZN2at6native31launch_logcumsumexp_cuda_kernelERKNSD_10TensorBaseESH_lENKUlvE_clEvENKUlvE3_clEvEUlS6_S6_E_S6_EEDaPvRmT3_T4_T5_mT6_P12ihipStream_tbENKUlT_T0_E_clISt17integral_constantIbLb1EESX_IbLb0EEEEDaST_SU_EUlST_E0_NS1_11comp_targetILNS1_3genE8ELNS1_11target_archE1030ELNS1_3gpuE2ELNS1_3repE0EEENS1_30default_config_static_selectorELNS0_4arch9wavefront6targetE0EEEvT1_
    .private_segment_fixed_size: 0
    .sgpr_count:     32
    .sgpr_spill_count: 0
    .symbol:         _ZN7rocprim17ROCPRIM_400000_NS6detail17trampoline_kernelINS0_14default_configENS1_20scan_config_selectorIN3c104HalfEEEZZNS1_9scan_implILNS1_25lookback_scan_determinismE0ELb0ELb0ES3_PKS6_PS6_S6_ZZZN2at6native31launch_logcumsumexp_cuda_kernelERKNSD_10TensorBaseESH_lENKUlvE_clEvENKUlvE3_clEvEUlS6_S6_E_S6_EEDaPvRmT3_T4_T5_mT6_P12ihipStream_tbENKUlT_T0_E_clISt17integral_constantIbLb1EESX_IbLb0EEEEDaST_SU_EUlST_E0_NS1_11comp_targetILNS1_3genE8ELNS1_11target_archE1030ELNS1_3gpuE2ELNS1_3repE0EEENS1_30default_config_static_selectorELNS0_4arch9wavefront6targetE0EEEvT1_.kd
    .uniform_work_group_size: 1
    .uses_dynamic_stack: false
    .vgpr_count:     36
    .vgpr_spill_count: 0
    .wavefront_size: 32
    .workgroup_processor_mode: 1
  - .args:
      - .address_space:  global
        .offset:         0
        .size:           8
        .value_kind:     global_buffer
      - .offset:         8
        .size:           4
        .value_kind:     by_value
      - .address_space:  global
        .offset:         16
        .size:           8
        .value_kind:     global_buffer
      - .offset:         24
        .size:           4
        .value_kind:     by_value
      - .address_space:  global
        .offset:         32
        .size:           8
        .value_kind:     global_buffer
      - .offset:         40
        .size:           4
        .value_kind:     hidden_block_count_x
      - .offset:         44
        .size:           4
        .value_kind:     hidden_block_count_y
      - .offset:         48
        .size:           4
        .value_kind:     hidden_block_count_z
      - .offset:         52
        .size:           2
        .value_kind:     hidden_group_size_x
      - .offset:         54
        .size:           2
        .value_kind:     hidden_group_size_y
      - .offset:         56
        .size:           2
        .value_kind:     hidden_group_size_z
      - .offset:         58
        .size:           2
        .value_kind:     hidden_remainder_x
      - .offset:         60
        .size:           2
        .value_kind:     hidden_remainder_y
      - .offset:         62
        .size:           2
        .value_kind:     hidden_remainder_z
      - .offset:         80
        .size:           8
        .value_kind:     hidden_global_offset_x
      - .offset:         88
        .size:           8
        .value_kind:     hidden_global_offset_y
      - .offset:         96
        .size:           8
        .value_kind:     hidden_global_offset_z
      - .offset:         104
        .size:           2
        .value_kind:     hidden_grid_dims
    .group_segment_fixed_size: 0
    .kernarg_segment_align: 8
    .kernarg_segment_size: 296
    .language:       OpenCL C
    .language_version:
      - 2
      - 0
    .max_flat_workgroup_size: 256
    .name:           _ZN7rocprim17ROCPRIM_400000_NS6detail31init_lookback_scan_state_kernelINS1_19lookback_scan_stateIN3c104HalfELb0ELb1EEENS1_16block_id_wrapperIjLb1EEEEEvT_jT0_jPNS9_10value_typeE
    .private_segment_fixed_size: 0
    .sgpr_count:     12
    .sgpr_spill_count: 0
    .symbol:         _ZN7rocprim17ROCPRIM_400000_NS6detail31init_lookback_scan_state_kernelINS1_19lookback_scan_stateIN3c104HalfELb0ELb1EEENS1_16block_id_wrapperIjLb1EEEEEvT_jT0_jPNS9_10value_typeE.kd
    .uniform_work_group_size: 1
    .uses_dynamic_stack: false
    .vgpr_count:     5
    .vgpr_spill_count: 0
    .wavefront_size: 32
    .workgroup_processor_mode: 1
  - .args:
      - .offset:         0
        .size:           96
        .value_kind:     by_value
    .group_segment_fixed_size: 0
    .kernarg_segment_align: 8
    .kernarg_segment_size: 96
    .language:       OpenCL C
    .language_version:
      - 2
      - 0
    .max_flat_workgroup_size: 128
    .name:           _ZN7rocprim17ROCPRIM_400000_NS6detail17trampoline_kernelINS0_14default_configENS1_20scan_config_selectorIN3c104HalfEEEZZNS1_9scan_implILNS1_25lookback_scan_determinismE0ELb0ELb0ES3_PKS6_PS6_S6_ZZZN2at6native31launch_logcumsumexp_cuda_kernelERKNSD_10TensorBaseESH_lENKUlvE_clEvENKUlvE3_clEvEUlS6_S6_E_S6_EEDaPvRmT3_T4_T5_mT6_P12ihipStream_tbENKUlT_T0_E_clISt17integral_constantIbLb0EESX_IbLb1EEEEDaST_SU_EUlST_E_NS1_11comp_targetILNS1_3genE0ELNS1_11target_archE4294967295ELNS1_3gpuE0ELNS1_3repE0EEENS1_30default_config_static_selectorELNS0_4arch9wavefront6targetE0EEEvT1_
    .private_segment_fixed_size: 0
    .sgpr_count:     0
    .sgpr_spill_count: 0
    .symbol:         _ZN7rocprim17ROCPRIM_400000_NS6detail17trampoline_kernelINS0_14default_configENS1_20scan_config_selectorIN3c104HalfEEEZZNS1_9scan_implILNS1_25lookback_scan_determinismE0ELb0ELb0ES3_PKS6_PS6_S6_ZZZN2at6native31launch_logcumsumexp_cuda_kernelERKNSD_10TensorBaseESH_lENKUlvE_clEvENKUlvE3_clEvEUlS6_S6_E_S6_EEDaPvRmT3_T4_T5_mT6_P12ihipStream_tbENKUlT_T0_E_clISt17integral_constantIbLb0EESX_IbLb1EEEEDaST_SU_EUlST_E_NS1_11comp_targetILNS1_3genE0ELNS1_11target_archE4294967295ELNS1_3gpuE0ELNS1_3repE0EEENS1_30default_config_static_selectorELNS0_4arch9wavefront6targetE0EEEvT1_.kd
    .uniform_work_group_size: 1
    .uses_dynamic_stack: false
    .vgpr_count:     0
    .vgpr_spill_count: 0
    .wavefront_size: 32
    .workgroup_processor_mode: 1
  - .args:
      - .offset:         0
        .size:           96
        .value_kind:     by_value
    .group_segment_fixed_size: 0
    .kernarg_segment_align: 8
    .kernarg_segment_size: 96
    .language:       OpenCL C
    .language_version:
      - 2
      - 0
    .max_flat_workgroup_size: 256
    .name:           _ZN7rocprim17ROCPRIM_400000_NS6detail17trampoline_kernelINS0_14default_configENS1_20scan_config_selectorIN3c104HalfEEEZZNS1_9scan_implILNS1_25lookback_scan_determinismE0ELb0ELb0ES3_PKS6_PS6_S6_ZZZN2at6native31launch_logcumsumexp_cuda_kernelERKNSD_10TensorBaseESH_lENKUlvE_clEvENKUlvE3_clEvEUlS6_S6_E_S6_EEDaPvRmT3_T4_T5_mT6_P12ihipStream_tbENKUlT_T0_E_clISt17integral_constantIbLb0EESX_IbLb1EEEEDaST_SU_EUlST_E_NS1_11comp_targetILNS1_3genE5ELNS1_11target_archE942ELNS1_3gpuE9ELNS1_3repE0EEENS1_30default_config_static_selectorELNS0_4arch9wavefront6targetE0EEEvT1_
    .private_segment_fixed_size: 0
    .sgpr_count:     0
    .sgpr_spill_count: 0
    .symbol:         _ZN7rocprim17ROCPRIM_400000_NS6detail17trampoline_kernelINS0_14default_configENS1_20scan_config_selectorIN3c104HalfEEEZZNS1_9scan_implILNS1_25lookback_scan_determinismE0ELb0ELb0ES3_PKS6_PS6_S6_ZZZN2at6native31launch_logcumsumexp_cuda_kernelERKNSD_10TensorBaseESH_lENKUlvE_clEvENKUlvE3_clEvEUlS6_S6_E_S6_EEDaPvRmT3_T4_T5_mT6_P12ihipStream_tbENKUlT_T0_E_clISt17integral_constantIbLb0EESX_IbLb1EEEEDaST_SU_EUlST_E_NS1_11comp_targetILNS1_3genE5ELNS1_11target_archE942ELNS1_3gpuE9ELNS1_3repE0EEENS1_30default_config_static_selectorELNS0_4arch9wavefront6targetE0EEEvT1_.kd
    .uniform_work_group_size: 1
    .uses_dynamic_stack: false
    .vgpr_count:     0
    .vgpr_spill_count: 0
    .wavefront_size: 32
    .workgroup_processor_mode: 1
  - .args:
      - .offset:         0
        .size:           96
        .value_kind:     by_value
    .group_segment_fixed_size: 0
    .kernarg_segment_align: 8
    .kernarg_segment_size: 96
    .language:       OpenCL C
    .language_version:
      - 2
      - 0
    .max_flat_workgroup_size: 64
    .name:           _ZN7rocprim17ROCPRIM_400000_NS6detail17trampoline_kernelINS0_14default_configENS1_20scan_config_selectorIN3c104HalfEEEZZNS1_9scan_implILNS1_25lookback_scan_determinismE0ELb0ELb0ES3_PKS6_PS6_S6_ZZZN2at6native31launch_logcumsumexp_cuda_kernelERKNSD_10TensorBaseESH_lENKUlvE_clEvENKUlvE3_clEvEUlS6_S6_E_S6_EEDaPvRmT3_T4_T5_mT6_P12ihipStream_tbENKUlT_T0_E_clISt17integral_constantIbLb0EESX_IbLb1EEEEDaST_SU_EUlST_E_NS1_11comp_targetILNS1_3genE4ELNS1_11target_archE910ELNS1_3gpuE8ELNS1_3repE0EEENS1_30default_config_static_selectorELNS0_4arch9wavefront6targetE0EEEvT1_
    .private_segment_fixed_size: 0
    .sgpr_count:     0
    .sgpr_spill_count: 0
    .symbol:         _ZN7rocprim17ROCPRIM_400000_NS6detail17trampoline_kernelINS0_14default_configENS1_20scan_config_selectorIN3c104HalfEEEZZNS1_9scan_implILNS1_25lookback_scan_determinismE0ELb0ELb0ES3_PKS6_PS6_S6_ZZZN2at6native31launch_logcumsumexp_cuda_kernelERKNSD_10TensorBaseESH_lENKUlvE_clEvENKUlvE3_clEvEUlS6_S6_E_S6_EEDaPvRmT3_T4_T5_mT6_P12ihipStream_tbENKUlT_T0_E_clISt17integral_constantIbLb0EESX_IbLb1EEEEDaST_SU_EUlST_E_NS1_11comp_targetILNS1_3genE4ELNS1_11target_archE910ELNS1_3gpuE8ELNS1_3repE0EEENS1_30default_config_static_selectorELNS0_4arch9wavefront6targetE0EEEvT1_.kd
    .uniform_work_group_size: 1
    .uses_dynamic_stack: false
    .vgpr_count:     0
    .vgpr_spill_count: 0
    .wavefront_size: 32
    .workgroup_processor_mode: 1
  - .args:
      - .offset:         0
        .size:           96
        .value_kind:     by_value
    .group_segment_fixed_size: 0
    .kernarg_segment_align: 8
    .kernarg_segment_size: 96
    .language:       OpenCL C
    .language_version:
      - 2
      - 0
    .max_flat_workgroup_size: 128
    .name:           _ZN7rocprim17ROCPRIM_400000_NS6detail17trampoline_kernelINS0_14default_configENS1_20scan_config_selectorIN3c104HalfEEEZZNS1_9scan_implILNS1_25lookback_scan_determinismE0ELb0ELb0ES3_PKS6_PS6_S6_ZZZN2at6native31launch_logcumsumexp_cuda_kernelERKNSD_10TensorBaseESH_lENKUlvE_clEvENKUlvE3_clEvEUlS6_S6_E_S6_EEDaPvRmT3_T4_T5_mT6_P12ihipStream_tbENKUlT_T0_E_clISt17integral_constantIbLb0EESX_IbLb1EEEEDaST_SU_EUlST_E_NS1_11comp_targetILNS1_3genE3ELNS1_11target_archE908ELNS1_3gpuE7ELNS1_3repE0EEENS1_30default_config_static_selectorELNS0_4arch9wavefront6targetE0EEEvT1_
    .private_segment_fixed_size: 0
    .sgpr_count:     0
    .sgpr_spill_count: 0
    .symbol:         _ZN7rocprim17ROCPRIM_400000_NS6detail17trampoline_kernelINS0_14default_configENS1_20scan_config_selectorIN3c104HalfEEEZZNS1_9scan_implILNS1_25lookback_scan_determinismE0ELb0ELb0ES3_PKS6_PS6_S6_ZZZN2at6native31launch_logcumsumexp_cuda_kernelERKNSD_10TensorBaseESH_lENKUlvE_clEvENKUlvE3_clEvEUlS6_S6_E_S6_EEDaPvRmT3_T4_T5_mT6_P12ihipStream_tbENKUlT_T0_E_clISt17integral_constantIbLb0EESX_IbLb1EEEEDaST_SU_EUlST_E_NS1_11comp_targetILNS1_3genE3ELNS1_11target_archE908ELNS1_3gpuE7ELNS1_3repE0EEENS1_30default_config_static_selectorELNS0_4arch9wavefront6targetE0EEEvT1_.kd
    .uniform_work_group_size: 1
    .uses_dynamic_stack: false
    .vgpr_count:     0
    .vgpr_spill_count: 0
    .wavefront_size: 32
    .workgroup_processor_mode: 1
  - .args:
      - .offset:         0
        .size:           96
        .value_kind:     by_value
    .group_segment_fixed_size: 0
    .kernarg_segment_align: 8
    .kernarg_segment_size: 96
    .language:       OpenCL C
    .language_version:
      - 2
      - 0
    .max_flat_workgroup_size: 256
    .name:           _ZN7rocprim17ROCPRIM_400000_NS6detail17trampoline_kernelINS0_14default_configENS1_20scan_config_selectorIN3c104HalfEEEZZNS1_9scan_implILNS1_25lookback_scan_determinismE0ELb0ELb0ES3_PKS6_PS6_S6_ZZZN2at6native31launch_logcumsumexp_cuda_kernelERKNSD_10TensorBaseESH_lENKUlvE_clEvENKUlvE3_clEvEUlS6_S6_E_S6_EEDaPvRmT3_T4_T5_mT6_P12ihipStream_tbENKUlT_T0_E_clISt17integral_constantIbLb0EESX_IbLb1EEEEDaST_SU_EUlST_E_NS1_11comp_targetILNS1_3genE2ELNS1_11target_archE906ELNS1_3gpuE6ELNS1_3repE0EEENS1_30default_config_static_selectorELNS0_4arch9wavefront6targetE0EEEvT1_
    .private_segment_fixed_size: 0
    .sgpr_count:     0
    .sgpr_spill_count: 0
    .symbol:         _ZN7rocprim17ROCPRIM_400000_NS6detail17trampoline_kernelINS0_14default_configENS1_20scan_config_selectorIN3c104HalfEEEZZNS1_9scan_implILNS1_25lookback_scan_determinismE0ELb0ELb0ES3_PKS6_PS6_S6_ZZZN2at6native31launch_logcumsumexp_cuda_kernelERKNSD_10TensorBaseESH_lENKUlvE_clEvENKUlvE3_clEvEUlS6_S6_E_S6_EEDaPvRmT3_T4_T5_mT6_P12ihipStream_tbENKUlT_T0_E_clISt17integral_constantIbLb0EESX_IbLb1EEEEDaST_SU_EUlST_E_NS1_11comp_targetILNS1_3genE2ELNS1_11target_archE906ELNS1_3gpuE6ELNS1_3repE0EEENS1_30default_config_static_selectorELNS0_4arch9wavefront6targetE0EEEvT1_.kd
    .uniform_work_group_size: 1
    .uses_dynamic_stack: false
    .vgpr_count:     0
    .vgpr_spill_count: 0
    .wavefront_size: 32
    .workgroup_processor_mode: 1
  - .args:
      - .offset:         0
        .size:           96
        .value_kind:     by_value
    .group_segment_fixed_size: 0
    .kernarg_segment_align: 8
    .kernarg_segment_size: 96
    .language:       OpenCL C
    .language_version:
      - 2
      - 0
    .max_flat_workgroup_size: 256
    .name:           _ZN7rocprim17ROCPRIM_400000_NS6detail17trampoline_kernelINS0_14default_configENS1_20scan_config_selectorIN3c104HalfEEEZZNS1_9scan_implILNS1_25lookback_scan_determinismE0ELb0ELb0ES3_PKS6_PS6_S6_ZZZN2at6native31launch_logcumsumexp_cuda_kernelERKNSD_10TensorBaseESH_lENKUlvE_clEvENKUlvE3_clEvEUlS6_S6_E_S6_EEDaPvRmT3_T4_T5_mT6_P12ihipStream_tbENKUlT_T0_E_clISt17integral_constantIbLb0EESX_IbLb1EEEEDaST_SU_EUlST_E_NS1_11comp_targetILNS1_3genE10ELNS1_11target_archE1201ELNS1_3gpuE5ELNS1_3repE0EEENS1_30default_config_static_selectorELNS0_4arch9wavefront6targetE0EEEvT1_
    .private_segment_fixed_size: 0
    .sgpr_count:     0
    .sgpr_spill_count: 0
    .symbol:         _ZN7rocprim17ROCPRIM_400000_NS6detail17trampoline_kernelINS0_14default_configENS1_20scan_config_selectorIN3c104HalfEEEZZNS1_9scan_implILNS1_25lookback_scan_determinismE0ELb0ELb0ES3_PKS6_PS6_S6_ZZZN2at6native31launch_logcumsumexp_cuda_kernelERKNSD_10TensorBaseESH_lENKUlvE_clEvENKUlvE3_clEvEUlS6_S6_E_S6_EEDaPvRmT3_T4_T5_mT6_P12ihipStream_tbENKUlT_T0_E_clISt17integral_constantIbLb0EESX_IbLb1EEEEDaST_SU_EUlST_E_NS1_11comp_targetILNS1_3genE10ELNS1_11target_archE1201ELNS1_3gpuE5ELNS1_3repE0EEENS1_30default_config_static_selectorELNS0_4arch9wavefront6targetE0EEEvT1_.kd
    .uniform_work_group_size: 1
    .uses_dynamic_stack: false
    .vgpr_count:     0
    .vgpr_spill_count: 0
    .wavefront_size: 32
    .workgroup_processor_mode: 1
  - .args:
      - .offset:         0
        .size:           96
        .value_kind:     by_value
    .group_segment_fixed_size: 0
    .kernarg_segment_align: 8
    .kernarg_segment_size: 96
    .language:       OpenCL C
    .language_version:
      - 2
      - 0
    .max_flat_workgroup_size: 256
    .name:           _ZN7rocprim17ROCPRIM_400000_NS6detail17trampoline_kernelINS0_14default_configENS1_20scan_config_selectorIN3c104HalfEEEZZNS1_9scan_implILNS1_25lookback_scan_determinismE0ELb0ELb0ES3_PKS6_PS6_S6_ZZZN2at6native31launch_logcumsumexp_cuda_kernelERKNSD_10TensorBaseESH_lENKUlvE_clEvENKUlvE3_clEvEUlS6_S6_E_S6_EEDaPvRmT3_T4_T5_mT6_P12ihipStream_tbENKUlT_T0_E_clISt17integral_constantIbLb0EESX_IbLb1EEEEDaST_SU_EUlST_E_NS1_11comp_targetILNS1_3genE10ELNS1_11target_archE1200ELNS1_3gpuE4ELNS1_3repE0EEENS1_30default_config_static_selectorELNS0_4arch9wavefront6targetE0EEEvT1_
    .private_segment_fixed_size: 0
    .sgpr_count:     0
    .sgpr_spill_count: 0
    .symbol:         _ZN7rocprim17ROCPRIM_400000_NS6detail17trampoline_kernelINS0_14default_configENS1_20scan_config_selectorIN3c104HalfEEEZZNS1_9scan_implILNS1_25lookback_scan_determinismE0ELb0ELb0ES3_PKS6_PS6_S6_ZZZN2at6native31launch_logcumsumexp_cuda_kernelERKNSD_10TensorBaseESH_lENKUlvE_clEvENKUlvE3_clEvEUlS6_S6_E_S6_EEDaPvRmT3_T4_T5_mT6_P12ihipStream_tbENKUlT_T0_E_clISt17integral_constantIbLb0EESX_IbLb1EEEEDaST_SU_EUlST_E_NS1_11comp_targetILNS1_3genE10ELNS1_11target_archE1200ELNS1_3gpuE4ELNS1_3repE0EEENS1_30default_config_static_selectorELNS0_4arch9wavefront6targetE0EEEvT1_.kd
    .uniform_work_group_size: 1
    .uses_dynamic_stack: false
    .vgpr_count:     0
    .vgpr_spill_count: 0
    .wavefront_size: 32
    .workgroup_processor_mode: 1
  - .args:
      - .offset:         0
        .size:           96
        .value_kind:     by_value
    .group_segment_fixed_size: 0
    .kernarg_segment_align: 8
    .kernarg_segment_size: 96
    .language:       OpenCL C
    .language_version:
      - 2
      - 0
    .max_flat_workgroup_size: 64
    .name:           _ZN7rocprim17ROCPRIM_400000_NS6detail17trampoline_kernelINS0_14default_configENS1_20scan_config_selectorIN3c104HalfEEEZZNS1_9scan_implILNS1_25lookback_scan_determinismE0ELb0ELb0ES3_PKS6_PS6_S6_ZZZN2at6native31launch_logcumsumexp_cuda_kernelERKNSD_10TensorBaseESH_lENKUlvE_clEvENKUlvE3_clEvEUlS6_S6_E_S6_EEDaPvRmT3_T4_T5_mT6_P12ihipStream_tbENKUlT_T0_E_clISt17integral_constantIbLb0EESX_IbLb1EEEEDaST_SU_EUlST_E_NS1_11comp_targetILNS1_3genE9ELNS1_11target_archE1100ELNS1_3gpuE3ELNS1_3repE0EEENS1_30default_config_static_selectorELNS0_4arch9wavefront6targetE0EEEvT1_
    .private_segment_fixed_size: 0
    .sgpr_count:     0
    .sgpr_spill_count: 0
    .symbol:         _ZN7rocprim17ROCPRIM_400000_NS6detail17trampoline_kernelINS0_14default_configENS1_20scan_config_selectorIN3c104HalfEEEZZNS1_9scan_implILNS1_25lookback_scan_determinismE0ELb0ELb0ES3_PKS6_PS6_S6_ZZZN2at6native31launch_logcumsumexp_cuda_kernelERKNSD_10TensorBaseESH_lENKUlvE_clEvENKUlvE3_clEvEUlS6_S6_E_S6_EEDaPvRmT3_T4_T5_mT6_P12ihipStream_tbENKUlT_T0_E_clISt17integral_constantIbLb0EESX_IbLb1EEEEDaST_SU_EUlST_E_NS1_11comp_targetILNS1_3genE9ELNS1_11target_archE1100ELNS1_3gpuE3ELNS1_3repE0EEENS1_30default_config_static_selectorELNS0_4arch9wavefront6targetE0EEEvT1_.kd
    .uniform_work_group_size: 1
    .uses_dynamic_stack: false
    .vgpr_count:     0
    .vgpr_spill_count: 0
    .wavefront_size: 32
    .workgroup_processor_mode: 1
  - .args:
      - .offset:         0
        .size:           96
        .value_kind:     by_value
    .group_segment_fixed_size: 1536
    .kernarg_segment_align: 8
    .kernarg_segment_size: 96
    .language:       OpenCL C
    .language_version:
      - 2
      - 0
    .max_flat_workgroup_size: 64
    .name:           _ZN7rocprim17ROCPRIM_400000_NS6detail17trampoline_kernelINS0_14default_configENS1_20scan_config_selectorIN3c104HalfEEEZZNS1_9scan_implILNS1_25lookback_scan_determinismE0ELb0ELb0ES3_PKS6_PS6_S6_ZZZN2at6native31launch_logcumsumexp_cuda_kernelERKNSD_10TensorBaseESH_lENKUlvE_clEvENKUlvE3_clEvEUlS6_S6_E_S6_EEDaPvRmT3_T4_T5_mT6_P12ihipStream_tbENKUlT_T0_E_clISt17integral_constantIbLb0EESX_IbLb1EEEEDaST_SU_EUlST_E_NS1_11comp_targetILNS1_3genE8ELNS1_11target_archE1030ELNS1_3gpuE2ELNS1_3repE0EEENS1_30default_config_static_selectorELNS0_4arch9wavefront6targetE0EEEvT1_
    .private_segment_fixed_size: 0
    .sgpr_count:     46
    .sgpr_spill_count: 0
    .symbol:         _ZN7rocprim17ROCPRIM_400000_NS6detail17trampoline_kernelINS0_14default_configENS1_20scan_config_selectorIN3c104HalfEEEZZNS1_9scan_implILNS1_25lookback_scan_determinismE0ELb0ELb0ES3_PKS6_PS6_S6_ZZZN2at6native31launch_logcumsumexp_cuda_kernelERKNSD_10TensorBaseESH_lENKUlvE_clEvENKUlvE3_clEvEUlS6_S6_E_S6_EEDaPvRmT3_T4_T5_mT6_P12ihipStream_tbENKUlT_T0_E_clISt17integral_constantIbLb0EESX_IbLb1EEEEDaST_SU_EUlST_E_NS1_11comp_targetILNS1_3genE8ELNS1_11target_archE1030ELNS1_3gpuE2ELNS1_3repE0EEENS1_30default_config_static_selectorELNS0_4arch9wavefront6targetE0EEEvT1_.kd
    .uniform_work_group_size: 1
    .uses_dynamic_stack: false
    .vgpr_count:     54
    .vgpr_spill_count: 0
    .wavefront_size: 32
    .workgroup_processor_mode: 1
  - .args:
      - .offset:         0
        .size:           32
        .value_kind:     by_value
    .group_segment_fixed_size: 0
    .kernarg_segment_align: 8
    .kernarg_segment_size: 32
    .language:       OpenCL C
    .language_version:
      - 2
      - 0
    .max_flat_workgroup_size: 128
    .name:           _ZN7rocprim17ROCPRIM_400000_NS6detail17trampoline_kernelINS0_14default_configENS1_20scan_config_selectorIN3c104HalfEEEZZNS1_9scan_implILNS1_25lookback_scan_determinismE0ELb0ELb0ES3_PKS6_PS6_S6_ZZZN2at6native31launch_logcumsumexp_cuda_kernelERKNSD_10TensorBaseESH_lENKUlvE_clEvENKUlvE3_clEvEUlS6_S6_E_S6_EEDaPvRmT3_T4_T5_mT6_P12ihipStream_tbENKUlT_T0_E_clISt17integral_constantIbLb0EESX_IbLb1EEEEDaST_SU_EUlST_E0_NS1_11comp_targetILNS1_3genE0ELNS1_11target_archE4294967295ELNS1_3gpuE0ELNS1_3repE0EEENS1_30default_config_static_selectorELNS0_4arch9wavefront6targetE0EEEvT1_
    .private_segment_fixed_size: 0
    .sgpr_count:     0
    .sgpr_spill_count: 0
    .symbol:         _ZN7rocprim17ROCPRIM_400000_NS6detail17trampoline_kernelINS0_14default_configENS1_20scan_config_selectorIN3c104HalfEEEZZNS1_9scan_implILNS1_25lookback_scan_determinismE0ELb0ELb0ES3_PKS6_PS6_S6_ZZZN2at6native31launch_logcumsumexp_cuda_kernelERKNSD_10TensorBaseESH_lENKUlvE_clEvENKUlvE3_clEvEUlS6_S6_E_S6_EEDaPvRmT3_T4_T5_mT6_P12ihipStream_tbENKUlT_T0_E_clISt17integral_constantIbLb0EESX_IbLb1EEEEDaST_SU_EUlST_E0_NS1_11comp_targetILNS1_3genE0ELNS1_11target_archE4294967295ELNS1_3gpuE0ELNS1_3repE0EEENS1_30default_config_static_selectorELNS0_4arch9wavefront6targetE0EEEvT1_.kd
    .uniform_work_group_size: 1
    .uses_dynamic_stack: false
    .vgpr_count:     0
    .vgpr_spill_count: 0
    .wavefront_size: 32
    .workgroup_processor_mode: 1
  - .args:
      - .offset:         0
        .size:           32
        .value_kind:     by_value
    .group_segment_fixed_size: 0
    .kernarg_segment_align: 8
    .kernarg_segment_size: 32
    .language:       OpenCL C
    .language_version:
      - 2
      - 0
    .max_flat_workgroup_size: 256
    .name:           _ZN7rocprim17ROCPRIM_400000_NS6detail17trampoline_kernelINS0_14default_configENS1_20scan_config_selectorIN3c104HalfEEEZZNS1_9scan_implILNS1_25lookback_scan_determinismE0ELb0ELb0ES3_PKS6_PS6_S6_ZZZN2at6native31launch_logcumsumexp_cuda_kernelERKNSD_10TensorBaseESH_lENKUlvE_clEvENKUlvE3_clEvEUlS6_S6_E_S6_EEDaPvRmT3_T4_T5_mT6_P12ihipStream_tbENKUlT_T0_E_clISt17integral_constantIbLb0EESX_IbLb1EEEEDaST_SU_EUlST_E0_NS1_11comp_targetILNS1_3genE5ELNS1_11target_archE942ELNS1_3gpuE9ELNS1_3repE0EEENS1_30default_config_static_selectorELNS0_4arch9wavefront6targetE0EEEvT1_
    .private_segment_fixed_size: 0
    .sgpr_count:     0
    .sgpr_spill_count: 0
    .symbol:         _ZN7rocprim17ROCPRIM_400000_NS6detail17trampoline_kernelINS0_14default_configENS1_20scan_config_selectorIN3c104HalfEEEZZNS1_9scan_implILNS1_25lookback_scan_determinismE0ELb0ELb0ES3_PKS6_PS6_S6_ZZZN2at6native31launch_logcumsumexp_cuda_kernelERKNSD_10TensorBaseESH_lENKUlvE_clEvENKUlvE3_clEvEUlS6_S6_E_S6_EEDaPvRmT3_T4_T5_mT6_P12ihipStream_tbENKUlT_T0_E_clISt17integral_constantIbLb0EESX_IbLb1EEEEDaST_SU_EUlST_E0_NS1_11comp_targetILNS1_3genE5ELNS1_11target_archE942ELNS1_3gpuE9ELNS1_3repE0EEENS1_30default_config_static_selectorELNS0_4arch9wavefront6targetE0EEEvT1_.kd
    .uniform_work_group_size: 1
    .uses_dynamic_stack: false
    .vgpr_count:     0
    .vgpr_spill_count: 0
    .wavefront_size: 32
    .workgroup_processor_mode: 1
  - .args:
      - .offset:         0
        .size:           32
        .value_kind:     by_value
    .group_segment_fixed_size: 0
    .kernarg_segment_align: 8
    .kernarg_segment_size: 32
    .language:       OpenCL C
    .language_version:
      - 2
      - 0
    .max_flat_workgroup_size: 64
    .name:           _ZN7rocprim17ROCPRIM_400000_NS6detail17trampoline_kernelINS0_14default_configENS1_20scan_config_selectorIN3c104HalfEEEZZNS1_9scan_implILNS1_25lookback_scan_determinismE0ELb0ELb0ES3_PKS6_PS6_S6_ZZZN2at6native31launch_logcumsumexp_cuda_kernelERKNSD_10TensorBaseESH_lENKUlvE_clEvENKUlvE3_clEvEUlS6_S6_E_S6_EEDaPvRmT3_T4_T5_mT6_P12ihipStream_tbENKUlT_T0_E_clISt17integral_constantIbLb0EESX_IbLb1EEEEDaST_SU_EUlST_E0_NS1_11comp_targetILNS1_3genE4ELNS1_11target_archE910ELNS1_3gpuE8ELNS1_3repE0EEENS1_30default_config_static_selectorELNS0_4arch9wavefront6targetE0EEEvT1_
    .private_segment_fixed_size: 0
    .sgpr_count:     0
    .sgpr_spill_count: 0
    .symbol:         _ZN7rocprim17ROCPRIM_400000_NS6detail17trampoline_kernelINS0_14default_configENS1_20scan_config_selectorIN3c104HalfEEEZZNS1_9scan_implILNS1_25lookback_scan_determinismE0ELb0ELb0ES3_PKS6_PS6_S6_ZZZN2at6native31launch_logcumsumexp_cuda_kernelERKNSD_10TensorBaseESH_lENKUlvE_clEvENKUlvE3_clEvEUlS6_S6_E_S6_EEDaPvRmT3_T4_T5_mT6_P12ihipStream_tbENKUlT_T0_E_clISt17integral_constantIbLb0EESX_IbLb1EEEEDaST_SU_EUlST_E0_NS1_11comp_targetILNS1_3genE4ELNS1_11target_archE910ELNS1_3gpuE8ELNS1_3repE0EEENS1_30default_config_static_selectorELNS0_4arch9wavefront6targetE0EEEvT1_.kd
    .uniform_work_group_size: 1
    .uses_dynamic_stack: false
    .vgpr_count:     0
    .vgpr_spill_count: 0
    .wavefront_size: 32
    .workgroup_processor_mode: 1
  - .args:
      - .offset:         0
        .size:           32
        .value_kind:     by_value
    .group_segment_fixed_size: 0
    .kernarg_segment_align: 8
    .kernarg_segment_size: 32
    .language:       OpenCL C
    .language_version:
      - 2
      - 0
    .max_flat_workgroup_size: 128
    .name:           _ZN7rocprim17ROCPRIM_400000_NS6detail17trampoline_kernelINS0_14default_configENS1_20scan_config_selectorIN3c104HalfEEEZZNS1_9scan_implILNS1_25lookback_scan_determinismE0ELb0ELb0ES3_PKS6_PS6_S6_ZZZN2at6native31launch_logcumsumexp_cuda_kernelERKNSD_10TensorBaseESH_lENKUlvE_clEvENKUlvE3_clEvEUlS6_S6_E_S6_EEDaPvRmT3_T4_T5_mT6_P12ihipStream_tbENKUlT_T0_E_clISt17integral_constantIbLb0EESX_IbLb1EEEEDaST_SU_EUlST_E0_NS1_11comp_targetILNS1_3genE3ELNS1_11target_archE908ELNS1_3gpuE7ELNS1_3repE0EEENS1_30default_config_static_selectorELNS0_4arch9wavefront6targetE0EEEvT1_
    .private_segment_fixed_size: 0
    .sgpr_count:     0
    .sgpr_spill_count: 0
    .symbol:         _ZN7rocprim17ROCPRIM_400000_NS6detail17trampoline_kernelINS0_14default_configENS1_20scan_config_selectorIN3c104HalfEEEZZNS1_9scan_implILNS1_25lookback_scan_determinismE0ELb0ELb0ES3_PKS6_PS6_S6_ZZZN2at6native31launch_logcumsumexp_cuda_kernelERKNSD_10TensorBaseESH_lENKUlvE_clEvENKUlvE3_clEvEUlS6_S6_E_S6_EEDaPvRmT3_T4_T5_mT6_P12ihipStream_tbENKUlT_T0_E_clISt17integral_constantIbLb0EESX_IbLb1EEEEDaST_SU_EUlST_E0_NS1_11comp_targetILNS1_3genE3ELNS1_11target_archE908ELNS1_3gpuE7ELNS1_3repE0EEENS1_30default_config_static_selectorELNS0_4arch9wavefront6targetE0EEEvT1_.kd
    .uniform_work_group_size: 1
    .uses_dynamic_stack: false
    .vgpr_count:     0
    .vgpr_spill_count: 0
    .wavefront_size: 32
    .workgroup_processor_mode: 1
  - .args:
      - .offset:         0
        .size:           32
        .value_kind:     by_value
    .group_segment_fixed_size: 0
    .kernarg_segment_align: 8
    .kernarg_segment_size: 32
    .language:       OpenCL C
    .language_version:
      - 2
      - 0
    .max_flat_workgroup_size: 256
    .name:           _ZN7rocprim17ROCPRIM_400000_NS6detail17trampoline_kernelINS0_14default_configENS1_20scan_config_selectorIN3c104HalfEEEZZNS1_9scan_implILNS1_25lookback_scan_determinismE0ELb0ELb0ES3_PKS6_PS6_S6_ZZZN2at6native31launch_logcumsumexp_cuda_kernelERKNSD_10TensorBaseESH_lENKUlvE_clEvENKUlvE3_clEvEUlS6_S6_E_S6_EEDaPvRmT3_T4_T5_mT6_P12ihipStream_tbENKUlT_T0_E_clISt17integral_constantIbLb0EESX_IbLb1EEEEDaST_SU_EUlST_E0_NS1_11comp_targetILNS1_3genE2ELNS1_11target_archE906ELNS1_3gpuE6ELNS1_3repE0EEENS1_30default_config_static_selectorELNS0_4arch9wavefront6targetE0EEEvT1_
    .private_segment_fixed_size: 0
    .sgpr_count:     0
    .sgpr_spill_count: 0
    .symbol:         _ZN7rocprim17ROCPRIM_400000_NS6detail17trampoline_kernelINS0_14default_configENS1_20scan_config_selectorIN3c104HalfEEEZZNS1_9scan_implILNS1_25lookback_scan_determinismE0ELb0ELb0ES3_PKS6_PS6_S6_ZZZN2at6native31launch_logcumsumexp_cuda_kernelERKNSD_10TensorBaseESH_lENKUlvE_clEvENKUlvE3_clEvEUlS6_S6_E_S6_EEDaPvRmT3_T4_T5_mT6_P12ihipStream_tbENKUlT_T0_E_clISt17integral_constantIbLb0EESX_IbLb1EEEEDaST_SU_EUlST_E0_NS1_11comp_targetILNS1_3genE2ELNS1_11target_archE906ELNS1_3gpuE6ELNS1_3repE0EEENS1_30default_config_static_selectorELNS0_4arch9wavefront6targetE0EEEvT1_.kd
    .uniform_work_group_size: 1
    .uses_dynamic_stack: false
    .vgpr_count:     0
    .vgpr_spill_count: 0
    .wavefront_size: 32
    .workgroup_processor_mode: 1
  - .args:
      - .offset:         0
        .size:           32
        .value_kind:     by_value
    .group_segment_fixed_size: 0
    .kernarg_segment_align: 8
    .kernarg_segment_size: 32
    .language:       OpenCL C
    .language_version:
      - 2
      - 0
    .max_flat_workgroup_size: 256
    .name:           _ZN7rocprim17ROCPRIM_400000_NS6detail17trampoline_kernelINS0_14default_configENS1_20scan_config_selectorIN3c104HalfEEEZZNS1_9scan_implILNS1_25lookback_scan_determinismE0ELb0ELb0ES3_PKS6_PS6_S6_ZZZN2at6native31launch_logcumsumexp_cuda_kernelERKNSD_10TensorBaseESH_lENKUlvE_clEvENKUlvE3_clEvEUlS6_S6_E_S6_EEDaPvRmT3_T4_T5_mT6_P12ihipStream_tbENKUlT_T0_E_clISt17integral_constantIbLb0EESX_IbLb1EEEEDaST_SU_EUlST_E0_NS1_11comp_targetILNS1_3genE10ELNS1_11target_archE1201ELNS1_3gpuE5ELNS1_3repE0EEENS1_30default_config_static_selectorELNS0_4arch9wavefront6targetE0EEEvT1_
    .private_segment_fixed_size: 0
    .sgpr_count:     0
    .sgpr_spill_count: 0
    .symbol:         _ZN7rocprim17ROCPRIM_400000_NS6detail17trampoline_kernelINS0_14default_configENS1_20scan_config_selectorIN3c104HalfEEEZZNS1_9scan_implILNS1_25lookback_scan_determinismE0ELb0ELb0ES3_PKS6_PS6_S6_ZZZN2at6native31launch_logcumsumexp_cuda_kernelERKNSD_10TensorBaseESH_lENKUlvE_clEvENKUlvE3_clEvEUlS6_S6_E_S6_EEDaPvRmT3_T4_T5_mT6_P12ihipStream_tbENKUlT_T0_E_clISt17integral_constantIbLb0EESX_IbLb1EEEEDaST_SU_EUlST_E0_NS1_11comp_targetILNS1_3genE10ELNS1_11target_archE1201ELNS1_3gpuE5ELNS1_3repE0EEENS1_30default_config_static_selectorELNS0_4arch9wavefront6targetE0EEEvT1_.kd
    .uniform_work_group_size: 1
    .uses_dynamic_stack: false
    .vgpr_count:     0
    .vgpr_spill_count: 0
    .wavefront_size: 32
    .workgroup_processor_mode: 1
  - .args:
      - .offset:         0
        .size:           32
        .value_kind:     by_value
    .group_segment_fixed_size: 0
    .kernarg_segment_align: 8
    .kernarg_segment_size: 32
    .language:       OpenCL C
    .language_version:
      - 2
      - 0
    .max_flat_workgroup_size: 256
    .name:           _ZN7rocprim17ROCPRIM_400000_NS6detail17trampoline_kernelINS0_14default_configENS1_20scan_config_selectorIN3c104HalfEEEZZNS1_9scan_implILNS1_25lookback_scan_determinismE0ELb0ELb0ES3_PKS6_PS6_S6_ZZZN2at6native31launch_logcumsumexp_cuda_kernelERKNSD_10TensorBaseESH_lENKUlvE_clEvENKUlvE3_clEvEUlS6_S6_E_S6_EEDaPvRmT3_T4_T5_mT6_P12ihipStream_tbENKUlT_T0_E_clISt17integral_constantIbLb0EESX_IbLb1EEEEDaST_SU_EUlST_E0_NS1_11comp_targetILNS1_3genE10ELNS1_11target_archE1200ELNS1_3gpuE4ELNS1_3repE0EEENS1_30default_config_static_selectorELNS0_4arch9wavefront6targetE0EEEvT1_
    .private_segment_fixed_size: 0
    .sgpr_count:     0
    .sgpr_spill_count: 0
    .symbol:         _ZN7rocprim17ROCPRIM_400000_NS6detail17trampoline_kernelINS0_14default_configENS1_20scan_config_selectorIN3c104HalfEEEZZNS1_9scan_implILNS1_25lookback_scan_determinismE0ELb0ELb0ES3_PKS6_PS6_S6_ZZZN2at6native31launch_logcumsumexp_cuda_kernelERKNSD_10TensorBaseESH_lENKUlvE_clEvENKUlvE3_clEvEUlS6_S6_E_S6_EEDaPvRmT3_T4_T5_mT6_P12ihipStream_tbENKUlT_T0_E_clISt17integral_constantIbLb0EESX_IbLb1EEEEDaST_SU_EUlST_E0_NS1_11comp_targetILNS1_3genE10ELNS1_11target_archE1200ELNS1_3gpuE4ELNS1_3repE0EEENS1_30default_config_static_selectorELNS0_4arch9wavefront6targetE0EEEvT1_.kd
    .uniform_work_group_size: 1
    .uses_dynamic_stack: false
    .vgpr_count:     0
    .vgpr_spill_count: 0
    .wavefront_size: 32
    .workgroup_processor_mode: 1
  - .args:
      - .offset:         0
        .size:           32
        .value_kind:     by_value
    .group_segment_fixed_size: 0
    .kernarg_segment_align: 8
    .kernarg_segment_size: 32
    .language:       OpenCL C
    .language_version:
      - 2
      - 0
    .max_flat_workgroup_size: 64
    .name:           _ZN7rocprim17ROCPRIM_400000_NS6detail17trampoline_kernelINS0_14default_configENS1_20scan_config_selectorIN3c104HalfEEEZZNS1_9scan_implILNS1_25lookback_scan_determinismE0ELb0ELb0ES3_PKS6_PS6_S6_ZZZN2at6native31launch_logcumsumexp_cuda_kernelERKNSD_10TensorBaseESH_lENKUlvE_clEvENKUlvE3_clEvEUlS6_S6_E_S6_EEDaPvRmT3_T4_T5_mT6_P12ihipStream_tbENKUlT_T0_E_clISt17integral_constantIbLb0EESX_IbLb1EEEEDaST_SU_EUlST_E0_NS1_11comp_targetILNS1_3genE9ELNS1_11target_archE1100ELNS1_3gpuE3ELNS1_3repE0EEENS1_30default_config_static_selectorELNS0_4arch9wavefront6targetE0EEEvT1_
    .private_segment_fixed_size: 0
    .sgpr_count:     0
    .sgpr_spill_count: 0
    .symbol:         _ZN7rocprim17ROCPRIM_400000_NS6detail17trampoline_kernelINS0_14default_configENS1_20scan_config_selectorIN3c104HalfEEEZZNS1_9scan_implILNS1_25lookback_scan_determinismE0ELb0ELb0ES3_PKS6_PS6_S6_ZZZN2at6native31launch_logcumsumexp_cuda_kernelERKNSD_10TensorBaseESH_lENKUlvE_clEvENKUlvE3_clEvEUlS6_S6_E_S6_EEDaPvRmT3_T4_T5_mT6_P12ihipStream_tbENKUlT_T0_E_clISt17integral_constantIbLb0EESX_IbLb1EEEEDaST_SU_EUlST_E0_NS1_11comp_targetILNS1_3genE9ELNS1_11target_archE1100ELNS1_3gpuE3ELNS1_3repE0EEENS1_30default_config_static_selectorELNS0_4arch9wavefront6targetE0EEEvT1_.kd
    .uniform_work_group_size: 1
    .uses_dynamic_stack: false
    .vgpr_count:     0
    .vgpr_spill_count: 0
    .wavefront_size: 32
    .workgroup_processor_mode: 1
  - .args:
      - .offset:         0
        .size:           32
        .value_kind:     by_value
    .group_segment_fixed_size: 1536
    .kernarg_segment_align: 8
    .kernarg_segment_size: 32
    .language:       OpenCL C
    .language_version:
      - 2
      - 0
    .max_flat_workgroup_size: 64
    .name:           _ZN7rocprim17ROCPRIM_400000_NS6detail17trampoline_kernelINS0_14default_configENS1_20scan_config_selectorIN3c104HalfEEEZZNS1_9scan_implILNS1_25lookback_scan_determinismE0ELb0ELb0ES3_PKS6_PS6_S6_ZZZN2at6native31launch_logcumsumexp_cuda_kernelERKNSD_10TensorBaseESH_lENKUlvE_clEvENKUlvE3_clEvEUlS6_S6_E_S6_EEDaPvRmT3_T4_T5_mT6_P12ihipStream_tbENKUlT_T0_E_clISt17integral_constantIbLb0EESX_IbLb1EEEEDaST_SU_EUlST_E0_NS1_11comp_targetILNS1_3genE8ELNS1_11target_archE1030ELNS1_3gpuE2ELNS1_3repE0EEENS1_30default_config_static_selectorELNS0_4arch9wavefront6targetE0EEEvT1_
    .private_segment_fixed_size: 0
    .sgpr_count:     32
    .sgpr_spill_count: 0
    .symbol:         _ZN7rocprim17ROCPRIM_400000_NS6detail17trampoline_kernelINS0_14default_configENS1_20scan_config_selectorIN3c104HalfEEEZZNS1_9scan_implILNS1_25lookback_scan_determinismE0ELb0ELb0ES3_PKS6_PS6_S6_ZZZN2at6native31launch_logcumsumexp_cuda_kernelERKNSD_10TensorBaseESH_lENKUlvE_clEvENKUlvE3_clEvEUlS6_S6_E_S6_EEDaPvRmT3_T4_T5_mT6_P12ihipStream_tbENKUlT_T0_E_clISt17integral_constantIbLb0EESX_IbLb1EEEEDaST_SU_EUlST_E0_NS1_11comp_targetILNS1_3genE8ELNS1_11target_archE1030ELNS1_3gpuE2ELNS1_3repE0EEENS1_30default_config_static_selectorELNS0_4arch9wavefront6targetE0EEEvT1_.kd
    .uniform_work_group_size: 1
    .uses_dynamic_stack: false
    .vgpr_count:     36
    .vgpr_spill_count: 0
    .wavefront_size: 32
    .workgroup_processor_mode: 1
  - .args:
      - .address_space:  global
        .offset:         0
        .size:           8
        .value_kind:     global_buffer
      - .address_space:  global
        .offset:         8
        .size:           8
        .value_kind:     global_buffer
      - .offset:         16
        .size:           4
        .value_kind:     by_value
      - .offset:         20
        .size:           4
        .value_kind:     by_value
      - .offset:         24
        .size:           4
        .value_kind:     by_value
      - .offset:         28
        .size:           2
        .value_kind:     by_value
      - .offset:         30
        .size:           1
        .value_kind:     by_value
      - .offset:         32
        .size:           4
        .value_kind:     hidden_block_count_x
      - .offset:         36
        .size:           4
        .value_kind:     hidden_block_count_y
      - .offset:         40
        .size:           4
        .value_kind:     hidden_block_count_z
      - .offset:         44
        .size:           2
        .value_kind:     hidden_group_size_x
      - .offset:         46
        .size:           2
        .value_kind:     hidden_group_size_y
      - .offset:         48
        .size:           2
        .value_kind:     hidden_group_size_z
      - .offset:         50
        .size:           2
        .value_kind:     hidden_remainder_x
      - .offset:         52
        .size:           2
        .value_kind:     hidden_remainder_y
      - .offset:         54
        .size:           2
        .value_kind:     hidden_remainder_z
      - .offset:         72
        .size:           8
        .value_kind:     hidden_global_offset_x
      - .offset:         80
        .size:           8
        .value_kind:     hidden_global_offset_y
      - .offset:         88
        .size:           8
        .value_kind:     hidden_global_offset_z
      - .offset:         96
        .size:           2
        .value_kind:     hidden_grid_dims
      - .offset:         152
        .size:           4
        .value_kind:     hidden_dynamic_lds_size
    .group_segment_fixed_size: 0
    .kernarg_segment_align: 8
    .kernarg_segment_size: 288
    .language:       OpenCL C
    .language_version:
      - 2
      - 0
    .max_flat_workgroup_size: 1024
    .name:           _ZN2at6native32tensor_kernel_scan_innermost_dimIN3c104HalfEZZZNS0_31launch_logcumsumexp_cuda_kernelERKNS_10TensorBaseES6_lENKUlvE_clEvENKUlvE3_clEvEUlS3_S3_E_EEvPT_PKSA_jjjSA_T0_
    .private_segment_fixed_size: 0
    .sgpr_count:     30
    .sgpr_spill_count: 0
    .symbol:         _ZN2at6native32tensor_kernel_scan_innermost_dimIN3c104HalfEZZZNS0_31launch_logcumsumexp_cuda_kernelERKNS_10TensorBaseES6_lENKUlvE_clEvENKUlvE3_clEvEUlS3_S3_E_EEvPT_PKSA_jjjSA_T0_.kd
    .uniform_work_group_size: 1
    .uses_dynamic_stack: false
    .vgpr_count:     31
    .vgpr_spill_count: 0
    .wavefront_size: 32
    .workgroup_processor_mode: 1
  - .args:
      - .address_space:  global
        .offset:         0
        .size:           8
        .value_kind:     global_buffer
      - .address_space:  global
        .offset:         8
        .size:           8
        .value_kind:     global_buffer
      - .offset:         16
        .size:           4
        .value_kind:     by_value
      - .offset:         20
        .size:           4
        .value_kind:     by_value
      - .offset:         24
        .size:           4
        .value_kind:     by_value
      - .offset:         28
        .size:           2
        .value_kind:     by_value
      - .offset:         30
        .size:           1
        .value_kind:     by_value
      - .offset:         32
        .size:           4
        .value_kind:     hidden_block_count_x
      - .offset:         36
        .size:           4
        .value_kind:     hidden_block_count_y
      - .offset:         40
        .size:           4
        .value_kind:     hidden_block_count_z
      - .offset:         44
        .size:           2
        .value_kind:     hidden_group_size_x
      - .offset:         46
        .size:           2
        .value_kind:     hidden_group_size_y
      - .offset:         48
        .size:           2
        .value_kind:     hidden_group_size_z
      - .offset:         50
        .size:           2
        .value_kind:     hidden_remainder_x
      - .offset:         52
        .size:           2
        .value_kind:     hidden_remainder_y
      - .offset:         54
        .size:           2
        .value_kind:     hidden_remainder_z
      - .offset:         72
        .size:           8
        .value_kind:     hidden_global_offset_x
      - .offset:         80
        .size:           8
        .value_kind:     hidden_global_offset_y
      - .offset:         88
        .size:           8
        .value_kind:     hidden_global_offset_z
      - .offset:         96
        .size:           2
        .value_kind:     hidden_grid_dims
    .group_segment_fixed_size: 0
    .kernarg_segment_align: 8
    .kernarg_segment_size: 288
    .language:       OpenCL C
    .language_version:
      - 2
      - 0
    .max_flat_workgroup_size: 1024
    .name:           _ZN2at6native28tensor_kernel_scan_outer_dimIN3c104HalfEjZZZNS0_31launch_logcumsumexp_cuda_kernelERKNS_10TensorBaseES6_lENKUlvE_clEvENKUlvE3_clEvEUlS3_S3_E_EEvPT_PKSA_jjjSA_T1_
    .private_segment_fixed_size: 0
    .sgpr_count:     31
    .sgpr_spill_count: 0
    .symbol:         _ZN2at6native28tensor_kernel_scan_outer_dimIN3c104HalfEjZZZNS0_31launch_logcumsumexp_cuda_kernelERKNS_10TensorBaseES6_lENKUlvE_clEvENKUlvE3_clEvEUlS3_S3_E_EEvPT_PKSA_jjjSA_T1_.kd
    .uniform_work_group_size: 1
    .uses_dynamic_stack: false
    .vgpr_count:     19
    .vgpr_spill_count: 0
    .wavefront_size: 32
    .workgroup_processor_mode: 1
  - .args:
      - .address_space:  global
        .offset:         0
        .size:           8
        .value_kind:     global_buffer
      - .address_space:  global
        .offset:         8
        .size:           8
        .value_kind:     global_buffer
      - .offset:         16
        .size:           4
        .value_kind:     by_value
      - .offset:         20
        .size:           4
        .value_kind:     by_value
      - .offset:         24
        .size:           4
        .value_kind:     by_value
      - .offset:         28
        .size:           2
        .value_kind:     by_value
      - .offset:         30
        .size:           1
        .value_kind:     by_value
      - .offset:         32
        .size:           4
        .value_kind:     hidden_block_count_x
      - .offset:         36
        .size:           4
        .value_kind:     hidden_block_count_y
      - .offset:         40
        .size:           4
        .value_kind:     hidden_block_count_z
      - .offset:         44
        .size:           2
        .value_kind:     hidden_group_size_x
      - .offset:         46
        .size:           2
        .value_kind:     hidden_group_size_y
      - .offset:         48
        .size:           2
        .value_kind:     hidden_group_size_z
      - .offset:         50
        .size:           2
        .value_kind:     hidden_remainder_x
      - .offset:         52
        .size:           2
        .value_kind:     hidden_remainder_y
      - .offset:         54
        .size:           2
        .value_kind:     hidden_remainder_z
      - .offset:         72
        .size:           8
        .value_kind:     hidden_global_offset_x
      - .offset:         80
        .size:           8
        .value_kind:     hidden_global_offset_y
      - .offset:         88
        .size:           8
        .value_kind:     hidden_global_offset_z
      - .offset:         96
        .size:           2
        .value_kind:     hidden_grid_dims
    .group_segment_fixed_size: 0
    .kernarg_segment_align: 8
    .kernarg_segment_size: 288
    .language:       OpenCL C
    .language_version:
      - 2
      - 0
    .max_flat_workgroup_size: 1024
    .name:           _ZN2at6native28tensor_kernel_scan_outer_dimIN3c104HalfEmZZZNS0_31launch_logcumsumexp_cuda_kernelERKNS_10TensorBaseES6_lENKUlvE_clEvENKUlvE3_clEvEUlS3_S3_E_EEvPT_PKSA_jjjSA_T1_
    .private_segment_fixed_size: 0
    .sgpr_count:     30
    .sgpr_spill_count: 0
    .symbol:         _ZN2at6native28tensor_kernel_scan_outer_dimIN3c104HalfEmZZZNS0_31launch_logcumsumexp_cuda_kernelERKNS_10TensorBaseES6_lENKUlvE_clEvENKUlvE3_clEvEUlS3_S3_E_EEvPT_PKSA_jjjSA_T1_.kd
    .uniform_work_group_size: 1
    .uses_dynamic_stack: false
    .vgpr_count:     19
    .vgpr_spill_count: 0
    .wavefront_size: 32
    .workgroup_processor_mode: 1
  - .args:
      - .address_space:  global
        .offset:         0
        .size:           8
        .value_kind:     global_buffer
      - .offset:         8
        .size:           4
        .value_kind:     by_value
      - .offset:         12
        .size:           1
        .value_kind:     by_value
      - .offset:         16
        .size:           4
        .value_kind:     by_value
      - .address_space:  global
        .offset:         24
        .size:           8
        .value_kind:     global_buffer
      - .offset:         32
        .size:           4
        .value_kind:     hidden_block_count_x
      - .offset:         36
        .size:           4
        .value_kind:     hidden_block_count_y
      - .offset:         40
        .size:           4
        .value_kind:     hidden_block_count_z
      - .offset:         44
        .size:           2
        .value_kind:     hidden_group_size_x
      - .offset:         46
        .size:           2
        .value_kind:     hidden_group_size_y
      - .offset:         48
        .size:           2
        .value_kind:     hidden_group_size_z
      - .offset:         50
        .size:           2
        .value_kind:     hidden_remainder_x
      - .offset:         52
        .size:           2
        .value_kind:     hidden_remainder_y
      - .offset:         54
        .size:           2
        .value_kind:     hidden_remainder_z
      - .offset:         72
        .size:           8
        .value_kind:     hidden_global_offset_x
      - .offset:         80
        .size:           8
        .value_kind:     hidden_global_offset_y
      - .offset:         88
        .size:           8
        .value_kind:     hidden_global_offset_z
      - .offset:         96
        .size:           2
        .value_kind:     hidden_grid_dims
    .group_segment_fixed_size: 0
    .kernarg_segment_align: 8
    .kernarg_segment_size: 288
    .language:       OpenCL C
    .language_version:
      - 2
      - 0
    .max_flat_workgroup_size: 256
    .name:           _ZN7rocprim17ROCPRIM_400000_NS6detail31init_lookback_scan_state_kernelINS1_19lookback_scan_stateIN3c108BFloat16ELb0ELb1EEENS1_16block_id_wrapperIjLb0EEEEEvT_jT0_jPNS9_10value_typeE
    .private_segment_fixed_size: 0
    .sgpr_count:     11
    .sgpr_spill_count: 0
    .symbol:         _ZN7rocprim17ROCPRIM_400000_NS6detail31init_lookback_scan_state_kernelINS1_19lookback_scan_stateIN3c108BFloat16ELb0ELb1EEENS1_16block_id_wrapperIjLb0EEEEEvT_jT0_jPNS9_10value_typeE.kd
    .uniform_work_group_size: 1
    .uses_dynamic_stack: false
    .vgpr_count:     5
    .vgpr_spill_count: 0
    .wavefront_size: 32
    .workgroup_processor_mode: 1
  - .args:
      - .offset:         0
        .size:           96
        .value_kind:     by_value
    .group_segment_fixed_size: 0
    .kernarg_segment_align: 8
    .kernarg_segment_size: 96
    .language:       OpenCL C
    .language_version:
      - 2
      - 0
    .max_flat_workgroup_size: 128
    .name:           _ZN7rocprim17ROCPRIM_400000_NS6detail17trampoline_kernelINS0_14default_configENS1_20scan_config_selectorIN3c108BFloat16EEEZZNS1_9scan_implILNS1_25lookback_scan_determinismE0ELb0ELb0ES3_PKS6_PS6_S6_ZZZN2at6native31launch_logcumsumexp_cuda_kernelERKNSD_10TensorBaseESH_lENKUlvE_clEvENKUlvE4_clEvEUlS6_S6_E_S6_EEDaPvRmT3_T4_T5_mT6_P12ihipStream_tbENKUlT_T0_E_clISt17integral_constantIbLb0EESY_EEDaST_SU_EUlST_E_NS1_11comp_targetILNS1_3genE0ELNS1_11target_archE4294967295ELNS1_3gpuE0ELNS1_3repE0EEENS1_30default_config_static_selectorELNS0_4arch9wavefront6targetE0EEEvT1_
    .private_segment_fixed_size: 0
    .sgpr_count:     0
    .sgpr_spill_count: 0
    .symbol:         _ZN7rocprim17ROCPRIM_400000_NS6detail17trampoline_kernelINS0_14default_configENS1_20scan_config_selectorIN3c108BFloat16EEEZZNS1_9scan_implILNS1_25lookback_scan_determinismE0ELb0ELb0ES3_PKS6_PS6_S6_ZZZN2at6native31launch_logcumsumexp_cuda_kernelERKNSD_10TensorBaseESH_lENKUlvE_clEvENKUlvE4_clEvEUlS6_S6_E_S6_EEDaPvRmT3_T4_T5_mT6_P12ihipStream_tbENKUlT_T0_E_clISt17integral_constantIbLb0EESY_EEDaST_SU_EUlST_E_NS1_11comp_targetILNS1_3genE0ELNS1_11target_archE4294967295ELNS1_3gpuE0ELNS1_3repE0EEENS1_30default_config_static_selectorELNS0_4arch9wavefront6targetE0EEEvT1_.kd
    .uniform_work_group_size: 1
    .uses_dynamic_stack: false
    .vgpr_count:     0
    .vgpr_spill_count: 0
    .wavefront_size: 32
    .workgroup_processor_mode: 1
  - .args:
      - .offset:         0
        .size:           96
        .value_kind:     by_value
    .group_segment_fixed_size: 0
    .kernarg_segment_align: 8
    .kernarg_segment_size: 96
    .language:       OpenCL C
    .language_version:
      - 2
      - 0
    .max_flat_workgroup_size: 256
    .name:           _ZN7rocprim17ROCPRIM_400000_NS6detail17trampoline_kernelINS0_14default_configENS1_20scan_config_selectorIN3c108BFloat16EEEZZNS1_9scan_implILNS1_25lookback_scan_determinismE0ELb0ELb0ES3_PKS6_PS6_S6_ZZZN2at6native31launch_logcumsumexp_cuda_kernelERKNSD_10TensorBaseESH_lENKUlvE_clEvENKUlvE4_clEvEUlS6_S6_E_S6_EEDaPvRmT3_T4_T5_mT6_P12ihipStream_tbENKUlT_T0_E_clISt17integral_constantIbLb0EESY_EEDaST_SU_EUlST_E_NS1_11comp_targetILNS1_3genE5ELNS1_11target_archE942ELNS1_3gpuE9ELNS1_3repE0EEENS1_30default_config_static_selectorELNS0_4arch9wavefront6targetE0EEEvT1_
    .private_segment_fixed_size: 0
    .sgpr_count:     0
    .sgpr_spill_count: 0
    .symbol:         _ZN7rocprim17ROCPRIM_400000_NS6detail17trampoline_kernelINS0_14default_configENS1_20scan_config_selectorIN3c108BFloat16EEEZZNS1_9scan_implILNS1_25lookback_scan_determinismE0ELb0ELb0ES3_PKS6_PS6_S6_ZZZN2at6native31launch_logcumsumexp_cuda_kernelERKNSD_10TensorBaseESH_lENKUlvE_clEvENKUlvE4_clEvEUlS6_S6_E_S6_EEDaPvRmT3_T4_T5_mT6_P12ihipStream_tbENKUlT_T0_E_clISt17integral_constantIbLb0EESY_EEDaST_SU_EUlST_E_NS1_11comp_targetILNS1_3genE5ELNS1_11target_archE942ELNS1_3gpuE9ELNS1_3repE0EEENS1_30default_config_static_selectorELNS0_4arch9wavefront6targetE0EEEvT1_.kd
    .uniform_work_group_size: 1
    .uses_dynamic_stack: false
    .vgpr_count:     0
    .vgpr_spill_count: 0
    .wavefront_size: 32
    .workgroup_processor_mode: 1
  - .args:
      - .offset:         0
        .size:           96
        .value_kind:     by_value
    .group_segment_fixed_size: 0
    .kernarg_segment_align: 8
    .kernarg_segment_size: 96
    .language:       OpenCL C
    .language_version:
      - 2
      - 0
    .max_flat_workgroup_size: 64
    .name:           _ZN7rocprim17ROCPRIM_400000_NS6detail17trampoline_kernelINS0_14default_configENS1_20scan_config_selectorIN3c108BFloat16EEEZZNS1_9scan_implILNS1_25lookback_scan_determinismE0ELb0ELb0ES3_PKS6_PS6_S6_ZZZN2at6native31launch_logcumsumexp_cuda_kernelERKNSD_10TensorBaseESH_lENKUlvE_clEvENKUlvE4_clEvEUlS6_S6_E_S6_EEDaPvRmT3_T4_T5_mT6_P12ihipStream_tbENKUlT_T0_E_clISt17integral_constantIbLb0EESY_EEDaST_SU_EUlST_E_NS1_11comp_targetILNS1_3genE4ELNS1_11target_archE910ELNS1_3gpuE8ELNS1_3repE0EEENS1_30default_config_static_selectorELNS0_4arch9wavefront6targetE0EEEvT1_
    .private_segment_fixed_size: 0
    .sgpr_count:     0
    .sgpr_spill_count: 0
    .symbol:         _ZN7rocprim17ROCPRIM_400000_NS6detail17trampoline_kernelINS0_14default_configENS1_20scan_config_selectorIN3c108BFloat16EEEZZNS1_9scan_implILNS1_25lookback_scan_determinismE0ELb0ELb0ES3_PKS6_PS6_S6_ZZZN2at6native31launch_logcumsumexp_cuda_kernelERKNSD_10TensorBaseESH_lENKUlvE_clEvENKUlvE4_clEvEUlS6_S6_E_S6_EEDaPvRmT3_T4_T5_mT6_P12ihipStream_tbENKUlT_T0_E_clISt17integral_constantIbLb0EESY_EEDaST_SU_EUlST_E_NS1_11comp_targetILNS1_3genE4ELNS1_11target_archE910ELNS1_3gpuE8ELNS1_3repE0EEENS1_30default_config_static_selectorELNS0_4arch9wavefront6targetE0EEEvT1_.kd
    .uniform_work_group_size: 1
    .uses_dynamic_stack: false
    .vgpr_count:     0
    .vgpr_spill_count: 0
    .wavefront_size: 32
    .workgroup_processor_mode: 1
  - .args:
      - .offset:         0
        .size:           96
        .value_kind:     by_value
    .group_segment_fixed_size: 0
    .kernarg_segment_align: 8
    .kernarg_segment_size: 96
    .language:       OpenCL C
    .language_version:
      - 2
      - 0
    .max_flat_workgroup_size: 128
    .name:           _ZN7rocprim17ROCPRIM_400000_NS6detail17trampoline_kernelINS0_14default_configENS1_20scan_config_selectorIN3c108BFloat16EEEZZNS1_9scan_implILNS1_25lookback_scan_determinismE0ELb0ELb0ES3_PKS6_PS6_S6_ZZZN2at6native31launch_logcumsumexp_cuda_kernelERKNSD_10TensorBaseESH_lENKUlvE_clEvENKUlvE4_clEvEUlS6_S6_E_S6_EEDaPvRmT3_T4_T5_mT6_P12ihipStream_tbENKUlT_T0_E_clISt17integral_constantIbLb0EESY_EEDaST_SU_EUlST_E_NS1_11comp_targetILNS1_3genE3ELNS1_11target_archE908ELNS1_3gpuE7ELNS1_3repE0EEENS1_30default_config_static_selectorELNS0_4arch9wavefront6targetE0EEEvT1_
    .private_segment_fixed_size: 0
    .sgpr_count:     0
    .sgpr_spill_count: 0
    .symbol:         _ZN7rocprim17ROCPRIM_400000_NS6detail17trampoline_kernelINS0_14default_configENS1_20scan_config_selectorIN3c108BFloat16EEEZZNS1_9scan_implILNS1_25lookback_scan_determinismE0ELb0ELb0ES3_PKS6_PS6_S6_ZZZN2at6native31launch_logcumsumexp_cuda_kernelERKNSD_10TensorBaseESH_lENKUlvE_clEvENKUlvE4_clEvEUlS6_S6_E_S6_EEDaPvRmT3_T4_T5_mT6_P12ihipStream_tbENKUlT_T0_E_clISt17integral_constantIbLb0EESY_EEDaST_SU_EUlST_E_NS1_11comp_targetILNS1_3genE3ELNS1_11target_archE908ELNS1_3gpuE7ELNS1_3repE0EEENS1_30default_config_static_selectorELNS0_4arch9wavefront6targetE0EEEvT1_.kd
    .uniform_work_group_size: 1
    .uses_dynamic_stack: false
    .vgpr_count:     0
    .vgpr_spill_count: 0
    .wavefront_size: 32
    .workgroup_processor_mode: 1
  - .args:
      - .offset:         0
        .size:           96
        .value_kind:     by_value
    .group_segment_fixed_size: 0
    .kernarg_segment_align: 8
    .kernarg_segment_size: 96
    .language:       OpenCL C
    .language_version:
      - 2
      - 0
    .max_flat_workgroup_size: 256
    .name:           _ZN7rocprim17ROCPRIM_400000_NS6detail17trampoline_kernelINS0_14default_configENS1_20scan_config_selectorIN3c108BFloat16EEEZZNS1_9scan_implILNS1_25lookback_scan_determinismE0ELb0ELb0ES3_PKS6_PS6_S6_ZZZN2at6native31launch_logcumsumexp_cuda_kernelERKNSD_10TensorBaseESH_lENKUlvE_clEvENKUlvE4_clEvEUlS6_S6_E_S6_EEDaPvRmT3_T4_T5_mT6_P12ihipStream_tbENKUlT_T0_E_clISt17integral_constantIbLb0EESY_EEDaST_SU_EUlST_E_NS1_11comp_targetILNS1_3genE2ELNS1_11target_archE906ELNS1_3gpuE6ELNS1_3repE0EEENS1_30default_config_static_selectorELNS0_4arch9wavefront6targetE0EEEvT1_
    .private_segment_fixed_size: 0
    .sgpr_count:     0
    .sgpr_spill_count: 0
    .symbol:         _ZN7rocprim17ROCPRIM_400000_NS6detail17trampoline_kernelINS0_14default_configENS1_20scan_config_selectorIN3c108BFloat16EEEZZNS1_9scan_implILNS1_25lookback_scan_determinismE0ELb0ELb0ES3_PKS6_PS6_S6_ZZZN2at6native31launch_logcumsumexp_cuda_kernelERKNSD_10TensorBaseESH_lENKUlvE_clEvENKUlvE4_clEvEUlS6_S6_E_S6_EEDaPvRmT3_T4_T5_mT6_P12ihipStream_tbENKUlT_T0_E_clISt17integral_constantIbLb0EESY_EEDaST_SU_EUlST_E_NS1_11comp_targetILNS1_3genE2ELNS1_11target_archE906ELNS1_3gpuE6ELNS1_3repE0EEENS1_30default_config_static_selectorELNS0_4arch9wavefront6targetE0EEEvT1_.kd
    .uniform_work_group_size: 1
    .uses_dynamic_stack: false
    .vgpr_count:     0
    .vgpr_spill_count: 0
    .wavefront_size: 32
    .workgroup_processor_mode: 1
  - .args:
      - .offset:         0
        .size:           96
        .value_kind:     by_value
    .group_segment_fixed_size: 0
    .kernarg_segment_align: 8
    .kernarg_segment_size: 96
    .language:       OpenCL C
    .language_version:
      - 2
      - 0
    .max_flat_workgroup_size: 256
    .name:           _ZN7rocprim17ROCPRIM_400000_NS6detail17trampoline_kernelINS0_14default_configENS1_20scan_config_selectorIN3c108BFloat16EEEZZNS1_9scan_implILNS1_25lookback_scan_determinismE0ELb0ELb0ES3_PKS6_PS6_S6_ZZZN2at6native31launch_logcumsumexp_cuda_kernelERKNSD_10TensorBaseESH_lENKUlvE_clEvENKUlvE4_clEvEUlS6_S6_E_S6_EEDaPvRmT3_T4_T5_mT6_P12ihipStream_tbENKUlT_T0_E_clISt17integral_constantIbLb0EESY_EEDaST_SU_EUlST_E_NS1_11comp_targetILNS1_3genE10ELNS1_11target_archE1201ELNS1_3gpuE5ELNS1_3repE0EEENS1_30default_config_static_selectorELNS0_4arch9wavefront6targetE0EEEvT1_
    .private_segment_fixed_size: 0
    .sgpr_count:     0
    .sgpr_spill_count: 0
    .symbol:         _ZN7rocprim17ROCPRIM_400000_NS6detail17trampoline_kernelINS0_14default_configENS1_20scan_config_selectorIN3c108BFloat16EEEZZNS1_9scan_implILNS1_25lookback_scan_determinismE0ELb0ELb0ES3_PKS6_PS6_S6_ZZZN2at6native31launch_logcumsumexp_cuda_kernelERKNSD_10TensorBaseESH_lENKUlvE_clEvENKUlvE4_clEvEUlS6_S6_E_S6_EEDaPvRmT3_T4_T5_mT6_P12ihipStream_tbENKUlT_T0_E_clISt17integral_constantIbLb0EESY_EEDaST_SU_EUlST_E_NS1_11comp_targetILNS1_3genE10ELNS1_11target_archE1201ELNS1_3gpuE5ELNS1_3repE0EEENS1_30default_config_static_selectorELNS0_4arch9wavefront6targetE0EEEvT1_.kd
    .uniform_work_group_size: 1
    .uses_dynamic_stack: false
    .vgpr_count:     0
    .vgpr_spill_count: 0
    .wavefront_size: 32
    .workgroup_processor_mode: 1
  - .args:
      - .offset:         0
        .size:           96
        .value_kind:     by_value
    .group_segment_fixed_size: 0
    .kernarg_segment_align: 8
    .kernarg_segment_size: 96
    .language:       OpenCL C
    .language_version:
      - 2
      - 0
    .max_flat_workgroup_size: 256
    .name:           _ZN7rocprim17ROCPRIM_400000_NS6detail17trampoline_kernelINS0_14default_configENS1_20scan_config_selectorIN3c108BFloat16EEEZZNS1_9scan_implILNS1_25lookback_scan_determinismE0ELb0ELb0ES3_PKS6_PS6_S6_ZZZN2at6native31launch_logcumsumexp_cuda_kernelERKNSD_10TensorBaseESH_lENKUlvE_clEvENKUlvE4_clEvEUlS6_S6_E_S6_EEDaPvRmT3_T4_T5_mT6_P12ihipStream_tbENKUlT_T0_E_clISt17integral_constantIbLb0EESY_EEDaST_SU_EUlST_E_NS1_11comp_targetILNS1_3genE10ELNS1_11target_archE1200ELNS1_3gpuE4ELNS1_3repE0EEENS1_30default_config_static_selectorELNS0_4arch9wavefront6targetE0EEEvT1_
    .private_segment_fixed_size: 0
    .sgpr_count:     0
    .sgpr_spill_count: 0
    .symbol:         _ZN7rocprim17ROCPRIM_400000_NS6detail17trampoline_kernelINS0_14default_configENS1_20scan_config_selectorIN3c108BFloat16EEEZZNS1_9scan_implILNS1_25lookback_scan_determinismE0ELb0ELb0ES3_PKS6_PS6_S6_ZZZN2at6native31launch_logcumsumexp_cuda_kernelERKNSD_10TensorBaseESH_lENKUlvE_clEvENKUlvE4_clEvEUlS6_S6_E_S6_EEDaPvRmT3_T4_T5_mT6_P12ihipStream_tbENKUlT_T0_E_clISt17integral_constantIbLb0EESY_EEDaST_SU_EUlST_E_NS1_11comp_targetILNS1_3genE10ELNS1_11target_archE1200ELNS1_3gpuE4ELNS1_3repE0EEENS1_30default_config_static_selectorELNS0_4arch9wavefront6targetE0EEEvT1_.kd
    .uniform_work_group_size: 1
    .uses_dynamic_stack: false
    .vgpr_count:     0
    .vgpr_spill_count: 0
    .wavefront_size: 32
    .workgroup_processor_mode: 1
  - .args:
      - .offset:         0
        .size:           96
        .value_kind:     by_value
    .group_segment_fixed_size: 0
    .kernarg_segment_align: 8
    .kernarg_segment_size: 96
    .language:       OpenCL C
    .language_version:
      - 2
      - 0
    .max_flat_workgroup_size: 64
    .name:           _ZN7rocprim17ROCPRIM_400000_NS6detail17trampoline_kernelINS0_14default_configENS1_20scan_config_selectorIN3c108BFloat16EEEZZNS1_9scan_implILNS1_25lookback_scan_determinismE0ELb0ELb0ES3_PKS6_PS6_S6_ZZZN2at6native31launch_logcumsumexp_cuda_kernelERKNSD_10TensorBaseESH_lENKUlvE_clEvENKUlvE4_clEvEUlS6_S6_E_S6_EEDaPvRmT3_T4_T5_mT6_P12ihipStream_tbENKUlT_T0_E_clISt17integral_constantIbLb0EESY_EEDaST_SU_EUlST_E_NS1_11comp_targetILNS1_3genE9ELNS1_11target_archE1100ELNS1_3gpuE3ELNS1_3repE0EEENS1_30default_config_static_selectorELNS0_4arch9wavefront6targetE0EEEvT1_
    .private_segment_fixed_size: 0
    .sgpr_count:     0
    .sgpr_spill_count: 0
    .symbol:         _ZN7rocprim17ROCPRIM_400000_NS6detail17trampoline_kernelINS0_14default_configENS1_20scan_config_selectorIN3c108BFloat16EEEZZNS1_9scan_implILNS1_25lookback_scan_determinismE0ELb0ELb0ES3_PKS6_PS6_S6_ZZZN2at6native31launch_logcumsumexp_cuda_kernelERKNSD_10TensorBaseESH_lENKUlvE_clEvENKUlvE4_clEvEUlS6_S6_E_S6_EEDaPvRmT3_T4_T5_mT6_P12ihipStream_tbENKUlT_T0_E_clISt17integral_constantIbLb0EESY_EEDaST_SU_EUlST_E_NS1_11comp_targetILNS1_3genE9ELNS1_11target_archE1100ELNS1_3gpuE3ELNS1_3repE0EEENS1_30default_config_static_selectorELNS0_4arch9wavefront6targetE0EEEvT1_.kd
    .uniform_work_group_size: 1
    .uses_dynamic_stack: false
    .vgpr_count:     0
    .vgpr_spill_count: 0
    .wavefront_size: 32
    .workgroup_processor_mode: 1
  - .args:
      - .offset:         0
        .size:           96
        .value_kind:     by_value
    .group_segment_fixed_size: 1536
    .kernarg_segment_align: 8
    .kernarg_segment_size: 96
    .language:       OpenCL C
    .language_version:
      - 2
      - 0
    .max_flat_workgroup_size: 64
    .name:           _ZN7rocprim17ROCPRIM_400000_NS6detail17trampoline_kernelINS0_14default_configENS1_20scan_config_selectorIN3c108BFloat16EEEZZNS1_9scan_implILNS1_25lookback_scan_determinismE0ELb0ELb0ES3_PKS6_PS6_S6_ZZZN2at6native31launch_logcumsumexp_cuda_kernelERKNSD_10TensorBaseESH_lENKUlvE_clEvENKUlvE4_clEvEUlS6_S6_E_S6_EEDaPvRmT3_T4_T5_mT6_P12ihipStream_tbENKUlT_T0_E_clISt17integral_constantIbLb0EESY_EEDaST_SU_EUlST_E_NS1_11comp_targetILNS1_3genE8ELNS1_11target_archE1030ELNS1_3gpuE2ELNS1_3repE0EEENS1_30default_config_static_selectorELNS0_4arch9wavefront6targetE0EEEvT1_
    .private_segment_fixed_size: 0
    .sgpr_count:     40
    .sgpr_spill_count: 0
    .symbol:         _ZN7rocprim17ROCPRIM_400000_NS6detail17trampoline_kernelINS0_14default_configENS1_20scan_config_selectorIN3c108BFloat16EEEZZNS1_9scan_implILNS1_25lookback_scan_determinismE0ELb0ELb0ES3_PKS6_PS6_S6_ZZZN2at6native31launch_logcumsumexp_cuda_kernelERKNSD_10TensorBaseESH_lENKUlvE_clEvENKUlvE4_clEvEUlS6_S6_E_S6_EEDaPvRmT3_T4_T5_mT6_P12ihipStream_tbENKUlT_T0_E_clISt17integral_constantIbLb0EESY_EEDaST_SU_EUlST_E_NS1_11comp_targetILNS1_3genE8ELNS1_11target_archE1030ELNS1_3gpuE2ELNS1_3repE0EEENS1_30default_config_static_selectorELNS0_4arch9wavefront6targetE0EEEvT1_.kd
    .uniform_work_group_size: 1
    .uses_dynamic_stack: false
    .vgpr_count:     67
    .vgpr_spill_count: 0
    .wavefront_size: 32
    .workgroup_processor_mode: 1
  - .args:
      - .offset:         0
        .size:           40
        .value_kind:     by_value
    .group_segment_fixed_size: 0
    .kernarg_segment_align: 8
    .kernarg_segment_size: 40
    .language:       OpenCL C
    .language_version:
      - 2
      - 0
    .max_flat_workgroup_size: 128
    .name:           _ZN7rocprim17ROCPRIM_400000_NS6detail17trampoline_kernelINS0_14default_configENS1_25transform_config_selectorIN3c108BFloat16ELb1EEEZNS1_14transform_implILb1ES3_S7_PS6_S9_NS0_8identityIS6_EEEE10hipError_tT2_T3_mT4_P12ihipStream_tbEUlT_E_NS1_11comp_targetILNS1_3genE0ELNS1_11target_archE4294967295ELNS1_3gpuE0ELNS1_3repE0EEENS1_30default_config_static_selectorELNS0_4arch9wavefront6targetE0EEEvT1_
    .private_segment_fixed_size: 0
    .sgpr_count:     0
    .sgpr_spill_count: 0
    .symbol:         _ZN7rocprim17ROCPRIM_400000_NS6detail17trampoline_kernelINS0_14default_configENS1_25transform_config_selectorIN3c108BFloat16ELb1EEEZNS1_14transform_implILb1ES3_S7_PS6_S9_NS0_8identityIS6_EEEE10hipError_tT2_T3_mT4_P12ihipStream_tbEUlT_E_NS1_11comp_targetILNS1_3genE0ELNS1_11target_archE4294967295ELNS1_3gpuE0ELNS1_3repE0EEENS1_30default_config_static_selectorELNS0_4arch9wavefront6targetE0EEEvT1_.kd
    .uniform_work_group_size: 1
    .uses_dynamic_stack: false
    .vgpr_count:     0
    .vgpr_spill_count: 0
    .wavefront_size: 32
    .workgroup_processor_mode: 1
  - .args:
      - .offset:         0
        .size:           40
        .value_kind:     by_value
    .group_segment_fixed_size: 0
    .kernarg_segment_align: 8
    .kernarg_segment_size: 40
    .language:       OpenCL C
    .language_version:
      - 2
      - 0
    .max_flat_workgroup_size: 64
    .name:           _ZN7rocprim17ROCPRIM_400000_NS6detail17trampoline_kernelINS0_14default_configENS1_25transform_config_selectorIN3c108BFloat16ELb1EEEZNS1_14transform_implILb1ES3_S7_PS6_S9_NS0_8identityIS6_EEEE10hipError_tT2_T3_mT4_P12ihipStream_tbEUlT_E_NS1_11comp_targetILNS1_3genE10ELNS1_11target_archE1201ELNS1_3gpuE5ELNS1_3repE0EEENS1_30default_config_static_selectorELNS0_4arch9wavefront6targetE0EEEvT1_
    .private_segment_fixed_size: 0
    .sgpr_count:     0
    .sgpr_spill_count: 0
    .symbol:         _ZN7rocprim17ROCPRIM_400000_NS6detail17trampoline_kernelINS0_14default_configENS1_25transform_config_selectorIN3c108BFloat16ELb1EEEZNS1_14transform_implILb1ES3_S7_PS6_S9_NS0_8identityIS6_EEEE10hipError_tT2_T3_mT4_P12ihipStream_tbEUlT_E_NS1_11comp_targetILNS1_3genE10ELNS1_11target_archE1201ELNS1_3gpuE5ELNS1_3repE0EEENS1_30default_config_static_selectorELNS0_4arch9wavefront6targetE0EEEvT1_.kd
    .uniform_work_group_size: 1
    .uses_dynamic_stack: false
    .vgpr_count:     0
    .vgpr_spill_count: 0
    .wavefront_size: 32
    .workgroup_processor_mode: 1
  - .args:
      - .offset:         0
        .size:           40
        .value_kind:     by_value
    .group_segment_fixed_size: 0
    .kernarg_segment_align: 8
    .kernarg_segment_size: 40
    .language:       OpenCL C
    .language_version:
      - 2
      - 0
    .max_flat_workgroup_size: 256
    .name:           _ZN7rocprim17ROCPRIM_400000_NS6detail17trampoline_kernelINS0_14default_configENS1_25transform_config_selectorIN3c108BFloat16ELb1EEEZNS1_14transform_implILb1ES3_S7_PS6_S9_NS0_8identityIS6_EEEE10hipError_tT2_T3_mT4_P12ihipStream_tbEUlT_E_NS1_11comp_targetILNS1_3genE5ELNS1_11target_archE942ELNS1_3gpuE9ELNS1_3repE0EEENS1_30default_config_static_selectorELNS0_4arch9wavefront6targetE0EEEvT1_
    .private_segment_fixed_size: 0
    .sgpr_count:     0
    .sgpr_spill_count: 0
    .symbol:         _ZN7rocprim17ROCPRIM_400000_NS6detail17trampoline_kernelINS0_14default_configENS1_25transform_config_selectorIN3c108BFloat16ELb1EEEZNS1_14transform_implILb1ES3_S7_PS6_S9_NS0_8identityIS6_EEEE10hipError_tT2_T3_mT4_P12ihipStream_tbEUlT_E_NS1_11comp_targetILNS1_3genE5ELNS1_11target_archE942ELNS1_3gpuE9ELNS1_3repE0EEENS1_30default_config_static_selectorELNS0_4arch9wavefront6targetE0EEEvT1_.kd
    .uniform_work_group_size: 1
    .uses_dynamic_stack: false
    .vgpr_count:     0
    .vgpr_spill_count: 0
    .wavefront_size: 32
    .workgroup_processor_mode: 1
  - .args:
      - .offset:         0
        .size:           40
        .value_kind:     by_value
    .group_segment_fixed_size: 0
    .kernarg_segment_align: 8
    .kernarg_segment_size: 40
    .language:       OpenCL C
    .language_version:
      - 2
      - 0
    .max_flat_workgroup_size: 1024
    .name:           _ZN7rocprim17ROCPRIM_400000_NS6detail17trampoline_kernelINS0_14default_configENS1_25transform_config_selectorIN3c108BFloat16ELb1EEEZNS1_14transform_implILb1ES3_S7_PS6_S9_NS0_8identityIS6_EEEE10hipError_tT2_T3_mT4_P12ihipStream_tbEUlT_E_NS1_11comp_targetILNS1_3genE4ELNS1_11target_archE910ELNS1_3gpuE8ELNS1_3repE0EEENS1_30default_config_static_selectorELNS0_4arch9wavefront6targetE0EEEvT1_
    .private_segment_fixed_size: 0
    .sgpr_count:     0
    .sgpr_spill_count: 0
    .symbol:         _ZN7rocprim17ROCPRIM_400000_NS6detail17trampoline_kernelINS0_14default_configENS1_25transform_config_selectorIN3c108BFloat16ELb1EEEZNS1_14transform_implILb1ES3_S7_PS6_S9_NS0_8identityIS6_EEEE10hipError_tT2_T3_mT4_P12ihipStream_tbEUlT_E_NS1_11comp_targetILNS1_3genE4ELNS1_11target_archE910ELNS1_3gpuE8ELNS1_3repE0EEENS1_30default_config_static_selectorELNS0_4arch9wavefront6targetE0EEEvT1_.kd
    .uniform_work_group_size: 1
    .uses_dynamic_stack: false
    .vgpr_count:     0
    .vgpr_spill_count: 0
    .wavefront_size: 32
    .workgroup_processor_mode: 1
  - .args:
      - .offset:         0
        .size:           40
        .value_kind:     by_value
    .group_segment_fixed_size: 0
    .kernarg_segment_align: 8
    .kernarg_segment_size: 40
    .language:       OpenCL C
    .language_version:
      - 2
      - 0
    .max_flat_workgroup_size: 128
    .name:           _ZN7rocprim17ROCPRIM_400000_NS6detail17trampoline_kernelINS0_14default_configENS1_25transform_config_selectorIN3c108BFloat16ELb1EEEZNS1_14transform_implILb1ES3_S7_PS6_S9_NS0_8identityIS6_EEEE10hipError_tT2_T3_mT4_P12ihipStream_tbEUlT_E_NS1_11comp_targetILNS1_3genE3ELNS1_11target_archE908ELNS1_3gpuE7ELNS1_3repE0EEENS1_30default_config_static_selectorELNS0_4arch9wavefront6targetE0EEEvT1_
    .private_segment_fixed_size: 0
    .sgpr_count:     0
    .sgpr_spill_count: 0
    .symbol:         _ZN7rocprim17ROCPRIM_400000_NS6detail17trampoline_kernelINS0_14default_configENS1_25transform_config_selectorIN3c108BFloat16ELb1EEEZNS1_14transform_implILb1ES3_S7_PS6_S9_NS0_8identityIS6_EEEE10hipError_tT2_T3_mT4_P12ihipStream_tbEUlT_E_NS1_11comp_targetILNS1_3genE3ELNS1_11target_archE908ELNS1_3gpuE7ELNS1_3repE0EEENS1_30default_config_static_selectorELNS0_4arch9wavefront6targetE0EEEvT1_.kd
    .uniform_work_group_size: 1
    .uses_dynamic_stack: false
    .vgpr_count:     0
    .vgpr_spill_count: 0
    .wavefront_size: 32
    .workgroup_processor_mode: 1
  - .args:
      - .offset:         0
        .size:           40
        .value_kind:     by_value
    .group_segment_fixed_size: 0
    .kernarg_segment_align: 8
    .kernarg_segment_size: 40
    .language:       OpenCL C
    .language_version:
      - 2
      - 0
    .max_flat_workgroup_size: 1024
    .name:           _ZN7rocprim17ROCPRIM_400000_NS6detail17trampoline_kernelINS0_14default_configENS1_25transform_config_selectorIN3c108BFloat16ELb1EEEZNS1_14transform_implILb1ES3_S7_PS6_S9_NS0_8identityIS6_EEEE10hipError_tT2_T3_mT4_P12ihipStream_tbEUlT_E_NS1_11comp_targetILNS1_3genE2ELNS1_11target_archE906ELNS1_3gpuE6ELNS1_3repE0EEENS1_30default_config_static_selectorELNS0_4arch9wavefront6targetE0EEEvT1_
    .private_segment_fixed_size: 0
    .sgpr_count:     0
    .sgpr_spill_count: 0
    .symbol:         _ZN7rocprim17ROCPRIM_400000_NS6detail17trampoline_kernelINS0_14default_configENS1_25transform_config_selectorIN3c108BFloat16ELb1EEEZNS1_14transform_implILb1ES3_S7_PS6_S9_NS0_8identityIS6_EEEE10hipError_tT2_T3_mT4_P12ihipStream_tbEUlT_E_NS1_11comp_targetILNS1_3genE2ELNS1_11target_archE906ELNS1_3gpuE6ELNS1_3repE0EEENS1_30default_config_static_selectorELNS0_4arch9wavefront6targetE0EEEvT1_.kd
    .uniform_work_group_size: 1
    .uses_dynamic_stack: false
    .vgpr_count:     0
    .vgpr_spill_count: 0
    .wavefront_size: 32
    .workgroup_processor_mode: 1
  - .args:
      - .offset:         0
        .size:           40
        .value_kind:     by_value
    .group_segment_fixed_size: 0
    .kernarg_segment_align: 8
    .kernarg_segment_size: 40
    .language:       OpenCL C
    .language_version:
      - 2
      - 0
    .max_flat_workgroup_size: 1024
    .name:           _ZN7rocprim17ROCPRIM_400000_NS6detail17trampoline_kernelINS0_14default_configENS1_25transform_config_selectorIN3c108BFloat16ELb1EEEZNS1_14transform_implILb1ES3_S7_PS6_S9_NS0_8identityIS6_EEEE10hipError_tT2_T3_mT4_P12ihipStream_tbEUlT_E_NS1_11comp_targetILNS1_3genE9ELNS1_11target_archE1100ELNS1_3gpuE3ELNS1_3repE0EEENS1_30default_config_static_selectorELNS0_4arch9wavefront6targetE0EEEvT1_
    .private_segment_fixed_size: 0
    .sgpr_count:     0
    .sgpr_spill_count: 0
    .symbol:         _ZN7rocprim17ROCPRIM_400000_NS6detail17trampoline_kernelINS0_14default_configENS1_25transform_config_selectorIN3c108BFloat16ELb1EEEZNS1_14transform_implILb1ES3_S7_PS6_S9_NS0_8identityIS6_EEEE10hipError_tT2_T3_mT4_P12ihipStream_tbEUlT_E_NS1_11comp_targetILNS1_3genE9ELNS1_11target_archE1100ELNS1_3gpuE3ELNS1_3repE0EEENS1_30default_config_static_selectorELNS0_4arch9wavefront6targetE0EEEvT1_.kd
    .uniform_work_group_size: 1
    .uses_dynamic_stack: false
    .vgpr_count:     0
    .vgpr_spill_count: 0
    .wavefront_size: 32
    .workgroup_processor_mode: 1
  - .args:
      - .offset:         0
        .size:           40
        .value_kind:     by_value
      - .offset:         40
        .size:           4
        .value_kind:     hidden_block_count_x
      - .offset:         44
        .size:           4
        .value_kind:     hidden_block_count_y
      - .offset:         48
        .size:           4
        .value_kind:     hidden_block_count_z
      - .offset:         52
        .size:           2
        .value_kind:     hidden_group_size_x
      - .offset:         54
        .size:           2
        .value_kind:     hidden_group_size_y
      - .offset:         56
        .size:           2
        .value_kind:     hidden_group_size_z
      - .offset:         58
        .size:           2
        .value_kind:     hidden_remainder_x
      - .offset:         60
        .size:           2
        .value_kind:     hidden_remainder_y
      - .offset:         62
        .size:           2
        .value_kind:     hidden_remainder_z
      - .offset:         80
        .size:           8
        .value_kind:     hidden_global_offset_x
      - .offset:         88
        .size:           8
        .value_kind:     hidden_global_offset_y
      - .offset:         96
        .size:           8
        .value_kind:     hidden_global_offset_z
      - .offset:         104
        .size:           2
        .value_kind:     hidden_grid_dims
    .group_segment_fixed_size: 0
    .kernarg_segment_align: 8
    .kernarg_segment_size: 296
    .language:       OpenCL C
    .language_version:
      - 2
      - 0
    .max_flat_workgroup_size: 1024
    .name:           _ZN7rocprim17ROCPRIM_400000_NS6detail17trampoline_kernelINS0_14default_configENS1_25transform_config_selectorIN3c108BFloat16ELb1EEEZNS1_14transform_implILb1ES3_S7_PS6_S9_NS0_8identityIS6_EEEE10hipError_tT2_T3_mT4_P12ihipStream_tbEUlT_E_NS1_11comp_targetILNS1_3genE8ELNS1_11target_archE1030ELNS1_3gpuE2ELNS1_3repE0EEENS1_30default_config_static_selectorELNS0_4arch9wavefront6targetE0EEEvT1_
    .private_segment_fixed_size: 0
    .sgpr_count:     14
    .sgpr_spill_count: 0
    .symbol:         _ZN7rocprim17ROCPRIM_400000_NS6detail17trampoline_kernelINS0_14default_configENS1_25transform_config_selectorIN3c108BFloat16ELb1EEEZNS1_14transform_implILb1ES3_S7_PS6_S9_NS0_8identityIS6_EEEE10hipError_tT2_T3_mT4_P12ihipStream_tbEUlT_E_NS1_11comp_targetILNS1_3genE8ELNS1_11target_archE1030ELNS1_3gpuE2ELNS1_3repE0EEENS1_30default_config_static_selectorELNS0_4arch9wavefront6targetE0EEEvT1_.kd
    .uniform_work_group_size: 1
    .uses_dynamic_stack: false
    .vgpr_count:     2
    .vgpr_spill_count: 0
    .wavefront_size: 32
    .workgroup_processor_mode: 1
  - .args:
      - .offset:         0
        .size:           32
        .value_kind:     by_value
    .group_segment_fixed_size: 0
    .kernarg_segment_align: 8
    .kernarg_segment_size: 32
    .language:       OpenCL C
    .language_version:
      - 2
      - 0
    .max_flat_workgroup_size: 128
    .name:           _ZN7rocprim17ROCPRIM_400000_NS6detail17trampoline_kernelINS0_14default_configENS1_20scan_config_selectorIN3c108BFloat16EEEZZNS1_9scan_implILNS1_25lookback_scan_determinismE0ELb0ELb0ES3_PKS6_PS6_S6_ZZZN2at6native31launch_logcumsumexp_cuda_kernelERKNSD_10TensorBaseESH_lENKUlvE_clEvENKUlvE4_clEvEUlS6_S6_E_S6_EEDaPvRmT3_T4_T5_mT6_P12ihipStream_tbENKUlT_T0_E_clISt17integral_constantIbLb0EESY_EEDaST_SU_EUlST_E0_NS1_11comp_targetILNS1_3genE0ELNS1_11target_archE4294967295ELNS1_3gpuE0ELNS1_3repE0EEENS1_30default_config_static_selectorELNS0_4arch9wavefront6targetE0EEEvT1_
    .private_segment_fixed_size: 0
    .sgpr_count:     0
    .sgpr_spill_count: 0
    .symbol:         _ZN7rocprim17ROCPRIM_400000_NS6detail17trampoline_kernelINS0_14default_configENS1_20scan_config_selectorIN3c108BFloat16EEEZZNS1_9scan_implILNS1_25lookback_scan_determinismE0ELb0ELb0ES3_PKS6_PS6_S6_ZZZN2at6native31launch_logcumsumexp_cuda_kernelERKNSD_10TensorBaseESH_lENKUlvE_clEvENKUlvE4_clEvEUlS6_S6_E_S6_EEDaPvRmT3_T4_T5_mT6_P12ihipStream_tbENKUlT_T0_E_clISt17integral_constantIbLb0EESY_EEDaST_SU_EUlST_E0_NS1_11comp_targetILNS1_3genE0ELNS1_11target_archE4294967295ELNS1_3gpuE0ELNS1_3repE0EEENS1_30default_config_static_selectorELNS0_4arch9wavefront6targetE0EEEvT1_.kd
    .uniform_work_group_size: 1
    .uses_dynamic_stack: false
    .vgpr_count:     0
    .vgpr_spill_count: 0
    .wavefront_size: 32
    .workgroup_processor_mode: 1
  - .args:
      - .offset:         0
        .size:           32
        .value_kind:     by_value
    .group_segment_fixed_size: 0
    .kernarg_segment_align: 8
    .kernarg_segment_size: 32
    .language:       OpenCL C
    .language_version:
      - 2
      - 0
    .max_flat_workgroup_size: 256
    .name:           _ZN7rocprim17ROCPRIM_400000_NS6detail17trampoline_kernelINS0_14default_configENS1_20scan_config_selectorIN3c108BFloat16EEEZZNS1_9scan_implILNS1_25lookback_scan_determinismE0ELb0ELb0ES3_PKS6_PS6_S6_ZZZN2at6native31launch_logcumsumexp_cuda_kernelERKNSD_10TensorBaseESH_lENKUlvE_clEvENKUlvE4_clEvEUlS6_S6_E_S6_EEDaPvRmT3_T4_T5_mT6_P12ihipStream_tbENKUlT_T0_E_clISt17integral_constantIbLb0EESY_EEDaST_SU_EUlST_E0_NS1_11comp_targetILNS1_3genE5ELNS1_11target_archE942ELNS1_3gpuE9ELNS1_3repE0EEENS1_30default_config_static_selectorELNS0_4arch9wavefront6targetE0EEEvT1_
    .private_segment_fixed_size: 0
    .sgpr_count:     0
    .sgpr_spill_count: 0
    .symbol:         _ZN7rocprim17ROCPRIM_400000_NS6detail17trampoline_kernelINS0_14default_configENS1_20scan_config_selectorIN3c108BFloat16EEEZZNS1_9scan_implILNS1_25lookback_scan_determinismE0ELb0ELb0ES3_PKS6_PS6_S6_ZZZN2at6native31launch_logcumsumexp_cuda_kernelERKNSD_10TensorBaseESH_lENKUlvE_clEvENKUlvE4_clEvEUlS6_S6_E_S6_EEDaPvRmT3_T4_T5_mT6_P12ihipStream_tbENKUlT_T0_E_clISt17integral_constantIbLb0EESY_EEDaST_SU_EUlST_E0_NS1_11comp_targetILNS1_3genE5ELNS1_11target_archE942ELNS1_3gpuE9ELNS1_3repE0EEENS1_30default_config_static_selectorELNS0_4arch9wavefront6targetE0EEEvT1_.kd
    .uniform_work_group_size: 1
    .uses_dynamic_stack: false
    .vgpr_count:     0
    .vgpr_spill_count: 0
    .wavefront_size: 32
    .workgroup_processor_mode: 1
  - .args:
      - .offset:         0
        .size:           32
        .value_kind:     by_value
    .group_segment_fixed_size: 0
    .kernarg_segment_align: 8
    .kernarg_segment_size: 32
    .language:       OpenCL C
    .language_version:
      - 2
      - 0
    .max_flat_workgroup_size: 64
    .name:           _ZN7rocprim17ROCPRIM_400000_NS6detail17trampoline_kernelINS0_14default_configENS1_20scan_config_selectorIN3c108BFloat16EEEZZNS1_9scan_implILNS1_25lookback_scan_determinismE0ELb0ELb0ES3_PKS6_PS6_S6_ZZZN2at6native31launch_logcumsumexp_cuda_kernelERKNSD_10TensorBaseESH_lENKUlvE_clEvENKUlvE4_clEvEUlS6_S6_E_S6_EEDaPvRmT3_T4_T5_mT6_P12ihipStream_tbENKUlT_T0_E_clISt17integral_constantIbLb0EESY_EEDaST_SU_EUlST_E0_NS1_11comp_targetILNS1_3genE4ELNS1_11target_archE910ELNS1_3gpuE8ELNS1_3repE0EEENS1_30default_config_static_selectorELNS0_4arch9wavefront6targetE0EEEvT1_
    .private_segment_fixed_size: 0
    .sgpr_count:     0
    .sgpr_spill_count: 0
    .symbol:         _ZN7rocprim17ROCPRIM_400000_NS6detail17trampoline_kernelINS0_14default_configENS1_20scan_config_selectorIN3c108BFloat16EEEZZNS1_9scan_implILNS1_25lookback_scan_determinismE0ELb0ELb0ES3_PKS6_PS6_S6_ZZZN2at6native31launch_logcumsumexp_cuda_kernelERKNSD_10TensorBaseESH_lENKUlvE_clEvENKUlvE4_clEvEUlS6_S6_E_S6_EEDaPvRmT3_T4_T5_mT6_P12ihipStream_tbENKUlT_T0_E_clISt17integral_constantIbLb0EESY_EEDaST_SU_EUlST_E0_NS1_11comp_targetILNS1_3genE4ELNS1_11target_archE910ELNS1_3gpuE8ELNS1_3repE0EEENS1_30default_config_static_selectorELNS0_4arch9wavefront6targetE0EEEvT1_.kd
    .uniform_work_group_size: 1
    .uses_dynamic_stack: false
    .vgpr_count:     0
    .vgpr_spill_count: 0
    .wavefront_size: 32
    .workgroup_processor_mode: 1
  - .args:
      - .offset:         0
        .size:           32
        .value_kind:     by_value
    .group_segment_fixed_size: 0
    .kernarg_segment_align: 8
    .kernarg_segment_size: 32
    .language:       OpenCL C
    .language_version:
      - 2
      - 0
    .max_flat_workgroup_size: 128
    .name:           _ZN7rocprim17ROCPRIM_400000_NS6detail17trampoline_kernelINS0_14default_configENS1_20scan_config_selectorIN3c108BFloat16EEEZZNS1_9scan_implILNS1_25lookback_scan_determinismE0ELb0ELb0ES3_PKS6_PS6_S6_ZZZN2at6native31launch_logcumsumexp_cuda_kernelERKNSD_10TensorBaseESH_lENKUlvE_clEvENKUlvE4_clEvEUlS6_S6_E_S6_EEDaPvRmT3_T4_T5_mT6_P12ihipStream_tbENKUlT_T0_E_clISt17integral_constantIbLb0EESY_EEDaST_SU_EUlST_E0_NS1_11comp_targetILNS1_3genE3ELNS1_11target_archE908ELNS1_3gpuE7ELNS1_3repE0EEENS1_30default_config_static_selectorELNS0_4arch9wavefront6targetE0EEEvT1_
    .private_segment_fixed_size: 0
    .sgpr_count:     0
    .sgpr_spill_count: 0
    .symbol:         _ZN7rocprim17ROCPRIM_400000_NS6detail17trampoline_kernelINS0_14default_configENS1_20scan_config_selectorIN3c108BFloat16EEEZZNS1_9scan_implILNS1_25lookback_scan_determinismE0ELb0ELb0ES3_PKS6_PS6_S6_ZZZN2at6native31launch_logcumsumexp_cuda_kernelERKNSD_10TensorBaseESH_lENKUlvE_clEvENKUlvE4_clEvEUlS6_S6_E_S6_EEDaPvRmT3_T4_T5_mT6_P12ihipStream_tbENKUlT_T0_E_clISt17integral_constantIbLb0EESY_EEDaST_SU_EUlST_E0_NS1_11comp_targetILNS1_3genE3ELNS1_11target_archE908ELNS1_3gpuE7ELNS1_3repE0EEENS1_30default_config_static_selectorELNS0_4arch9wavefront6targetE0EEEvT1_.kd
    .uniform_work_group_size: 1
    .uses_dynamic_stack: false
    .vgpr_count:     0
    .vgpr_spill_count: 0
    .wavefront_size: 32
    .workgroup_processor_mode: 1
  - .args:
      - .offset:         0
        .size:           32
        .value_kind:     by_value
    .group_segment_fixed_size: 0
    .kernarg_segment_align: 8
    .kernarg_segment_size: 32
    .language:       OpenCL C
    .language_version:
      - 2
      - 0
    .max_flat_workgroup_size: 256
    .name:           _ZN7rocprim17ROCPRIM_400000_NS6detail17trampoline_kernelINS0_14default_configENS1_20scan_config_selectorIN3c108BFloat16EEEZZNS1_9scan_implILNS1_25lookback_scan_determinismE0ELb0ELb0ES3_PKS6_PS6_S6_ZZZN2at6native31launch_logcumsumexp_cuda_kernelERKNSD_10TensorBaseESH_lENKUlvE_clEvENKUlvE4_clEvEUlS6_S6_E_S6_EEDaPvRmT3_T4_T5_mT6_P12ihipStream_tbENKUlT_T0_E_clISt17integral_constantIbLb0EESY_EEDaST_SU_EUlST_E0_NS1_11comp_targetILNS1_3genE2ELNS1_11target_archE906ELNS1_3gpuE6ELNS1_3repE0EEENS1_30default_config_static_selectorELNS0_4arch9wavefront6targetE0EEEvT1_
    .private_segment_fixed_size: 0
    .sgpr_count:     0
    .sgpr_spill_count: 0
    .symbol:         _ZN7rocprim17ROCPRIM_400000_NS6detail17trampoline_kernelINS0_14default_configENS1_20scan_config_selectorIN3c108BFloat16EEEZZNS1_9scan_implILNS1_25lookback_scan_determinismE0ELb0ELb0ES3_PKS6_PS6_S6_ZZZN2at6native31launch_logcumsumexp_cuda_kernelERKNSD_10TensorBaseESH_lENKUlvE_clEvENKUlvE4_clEvEUlS6_S6_E_S6_EEDaPvRmT3_T4_T5_mT6_P12ihipStream_tbENKUlT_T0_E_clISt17integral_constantIbLb0EESY_EEDaST_SU_EUlST_E0_NS1_11comp_targetILNS1_3genE2ELNS1_11target_archE906ELNS1_3gpuE6ELNS1_3repE0EEENS1_30default_config_static_selectorELNS0_4arch9wavefront6targetE0EEEvT1_.kd
    .uniform_work_group_size: 1
    .uses_dynamic_stack: false
    .vgpr_count:     0
    .vgpr_spill_count: 0
    .wavefront_size: 32
    .workgroup_processor_mode: 1
  - .args:
      - .offset:         0
        .size:           32
        .value_kind:     by_value
    .group_segment_fixed_size: 0
    .kernarg_segment_align: 8
    .kernarg_segment_size: 32
    .language:       OpenCL C
    .language_version:
      - 2
      - 0
    .max_flat_workgroup_size: 256
    .name:           _ZN7rocprim17ROCPRIM_400000_NS6detail17trampoline_kernelINS0_14default_configENS1_20scan_config_selectorIN3c108BFloat16EEEZZNS1_9scan_implILNS1_25lookback_scan_determinismE0ELb0ELb0ES3_PKS6_PS6_S6_ZZZN2at6native31launch_logcumsumexp_cuda_kernelERKNSD_10TensorBaseESH_lENKUlvE_clEvENKUlvE4_clEvEUlS6_S6_E_S6_EEDaPvRmT3_T4_T5_mT6_P12ihipStream_tbENKUlT_T0_E_clISt17integral_constantIbLb0EESY_EEDaST_SU_EUlST_E0_NS1_11comp_targetILNS1_3genE10ELNS1_11target_archE1201ELNS1_3gpuE5ELNS1_3repE0EEENS1_30default_config_static_selectorELNS0_4arch9wavefront6targetE0EEEvT1_
    .private_segment_fixed_size: 0
    .sgpr_count:     0
    .sgpr_spill_count: 0
    .symbol:         _ZN7rocprim17ROCPRIM_400000_NS6detail17trampoline_kernelINS0_14default_configENS1_20scan_config_selectorIN3c108BFloat16EEEZZNS1_9scan_implILNS1_25lookback_scan_determinismE0ELb0ELb0ES3_PKS6_PS6_S6_ZZZN2at6native31launch_logcumsumexp_cuda_kernelERKNSD_10TensorBaseESH_lENKUlvE_clEvENKUlvE4_clEvEUlS6_S6_E_S6_EEDaPvRmT3_T4_T5_mT6_P12ihipStream_tbENKUlT_T0_E_clISt17integral_constantIbLb0EESY_EEDaST_SU_EUlST_E0_NS1_11comp_targetILNS1_3genE10ELNS1_11target_archE1201ELNS1_3gpuE5ELNS1_3repE0EEENS1_30default_config_static_selectorELNS0_4arch9wavefront6targetE0EEEvT1_.kd
    .uniform_work_group_size: 1
    .uses_dynamic_stack: false
    .vgpr_count:     0
    .vgpr_spill_count: 0
    .wavefront_size: 32
    .workgroup_processor_mode: 1
  - .args:
      - .offset:         0
        .size:           32
        .value_kind:     by_value
    .group_segment_fixed_size: 0
    .kernarg_segment_align: 8
    .kernarg_segment_size: 32
    .language:       OpenCL C
    .language_version:
      - 2
      - 0
    .max_flat_workgroup_size: 256
    .name:           _ZN7rocprim17ROCPRIM_400000_NS6detail17trampoline_kernelINS0_14default_configENS1_20scan_config_selectorIN3c108BFloat16EEEZZNS1_9scan_implILNS1_25lookback_scan_determinismE0ELb0ELb0ES3_PKS6_PS6_S6_ZZZN2at6native31launch_logcumsumexp_cuda_kernelERKNSD_10TensorBaseESH_lENKUlvE_clEvENKUlvE4_clEvEUlS6_S6_E_S6_EEDaPvRmT3_T4_T5_mT6_P12ihipStream_tbENKUlT_T0_E_clISt17integral_constantIbLb0EESY_EEDaST_SU_EUlST_E0_NS1_11comp_targetILNS1_3genE10ELNS1_11target_archE1200ELNS1_3gpuE4ELNS1_3repE0EEENS1_30default_config_static_selectorELNS0_4arch9wavefront6targetE0EEEvT1_
    .private_segment_fixed_size: 0
    .sgpr_count:     0
    .sgpr_spill_count: 0
    .symbol:         _ZN7rocprim17ROCPRIM_400000_NS6detail17trampoline_kernelINS0_14default_configENS1_20scan_config_selectorIN3c108BFloat16EEEZZNS1_9scan_implILNS1_25lookback_scan_determinismE0ELb0ELb0ES3_PKS6_PS6_S6_ZZZN2at6native31launch_logcumsumexp_cuda_kernelERKNSD_10TensorBaseESH_lENKUlvE_clEvENKUlvE4_clEvEUlS6_S6_E_S6_EEDaPvRmT3_T4_T5_mT6_P12ihipStream_tbENKUlT_T0_E_clISt17integral_constantIbLb0EESY_EEDaST_SU_EUlST_E0_NS1_11comp_targetILNS1_3genE10ELNS1_11target_archE1200ELNS1_3gpuE4ELNS1_3repE0EEENS1_30default_config_static_selectorELNS0_4arch9wavefront6targetE0EEEvT1_.kd
    .uniform_work_group_size: 1
    .uses_dynamic_stack: false
    .vgpr_count:     0
    .vgpr_spill_count: 0
    .wavefront_size: 32
    .workgroup_processor_mode: 1
  - .args:
      - .offset:         0
        .size:           32
        .value_kind:     by_value
    .group_segment_fixed_size: 0
    .kernarg_segment_align: 8
    .kernarg_segment_size: 32
    .language:       OpenCL C
    .language_version:
      - 2
      - 0
    .max_flat_workgroup_size: 64
    .name:           _ZN7rocprim17ROCPRIM_400000_NS6detail17trampoline_kernelINS0_14default_configENS1_20scan_config_selectorIN3c108BFloat16EEEZZNS1_9scan_implILNS1_25lookback_scan_determinismE0ELb0ELb0ES3_PKS6_PS6_S6_ZZZN2at6native31launch_logcumsumexp_cuda_kernelERKNSD_10TensorBaseESH_lENKUlvE_clEvENKUlvE4_clEvEUlS6_S6_E_S6_EEDaPvRmT3_T4_T5_mT6_P12ihipStream_tbENKUlT_T0_E_clISt17integral_constantIbLb0EESY_EEDaST_SU_EUlST_E0_NS1_11comp_targetILNS1_3genE9ELNS1_11target_archE1100ELNS1_3gpuE3ELNS1_3repE0EEENS1_30default_config_static_selectorELNS0_4arch9wavefront6targetE0EEEvT1_
    .private_segment_fixed_size: 0
    .sgpr_count:     0
    .sgpr_spill_count: 0
    .symbol:         _ZN7rocprim17ROCPRIM_400000_NS6detail17trampoline_kernelINS0_14default_configENS1_20scan_config_selectorIN3c108BFloat16EEEZZNS1_9scan_implILNS1_25lookback_scan_determinismE0ELb0ELb0ES3_PKS6_PS6_S6_ZZZN2at6native31launch_logcumsumexp_cuda_kernelERKNSD_10TensorBaseESH_lENKUlvE_clEvENKUlvE4_clEvEUlS6_S6_E_S6_EEDaPvRmT3_T4_T5_mT6_P12ihipStream_tbENKUlT_T0_E_clISt17integral_constantIbLb0EESY_EEDaST_SU_EUlST_E0_NS1_11comp_targetILNS1_3genE9ELNS1_11target_archE1100ELNS1_3gpuE3ELNS1_3repE0EEENS1_30default_config_static_selectorELNS0_4arch9wavefront6targetE0EEEvT1_.kd
    .uniform_work_group_size: 1
    .uses_dynamic_stack: false
    .vgpr_count:     0
    .vgpr_spill_count: 0
    .wavefront_size: 32
    .workgroup_processor_mode: 1
  - .args:
      - .offset:         0
        .size:           32
        .value_kind:     by_value
    .group_segment_fixed_size: 1536
    .kernarg_segment_align: 8
    .kernarg_segment_size: 32
    .language:       OpenCL C
    .language_version:
      - 2
      - 0
    .max_flat_workgroup_size: 64
    .name:           _ZN7rocprim17ROCPRIM_400000_NS6detail17trampoline_kernelINS0_14default_configENS1_20scan_config_selectorIN3c108BFloat16EEEZZNS1_9scan_implILNS1_25lookback_scan_determinismE0ELb0ELb0ES3_PKS6_PS6_S6_ZZZN2at6native31launch_logcumsumexp_cuda_kernelERKNSD_10TensorBaseESH_lENKUlvE_clEvENKUlvE4_clEvEUlS6_S6_E_S6_EEDaPvRmT3_T4_T5_mT6_P12ihipStream_tbENKUlT_T0_E_clISt17integral_constantIbLb0EESY_EEDaST_SU_EUlST_E0_NS1_11comp_targetILNS1_3genE8ELNS1_11target_archE1030ELNS1_3gpuE2ELNS1_3repE0EEENS1_30default_config_static_selectorELNS0_4arch9wavefront6targetE0EEEvT1_
    .private_segment_fixed_size: 0
    .sgpr_count:     33
    .sgpr_spill_count: 0
    .symbol:         _ZN7rocprim17ROCPRIM_400000_NS6detail17trampoline_kernelINS0_14default_configENS1_20scan_config_selectorIN3c108BFloat16EEEZZNS1_9scan_implILNS1_25lookback_scan_determinismE0ELb0ELb0ES3_PKS6_PS6_S6_ZZZN2at6native31launch_logcumsumexp_cuda_kernelERKNSD_10TensorBaseESH_lENKUlvE_clEvENKUlvE4_clEvEUlS6_S6_E_S6_EEDaPvRmT3_T4_T5_mT6_P12ihipStream_tbENKUlT_T0_E_clISt17integral_constantIbLb0EESY_EEDaST_SU_EUlST_E0_NS1_11comp_targetILNS1_3genE8ELNS1_11target_archE1030ELNS1_3gpuE2ELNS1_3repE0EEENS1_30default_config_static_selectorELNS0_4arch9wavefront6targetE0EEEvT1_.kd
    .uniform_work_group_size: 1
    .uses_dynamic_stack: false
    .vgpr_count:     49
    .vgpr_spill_count: 0
    .wavefront_size: 32
    .workgroup_processor_mode: 1
  - .args:
      - .address_space:  global
        .offset:         0
        .size:           8
        .value_kind:     global_buffer
      - .offset:         8
        .size:           4
        .value_kind:     by_value
      - .address_space:  global
        .offset:         16
        .size:           8
        .value_kind:     global_buffer
      - .offset:         24
        .size:           4
        .value_kind:     by_value
      - .address_space:  global
        .offset:         32
        .size:           8
        .value_kind:     global_buffer
      - .offset:         40
        .size:           4
        .value_kind:     hidden_block_count_x
      - .offset:         44
        .size:           4
        .value_kind:     hidden_block_count_y
      - .offset:         48
        .size:           4
        .value_kind:     hidden_block_count_z
      - .offset:         52
        .size:           2
        .value_kind:     hidden_group_size_x
      - .offset:         54
        .size:           2
        .value_kind:     hidden_group_size_y
      - .offset:         56
        .size:           2
        .value_kind:     hidden_group_size_z
      - .offset:         58
        .size:           2
        .value_kind:     hidden_remainder_x
      - .offset:         60
        .size:           2
        .value_kind:     hidden_remainder_y
      - .offset:         62
        .size:           2
        .value_kind:     hidden_remainder_z
      - .offset:         80
        .size:           8
        .value_kind:     hidden_global_offset_x
      - .offset:         88
        .size:           8
        .value_kind:     hidden_global_offset_y
      - .offset:         96
        .size:           8
        .value_kind:     hidden_global_offset_z
      - .offset:         104
        .size:           2
        .value_kind:     hidden_grid_dims
    .group_segment_fixed_size: 0
    .kernarg_segment_align: 8
    .kernarg_segment_size: 296
    .language:       OpenCL C
    .language_version:
      - 2
      - 0
    .max_flat_workgroup_size: 256
    .name:           _ZN7rocprim17ROCPRIM_400000_NS6detail31init_lookback_scan_state_kernelINS1_19lookback_scan_stateIN3c108BFloat16ELb1ELb1EEENS1_16block_id_wrapperIjLb1EEEEEvT_jT0_jPNS9_10value_typeE
    .private_segment_fixed_size: 0
    .sgpr_count:     14
    .sgpr_spill_count: 0
    .symbol:         _ZN7rocprim17ROCPRIM_400000_NS6detail31init_lookback_scan_state_kernelINS1_19lookback_scan_stateIN3c108BFloat16ELb1ELb1EEENS1_16block_id_wrapperIjLb1EEEEEvT_jT0_jPNS9_10value_typeE.kd
    .uniform_work_group_size: 1
    .uses_dynamic_stack: false
    .vgpr_count:     5
    .vgpr_spill_count: 0
    .wavefront_size: 32
    .workgroup_processor_mode: 1
  - .args:
      - .offset:         0
        .size:           96
        .value_kind:     by_value
    .group_segment_fixed_size: 0
    .kernarg_segment_align: 8
    .kernarg_segment_size: 96
    .language:       OpenCL C
    .language_version:
      - 2
      - 0
    .max_flat_workgroup_size: 128
    .name:           _ZN7rocprim17ROCPRIM_400000_NS6detail17trampoline_kernelINS0_14default_configENS1_20scan_config_selectorIN3c108BFloat16EEEZZNS1_9scan_implILNS1_25lookback_scan_determinismE0ELb0ELb0ES3_PKS6_PS6_S6_ZZZN2at6native31launch_logcumsumexp_cuda_kernelERKNSD_10TensorBaseESH_lENKUlvE_clEvENKUlvE4_clEvEUlS6_S6_E_S6_EEDaPvRmT3_T4_T5_mT6_P12ihipStream_tbENKUlT_T0_E_clISt17integral_constantIbLb1EESY_EEDaST_SU_EUlST_E_NS1_11comp_targetILNS1_3genE0ELNS1_11target_archE4294967295ELNS1_3gpuE0ELNS1_3repE0EEENS1_30default_config_static_selectorELNS0_4arch9wavefront6targetE0EEEvT1_
    .private_segment_fixed_size: 0
    .sgpr_count:     0
    .sgpr_spill_count: 0
    .symbol:         _ZN7rocprim17ROCPRIM_400000_NS6detail17trampoline_kernelINS0_14default_configENS1_20scan_config_selectorIN3c108BFloat16EEEZZNS1_9scan_implILNS1_25lookback_scan_determinismE0ELb0ELb0ES3_PKS6_PS6_S6_ZZZN2at6native31launch_logcumsumexp_cuda_kernelERKNSD_10TensorBaseESH_lENKUlvE_clEvENKUlvE4_clEvEUlS6_S6_E_S6_EEDaPvRmT3_T4_T5_mT6_P12ihipStream_tbENKUlT_T0_E_clISt17integral_constantIbLb1EESY_EEDaST_SU_EUlST_E_NS1_11comp_targetILNS1_3genE0ELNS1_11target_archE4294967295ELNS1_3gpuE0ELNS1_3repE0EEENS1_30default_config_static_selectorELNS0_4arch9wavefront6targetE0EEEvT1_.kd
    .uniform_work_group_size: 1
    .uses_dynamic_stack: false
    .vgpr_count:     0
    .vgpr_spill_count: 0
    .wavefront_size: 32
    .workgroup_processor_mode: 1
  - .args:
      - .offset:         0
        .size:           96
        .value_kind:     by_value
    .group_segment_fixed_size: 0
    .kernarg_segment_align: 8
    .kernarg_segment_size: 96
    .language:       OpenCL C
    .language_version:
      - 2
      - 0
    .max_flat_workgroup_size: 256
    .name:           _ZN7rocprim17ROCPRIM_400000_NS6detail17trampoline_kernelINS0_14default_configENS1_20scan_config_selectorIN3c108BFloat16EEEZZNS1_9scan_implILNS1_25lookback_scan_determinismE0ELb0ELb0ES3_PKS6_PS6_S6_ZZZN2at6native31launch_logcumsumexp_cuda_kernelERKNSD_10TensorBaseESH_lENKUlvE_clEvENKUlvE4_clEvEUlS6_S6_E_S6_EEDaPvRmT3_T4_T5_mT6_P12ihipStream_tbENKUlT_T0_E_clISt17integral_constantIbLb1EESY_EEDaST_SU_EUlST_E_NS1_11comp_targetILNS1_3genE5ELNS1_11target_archE942ELNS1_3gpuE9ELNS1_3repE0EEENS1_30default_config_static_selectorELNS0_4arch9wavefront6targetE0EEEvT1_
    .private_segment_fixed_size: 0
    .sgpr_count:     0
    .sgpr_spill_count: 0
    .symbol:         _ZN7rocprim17ROCPRIM_400000_NS6detail17trampoline_kernelINS0_14default_configENS1_20scan_config_selectorIN3c108BFloat16EEEZZNS1_9scan_implILNS1_25lookback_scan_determinismE0ELb0ELb0ES3_PKS6_PS6_S6_ZZZN2at6native31launch_logcumsumexp_cuda_kernelERKNSD_10TensorBaseESH_lENKUlvE_clEvENKUlvE4_clEvEUlS6_S6_E_S6_EEDaPvRmT3_T4_T5_mT6_P12ihipStream_tbENKUlT_T0_E_clISt17integral_constantIbLb1EESY_EEDaST_SU_EUlST_E_NS1_11comp_targetILNS1_3genE5ELNS1_11target_archE942ELNS1_3gpuE9ELNS1_3repE0EEENS1_30default_config_static_selectorELNS0_4arch9wavefront6targetE0EEEvT1_.kd
    .uniform_work_group_size: 1
    .uses_dynamic_stack: false
    .vgpr_count:     0
    .vgpr_spill_count: 0
    .wavefront_size: 32
    .workgroup_processor_mode: 1
  - .args:
      - .offset:         0
        .size:           96
        .value_kind:     by_value
    .group_segment_fixed_size: 0
    .kernarg_segment_align: 8
    .kernarg_segment_size: 96
    .language:       OpenCL C
    .language_version:
      - 2
      - 0
    .max_flat_workgroup_size: 64
    .name:           _ZN7rocprim17ROCPRIM_400000_NS6detail17trampoline_kernelINS0_14default_configENS1_20scan_config_selectorIN3c108BFloat16EEEZZNS1_9scan_implILNS1_25lookback_scan_determinismE0ELb0ELb0ES3_PKS6_PS6_S6_ZZZN2at6native31launch_logcumsumexp_cuda_kernelERKNSD_10TensorBaseESH_lENKUlvE_clEvENKUlvE4_clEvEUlS6_S6_E_S6_EEDaPvRmT3_T4_T5_mT6_P12ihipStream_tbENKUlT_T0_E_clISt17integral_constantIbLb1EESY_EEDaST_SU_EUlST_E_NS1_11comp_targetILNS1_3genE4ELNS1_11target_archE910ELNS1_3gpuE8ELNS1_3repE0EEENS1_30default_config_static_selectorELNS0_4arch9wavefront6targetE0EEEvT1_
    .private_segment_fixed_size: 0
    .sgpr_count:     0
    .sgpr_spill_count: 0
    .symbol:         _ZN7rocprim17ROCPRIM_400000_NS6detail17trampoline_kernelINS0_14default_configENS1_20scan_config_selectorIN3c108BFloat16EEEZZNS1_9scan_implILNS1_25lookback_scan_determinismE0ELb0ELb0ES3_PKS6_PS6_S6_ZZZN2at6native31launch_logcumsumexp_cuda_kernelERKNSD_10TensorBaseESH_lENKUlvE_clEvENKUlvE4_clEvEUlS6_S6_E_S6_EEDaPvRmT3_T4_T5_mT6_P12ihipStream_tbENKUlT_T0_E_clISt17integral_constantIbLb1EESY_EEDaST_SU_EUlST_E_NS1_11comp_targetILNS1_3genE4ELNS1_11target_archE910ELNS1_3gpuE8ELNS1_3repE0EEENS1_30default_config_static_selectorELNS0_4arch9wavefront6targetE0EEEvT1_.kd
    .uniform_work_group_size: 1
    .uses_dynamic_stack: false
    .vgpr_count:     0
    .vgpr_spill_count: 0
    .wavefront_size: 32
    .workgroup_processor_mode: 1
  - .args:
      - .offset:         0
        .size:           96
        .value_kind:     by_value
    .group_segment_fixed_size: 0
    .kernarg_segment_align: 8
    .kernarg_segment_size: 96
    .language:       OpenCL C
    .language_version:
      - 2
      - 0
    .max_flat_workgroup_size: 128
    .name:           _ZN7rocprim17ROCPRIM_400000_NS6detail17trampoline_kernelINS0_14default_configENS1_20scan_config_selectorIN3c108BFloat16EEEZZNS1_9scan_implILNS1_25lookback_scan_determinismE0ELb0ELb0ES3_PKS6_PS6_S6_ZZZN2at6native31launch_logcumsumexp_cuda_kernelERKNSD_10TensorBaseESH_lENKUlvE_clEvENKUlvE4_clEvEUlS6_S6_E_S6_EEDaPvRmT3_T4_T5_mT6_P12ihipStream_tbENKUlT_T0_E_clISt17integral_constantIbLb1EESY_EEDaST_SU_EUlST_E_NS1_11comp_targetILNS1_3genE3ELNS1_11target_archE908ELNS1_3gpuE7ELNS1_3repE0EEENS1_30default_config_static_selectorELNS0_4arch9wavefront6targetE0EEEvT1_
    .private_segment_fixed_size: 0
    .sgpr_count:     0
    .sgpr_spill_count: 0
    .symbol:         _ZN7rocprim17ROCPRIM_400000_NS6detail17trampoline_kernelINS0_14default_configENS1_20scan_config_selectorIN3c108BFloat16EEEZZNS1_9scan_implILNS1_25lookback_scan_determinismE0ELb0ELb0ES3_PKS6_PS6_S6_ZZZN2at6native31launch_logcumsumexp_cuda_kernelERKNSD_10TensorBaseESH_lENKUlvE_clEvENKUlvE4_clEvEUlS6_S6_E_S6_EEDaPvRmT3_T4_T5_mT6_P12ihipStream_tbENKUlT_T0_E_clISt17integral_constantIbLb1EESY_EEDaST_SU_EUlST_E_NS1_11comp_targetILNS1_3genE3ELNS1_11target_archE908ELNS1_3gpuE7ELNS1_3repE0EEENS1_30default_config_static_selectorELNS0_4arch9wavefront6targetE0EEEvT1_.kd
    .uniform_work_group_size: 1
    .uses_dynamic_stack: false
    .vgpr_count:     0
    .vgpr_spill_count: 0
    .wavefront_size: 32
    .workgroup_processor_mode: 1
  - .args:
      - .offset:         0
        .size:           96
        .value_kind:     by_value
    .group_segment_fixed_size: 0
    .kernarg_segment_align: 8
    .kernarg_segment_size: 96
    .language:       OpenCL C
    .language_version:
      - 2
      - 0
    .max_flat_workgroup_size: 256
    .name:           _ZN7rocprim17ROCPRIM_400000_NS6detail17trampoline_kernelINS0_14default_configENS1_20scan_config_selectorIN3c108BFloat16EEEZZNS1_9scan_implILNS1_25lookback_scan_determinismE0ELb0ELb0ES3_PKS6_PS6_S6_ZZZN2at6native31launch_logcumsumexp_cuda_kernelERKNSD_10TensorBaseESH_lENKUlvE_clEvENKUlvE4_clEvEUlS6_S6_E_S6_EEDaPvRmT3_T4_T5_mT6_P12ihipStream_tbENKUlT_T0_E_clISt17integral_constantIbLb1EESY_EEDaST_SU_EUlST_E_NS1_11comp_targetILNS1_3genE2ELNS1_11target_archE906ELNS1_3gpuE6ELNS1_3repE0EEENS1_30default_config_static_selectorELNS0_4arch9wavefront6targetE0EEEvT1_
    .private_segment_fixed_size: 0
    .sgpr_count:     0
    .sgpr_spill_count: 0
    .symbol:         _ZN7rocprim17ROCPRIM_400000_NS6detail17trampoline_kernelINS0_14default_configENS1_20scan_config_selectorIN3c108BFloat16EEEZZNS1_9scan_implILNS1_25lookback_scan_determinismE0ELb0ELb0ES3_PKS6_PS6_S6_ZZZN2at6native31launch_logcumsumexp_cuda_kernelERKNSD_10TensorBaseESH_lENKUlvE_clEvENKUlvE4_clEvEUlS6_S6_E_S6_EEDaPvRmT3_T4_T5_mT6_P12ihipStream_tbENKUlT_T0_E_clISt17integral_constantIbLb1EESY_EEDaST_SU_EUlST_E_NS1_11comp_targetILNS1_3genE2ELNS1_11target_archE906ELNS1_3gpuE6ELNS1_3repE0EEENS1_30default_config_static_selectorELNS0_4arch9wavefront6targetE0EEEvT1_.kd
    .uniform_work_group_size: 1
    .uses_dynamic_stack: false
    .vgpr_count:     0
    .vgpr_spill_count: 0
    .wavefront_size: 32
    .workgroup_processor_mode: 1
  - .args:
      - .offset:         0
        .size:           96
        .value_kind:     by_value
    .group_segment_fixed_size: 0
    .kernarg_segment_align: 8
    .kernarg_segment_size: 96
    .language:       OpenCL C
    .language_version:
      - 2
      - 0
    .max_flat_workgroup_size: 256
    .name:           _ZN7rocprim17ROCPRIM_400000_NS6detail17trampoline_kernelINS0_14default_configENS1_20scan_config_selectorIN3c108BFloat16EEEZZNS1_9scan_implILNS1_25lookback_scan_determinismE0ELb0ELb0ES3_PKS6_PS6_S6_ZZZN2at6native31launch_logcumsumexp_cuda_kernelERKNSD_10TensorBaseESH_lENKUlvE_clEvENKUlvE4_clEvEUlS6_S6_E_S6_EEDaPvRmT3_T4_T5_mT6_P12ihipStream_tbENKUlT_T0_E_clISt17integral_constantIbLb1EESY_EEDaST_SU_EUlST_E_NS1_11comp_targetILNS1_3genE10ELNS1_11target_archE1201ELNS1_3gpuE5ELNS1_3repE0EEENS1_30default_config_static_selectorELNS0_4arch9wavefront6targetE0EEEvT1_
    .private_segment_fixed_size: 0
    .sgpr_count:     0
    .sgpr_spill_count: 0
    .symbol:         _ZN7rocprim17ROCPRIM_400000_NS6detail17trampoline_kernelINS0_14default_configENS1_20scan_config_selectorIN3c108BFloat16EEEZZNS1_9scan_implILNS1_25lookback_scan_determinismE0ELb0ELb0ES3_PKS6_PS6_S6_ZZZN2at6native31launch_logcumsumexp_cuda_kernelERKNSD_10TensorBaseESH_lENKUlvE_clEvENKUlvE4_clEvEUlS6_S6_E_S6_EEDaPvRmT3_T4_T5_mT6_P12ihipStream_tbENKUlT_T0_E_clISt17integral_constantIbLb1EESY_EEDaST_SU_EUlST_E_NS1_11comp_targetILNS1_3genE10ELNS1_11target_archE1201ELNS1_3gpuE5ELNS1_3repE0EEENS1_30default_config_static_selectorELNS0_4arch9wavefront6targetE0EEEvT1_.kd
    .uniform_work_group_size: 1
    .uses_dynamic_stack: false
    .vgpr_count:     0
    .vgpr_spill_count: 0
    .wavefront_size: 32
    .workgroup_processor_mode: 1
  - .args:
      - .offset:         0
        .size:           96
        .value_kind:     by_value
    .group_segment_fixed_size: 0
    .kernarg_segment_align: 8
    .kernarg_segment_size: 96
    .language:       OpenCL C
    .language_version:
      - 2
      - 0
    .max_flat_workgroup_size: 256
    .name:           _ZN7rocprim17ROCPRIM_400000_NS6detail17trampoline_kernelINS0_14default_configENS1_20scan_config_selectorIN3c108BFloat16EEEZZNS1_9scan_implILNS1_25lookback_scan_determinismE0ELb0ELb0ES3_PKS6_PS6_S6_ZZZN2at6native31launch_logcumsumexp_cuda_kernelERKNSD_10TensorBaseESH_lENKUlvE_clEvENKUlvE4_clEvEUlS6_S6_E_S6_EEDaPvRmT3_T4_T5_mT6_P12ihipStream_tbENKUlT_T0_E_clISt17integral_constantIbLb1EESY_EEDaST_SU_EUlST_E_NS1_11comp_targetILNS1_3genE10ELNS1_11target_archE1200ELNS1_3gpuE4ELNS1_3repE0EEENS1_30default_config_static_selectorELNS0_4arch9wavefront6targetE0EEEvT1_
    .private_segment_fixed_size: 0
    .sgpr_count:     0
    .sgpr_spill_count: 0
    .symbol:         _ZN7rocprim17ROCPRIM_400000_NS6detail17trampoline_kernelINS0_14default_configENS1_20scan_config_selectorIN3c108BFloat16EEEZZNS1_9scan_implILNS1_25lookback_scan_determinismE0ELb0ELb0ES3_PKS6_PS6_S6_ZZZN2at6native31launch_logcumsumexp_cuda_kernelERKNSD_10TensorBaseESH_lENKUlvE_clEvENKUlvE4_clEvEUlS6_S6_E_S6_EEDaPvRmT3_T4_T5_mT6_P12ihipStream_tbENKUlT_T0_E_clISt17integral_constantIbLb1EESY_EEDaST_SU_EUlST_E_NS1_11comp_targetILNS1_3genE10ELNS1_11target_archE1200ELNS1_3gpuE4ELNS1_3repE0EEENS1_30default_config_static_selectorELNS0_4arch9wavefront6targetE0EEEvT1_.kd
    .uniform_work_group_size: 1
    .uses_dynamic_stack: false
    .vgpr_count:     0
    .vgpr_spill_count: 0
    .wavefront_size: 32
    .workgroup_processor_mode: 1
  - .args:
      - .offset:         0
        .size:           96
        .value_kind:     by_value
    .group_segment_fixed_size: 0
    .kernarg_segment_align: 8
    .kernarg_segment_size: 96
    .language:       OpenCL C
    .language_version:
      - 2
      - 0
    .max_flat_workgroup_size: 64
    .name:           _ZN7rocprim17ROCPRIM_400000_NS6detail17trampoline_kernelINS0_14default_configENS1_20scan_config_selectorIN3c108BFloat16EEEZZNS1_9scan_implILNS1_25lookback_scan_determinismE0ELb0ELb0ES3_PKS6_PS6_S6_ZZZN2at6native31launch_logcumsumexp_cuda_kernelERKNSD_10TensorBaseESH_lENKUlvE_clEvENKUlvE4_clEvEUlS6_S6_E_S6_EEDaPvRmT3_T4_T5_mT6_P12ihipStream_tbENKUlT_T0_E_clISt17integral_constantIbLb1EESY_EEDaST_SU_EUlST_E_NS1_11comp_targetILNS1_3genE9ELNS1_11target_archE1100ELNS1_3gpuE3ELNS1_3repE0EEENS1_30default_config_static_selectorELNS0_4arch9wavefront6targetE0EEEvT1_
    .private_segment_fixed_size: 0
    .sgpr_count:     0
    .sgpr_spill_count: 0
    .symbol:         _ZN7rocprim17ROCPRIM_400000_NS6detail17trampoline_kernelINS0_14default_configENS1_20scan_config_selectorIN3c108BFloat16EEEZZNS1_9scan_implILNS1_25lookback_scan_determinismE0ELb0ELb0ES3_PKS6_PS6_S6_ZZZN2at6native31launch_logcumsumexp_cuda_kernelERKNSD_10TensorBaseESH_lENKUlvE_clEvENKUlvE4_clEvEUlS6_S6_E_S6_EEDaPvRmT3_T4_T5_mT6_P12ihipStream_tbENKUlT_T0_E_clISt17integral_constantIbLb1EESY_EEDaST_SU_EUlST_E_NS1_11comp_targetILNS1_3genE9ELNS1_11target_archE1100ELNS1_3gpuE3ELNS1_3repE0EEENS1_30default_config_static_selectorELNS0_4arch9wavefront6targetE0EEEvT1_.kd
    .uniform_work_group_size: 1
    .uses_dynamic_stack: false
    .vgpr_count:     0
    .vgpr_spill_count: 0
    .wavefront_size: 32
    .workgroup_processor_mode: 1
  - .args:
      - .offset:         0
        .size:           96
        .value_kind:     by_value
    .group_segment_fixed_size: 0
    .kernarg_segment_align: 8
    .kernarg_segment_size: 96
    .language:       OpenCL C
    .language_version:
      - 2
      - 0
    .max_flat_workgroup_size: 64
    .name:           _ZN7rocprim17ROCPRIM_400000_NS6detail17trampoline_kernelINS0_14default_configENS1_20scan_config_selectorIN3c108BFloat16EEEZZNS1_9scan_implILNS1_25lookback_scan_determinismE0ELb0ELb0ES3_PKS6_PS6_S6_ZZZN2at6native31launch_logcumsumexp_cuda_kernelERKNSD_10TensorBaseESH_lENKUlvE_clEvENKUlvE4_clEvEUlS6_S6_E_S6_EEDaPvRmT3_T4_T5_mT6_P12ihipStream_tbENKUlT_T0_E_clISt17integral_constantIbLb1EESY_EEDaST_SU_EUlST_E_NS1_11comp_targetILNS1_3genE8ELNS1_11target_archE1030ELNS1_3gpuE2ELNS1_3repE0EEENS1_30default_config_static_selectorELNS0_4arch9wavefront6targetE0EEEvT1_
    .private_segment_fixed_size: 0
    .sgpr_count:     0
    .sgpr_spill_count: 0
    .symbol:         _ZN7rocprim17ROCPRIM_400000_NS6detail17trampoline_kernelINS0_14default_configENS1_20scan_config_selectorIN3c108BFloat16EEEZZNS1_9scan_implILNS1_25lookback_scan_determinismE0ELb0ELb0ES3_PKS6_PS6_S6_ZZZN2at6native31launch_logcumsumexp_cuda_kernelERKNSD_10TensorBaseESH_lENKUlvE_clEvENKUlvE4_clEvEUlS6_S6_E_S6_EEDaPvRmT3_T4_T5_mT6_P12ihipStream_tbENKUlT_T0_E_clISt17integral_constantIbLb1EESY_EEDaST_SU_EUlST_E_NS1_11comp_targetILNS1_3genE8ELNS1_11target_archE1030ELNS1_3gpuE2ELNS1_3repE0EEENS1_30default_config_static_selectorELNS0_4arch9wavefront6targetE0EEEvT1_.kd
    .uniform_work_group_size: 1
    .uses_dynamic_stack: false
    .vgpr_count:     0
    .vgpr_spill_count: 0
    .wavefront_size: 32
    .workgroup_processor_mode: 1
  - .args:
      - .offset:         0
        .size:           32
        .value_kind:     by_value
    .group_segment_fixed_size: 0
    .kernarg_segment_align: 8
    .kernarg_segment_size: 32
    .language:       OpenCL C
    .language_version:
      - 2
      - 0
    .max_flat_workgroup_size: 128
    .name:           _ZN7rocprim17ROCPRIM_400000_NS6detail17trampoline_kernelINS0_14default_configENS1_20scan_config_selectorIN3c108BFloat16EEEZZNS1_9scan_implILNS1_25lookback_scan_determinismE0ELb0ELb0ES3_PKS6_PS6_S6_ZZZN2at6native31launch_logcumsumexp_cuda_kernelERKNSD_10TensorBaseESH_lENKUlvE_clEvENKUlvE4_clEvEUlS6_S6_E_S6_EEDaPvRmT3_T4_T5_mT6_P12ihipStream_tbENKUlT_T0_E_clISt17integral_constantIbLb1EESY_EEDaST_SU_EUlST_E0_NS1_11comp_targetILNS1_3genE0ELNS1_11target_archE4294967295ELNS1_3gpuE0ELNS1_3repE0EEENS1_30default_config_static_selectorELNS0_4arch9wavefront6targetE0EEEvT1_
    .private_segment_fixed_size: 0
    .sgpr_count:     0
    .sgpr_spill_count: 0
    .symbol:         _ZN7rocprim17ROCPRIM_400000_NS6detail17trampoline_kernelINS0_14default_configENS1_20scan_config_selectorIN3c108BFloat16EEEZZNS1_9scan_implILNS1_25lookback_scan_determinismE0ELb0ELb0ES3_PKS6_PS6_S6_ZZZN2at6native31launch_logcumsumexp_cuda_kernelERKNSD_10TensorBaseESH_lENKUlvE_clEvENKUlvE4_clEvEUlS6_S6_E_S6_EEDaPvRmT3_T4_T5_mT6_P12ihipStream_tbENKUlT_T0_E_clISt17integral_constantIbLb1EESY_EEDaST_SU_EUlST_E0_NS1_11comp_targetILNS1_3genE0ELNS1_11target_archE4294967295ELNS1_3gpuE0ELNS1_3repE0EEENS1_30default_config_static_selectorELNS0_4arch9wavefront6targetE0EEEvT1_.kd
    .uniform_work_group_size: 1
    .uses_dynamic_stack: false
    .vgpr_count:     0
    .vgpr_spill_count: 0
    .wavefront_size: 32
    .workgroup_processor_mode: 1
  - .args:
      - .offset:         0
        .size:           32
        .value_kind:     by_value
    .group_segment_fixed_size: 0
    .kernarg_segment_align: 8
    .kernarg_segment_size: 32
    .language:       OpenCL C
    .language_version:
      - 2
      - 0
    .max_flat_workgroup_size: 256
    .name:           _ZN7rocprim17ROCPRIM_400000_NS6detail17trampoline_kernelINS0_14default_configENS1_20scan_config_selectorIN3c108BFloat16EEEZZNS1_9scan_implILNS1_25lookback_scan_determinismE0ELb0ELb0ES3_PKS6_PS6_S6_ZZZN2at6native31launch_logcumsumexp_cuda_kernelERKNSD_10TensorBaseESH_lENKUlvE_clEvENKUlvE4_clEvEUlS6_S6_E_S6_EEDaPvRmT3_T4_T5_mT6_P12ihipStream_tbENKUlT_T0_E_clISt17integral_constantIbLb1EESY_EEDaST_SU_EUlST_E0_NS1_11comp_targetILNS1_3genE5ELNS1_11target_archE942ELNS1_3gpuE9ELNS1_3repE0EEENS1_30default_config_static_selectorELNS0_4arch9wavefront6targetE0EEEvT1_
    .private_segment_fixed_size: 0
    .sgpr_count:     0
    .sgpr_spill_count: 0
    .symbol:         _ZN7rocprim17ROCPRIM_400000_NS6detail17trampoline_kernelINS0_14default_configENS1_20scan_config_selectorIN3c108BFloat16EEEZZNS1_9scan_implILNS1_25lookback_scan_determinismE0ELb0ELb0ES3_PKS6_PS6_S6_ZZZN2at6native31launch_logcumsumexp_cuda_kernelERKNSD_10TensorBaseESH_lENKUlvE_clEvENKUlvE4_clEvEUlS6_S6_E_S6_EEDaPvRmT3_T4_T5_mT6_P12ihipStream_tbENKUlT_T0_E_clISt17integral_constantIbLb1EESY_EEDaST_SU_EUlST_E0_NS1_11comp_targetILNS1_3genE5ELNS1_11target_archE942ELNS1_3gpuE9ELNS1_3repE0EEENS1_30default_config_static_selectorELNS0_4arch9wavefront6targetE0EEEvT1_.kd
    .uniform_work_group_size: 1
    .uses_dynamic_stack: false
    .vgpr_count:     0
    .vgpr_spill_count: 0
    .wavefront_size: 32
    .workgroup_processor_mode: 1
  - .args:
      - .offset:         0
        .size:           32
        .value_kind:     by_value
    .group_segment_fixed_size: 0
    .kernarg_segment_align: 8
    .kernarg_segment_size: 32
    .language:       OpenCL C
    .language_version:
      - 2
      - 0
    .max_flat_workgroup_size: 64
    .name:           _ZN7rocprim17ROCPRIM_400000_NS6detail17trampoline_kernelINS0_14default_configENS1_20scan_config_selectorIN3c108BFloat16EEEZZNS1_9scan_implILNS1_25lookback_scan_determinismE0ELb0ELb0ES3_PKS6_PS6_S6_ZZZN2at6native31launch_logcumsumexp_cuda_kernelERKNSD_10TensorBaseESH_lENKUlvE_clEvENKUlvE4_clEvEUlS6_S6_E_S6_EEDaPvRmT3_T4_T5_mT6_P12ihipStream_tbENKUlT_T0_E_clISt17integral_constantIbLb1EESY_EEDaST_SU_EUlST_E0_NS1_11comp_targetILNS1_3genE4ELNS1_11target_archE910ELNS1_3gpuE8ELNS1_3repE0EEENS1_30default_config_static_selectorELNS0_4arch9wavefront6targetE0EEEvT1_
    .private_segment_fixed_size: 0
    .sgpr_count:     0
    .sgpr_spill_count: 0
    .symbol:         _ZN7rocprim17ROCPRIM_400000_NS6detail17trampoline_kernelINS0_14default_configENS1_20scan_config_selectorIN3c108BFloat16EEEZZNS1_9scan_implILNS1_25lookback_scan_determinismE0ELb0ELb0ES3_PKS6_PS6_S6_ZZZN2at6native31launch_logcumsumexp_cuda_kernelERKNSD_10TensorBaseESH_lENKUlvE_clEvENKUlvE4_clEvEUlS6_S6_E_S6_EEDaPvRmT3_T4_T5_mT6_P12ihipStream_tbENKUlT_T0_E_clISt17integral_constantIbLb1EESY_EEDaST_SU_EUlST_E0_NS1_11comp_targetILNS1_3genE4ELNS1_11target_archE910ELNS1_3gpuE8ELNS1_3repE0EEENS1_30default_config_static_selectorELNS0_4arch9wavefront6targetE0EEEvT1_.kd
    .uniform_work_group_size: 1
    .uses_dynamic_stack: false
    .vgpr_count:     0
    .vgpr_spill_count: 0
    .wavefront_size: 32
    .workgroup_processor_mode: 1
  - .args:
      - .offset:         0
        .size:           32
        .value_kind:     by_value
    .group_segment_fixed_size: 0
    .kernarg_segment_align: 8
    .kernarg_segment_size: 32
    .language:       OpenCL C
    .language_version:
      - 2
      - 0
    .max_flat_workgroup_size: 128
    .name:           _ZN7rocprim17ROCPRIM_400000_NS6detail17trampoline_kernelINS0_14default_configENS1_20scan_config_selectorIN3c108BFloat16EEEZZNS1_9scan_implILNS1_25lookback_scan_determinismE0ELb0ELb0ES3_PKS6_PS6_S6_ZZZN2at6native31launch_logcumsumexp_cuda_kernelERKNSD_10TensorBaseESH_lENKUlvE_clEvENKUlvE4_clEvEUlS6_S6_E_S6_EEDaPvRmT3_T4_T5_mT6_P12ihipStream_tbENKUlT_T0_E_clISt17integral_constantIbLb1EESY_EEDaST_SU_EUlST_E0_NS1_11comp_targetILNS1_3genE3ELNS1_11target_archE908ELNS1_3gpuE7ELNS1_3repE0EEENS1_30default_config_static_selectorELNS0_4arch9wavefront6targetE0EEEvT1_
    .private_segment_fixed_size: 0
    .sgpr_count:     0
    .sgpr_spill_count: 0
    .symbol:         _ZN7rocprim17ROCPRIM_400000_NS6detail17trampoline_kernelINS0_14default_configENS1_20scan_config_selectorIN3c108BFloat16EEEZZNS1_9scan_implILNS1_25lookback_scan_determinismE0ELb0ELb0ES3_PKS6_PS6_S6_ZZZN2at6native31launch_logcumsumexp_cuda_kernelERKNSD_10TensorBaseESH_lENKUlvE_clEvENKUlvE4_clEvEUlS6_S6_E_S6_EEDaPvRmT3_T4_T5_mT6_P12ihipStream_tbENKUlT_T0_E_clISt17integral_constantIbLb1EESY_EEDaST_SU_EUlST_E0_NS1_11comp_targetILNS1_3genE3ELNS1_11target_archE908ELNS1_3gpuE7ELNS1_3repE0EEENS1_30default_config_static_selectorELNS0_4arch9wavefront6targetE0EEEvT1_.kd
    .uniform_work_group_size: 1
    .uses_dynamic_stack: false
    .vgpr_count:     0
    .vgpr_spill_count: 0
    .wavefront_size: 32
    .workgroup_processor_mode: 1
  - .args:
      - .offset:         0
        .size:           32
        .value_kind:     by_value
    .group_segment_fixed_size: 0
    .kernarg_segment_align: 8
    .kernarg_segment_size: 32
    .language:       OpenCL C
    .language_version:
      - 2
      - 0
    .max_flat_workgroup_size: 256
    .name:           _ZN7rocprim17ROCPRIM_400000_NS6detail17trampoline_kernelINS0_14default_configENS1_20scan_config_selectorIN3c108BFloat16EEEZZNS1_9scan_implILNS1_25lookback_scan_determinismE0ELb0ELb0ES3_PKS6_PS6_S6_ZZZN2at6native31launch_logcumsumexp_cuda_kernelERKNSD_10TensorBaseESH_lENKUlvE_clEvENKUlvE4_clEvEUlS6_S6_E_S6_EEDaPvRmT3_T4_T5_mT6_P12ihipStream_tbENKUlT_T0_E_clISt17integral_constantIbLb1EESY_EEDaST_SU_EUlST_E0_NS1_11comp_targetILNS1_3genE2ELNS1_11target_archE906ELNS1_3gpuE6ELNS1_3repE0EEENS1_30default_config_static_selectorELNS0_4arch9wavefront6targetE0EEEvT1_
    .private_segment_fixed_size: 0
    .sgpr_count:     0
    .sgpr_spill_count: 0
    .symbol:         _ZN7rocprim17ROCPRIM_400000_NS6detail17trampoline_kernelINS0_14default_configENS1_20scan_config_selectorIN3c108BFloat16EEEZZNS1_9scan_implILNS1_25lookback_scan_determinismE0ELb0ELb0ES3_PKS6_PS6_S6_ZZZN2at6native31launch_logcumsumexp_cuda_kernelERKNSD_10TensorBaseESH_lENKUlvE_clEvENKUlvE4_clEvEUlS6_S6_E_S6_EEDaPvRmT3_T4_T5_mT6_P12ihipStream_tbENKUlT_T0_E_clISt17integral_constantIbLb1EESY_EEDaST_SU_EUlST_E0_NS1_11comp_targetILNS1_3genE2ELNS1_11target_archE906ELNS1_3gpuE6ELNS1_3repE0EEENS1_30default_config_static_selectorELNS0_4arch9wavefront6targetE0EEEvT1_.kd
    .uniform_work_group_size: 1
    .uses_dynamic_stack: false
    .vgpr_count:     0
    .vgpr_spill_count: 0
    .wavefront_size: 32
    .workgroup_processor_mode: 1
  - .args:
      - .offset:         0
        .size:           32
        .value_kind:     by_value
    .group_segment_fixed_size: 0
    .kernarg_segment_align: 8
    .kernarg_segment_size: 32
    .language:       OpenCL C
    .language_version:
      - 2
      - 0
    .max_flat_workgroup_size: 256
    .name:           _ZN7rocprim17ROCPRIM_400000_NS6detail17trampoline_kernelINS0_14default_configENS1_20scan_config_selectorIN3c108BFloat16EEEZZNS1_9scan_implILNS1_25lookback_scan_determinismE0ELb0ELb0ES3_PKS6_PS6_S6_ZZZN2at6native31launch_logcumsumexp_cuda_kernelERKNSD_10TensorBaseESH_lENKUlvE_clEvENKUlvE4_clEvEUlS6_S6_E_S6_EEDaPvRmT3_T4_T5_mT6_P12ihipStream_tbENKUlT_T0_E_clISt17integral_constantIbLb1EESY_EEDaST_SU_EUlST_E0_NS1_11comp_targetILNS1_3genE10ELNS1_11target_archE1201ELNS1_3gpuE5ELNS1_3repE0EEENS1_30default_config_static_selectorELNS0_4arch9wavefront6targetE0EEEvT1_
    .private_segment_fixed_size: 0
    .sgpr_count:     0
    .sgpr_spill_count: 0
    .symbol:         _ZN7rocprim17ROCPRIM_400000_NS6detail17trampoline_kernelINS0_14default_configENS1_20scan_config_selectorIN3c108BFloat16EEEZZNS1_9scan_implILNS1_25lookback_scan_determinismE0ELb0ELb0ES3_PKS6_PS6_S6_ZZZN2at6native31launch_logcumsumexp_cuda_kernelERKNSD_10TensorBaseESH_lENKUlvE_clEvENKUlvE4_clEvEUlS6_S6_E_S6_EEDaPvRmT3_T4_T5_mT6_P12ihipStream_tbENKUlT_T0_E_clISt17integral_constantIbLb1EESY_EEDaST_SU_EUlST_E0_NS1_11comp_targetILNS1_3genE10ELNS1_11target_archE1201ELNS1_3gpuE5ELNS1_3repE0EEENS1_30default_config_static_selectorELNS0_4arch9wavefront6targetE0EEEvT1_.kd
    .uniform_work_group_size: 1
    .uses_dynamic_stack: false
    .vgpr_count:     0
    .vgpr_spill_count: 0
    .wavefront_size: 32
    .workgroup_processor_mode: 1
  - .args:
      - .offset:         0
        .size:           32
        .value_kind:     by_value
    .group_segment_fixed_size: 0
    .kernarg_segment_align: 8
    .kernarg_segment_size: 32
    .language:       OpenCL C
    .language_version:
      - 2
      - 0
    .max_flat_workgroup_size: 256
    .name:           _ZN7rocprim17ROCPRIM_400000_NS6detail17trampoline_kernelINS0_14default_configENS1_20scan_config_selectorIN3c108BFloat16EEEZZNS1_9scan_implILNS1_25lookback_scan_determinismE0ELb0ELb0ES3_PKS6_PS6_S6_ZZZN2at6native31launch_logcumsumexp_cuda_kernelERKNSD_10TensorBaseESH_lENKUlvE_clEvENKUlvE4_clEvEUlS6_S6_E_S6_EEDaPvRmT3_T4_T5_mT6_P12ihipStream_tbENKUlT_T0_E_clISt17integral_constantIbLb1EESY_EEDaST_SU_EUlST_E0_NS1_11comp_targetILNS1_3genE10ELNS1_11target_archE1200ELNS1_3gpuE4ELNS1_3repE0EEENS1_30default_config_static_selectorELNS0_4arch9wavefront6targetE0EEEvT1_
    .private_segment_fixed_size: 0
    .sgpr_count:     0
    .sgpr_spill_count: 0
    .symbol:         _ZN7rocprim17ROCPRIM_400000_NS6detail17trampoline_kernelINS0_14default_configENS1_20scan_config_selectorIN3c108BFloat16EEEZZNS1_9scan_implILNS1_25lookback_scan_determinismE0ELb0ELb0ES3_PKS6_PS6_S6_ZZZN2at6native31launch_logcumsumexp_cuda_kernelERKNSD_10TensorBaseESH_lENKUlvE_clEvENKUlvE4_clEvEUlS6_S6_E_S6_EEDaPvRmT3_T4_T5_mT6_P12ihipStream_tbENKUlT_T0_E_clISt17integral_constantIbLb1EESY_EEDaST_SU_EUlST_E0_NS1_11comp_targetILNS1_3genE10ELNS1_11target_archE1200ELNS1_3gpuE4ELNS1_3repE0EEENS1_30default_config_static_selectorELNS0_4arch9wavefront6targetE0EEEvT1_.kd
    .uniform_work_group_size: 1
    .uses_dynamic_stack: false
    .vgpr_count:     0
    .vgpr_spill_count: 0
    .wavefront_size: 32
    .workgroup_processor_mode: 1
  - .args:
      - .offset:         0
        .size:           32
        .value_kind:     by_value
    .group_segment_fixed_size: 0
    .kernarg_segment_align: 8
    .kernarg_segment_size: 32
    .language:       OpenCL C
    .language_version:
      - 2
      - 0
    .max_flat_workgroup_size: 64
    .name:           _ZN7rocprim17ROCPRIM_400000_NS6detail17trampoline_kernelINS0_14default_configENS1_20scan_config_selectorIN3c108BFloat16EEEZZNS1_9scan_implILNS1_25lookback_scan_determinismE0ELb0ELb0ES3_PKS6_PS6_S6_ZZZN2at6native31launch_logcumsumexp_cuda_kernelERKNSD_10TensorBaseESH_lENKUlvE_clEvENKUlvE4_clEvEUlS6_S6_E_S6_EEDaPvRmT3_T4_T5_mT6_P12ihipStream_tbENKUlT_T0_E_clISt17integral_constantIbLb1EESY_EEDaST_SU_EUlST_E0_NS1_11comp_targetILNS1_3genE9ELNS1_11target_archE1100ELNS1_3gpuE3ELNS1_3repE0EEENS1_30default_config_static_selectorELNS0_4arch9wavefront6targetE0EEEvT1_
    .private_segment_fixed_size: 0
    .sgpr_count:     0
    .sgpr_spill_count: 0
    .symbol:         _ZN7rocprim17ROCPRIM_400000_NS6detail17trampoline_kernelINS0_14default_configENS1_20scan_config_selectorIN3c108BFloat16EEEZZNS1_9scan_implILNS1_25lookback_scan_determinismE0ELb0ELb0ES3_PKS6_PS6_S6_ZZZN2at6native31launch_logcumsumexp_cuda_kernelERKNSD_10TensorBaseESH_lENKUlvE_clEvENKUlvE4_clEvEUlS6_S6_E_S6_EEDaPvRmT3_T4_T5_mT6_P12ihipStream_tbENKUlT_T0_E_clISt17integral_constantIbLb1EESY_EEDaST_SU_EUlST_E0_NS1_11comp_targetILNS1_3genE9ELNS1_11target_archE1100ELNS1_3gpuE3ELNS1_3repE0EEENS1_30default_config_static_selectorELNS0_4arch9wavefront6targetE0EEEvT1_.kd
    .uniform_work_group_size: 1
    .uses_dynamic_stack: false
    .vgpr_count:     0
    .vgpr_spill_count: 0
    .wavefront_size: 32
    .workgroup_processor_mode: 1
  - .args:
      - .offset:         0
        .size:           32
        .value_kind:     by_value
    .group_segment_fixed_size: 1536
    .kernarg_segment_align: 8
    .kernarg_segment_size: 32
    .language:       OpenCL C
    .language_version:
      - 2
      - 0
    .max_flat_workgroup_size: 64
    .name:           _ZN7rocprim17ROCPRIM_400000_NS6detail17trampoline_kernelINS0_14default_configENS1_20scan_config_selectorIN3c108BFloat16EEEZZNS1_9scan_implILNS1_25lookback_scan_determinismE0ELb0ELb0ES3_PKS6_PS6_S6_ZZZN2at6native31launch_logcumsumexp_cuda_kernelERKNSD_10TensorBaseESH_lENKUlvE_clEvENKUlvE4_clEvEUlS6_S6_E_S6_EEDaPvRmT3_T4_T5_mT6_P12ihipStream_tbENKUlT_T0_E_clISt17integral_constantIbLb1EESY_EEDaST_SU_EUlST_E0_NS1_11comp_targetILNS1_3genE8ELNS1_11target_archE1030ELNS1_3gpuE2ELNS1_3repE0EEENS1_30default_config_static_selectorELNS0_4arch9wavefront6targetE0EEEvT1_
    .private_segment_fixed_size: 0
    .sgpr_count:     33
    .sgpr_spill_count: 0
    .symbol:         _ZN7rocprim17ROCPRIM_400000_NS6detail17trampoline_kernelINS0_14default_configENS1_20scan_config_selectorIN3c108BFloat16EEEZZNS1_9scan_implILNS1_25lookback_scan_determinismE0ELb0ELb0ES3_PKS6_PS6_S6_ZZZN2at6native31launch_logcumsumexp_cuda_kernelERKNSD_10TensorBaseESH_lENKUlvE_clEvENKUlvE4_clEvEUlS6_S6_E_S6_EEDaPvRmT3_T4_T5_mT6_P12ihipStream_tbENKUlT_T0_E_clISt17integral_constantIbLb1EESY_EEDaST_SU_EUlST_E0_NS1_11comp_targetILNS1_3genE8ELNS1_11target_archE1030ELNS1_3gpuE2ELNS1_3repE0EEENS1_30default_config_static_selectorELNS0_4arch9wavefront6targetE0EEEvT1_.kd
    .uniform_work_group_size: 1
    .uses_dynamic_stack: false
    .vgpr_count:     49
    .vgpr_spill_count: 0
    .wavefront_size: 32
    .workgroup_processor_mode: 1
  - .args:
      - .address_space:  global
        .offset:         0
        .size:           8
        .value_kind:     global_buffer
      - .offset:         8
        .size:           4
        .value_kind:     by_value
      - .offset:         12
        .size:           1
        .value_kind:     by_value
      - .offset:         16
        .size:           4
        .value_kind:     by_value
      - .address_space:  global
        .offset:         24
        .size:           8
        .value_kind:     global_buffer
      - .offset:         32
        .size:           4
        .value_kind:     hidden_block_count_x
      - .offset:         36
        .size:           4
        .value_kind:     hidden_block_count_y
      - .offset:         40
        .size:           4
        .value_kind:     hidden_block_count_z
      - .offset:         44
        .size:           2
        .value_kind:     hidden_group_size_x
      - .offset:         46
        .size:           2
        .value_kind:     hidden_group_size_y
      - .offset:         48
        .size:           2
        .value_kind:     hidden_group_size_z
      - .offset:         50
        .size:           2
        .value_kind:     hidden_remainder_x
      - .offset:         52
        .size:           2
        .value_kind:     hidden_remainder_y
      - .offset:         54
        .size:           2
        .value_kind:     hidden_remainder_z
      - .offset:         72
        .size:           8
        .value_kind:     hidden_global_offset_x
      - .offset:         80
        .size:           8
        .value_kind:     hidden_global_offset_y
      - .offset:         88
        .size:           8
        .value_kind:     hidden_global_offset_z
      - .offset:         96
        .size:           2
        .value_kind:     hidden_grid_dims
    .group_segment_fixed_size: 0
    .kernarg_segment_align: 8
    .kernarg_segment_size: 288
    .language:       OpenCL C
    .language_version:
      - 2
      - 0
    .max_flat_workgroup_size: 256
    .name:           _ZN7rocprim17ROCPRIM_400000_NS6detail31init_lookback_scan_state_kernelINS1_19lookback_scan_stateIN3c108BFloat16ELb1ELb1EEENS1_16block_id_wrapperIjLb0EEEEEvT_jT0_jPNS9_10value_typeE
    .private_segment_fixed_size: 0
    .sgpr_count:     12
    .sgpr_spill_count: 0
    .symbol:         _ZN7rocprim17ROCPRIM_400000_NS6detail31init_lookback_scan_state_kernelINS1_19lookback_scan_stateIN3c108BFloat16ELb1ELb1EEENS1_16block_id_wrapperIjLb0EEEEEvT_jT0_jPNS9_10value_typeE.kd
    .uniform_work_group_size: 1
    .uses_dynamic_stack: false
    .vgpr_count:     5
    .vgpr_spill_count: 0
    .wavefront_size: 32
    .workgroup_processor_mode: 1
  - .args:
      - .offset:         0
        .size:           96
        .value_kind:     by_value
    .group_segment_fixed_size: 0
    .kernarg_segment_align: 8
    .kernarg_segment_size: 96
    .language:       OpenCL C
    .language_version:
      - 2
      - 0
    .max_flat_workgroup_size: 128
    .name:           _ZN7rocprim17ROCPRIM_400000_NS6detail17trampoline_kernelINS0_14default_configENS1_20scan_config_selectorIN3c108BFloat16EEEZZNS1_9scan_implILNS1_25lookback_scan_determinismE0ELb0ELb0ES3_PKS6_PS6_S6_ZZZN2at6native31launch_logcumsumexp_cuda_kernelERKNSD_10TensorBaseESH_lENKUlvE_clEvENKUlvE4_clEvEUlS6_S6_E_S6_EEDaPvRmT3_T4_T5_mT6_P12ihipStream_tbENKUlT_T0_E_clISt17integral_constantIbLb1EESX_IbLb0EEEEDaST_SU_EUlST_E_NS1_11comp_targetILNS1_3genE0ELNS1_11target_archE4294967295ELNS1_3gpuE0ELNS1_3repE0EEENS1_30default_config_static_selectorELNS0_4arch9wavefront6targetE0EEEvT1_
    .private_segment_fixed_size: 0
    .sgpr_count:     0
    .sgpr_spill_count: 0
    .symbol:         _ZN7rocprim17ROCPRIM_400000_NS6detail17trampoline_kernelINS0_14default_configENS1_20scan_config_selectorIN3c108BFloat16EEEZZNS1_9scan_implILNS1_25lookback_scan_determinismE0ELb0ELb0ES3_PKS6_PS6_S6_ZZZN2at6native31launch_logcumsumexp_cuda_kernelERKNSD_10TensorBaseESH_lENKUlvE_clEvENKUlvE4_clEvEUlS6_S6_E_S6_EEDaPvRmT3_T4_T5_mT6_P12ihipStream_tbENKUlT_T0_E_clISt17integral_constantIbLb1EESX_IbLb0EEEEDaST_SU_EUlST_E_NS1_11comp_targetILNS1_3genE0ELNS1_11target_archE4294967295ELNS1_3gpuE0ELNS1_3repE0EEENS1_30default_config_static_selectorELNS0_4arch9wavefront6targetE0EEEvT1_.kd
    .uniform_work_group_size: 1
    .uses_dynamic_stack: false
    .vgpr_count:     0
    .vgpr_spill_count: 0
    .wavefront_size: 32
    .workgroup_processor_mode: 1
  - .args:
      - .offset:         0
        .size:           96
        .value_kind:     by_value
    .group_segment_fixed_size: 0
    .kernarg_segment_align: 8
    .kernarg_segment_size: 96
    .language:       OpenCL C
    .language_version:
      - 2
      - 0
    .max_flat_workgroup_size: 256
    .name:           _ZN7rocprim17ROCPRIM_400000_NS6detail17trampoline_kernelINS0_14default_configENS1_20scan_config_selectorIN3c108BFloat16EEEZZNS1_9scan_implILNS1_25lookback_scan_determinismE0ELb0ELb0ES3_PKS6_PS6_S6_ZZZN2at6native31launch_logcumsumexp_cuda_kernelERKNSD_10TensorBaseESH_lENKUlvE_clEvENKUlvE4_clEvEUlS6_S6_E_S6_EEDaPvRmT3_T4_T5_mT6_P12ihipStream_tbENKUlT_T0_E_clISt17integral_constantIbLb1EESX_IbLb0EEEEDaST_SU_EUlST_E_NS1_11comp_targetILNS1_3genE5ELNS1_11target_archE942ELNS1_3gpuE9ELNS1_3repE0EEENS1_30default_config_static_selectorELNS0_4arch9wavefront6targetE0EEEvT1_
    .private_segment_fixed_size: 0
    .sgpr_count:     0
    .sgpr_spill_count: 0
    .symbol:         _ZN7rocprim17ROCPRIM_400000_NS6detail17trampoline_kernelINS0_14default_configENS1_20scan_config_selectorIN3c108BFloat16EEEZZNS1_9scan_implILNS1_25lookback_scan_determinismE0ELb0ELb0ES3_PKS6_PS6_S6_ZZZN2at6native31launch_logcumsumexp_cuda_kernelERKNSD_10TensorBaseESH_lENKUlvE_clEvENKUlvE4_clEvEUlS6_S6_E_S6_EEDaPvRmT3_T4_T5_mT6_P12ihipStream_tbENKUlT_T0_E_clISt17integral_constantIbLb1EESX_IbLb0EEEEDaST_SU_EUlST_E_NS1_11comp_targetILNS1_3genE5ELNS1_11target_archE942ELNS1_3gpuE9ELNS1_3repE0EEENS1_30default_config_static_selectorELNS0_4arch9wavefront6targetE0EEEvT1_.kd
    .uniform_work_group_size: 1
    .uses_dynamic_stack: false
    .vgpr_count:     0
    .vgpr_spill_count: 0
    .wavefront_size: 32
    .workgroup_processor_mode: 1
  - .args:
      - .offset:         0
        .size:           96
        .value_kind:     by_value
    .group_segment_fixed_size: 0
    .kernarg_segment_align: 8
    .kernarg_segment_size: 96
    .language:       OpenCL C
    .language_version:
      - 2
      - 0
    .max_flat_workgroup_size: 64
    .name:           _ZN7rocprim17ROCPRIM_400000_NS6detail17trampoline_kernelINS0_14default_configENS1_20scan_config_selectorIN3c108BFloat16EEEZZNS1_9scan_implILNS1_25lookback_scan_determinismE0ELb0ELb0ES3_PKS6_PS6_S6_ZZZN2at6native31launch_logcumsumexp_cuda_kernelERKNSD_10TensorBaseESH_lENKUlvE_clEvENKUlvE4_clEvEUlS6_S6_E_S6_EEDaPvRmT3_T4_T5_mT6_P12ihipStream_tbENKUlT_T0_E_clISt17integral_constantIbLb1EESX_IbLb0EEEEDaST_SU_EUlST_E_NS1_11comp_targetILNS1_3genE4ELNS1_11target_archE910ELNS1_3gpuE8ELNS1_3repE0EEENS1_30default_config_static_selectorELNS0_4arch9wavefront6targetE0EEEvT1_
    .private_segment_fixed_size: 0
    .sgpr_count:     0
    .sgpr_spill_count: 0
    .symbol:         _ZN7rocprim17ROCPRIM_400000_NS6detail17trampoline_kernelINS0_14default_configENS1_20scan_config_selectorIN3c108BFloat16EEEZZNS1_9scan_implILNS1_25lookback_scan_determinismE0ELb0ELb0ES3_PKS6_PS6_S6_ZZZN2at6native31launch_logcumsumexp_cuda_kernelERKNSD_10TensorBaseESH_lENKUlvE_clEvENKUlvE4_clEvEUlS6_S6_E_S6_EEDaPvRmT3_T4_T5_mT6_P12ihipStream_tbENKUlT_T0_E_clISt17integral_constantIbLb1EESX_IbLb0EEEEDaST_SU_EUlST_E_NS1_11comp_targetILNS1_3genE4ELNS1_11target_archE910ELNS1_3gpuE8ELNS1_3repE0EEENS1_30default_config_static_selectorELNS0_4arch9wavefront6targetE0EEEvT1_.kd
    .uniform_work_group_size: 1
    .uses_dynamic_stack: false
    .vgpr_count:     0
    .vgpr_spill_count: 0
    .wavefront_size: 32
    .workgroup_processor_mode: 1
  - .args:
      - .offset:         0
        .size:           96
        .value_kind:     by_value
    .group_segment_fixed_size: 0
    .kernarg_segment_align: 8
    .kernarg_segment_size: 96
    .language:       OpenCL C
    .language_version:
      - 2
      - 0
    .max_flat_workgroup_size: 128
    .name:           _ZN7rocprim17ROCPRIM_400000_NS6detail17trampoline_kernelINS0_14default_configENS1_20scan_config_selectorIN3c108BFloat16EEEZZNS1_9scan_implILNS1_25lookback_scan_determinismE0ELb0ELb0ES3_PKS6_PS6_S6_ZZZN2at6native31launch_logcumsumexp_cuda_kernelERKNSD_10TensorBaseESH_lENKUlvE_clEvENKUlvE4_clEvEUlS6_S6_E_S6_EEDaPvRmT3_T4_T5_mT6_P12ihipStream_tbENKUlT_T0_E_clISt17integral_constantIbLb1EESX_IbLb0EEEEDaST_SU_EUlST_E_NS1_11comp_targetILNS1_3genE3ELNS1_11target_archE908ELNS1_3gpuE7ELNS1_3repE0EEENS1_30default_config_static_selectorELNS0_4arch9wavefront6targetE0EEEvT1_
    .private_segment_fixed_size: 0
    .sgpr_count:     0
    .sgpr_spill_count: 0
    .symbol:         _ZN7rocprim17ROCPRIM_400000_NS6detail17trampoline_kernelINS0_14default_configENS1_20scan_config_selectorIN3c108BFloat16EEEZZNS1_9scan_implILNS1_25lookback_scan_determinismE0ELb0ELb0ES3_PKS6_PS6_S6_ZZZN2at6native31launch_logcumsumexp_cuda_kernelERKNSD_10TensorBaseESH_lENKUlvE_clEvENKUlvE4_clEvEUlS6_S6_E_S6_EEDaPvRmT3_T4_T5_mT6_P12ihipStream_tbENKUlT_T0_E_clISt17integral_constantIbLb1EESX_IbLb0EEEEDaST_SU_EUlST_E_NS1_11comp_targetILNS1_3genE3ELNS1_11target_archE908ELNS1_3gpuE7ELNS1_3repE0EEENS1_30default_config_static_selectorELNS0_4arch9wavefront6targetE0EEEvT1_.kd
    .uniform_work_group_size: 1
    .uses_dynamic_stack: false
    .vgpr_count:     0
    .vgpr_spill_count: 0
    .wavefront_size: 32
    .workgroup_processor_mode: 1
  - .args:
      - .offset:         0
        .size:           96
        .value_kind:     by_value
    .group_segment_fixed_size: 0
    .kernarg_segment_align: 8
    .kernarg_segment_size: 96
    .language:       OpenCL C
    .language_version:
      - 2
      - 0
    .max_flat_workgroup_size: 256
    .name:           _ZN7rocprim17ROCPRIM_400000_NS6detail17trampoline_kernelINS0_14default_configENS1_20scan_config_selectorIN3c108BFloat16EEEZZNS1_9scan_implILNS1_25lookback_scan_determinismE0ELb0ELb0ES3_PKS6_PS6_S6_ZZZN2at6native31launch_logcumsumexp_cuda_kernelERKNSD_10TensorBaseESH_lENKUlvE_clEvENKUlvE4_clEvEUlS6_S6_E_S6_EEDaPvRmT3_T4_T5_mT6_P12ihipStream_tbENKUlT_T0_E_clISt17integral_constantIbLb1EESX_IbLb0EEEEDaST_SU_EUlST_E_NS1_11comp_targetILNS1_3genE2ELNS1_11target_archE906ELNS1_3gpuE6ELNS1_3repE0EEENS1_30default_config_static_selectorELNS0_4arch9wavefront6targetE0EEEvT1_
    .private_segment_fixed_size: 0
    .sgpr_count:     0
    .sgpr_spill_count: 0
    .symbol:         _ZN7rocprim17ROCPRIM_400000_NS6detail17trampoline_kernelINS0_14default_configENS1_20scan_config_selectorIN3c108BFloat16EEEZZNS1_9scan_implILNS1_25lookback_scan_determinismE0ELb0ELb0ES3_PKS6_PS6_S6_ZZZN2at6native31launch_logcumsumexp_cuda_kernelERKNSD_10TensorBaseESH_lENKUlvE_clEvENKUlvE4_clEvEUlS6_S6_E_S6_EEDaPvRmT3_T4_T5_mT6_P12ihipStream_tbENKUlT_T0_E_clISt17integral_constantIbLb1EESX_IbLb0EEEEDaST_SU_EUlST_E_NS1_11comp_targetILNS1_3genE2ELNS1_11target_archE906ELNS1_3gpuE6ELNS1_3repE0EEENS1_30default_config_static_selectorELNS0_4arch9wavefront6targetE0EEEvT1_.kd
    .uniform_work_group_size: 1
    .uses_dynamic_stack: false
    .vgpr_count:     0
    .vgpr_spill_count: 0
    .wavefront_size: 32
    .workgroup_processor_mode: 1
  - .args:
      - .offset:         0
        .size:           96
        .value_kind:     by_value
    .group_segment_fixed_size: 0
    .kernarg_segment_align: 8
    .kernarg_segment_size: 96
    .language:       OpenCL C
    .language_version:
      - 2
      - 0
    .max_flat_workgroup_size: 256
    .name:           _ZN7rocprim17ROCPRIM_400000_NS6detail17trampoline_kernelINS0_14default_configENS1_20scan_config_selectorIN3c108BFloat16EEEZZNS1_9scan_implILNS1_25lookback_scan_determinismE0ELb0ELb0ES3_PKS6_PS6_S6_ZZZN2at6native31launch_logcumsumexp_cuda_kernelERKNSD_10TensorBaseESH_lENKUlvE_clEvENKUlvE4_clEvEUlS6_S6_E_S6_EEDaPvRmT3_T4_T5_mT6_P12ihipStream_tbENKUlT_T0_E_clISt17integral_constantIbLb1EESX_IbLb0EEEEDaST_SU_EUlST_E_NS1_11comp_targetILNS1_3genE10ELNS1_11target_archE1201ELNS1_3gpuE5ELNS1_3repE0EEENS1_30default_config_static_selectorELNS0_4arch9wavefront6targetE0EEEvT1_
    .private_segment_fixed_size: 0
    .sgpr_count:     0
    .sgpr_spill_count: 0
    .symbol:         _ZN7rocprim17ROCPRIM_400000_NS6detail17trampoline_kernelINS0_14default_configENS1_20scan_config_selectorIN3c108BFloat16EEEZZNS1_9scan_implILNS1_25lookback_scan_determinismE0ELb0ELb0ES3_PKS6_PS6_S6_ZZZN2at6native31launch_logcumsumexp_cuda_kernelERKNSD_10TensorBaseESH_lENKUlvE_clEvENKUlvE4_clEvEUlS6_S6_E_S6_EEDaPvRmT3_T4_T5_mT6_P12ihipStream_tbENKUlT_T0_E_clISt17integral_constantIbLb1EESX_IbLb0EEEEDaST_SU_EUlST_E_NS1_11comp_targetILNS1_3genE10ELNS1_11target_archE1201ELNS1_3gpuE5ELNS1_3repE0EEENS1_30default_config_static_selectorELNS0_4arch9wavefront6targetE0EEEvT1_.kd
    .uniform_work_group_size: 1
    .uses_dynamic_stack: false
    .vgpr_count:     0
    .vgpr_spill_count: 0
    .wavefront_size: 32
    .workgroup_processor_mode: 1
  - .args:
      - .offset:         0
        .size:           96
        .value_kind:     by_value
    .group_segment_fixed_size: 0
    .kernarg_segment_align: 8
    .kernarg_segment_size: 96
    .language:       OpenCL C
    .language_version:
      - 2
      - 0
    .max_flat_workgroup_size: 256
    .name:           _ZN7rocprim17ROCPRIM_400000_NS6detail17trampoline_kernelINS0_14default_configENS1_20scan_config_selectorIN3c108BFloat16EEEZZNS1_9scan_implILNS1_25lookback_scan_determinismE0ELb0ELb0ES3_PKS6_PS6_S6_ZZZN2at6native31launch_logcumsumexp_cuda_kernelERKNSD_10TensorBaseESH_lENKUlvE_clEvENKUlvE4_clEvEUlS6_S6_E_S6_EEDaPvRmT3_T4_T5_mT6_P12ihipStream_tbENKUlT_T0_E_clISt17integral_constantIbLb1EESX_IbLb0EEEEDaST_SU_EUlST_E_NS1_11comp_targetILNS1_3genE10ELNS1_11target_archE1200ELNS1_3gpuE4ELNS1_3repE0EEENS1_30default_config_static_selectorELNS0_4arch9wavefront6targetE0EEEvT1_
    .private_segment_fixed_size: 0
    .sgpr_count:     0
    .sgpr_spill_count: 0
    .symbol:         _ZN7rocprim17ROCPRIM_400000_NS6detail17trampoline_kernelINS0_14default_configENS1_20scan_config_selectorIN3c108BFloat16EEEZZNS1_9scan_implILNS1_25lookback_scan_determinismE0ELb0ELb0ES3_PKS6_PS6_S6_ZZZN2at6native31launch_logcumsumexp_cuda_kernelERKNSD_10TensorBaseESH_lENKUlvE_clEvENKUlvE4_clEvEUlS6_S6_E_S6_EEDaPvRmT3_T4_T5_mT6_P12ihipStream_tbENKUlT_T0_E_clISt17integral_constantIbLb1EESX_IbLb0EEEEDaST_SU_EUlST_E_NS1_11comp_targetILNS1_3genE10ELNS1_11target_archE1200ELNS1_3gpuE4ELNS1_3repE0EEENS1_30default_config_static_selectorELNS0_4arch9wavefront6targetE0EEEvT1_.kd
    .uniform_work_group_size: 1
    .uses_dynamic_stack: false
    .vgpr_count:     0
    .vgpr_spill_count: 0
    .wavefront_size: 32
    .workgroup_processor_mode: 1
  - .args:
      - .offset:         0
        .size:           96
        .value_kind:     by_value
    .group_segment_fixed_size: 0
    .kernarg_segment_align: 8
    .kernarg_segment_size: 96
    .language:       OpenCL C
    .language_version:
      - 2
      - 0
    .max_flat_workgroup_size: 64
    .name:           _ZN7rocprim17ROCPRIM_400000_NS6detail17trampoline_kernelINS0_14default_configENS1_20scan_config_selectorIN3c108BFloat16EEEZZNS1_9scan_implILNS1_25lookback_scan_determinismE0ELb0ELb0ES3_PKS6_PS6_S6_ZZZN2at6native31launch_logcumsumexp_cuda_kernelERKNSD_10TensorBaseESH_lENKUlvE_clEvENKUlvE4_clEvEUlS6_S6_E_S6_EEDaPvRmT3_T4_T5_mT6_P12ihipStream_tbENKUlT_T0_E_clISt17integral_constantIbLb1EESX_IbLb0EEEEDaST_SU_EUlST_E_NS1_11comp_targetILNS1_3genE9ELNS1_11target_archE1100ELNS1_3gpuE3ELNS1_3repE0EEENS1_30default_config_static_selectorELNS0_4arch9wavefront6targetE0EEEvT1_
    .private_segment_fixed_size: 0
    .sgpr_count:     0
    .sgpr_spill_count: 0
    .symbol:         _ZN7rocprim17ROCPRIM_400000_NS6detail17trampoline_kernelINS0_14default_configENS1_20scan_config_selectorIN3c108BFloat16EEEZZNS1_9scan_implILNS1_25lookback_scan_determinismE0ELb0ELb0ES3_PKS6_PS6_S6_ZZZN2at6native31launch_logcumsumexp_cuda_kernelERKNSD_10TensorBaseESH_lENKUlvE_clEvENKUlvE4_clEvEUlS6_S6_E_S6_EEDaPvRmT3_T4_T5_mT6_P12ihipStream_tbENKUlT_T0_E_clISt17integral_constantIbLb1EESX_IbLb0EEEEDaST_SU_EUlST_E_NS1_11comp_targetILNS1_3genE9ELNS1_11target_archE1100ELNS1_3gpuE3ELNS1_3repE0EEENS1_30default_config_static_selectorELNS0_4arch9wavefront6targetE0EEEvT1_.kd
    .uniform_work_group_size: 1
    .uses_dynamic_stack: false
    .vgpr_count:     0
    .vgpr_spill_count: 0
    .wavefront_size: 32
    .workgroup_processor_mode: 1
  - .args:
      - .offset:         0
        .size:           96
        .value_kind:     by_value
    .group_segment_fixed_size: 0
    .kernarg_segment_align: 8
    .kernarg_segment_size: 96
    .language:       OpenCL C
    .language_version:
      - 2
      - 0
    .max_flat_workgroup_size: 64
    .name:           _ZN7rocprim17ROCPRIM_400000_NS6detail17trampoline_kernelINS0_14default_configENS1_20scan_config_selectorIN3c108BFloat16EEEZZNS1_9scan_implILNS1_25lookback_scan_determinismE0ELb0ELb0ES3_PKS6_PS6_S6_ZZZN2at6native31launch_logcumsumexp_cuda_kernelERKNSD_10TensorBaseESH_lENKUlvE_clEvENKUlvE4_clEvEUlS6_S6_E_S6_EEDaPvRmT3_T4_T5_mT6_P12ihipStream_tbENKUlT_T0_E_clISt17integral_constantIbLb1EESX_IbLb0EEEEDaST_SU_EUlST_E_NS1_11comp_targetILNS1_3genE8ELNS1_11target_archE1030ELNS1_3gpuE2ELNS1_3repE0EEENS1_30default_config_static_selectorELNS0_4arch9wavefront6targetE0EEEvT1_
    .private_segment_fixed_size: 0
    .sgpr_count:     0
    .sgpr_spill_count: 0
    .symbol:         _ZN7rocprim17ROCPRIM_400000_NS6detail17trampoline_kernelINS0_14default_configENS1_20scan_config_selectorIN3c108BFloat16EEEZZNS1_9scan_implILNS1_25lookback_scan_determinismE0ELb0ELb0ES3_PKS6_PS6_S6_ZZZN2at6native31launch_logcumsumexp_cuda_kernelERKNSD_10TensorBaseESH_lENKUlvE_clEvENKUlvE4_clEvEUlS6_S6_E_S6_EEDaPvRmT3_T4_T5_mT6_P12ihipStream_tbENKUlT_T0_E_clISt17integral_constantIbLb1EESX_IbLb0EEEEDaST_SU_EUlST_E_NS1_11comp_targetILNS1_3genE8ELNS1_11target_archE1030ELNS1_3gpuE2ELNS1_3repE0EEENS1_30default_config_static_selectorELNS0_4arch9wavefront6targetE0EEEvT1_.kd
    .uniform_work_group_size: 1
    .uses_dynamic_stack: false
    .vgpr_count:     0
    .vgpr_spill_count: 0
    .wavefront_size: 32
    .workgroup_processor_mode: 1
  - .args:
      - .offset:         0
        .size:           32
        .value_kind:     by_value
    .group_segment_fixed_size: 0
    .kernarg_segment_align: 8
    .kernarg_segment_size: 32
    .language:       OpenCL C
    .language_version:
      - 2
      - 0
    .max_flat_workgroup_size: 128
    .name:           _ZN7rocprim17ROCPRIM_400000_NS6detail17trampoline_kernelINS0_14default_configENS1_20scan_config_selectorIN3c108BFloat16EEEZZNS1_9scan_implILNS1_25lookback_scan_determinismE0ELb0ELb0ES3_PKS6_PS6_S6_ZZZN2at6native31launch_logcumsumexp_cuda_kernelERKNSD_10TensorBaseESH_lENKUlvE_clEvENKUlvE4_clEvEUlS6_S6_E_S6_EEDaPvRmT3_T4_T5_mT6_P12ihipStream_tbENKUlT_T0_E_clISt17integral_constantIbLb1EESX_IbLb0EEEEDaST_SU_EUlST_E0_NS1_11comp_targetILNS1_3genE0ELNS1_11target_archE4294967295ELNS1_3gpuE0ELNS1_3repE0EEENS1_30default_config_static_selectorELNS0_4arch9wavefront6targetE0EEEvT1_
    .private_segment_fixed_size: 0
    .sgpr_count:     0
    .sgpr_spill_count: 0
    .symbol:         _ZN7rocprim17ROCPRIM_400000_NS6detail17trampoline_kernelINS0_14default_configENS1_20scan_config_selectorIN3c108BFloat16EEEZZNS1_9scan_implILNS1_25lookback_scan_determinismE0ELb0ELb0ES3_PKS6_PS6_S6_ZZZN2at6native31launch_logcumsumexp_cuda_kernelERKNSD_10TensorBaseESH_lENKUlvE_clEvENKUlvE4_clEvEUlS6_S6_E_S6_EEDaPvRmT3_T4_T5_mT6_P12ihipStream_tbENKUlT_T0_E_clISt17integral_constantIbLb1EESX_IbLb0EEEEDaST_SU_EUlST_E0_NS1_11comp_targetILNS1_3genE0ELNS1_11target_archE4294967295ELNS1_3gpuE0ELNS1_3repE0EEENS1_30default_config_static_selectorELNS0_4arch9wavefront6targetE0EEEvT1_.kd
    .uniform_work_group_size: 1
    .uses_dynamic_stack: false
    .vgpr_count:     0
    .vgpr_spill_count: 0
    .wavefront_size: 32
    .workgroup_processor_mode: 1
  - .args:
      - .offset:         0
        .size:           32
        .value_kind:     by_value
    .group_segment_fixed_size: 0
    .kernarg_segment_align: 8
    .kernarg_segment_size: 32
    .language:       OpenCL C
    .language_version:
      - 2
      - 0
    .max_flat_workgroup_size: 256
    .name:           _ZN7rocprim17ROCPRIM_400000_NS6detail17trampoline_kernelINS0_14default_configENS1_20scan_config_selectorIN3c108BFloat16EEEZZNS1_9scan_implILNS1_25lookback_scan_determinismE0ELb0ELb0ES3_PKS6_PS6_S6_ZZZN2at6native31launch_logcumsumexp_cuda_kernelERKNSD_10TensorBaseESH_lENKUlvE_clEvENKUlvE4_clEvEUlS6_S6_E_S6_EEDaPvRmT3_T4_T5_mT6_P12ihipStream_tbENKUlT_T0_E_clISt17integral_constantIbLb1EESX_IbLb0EEEEDaST_SU_EUlST_E0_NS1_11comp_targetILNS1_3genE5ELNS1_11target_archE942ELNS1_3gpuE9ELNS1_3repE0EEENS1_30default_config_static_selectorELNS0_4arch9wavefront6targetE0EEEvT1_
    .private_segment_fixed_size: 0
    .sgpr_count:     0
    .sgpr_spill_count: 0
    .symbol:         _ZN7rocprim17ROCPRIM_400000_NS6detail17trampoline_kernelINS0_14default_configENS1_20scan_config_selectorIN3c108BFloat16EEEZZNS1_9scan_implILNS1_25lookback_scan_determinismE0ELb0ELb0ES3_PKS6_PS6_S6_ZZZN2at6native31launch_logcumsumexp_cuda_kernelERKNSD_10TensorBaseESH_lENKUlvE_clEvENKUlvE4_clEvEUlS6_S6_E_S6_EEDaPvRmT3_T4_T5_mT6_P12ihipStream_tbENKUlT_T0_E_clISt17integral_constantIbLb1EESX_IbLb0EEEEDaST_SU_EUlST_E0_NS1_11comp_targetILNS1_3genE5ELNS1_11target_archE942ELNS1_3gpuE9ELNS1_3repE0EEENS1_30default_config_static_selectorELNS0_4arch9wavefront6targetE0EEEvT1_.kd
    .uniform_work_group_size: 1
    .uses_dynamic_stack: false
    .vgpr_count:     0
    .vgpr_spill_count: 0
    .wavefront_size: 32
    .workgroup_processor_mode: 1
  - .args:
      - .offset:         0
        .size:           32
        .value_kind:     by_value
    .group_segment_fixed_size: 0
    .kernarg_segment_align: 8
    .kernarg_segment_size: 32
    .language:       OpenCL C
    .language_version:
      - 2
      - 0
    .max_flat_workgroup_size: 64
    .name:           _ZN7rocprim17ROCPRIM_400000_NS6detail17trampoline_kernelINS0_14default_configENS1_20scan_config_selectorIN3c108BFloat16EEEZZNS1_9scan_implILNS1_25lookback_scan_determinismE0ELb0ELb0ES3_PKS6_PS6_S6_ZZZN2at6native31launch_logcumsumexp_cuda_kernelERKNSD_10TensorBaseESH_lENKUlvE_clEvENKUlvE4_clEvEUlS6_S6_E_S6_EEDaPvRmT3_T4_T5_mT6_P12ihipStream_tbENKUlT_T0_E_clISt17integral_constantIbLb1EESX_IbLb0EEEEDaST_SU_EUlST_E0_NS1_11comp_targetILNS1_3genE4ELNS1_11target_archE910ELNS1_3gpuE8ELNS1_3repE0EEENS1_30default_config_static_selectorELNS0_4arch9wavefront6targetE0EEEvT1_
    .private_segment_fixed_size: 0
    .sgpr_count:     0
    .sgpr_spill_count: 0
    .symbol:         _ZN7rocprim17ROCPRIM_400000_NS6detail17trampoline_kernelINS0_14default_configENS1_20scan_config_selectorIN3c108BFloat16EEEZZNS1_9scan_implILNS1_25lookback_scan_determinismE0ELb0ELb0ES3_PKS6_PS6_S6_ZZZN2at6native31launch_logcumsumexp_cuda_kernelERKNSD_10TensorBaseESH_lENKUlvE_clEvENKUlvE4_clEvEUlS6_S6_E_S6_EEDaPvRmT3_T4_T5_mT6_P12ihipStream_tbENKUlT_T0_E_clISt17integral_constantIbLb1EESX_IbLb0EEEEDaST_SU_EUlST_E0_NS1_11comp_targetILNS1_3genE4ELNS1_11target_archE910ELNS1_3gpuE8ELNS1_3repE0EEENS1_30default_config_static_selectorELNS0_4arch9wavefront6targetE0EEEvT1_.kd
    .uniform_work_group_size: 1
    .uses_dynamic_stack: false
    .vgpr_count:     0
    .vgpr_spill_count: 0
    .wavefront_size: 32
    .workgroup_processor_mode: 1
  - .args:
      - .offset:         0
        .size:           32
        .value_kind:     by_value
    .group_segment_fixed_size: 0
    .kernarg_segment_align: 8
    .kernarg_segment_size: 32
    .language:       OpenCL C
    .language_version:
      - 2
      - 0
    .max_flat_workgroup_size: 128
    .name:           _ZN7rocprim17ROCPRIM_400000_NS6detail17trampoline_kernelINS0_14default_configENS1_20scan_config_selectorIN3c108BFloat16EEEZZNS1_9scan_implILNS1_25lookback_scan_determinismE0ELb0ELb0ES3_PKS6_PS6_S6_ZZZN2at6native31launch_logcumsumexp_cuda_kernelERKNSD_10TensorBaseESH_lENKUlvE_clEvENKUlvE4_clEvEUlS6_S6_E_S6_EEDaPvRmT3_T4_T5_mT6_P12ihipStream_tbENKUlT_T0_E_clISt17integral_constantIbLb1EESX_IbLb0EEEEDaST_SU_EUlST_E0_NS1_11comp_targetILNS1_3genE3ELNS1_11target_archE908ELNS1_3gpuE7ELNS1_3repE0EEENS1_30default_config_static_selectorELNS0_4arch9wavefront6targetE0EEEvT1_
    .private_segment_fixed_size: 0
    .sgpr_count:     0
    .sgpr_spill_count: 0
    .symbol:         _ZN7rocprim17ROCPRIM_400000_NS6detail17trampoline_kernelINS0_14default_configENS1_20scan_config_selectorIN3c108BFloat16EEEZZNS1_9scan_implILNS1_25lookback_scan_determinismE0ELb0ELb0ES3_PKS6_PS6_S6_ZZZN2at6native31launch_logcumsumexp_cuda_kernelERKNSD_10TensorBaseESH_lENKUlvE_clEvENKUlvE4_clEvEUlS6_S6_E_S6_EEDaPvRmT3_T4_T5_mT6_P12ihipStream_tbENKUlT_T0_E_clISt17integral_constantIbLb1EESX_IbLb0EEEEDaST_SU_EUlST_E0_NS1_11comp_targetILNS1_3genE3ELNS1_11target_archE908ELNS1_3gpuE7ELNS1_3repE0EEENS1_30default_config_static_selectorELNS0_4arch9wavefront6targetE0EEEvT1_.kd
    .uniform_work_group_size: 1
    .uses_dynamic_stack: false
    .vgpr_count:     0
    .vgpr_spill_count: 0
    .wavefront_size: 32
    .workgroup_processor_mode: 1
  - .args:
      - .offset:         0
        .size:           32
        .value_kind:     by_value
    .group_segment_fixed_size: 0
    .kernarg_segment_align: 8
    .kernarg_segment_size: 32
    .language:       OpenCL C
    .language_version:
      - 2
      - 0
    .max_flat_workgroup_size: 256
    .name:           _ZN7rocprim17ROCPRIM_400000_NS6detail17trampoline_kernelINS0_14default_configENS1_20scan_config_selectorIN3c108BFloat16EEEZZNS1_9scan_implILNS1_25lookback_scan_determinismE0ELb0ELb0ES3_PKS6_PS6_S6_ZZZN2at6native31launch_logcumsumexp_cuda_kernelERKNSD_10TensorBaseESH_lENKUlvE_clEvENKUlvE4_clEvEUlS6_S6_E_S6_EEDaPvRmT3_T4_T5_mT6_P12ihipStream_tbENKUlT_T0_E_clISt17integral_constantIbLb1EESX_IbLb0EEEEDaST_SU_EUlST_E0_NS1_11comp_targetILNS1_3genE2ELNS1_11target_archE906ELNS1_3gpuE6ELNS1_3repE0EEENS1_30default_config_static_selectorELNS0_4arch9wavefront6targetE0EEEvT1_
    .private_segment_fixed_size: 0
    .sgpr_count:     0
    .sgpr_spill_count: 0
    .symbol:         _ZN7rocprim17ROCPRIM_400000_NS6detail17trampoline_kernelINS0_14default_configENS1_20scan_config_selectorIN3c108BFloat16EEEZZNS1_9scan_implILNS1_25lookback_scan_determinismE0ELb0ELb0ES3_PKS6_PS6_S6_ZZZN2at6native31launch_logcumsumexp_cuda_kernelERKNSD_10TensorBaseESH_lENKUlvE_clEvENKUlvE4_clEvEUlS6_S6_E_S6_EEDaPvRmT3_T4_T5_mT6_P12ihipStream_tbENKUlT_T0_E_clISt17integral_constantIbLb1EESX_IbLb0EEEEDaST_SU_EUlST_E0_NS1_11comp_targetILNS1_3genE2ELNS1_11target_archE906ELNS1_3gpuE6ELNS1_3repE0EEENS1_30default_config_static_selectorELNS0_4arch9wavefront6targetE0EEEvT1_.kd
    .uniform_work_group_size: 1
    .uses_dynamic_stack: false
    .vgpr_count:     0
    .vgpr_spill_count: 0
    .wavefront_size: 32
    .workgroup_processor_mode: 1
  - .args:
      - .offset:         0
        .size:           32
        .value_kind:     by_value
    .group_segment_fixed_size: 0
    .kernarg_segment_align: 8
    .kernarg_segment_size: 32
    .language:       OpenCL C
    .language_version:
      - 2
      - 0
    .max_flat_workgroup_size: 256
    .name:           _ZN7rocprim17ROCPRIM_400000_NS6detail17trampoline_kernelINS0_14default_configENS1_20scan_config_selectorIN3c108BFloat16EEEZZNS1_9scan_implILNS1_25lookback_scan_determinismE0ELb0ELb0ES3_PKS6_PS6_S6_ZZZN2at6native31launch_logcumsumexp_cuda_kernelERKNSD_10TensorBaseESH_lENKUlvE_clEvENKUlvE4_clEvEUlS6_S6_E_S6_EEDaPvRmT3_T4_T5_mT6_P12ihipStream_tbENKUlT_T0_E_clISt17integral_constantIbLb1EESX_IbLb0EEEEDaST_SU_EUlST_E0_NS1_11comp_targetILNS1_3genE10ELNS1_11target_archE1201ELNS1_3gpuE5ELNS1_3repE0EEENS1_30default_config_static_selectorELNS0_4arch9wavefront6targetE0EEEvT1_
    .private_segment_fixed_size: 0
    .sgpr_count:     0
    .sgpr_spill_count: 0
    .symbol:         _ZN7rocprim17ROCPRIM_400000_NS6detail17trampoline_kernelINS0_14default_configENS1_20scan_config_selectorIN3c108BFloat16EEEZZNS1_9scan_implILNS1_25lookback_scan_determinismE0ELb0ELb0ES3_PKS6_PS6_S6_ZZZN2at6native31launch_logcumsumexp_cuda_kernelERKNSD_10TensorBaseESH_lENKUlvE_clEvENKUlvE4_clEvEUlS6_S6_E_S6_EEDaPvRmT3_T4_T5_mT6_P12ihipStream_tbENKUlT_T0_E_clISt17integral_constantIbLb1EESX_IbLb0EEEEDaST_SU_EUlST_E0_NS1_11comp_targetILNS1_3genE10ELNS1_11target_archE1201ELNS1_3gpuE5ELNS1_3repE0EEENS1_30default_config_static_selectorELNS0_4arch9wavefront6targetE0EEEvT1_.kd
    .uniform_work_group_size: 1
    .uses_dynamic_stack: false
    .vgpr_count:     0
    .vgpr_spill_count: 0
    .wavefront_size: 32
    .workgroup_processor_mode: 1
  - .args:
      - .offset:         0
        .size:           32
        .value_kind:     by_value
    .group_segment_fixed_size: 0
    .kernarg_segment_align: 8
    .kernarg_segment_size: 32
    .language:       OpenCL C
    .language_version:
      - 2
      - 0
    .max_flat_workgroup_size: 256
    .name:           _ZN7rocprim17ROCPRIM_400000_NS6detail17trampoline_kernelINS0_14default_configENS1_20scan_config_selectorIN3c108BFloat16EEEZZNS1_9scan_implILNS1_25lookback_scan_determinismE0ELb0ELb0ES3_PKS6_PS6_S6_ZZZN2at6native31launch_logcumsumexp_cuda_kernelERKNSD_10TensorBaseESH_lENKUlvE_clEvENKUlvE4_clEvEUlS6_S6_E_S6_EEDaPvRmT3_T4_T5_mT6_P12ihipStream_tbENKUlT_T0_E_clISt17integral_constantIbLb1EESX_IbLb0EEEEDaST_SU_EUlST_E0_NS1_11comp_targetILNS1_3genE10ELNS1_11target_archE1200ELNS1_3gpuE4ELNS1_3repE0EEENS1_30default_config_static_selectorELNS0_4arch9wavefront6targetE0EEEvT1_
    .private_segment_fixed_size: 0
    .sgpr_count:     0
    .sgpr_spill_count: 0
    .symbol:         _ZN7rocprim17ROCPRIM_400000_NS6detail17trampoline_kernelINS0_14default_configENS1_20scan_config_selectorIN3c108BFloat16EEEZZNS1_9scan_implILNS1_25lookback_scan_determinismE0ELb0ELb0ES3_PKS6_PS6_S6_ZZZN2at6native31launch_logcumsumexp_cuda_kernelERKNSD_10TensorBaseESH_lENKUlvE_clEvENKUlvE4_clEvEUlS6_S6_E_S6_EEDaPvRmT3_T4_T5_mT6_P12ihipStream_tbENKUlT_T0_E_clISt17integral_constantIbLb1EESX_IbLb0EEEEDaST_SU_EUlST_E0_NS1_11comp_targetILNS1_3genE10ELNS1_11target_archE1200ELNS1_3gpuE4ELNS1_3repE0EEENS1_30default_config_static_selectorELNS0_4arch9wavefront6targetE0EEEvT1_.kd
    .uniform_work_group_size: 1
    .uses_dynamic_stack: false
    .vgpr_count:     0
    .vgpr_spill_count: 0
    .wavefront_size: 32
    .workgroup_processor_mode: 1
  - .args:
      - .offset:         0
        .size:           32
        .value_kind:     by_value
    .group_segment_fixed_size: 0
    .kernarg_segment_align: 8
    .kernarg_segment_size: 32
    .language:       OpenCL C
    .language_version:
      - 2
      - 0
    .max_flat_workgroup_size: 64
    .name:           _ZN7rocprim17ROCPRIM_400000_NS6detail17trampoline_kernelINS0_14default_configENS1_20scan_config_selectorIN3c108BFloat16EEEZZNS1_9scan_implILNS1_25lookback_scan_determinismE0ELb0ELb0ES3_PKS6_PS6_S6_ZZZN2at6native31launch_logcumsumexp_cuda_kernelERKNSD_10TensorBaseESH_lENKUlvE_clEvENKUlvE4_clEvEUlS6_S6_E_S6_EEDaPvRmT3_T4_T5_mT6_P12ihipStream_tbENKUlT_T0_E_clISt17integral_constantIbLb1EESX_IbLb0EEEEDaST_SU_EUlST_E0_NS1_11comp_targetILNS1_3genE9ELNS1_11target_archE1100ELNS1_3gpuE3ELNS1_3repE0EEENS1_30default_config_static_selectorELNS0_4arch9wavefront6targetE0EEEvT1_
    .private_segment_fixed_size: 0
    .sgpr_count:     0
    .sgpr_spill_count: 0
    .symbol:         _ZN7rocprim17ROCPRIM_400000_NS6detail17trampoline_kernelINS0_14default_configENS1_20scan_config_selectorIN3c108BFloat16EEEZZNS1_9scan_implILNS1_25lookback_scan_determinismE0ELb0ELb0ES3_PKS6_PS6_S6_ZZZN2at6native31launch_logcumsumexp_cuda_kernelERKNSD_10TensorBaseESH_lENKUlvE_clEvENKUlvE4_clEvEUlS6_S6_E_S6_EEDaPvRmT3_T4_T5_mT6_P12ihipStream_tbENKUlT_T0_E_clISt17integral_constantIbLb1EESX_IbLb0EEEEDaST_SU_EUlST_E0_NS1_11comp_targetILNS1_3genE9ELNS1_11target_archE1100ELNS1_3gpuE3ELNS1_3repE0EEENS1_30default_config_static_selectorELNS0_4arch9wavefront6targetE0EEEvT1_.kd
    .uniform_work_group_size: 1
    .uses_dynamic_stack: false
    .vgpr_count:     0
    .vgpr_spill_count: 0
    .wavefront_size: 32
    .workgroup_processor_mode: 1
  - .args:
      - .offset:         0
        .size:           32
        .value_kind:     by_value
    .group_segment_fixed_size: 1536
    .kernarg_segment_align: 8
    .kernarg_segment_size: 32
    .language:       OpenCL C
    .language_version:
      - 2
      - 0
    .max_flat_workgroup_size: 64
    .name:           _ZN7rocprim17ROCPRIM_400000_NS6detail17trampoline_kernelINS0_14default_configENS1_20scan_config_selectorIN3c108BFloat16EEEZZNS1_9scan_implILNS1_25lookback_scan_determinismE0ELb0ELb0ES3_PKS6_PS6_S6_ZZZN2at6native31launch_logcumsumexp_cuda_kernelERKNSD_10TensorBaseESH_lENKUlvE_clEvENKUlvE4_clEvEUlS6_S6_E_S6_EEDaPvRmT3_T4_T5_mT6_P12ihipStream_tbENKUlT_T0_E_clISt17integral_constantIbLb1EESX_IbLb0EEEEDaST_SU_EUlST_E0_NS1_11comp_targetILNS1_3genE8ELNS1_11target_archE1030ELNS1_3gpuE2ELNS1_3repE0EEENS1_30default_config_static_selectorELNS0_4arch9wavefront6targetE0EEEvT1_
    .private_segment_fixed_size: 0
    .sgpr_count:     33
    .sgpr_spill_count: 0
    .symbol:         _ZN7rocprim17ROCPRIM_400000_NS6detail17trampoline_kernelINS0_14default_configENS1_20scan_config_selectorIN3c108BFloat16EEEZZNS1_9scan_implILNS1_25lookback_scan_determinismE0ELb0ELb0ES3_PKS6_PS6_S6_ZZZN2at6native31launch_logcumsumexp_cuda_kernelERKNSD_10TensorBaseESH_lENKUlvE_clEvENKUlvE4_clEvEUlS6_S6_E_S6_EEDaPvRmT3_T4_T5_mT6_P12ihipStream_tbENKUlT_T0_E_clISt17integral_constantIbLb1EESX_IbLb0EEEEDaST_SU_EUlST_E0_NS1_11comp_targetILNS1_3genE8ELNS1_11target_archE1030ELNS1_3gpuE2ELNS1_3repE0EEENS1_30default_config_static_selectorELNS0_4arch9wavefront6targetE0EEEvT1_.kd
    .uniform_work_group_size: 1
    .uses_dynamic_stack: false
    .vgpr_count:     49
    .vgpr_spill_count: 0
    .wavefront_size: 32
    .workgroup_processor_mode: 1
  - .args:
      - .address_space:  global
        .offset:         0
        .size:           8
        .value_kind:     global_buffer
      - .offset:         8
        .size:           4
        .value_kind:     by_value
      - .address_space:  global
        .offset:         16
        .size:           8
        .value_kind:     global_buffer
      - .offset:         24
        .size:           4
        .value_kind:     by_value
      - .address_space:  global
        .offset:         32
        .size:           8
        .value_kind:     global_buffer
      - .offset:         40
        .size:           4
        .value_kind:     hidden_block_count_x
      - .offset:         44
        .size:           4
        .value_kind:     hidden_block_count_y
      - .offset:         48
        .size:           4
        .value_kind:     hidden_block_count_z
      - .offset:         52
        .size:           2
        .value_kind:     hidden_group_size_x
      - .offset:         54
        .size:           2
        .value_kind:     hidden_group_size_y
      - .offset:         56
        .size:           2
        .value_kind:     hidden_group_size_z
      - .offset:         58
        .size:           2
        .value_kind:     hidden_remainder_x
      - .offset:         60
        .size:           2
        .value_kind:     hidden_remainder_y
      - .offset:         62
        .size:           2
        .value_kind:     hidden_remainder_z
      - .offset:         80
        .size:           8
        .value_kind:     hidden_global_offset_x
      - .offset:         88
        .size:           8
        .value_kind:     hidden_global_offset_y
      - .offset:         96
        .size:           8
        .value_kind:     hidden_global_offset_z
      - .offset:         104
        .size:           2
        .value_kind:     hidden_grid_dims
    .group_segment_fixed_size: 0
    .kernarg_segment_align: 8
    .kernarg_segment_size: 296
    .language:       OpenCL C
    .language_version:
      - 2
      - 0
    .max_flat_workgroup_size: 256
    .name:           _ZN7rocprim17ROCPRIM_400000_NS6detail31init_lookback_scan_state_kernelINS1_19lookback_scan_stateIN3c108BFloat16ELb0ELb1EEENS1_16block_id_wrapperIjLb1EEEEEvT_jT0_jPNS9_10value_typeE
    .private_segment_fixed_size: 0
    .sgpr_count:     12
    .sgpr_spill_count: 0
    .symbol:         _ZN7rocprim17ROCPRIM_400000_NS6detail31init_lookback_scan_state_kernelINS1_19lookback_scan_stateIN3c108BFloat16ELb0ELb1EEENS1_16block_id_wrapperIjLb1EEEEEvT_jT0_jPNS9_10value_typeE.kd
    .uniform_work_group_size: 1
    .uses_dynamic_stack: false
    .vgpr_count:     5
    .vgpr_spill_count: 0
    .wavefront_size: 32
    .workgroup_processor_mode: 1
  - .args:
      - .offset:         0
        .size:           96
        .value_kind:     by_value
    .group_segment_fixed_size: 0
    .kernarg_segment_align: 8
    .kernarg_segment_size: 96
    .language:       OpenCL C
    .language_version:
      - 2
      - 0
    .max_flat_workgroup_size: 128
    .name:           _ZN7rocprim17ROCPRIM_400000_NS6detail17trampoline_kernelINS0_14default_configENS1_20scan_config_selectorIN3c108BFloat16EEEZZNS1_9scan_implILNS1_25lookback_scan_determinismE0ELb0ELb0ES3_PKS6_PS6_S6_ZZZN2at6native31launch_logcumsumexp_cuda_kernelERKNSD_10TensorBaseESH_lENKUlvE_clEvENKUlvE4_clEvEUlS6_S6_E_S6_EEDaPvRmT3_T4_T5_mT6_P12ihipStream_tbENKUlT_T0_E_clISt17integral_constantIbLb0EESX_IbLb1EEEEDaST_SU_EUlST_E_NS1_11comp_targetILNS1_3genE0ELNS1_11target_archE4294967295ELNS1_3gpuE0ELNS1_3repE0EEENS1_30default_config_static_selectorELNS0_4arch9wavefront6targetE0EEEvT1_
    .private_segment_fixed_size: 0
    .sgpr_count:     0
    .sgpr_spill_count: 0
    .symbol:         _ZN7rocprim17ROCPRIM_400000_NS6detail17trampoline_kernelINS0_14default_configENS1_20scan_config_selectorIN3c108BFloat16EEEZZNS1_9scan_implILNS1_25lookback_scan_determinismE0ELb0ELb0ES3_PKS6_PS6_S6_ZZZN2at6native31launch_logcumsumexp_cuda_kernelERKNSD_10TensorBaseESH_lENKUlvE_clEvENKUlvE4_clEvEUlS6_S6_E_S6_EEDaPvRmT3_T4_T5_mT6_P12ihipStream_tbENKUlT_T0_E_clISt17integral_constantIbLb0EESX_IbLb1EEEEDaST_SU_EUlST_E_NS1_11comp_targetILNS1_3genE0ELNS1_11target_archE4294967295ELNS1_3gpuE0ELNS1_3repE0EEENS1_30default_config_static_selectorELNS0_4arch9wavefront6targetE0EEEvT1_.kd
    .uniform_work_group_size: 1
    .uses_dynamic_stack: false
    .vgpr_count:     0
    .vgpr_spill_count: 0
    .wavefront_size: 32
    .workgroup_processor_mode: 1
  - .args:
      - .offset:         0
        .size:           96
        .value_kind:     by_value
    .group_segment_fixed_size: 0
    .kernarg_segment_align: 8
    .kernarg_segment_size: 96
    .language:       OpenCL C
    .language_version:
      - 2
      - 0
    .max_flat_workgroup_size: 256
    .name:           _ZN7rocprim17ROCPRIM_400000_NS6detail17trampoline_kernelINS0_14default_configENS1_20scan_config_selectorIN3c108BFloat16EEEZZNS1_9scan_implILNS1_25lookback_scan_determinismE0ELb0ELb0ES3_PKS6_PS6_S6_ZZZN2at6native31launch_logcumsumexp_cuda_kernelERKNSD_10TensorBaseESH_lENKUlvE_clEvENKUlvE4_clEvEUlS6_S6_E_S6_EEDaPvRmT3_T4_T5_mT6_P12ihipStream_tbENKUlT_T0_E_clISt17integral_constantIbLb0EESX_IbLb1EEEEDaST_SU_EUlST_E_NS1_11comp_targetILNS1_3genE5ELNS1_11target_archE942ELNS1_3gpuE9ELNS1_3repE0EEENS1_30default_config_static_selectorELNS0_4arch9wavefront6targetE0EEEvT1_
    .private_segment_fixed_size: 0
    .sgpr_count:     0
    .sgpr_spill_count: 0
    .symbol:         _ZN7rocprim17ROCPRIM_400000_NS6detail17trampoline_kernelINS0_14default_configENS1_20scan_config_selectorIN3c108BFloat16EEEZZNS1_9scan_implILNS1_25lookback_scan_determinismE0ELb0ELb0ES3_PKS6_PS6_S6_ZZZN2at6native31launch_logcumsumexp_cuda_kernelERKNSD_10TensorBaseESH_lENKUlvE_clEvENKUlvE4_clEvEUlS6_S6_E_S6_EEDaPvRmT3_T4_T5_mT6_P12ihipStream_tbENKUlT_T0_E_clISt17integral_constantIbLb0EESX_IbLb1EEEEDaST_SU_EUlST_E_NS1_11comp_targetILNS1_3genE5ELNS1_11target_archE942ELNS1_3gpuE9ELNS1_3repE0EEENS1_30default_config_static_selectorELNS0_4arch9wavefront6targetE0EEEvT1_.kd
    .uniform_work_group_size: 1
    .uses_dynamic_stack: false
    .vgpr_count:     0
    .vgpr_spill_count: 0
    .wavefront_size: 32
    .workgroup_processor_mode: 1
  - .args:
      - .offset:         0
        .size:           96
        .value_kind:     by_value
    .group_segment_fixed_size: 0
    .kernarg_segment_align: 8
    .kernarg_segment_size: 96
    .language:       OpenCL C
    .language_version:
      - 2
      - 0
    .max_flat_workgroup_size: 64
    .name:           _ZN7rocprim17ROCPRIM_400000_NS6detail17trampoline_kernelINS0_14default_configENS1_20scan_config_selectorIN3c108BFloat16EEEZZNS1_9scan_implILNS1_25lookback_scan_determinismE0ELb0ELb0ES3_PKS6_PS6_S6_ZZZN2at6native31launch_logcumsumexp_cuda_kernelERKNSD_10TensorBaseESH_lENKUlvE_clEvENKUlvE4_clEvEUlS6_S6_E_S6_EEDaPvRmT3_T4_T5_mT6_P12ihipStream_tbENKUlT_T0_E_clISt17integral_constantIbLb0EESX_IbLb1EEEEDaST_SU_EUlST_E_NS1_11comp_targetILNS1_3genE4ELNS1_11target_archE910ELNS1_3gpuE8ELNS1_3repE0EEENS1_30default_config_static_selectorELNS0_4arch9wavefront6targetE0EEEvT1_
    .private_segment_fixed_size: 0
    .sgpr_count:     0
    .sgpr_spill_count: 0
    .symbol:         _ZN7rocprim17ROCPRIM_400000_NS6detail17trampoline_kernelINS0_14default_configENS1_20scan_config_selectorIN3c108BFloat16EEEZZNS1_9scan_implILNS1_25lookback_scan_determinismE0ELb0ELb0ES3_PKS6_PS6_S6_ZZZN2at6native31launch_logcumsumexp_cuda_kernelERKNSD_10TensorBaseESH_lENKUlvE_clEvENKUlvE4_clEvEUlS6_S6_E_S6_EEDaPvRmT3_T4_T5_mT6_P12ihipStream_tbENKUlT_T0_E_clISt17integral_constantIbLb0EESX_IbLb1EEEEDaST_SU_EUlST_E_NS1_11comp_targetILNS1_3genE4ELNS1_11target_archE910ELNS1_3gpuE8ELNS1_3repE0EEENS1_30default_config_static_selectorELNS0_4arch9wavefront6targetE0EEEvT1_.kd
    .uniform_work_group_size: 1
    .uses_dynamic_stack: false
    .vgpr_count:     0
    .vgpr_spill_count: 0
    .wavefront_size: 32
    .workgroup_processor_mode: 1
  - .args:
      - .offset:         0
        .size:           96
        .value_kind:     by_value
    .group_segment_fixed_size: 0
    .kernarg_segment_align: 8
    .kernarg_segment_size: 96
    .language:       OpenCL C
    .language_version:
      - 2
      - 0
    .max_flat_workgroup_size: 128
    .name:           _ZN7rocprim17ROCPRIM_400000_NS6detail17trampoline_kernelINS0_14default_configENS1_20scan_config_selectorIN3c108BFloat16EEEZZNS1_9scan_implILNS1_25lookback_scan_determinismE0ELb0ELb0ES3_PKS6_PS6_S6_ZZZN2at6native31launch_logcumsumexp_cuda_kernelERKNSD_10TensorBaseESH_lENKUlvE_clEvENKUlvE4_clEvEUlS6_S6_E_S6_EEDaPvRmT3_T4_T5_mT6_P12ihipStream_tbENKUlT_T0_E_clISt17integral_constantIbLb0EESX_IbLb1EEEEDaST_SU_EUlST_E_NS1_11comp_targetILNS1_3genE3ELNS1_11target_archE908ELNS1_3gpuE7ELNS1_3repE0EEENS1_30default_config_static_selectorELNS0_4arch9wavefront6targetE0EEEvT1_
    .private_segment_fixed_size: 0
    .sgpr_count:     0
    .sgpr_spill_count: 0
    .symbol:         _ZN7rocprim17ROCPRIM_400000_NS6detail17trampoline_kernelINS0_14default_configENS1_20scan_config_selectorIN3c108BFloat16EEEZZNS1_9scan_implILNS1_25lookback_scan_determinismE0ELb0ELb0ES3_PKS6_PS6_S6_ZZZN2at6native31launch_logcumsumexp_cuda_kernelERKNSD_10TensorBaseESH_lENKUlvE_clEvENKUlvE4_clEvEUlS6_S6_E_S6_EEDaPvRmT3_T4_T5_mT6_P12ihipStream_tbENKUlT_T0_E_clISt17integral_constantIbLb0EESX_IbLb1EEEEDaST_SU_EUlST_E_NS1_11comp_targetILNS1_3genE3ELNS1_11target_archE908ELNS1_3gpuE7ELNS1_3repE0EEENS1_30default_config_static_selectorELNS0_4arch9wavefront6targetE0EEEvT1_.kd
    .uniform_work_group_size: 1
    .uses_dynamic_stack: false
    .vgpr_count:     0
    .vgpr_spill_count: 0
    .wavefront_size: 32
    .workgroup_processor_mode: 1
  - .args:
      - .offset:         0
        .size:           96
        .value_kind:     by_value
    .group_segment_fixed_size: 0
    .kernarg_segment_align: 8
    .kernarg_segment_size: 96
    .language:       OpenCL C
    .language_version:
      - 2
      - 0
    .max_flat_workgroup_size: 256
    .name:           _ZN7rocprim17ROCPRIM_400000_NS6detail17trampoline_kernelINS0_14default_configENS1_20scan_config_selectorIN3c108BFloat16EEEZZNS1_9scan_implILNS1_25lookback_scan_determinismE0ELb0ELb0ES3_PKS6_PS6_S6_ZZZN2at6native31launch_logcumsumexp_cuda_kernelERKNSD_10TensorBaseESH_lENKUlvE_clEvENKUlvE4_clEvEUlS6_S6_E_S6_EEDaPvRmT3_T4_T5_mT6_P12ihipStream_tbENKUlT_T0_E_clISt17integral_constantIbLb0EESX_IbLb1EEEEDaST_SU_EUlST_E_NS1_11comp_targetILNS1_3genE2ELNS1_11target_archE906ELNS1_3gpuE6ELNS1_3repE0EEENS1_30default_config_static_selectorELNS0_4arch9wavefront6targetE0EEEvT1_
    .private_segment_fixed_size: 0
    .sgpr_count:     0
    .sgpr_spill_count: 0
    .symbol:         _ZN7rocprim17ROCPRIM_400000_NS6detail17trampoline_kernelINS0_14default_configENS1_20scan_config_selectorIN3c108BFloat16EEEZZNS1_9scan_implILNS1_25lookback_scan_determinismE0ELb0ELb0ES3_PKS6_PS6_S6_ZZZN2at6native31launch_logcumsumexp_cuda_kernelERKNSD_10TensorBaseESH_lENKUlvE_clEvENKUlvE4_clEvEUlS6_S6_E_S6_EEDaPvRmT3_T4_T5_mT6_P12ihipStream_tbENKUlT_T0_E_clISt17integral_constantIbLb0EESX_IbLb1EEEEDaST_SU_EUlST_E_NS1_11comp_targetILNS1_3genE2ELNS1_11target_archE906ELNS1_3gpuE6ELNS1_3repE0EEENS1_30default_config_static_selectorELNS0_4arch9wavefront6targetE0EEEvT1_.kd
    .uniform_work_group_size: 1
    .uses_dynamic_stack: false
    .vgpr_count:     0
    .vgpr_spill_count: 0
    .wavefront_size: 32
    .workgroup_processor_mode: 1
  - .args:
      - .offset:         0
        .size:           96
        .value_kind:     by_value
    .group_segment_fixed_size: 0
    .kernarg_segment_align: 8
    .kernarg_segment_size: 96
    .language:       OpenCL C
    .language_version:
      - 2
      - 0
    .max_flat_workgroup_size: 256
    .name:           _ZN7rocprim17ROCPRIM_400000_NS6detail17trampoline_kernelINS0_14default_configENS1_20scan_config_selectorIN3c108BFloat16EEEZZNS1_9scan_implILNS1_25lookback_scan_determinismE0ELb0ELb0ES3_PKS6_PS6_S6_ZZZN2at6native31launch_logcumsumexp_cuda_kernelERKNSD_10TensorBaseESH_lENKUlvE_clEvENKUlvE4_clEvEUlS6_S6_E_S6_EEDaPvRmT3_T4_T5_mT6_P12ihipStream_tbENKUlT_T0_E_clISt17integral_constantIbLb0EESX_IbLb1EEEEDaST_SU_EUlST_E_NS1_11comp_targetILNS1_3genE10ELNS1_11target_archE1201ELNS1_3gpuE5ELNS1_3repE0EEENS1_30default_config_static_selectorELNS0_4arch9wavefront6targetE0EEEvT1_
    .private_segment_fixed_size: 0
    .sgpr_count:     0
    .sgpr_spill_count: 0
    .symbol:         _ZN7rocprim17ROCPRIM_400000_NS6detail17trampoline_kernelINS0_14default_configENS1_20scan_config_selectorIN3c108BFloat16EEEZZNS1_9scan_implILNS1_25lookback_scan_determinismE0ELb0ELb0ES3_PKS6_PS6_S6_ZZZN2at6native31launch_logcumsumexp_cuda_kernelERKNSD_10TensorBaseESH_lENKUlvE_clEvENKUlvE4_clEvEUlS6_S6_E_S6_EEDaPvRmT3_T4_T5_mT6_P12ihipStream_tbENKUlT_T0_E_clISt17integral_constantIbLb0EESX_IbLb1EEEEDaST_SU_EUlST_E_NS1_11comp_targetILNS1_3genE10ELNS1_11target_archE1201ELNS1_3gpuE5ELNS1_3repE0EEENS1_30default_config_static_selectorELNS0_4arch9wavefront6targetE0EEEvT1_.kd
    .uniform_work_group_size: 1
    .uses_dynamic_stack: false
    .vgpr_count:     0
    .vgpr_spill_count: 0
    .wavefront_size: 32
    .workgroup_processor_mode: 1
  - .args:
      - .offset:         0
        .size:           96
        .value_kind:     by_value
    .group_segment_fixed_size: 0
    .kernarg_segment_align: 8
    .kernarg_segment_size: 96
    .language:       OpenCL C
    .language_version:
      - 2
      - 0
    .max_flat_workgroup_size: 256
    .name:           _ZN7rocprim17ROCPRIM_400000_NS6detail17trampoline_kernelINS0_14default_configENS1_20scan_config_selectorIN3c108BFloat16EEEZZNS1_9scan_implILNS1_25lookback_scan_determinismE0ELb0ELb0ES3_PKS6_PS6_S6_ZZZN2at6native31launch_logcumsumexp_cuda_kernelERKNSD_10TensorBaseESH_lENKUlvE_clEvENKUlvE4_clEvEUlS6_S6_E_S6_EEDaPvRmT3_T4_T5_mT6_P12ihipStream_tbENKUlT_T0_E_clISt17integral_constantIbLb0EESX_IbLb1EEEEDaST_SU_EUlST_E_NS1_11comp_targetILNS1_3genE10ELNS1_11target_archE1200ELNS1_3gpuE4ELNS1_3repE0EEENS1_30default_config_static_selectorELNS0_4arch9wavefront6targetE0EEEvT1_
    .private_segment_fixed_size: 0
    .sgpr_count:     0
    .sgpr_spill_count: 0
    .symbol:         _ZN7rocprim17ROCPRIM_400000_NS6detail17trampoline_kernelINS0_14default_configENS1_20scan_config_selectorIN3c108BFloat16EEEZZNS1_9scan_implILNS1_25lookback_scan_determinismE0ELb0ELb0ES3_PKS6_PS6_S6_ZZZN2at6native31launch_logcumsumexp_cuda_kernelERKNSD_10TensorBaseESH_lENKUlvE_clEvENKUlvE4_clEvEUlS6_S6_E_S6_EEDaPvRmT3_T4_T5_mT6_P12ihipStream_tbENKUlT_T0_E_clISt17integral_constantIbLb0EESX_IbLb1EEEEDaST_SU_EUlST_E_NS1_11comp_targetILNS1_3genE10ELNS1_11target_archE1200ELNS1_3gpuE4ELNS1_3repE0EEENS1_30default_config_static_selectorELNS0_4arch9wavefront6targetE0EEEvT1_.kd
    .uniform_work_group_size: 1
    .uses_dynamic_stack: false
    .vgpr_count:     0
    .vgpr_spill_count: 0
    .wavefront_size: 32
    .workgroup_processor_mode: 1
  - .args:
      - .offset:         0
        .size:           96
        .value_kind:     by_value
    .group_segment_fixed_size: 0
    .kernarg_segment_align: 8
    .kernarg_segment_size: 96
    .language:       OpenCL C
    .language_version:
      - 2
      - 0
    .max_flat_workgroup_size: 64
    .name:           _ZN7rocprim17ROCPRIM_400000_NS6detail17trampoline_kernelINS0_14default_configENS1_20scan_config_selectorIN3c108BFloat16EEEZZNS1_9scan_implILNS1_25lookback_scan_determinismE0ELb0ELb0ES3_PKS6_PS6_S6_ZZZN2at6native31launch_logcumsumexp_cuda_kernelERKNSD_10TensorBaseESH_lENKUlvE_clEvENKUlvE4_clEvEUlS6_S6_E_S6_EEDaPvRmT3_T4_T5_mT6_P12ihipStream_tbENKUlT_T0_E_clISt17integral_constantIbLb0EESX_IbLb1EEEEDaST_SU_EUlST_E_NS1_11comp_targetILNS1_3genE9ELNS1_11target_archE1100ELNS1_3gpuE3ELNS1_3repE0EEENS1_30default_config_static_selectorELNS0_4arch9wavefront6targetE0EEEvT1_
    .private_segment_fixed_size: 0
    .sgpr_count:     0
    .sgpr_spill_count: 0
    .symbol:         _ZN7rocprim17ROCPRIM_400000_NS6detail17trampoline_kernelINS0_14default_configENS1_20scan_config_selectorIN3c108BFloat16EEEZZNS1_9scan_implILNS1_25lookback_scan_determinismE0ELb0ELb0ES3_PKS6_PS6_S6_ZZZN2at6native31launch_logcumsumexp_cuda_kernelERKNSD_10TensorBaseESH_lENKUlvE_clEvENKUlvE4_clEvEUlS6_S6_E_S6_EEDaPvRmT3_T4_T5_mT6_P12ihipStream_tbENKUlT_T0_E_clISt17integral_constantIbLb0EESX_IbLb1EEEEDaST_SU_EUlST_E_NS1_11comp_targetILNS1_3genE9ELNS1_11target_archE1100ELNS1_3gpuE3ELNS1_3repE0EEENS1_30default_config_static_selectorELNS0_4arch9wavefront6targetE0EEEvT1_.kd
    .uniform_work_group_size: 1
    .uses_dynamic_stack: false
    .vgpr_count:     0
    .vgpr_spill_count: 0
    .wavefront_size: 32
    .workgroup_processor_mode: 1
  - .args:
      - .offset:         0
        .size:           96
        .value_kind:     by_value
    .group_segment_fixed_size: 1536
    .kernarg_segment_align: 8
    .kernarg_segment_size: 96
    .language:       OpenCL C
    .language_version:
      - 2
      - 0
    .max_flat_workgroup_size: 64
    .name:           _ZN7rocprim17ROCPRIM_400000_NS6detail17trampoline_kernelINS0_14default_configENS1_20scan_config_selectorIN3c108BFloat16EEEZZNS1_9scan_implILNS1_25lookback_scan_determinismE0ELb0ELb0ES3_PKS6_PS6_S6_ZZZN2at6native31launch_logcumsumexp_cuda_kernelERKNSD_10TensorBaseESH_lENKUlvE_clEvENKUlvE4_clEvEUlS6_S6_E_S6_EEDaPvRmT3_T4_T5_mT6_P12ihipStream_tbENKUlT_T0_E_clISt17integral_constantIbLb0EESX_IbLb1EEEEDaST_SU_EUlST_E_NS1_11comp_targetILNS1_3genE8ELNS1_11target_archE1030ELNS1_3gpuE2ELNS1_3repE0EEENS1_30default_config_static_selectorELNS0_4arch9wavefront6targetE0EEEvT1_
    .private_segment_fixed_size: 0
    .sgpr_count:     46
    .sgpr_spill_count: 0
    .symbol:         _ZN7rocprim17ROCPRIM_400000_NS6detail17trampoline_kernelINS0_14default_configENS1_20scan_config_selectorIN3c108BFloat16EEEZZNS1_9scan_implILNS1_25lookback_scan_determinismE0ELb0ELb0ES3_PKS6_PS6_S6_ZZZN2at6native31launch_logcumsumexp_cuda_kernelERKNSD_10TensorBaseESH_lENKUlvE_clEvENKUlvE4_clEvEUlS6_S6_E_S6_EEDaPvRmT3_T4_T5_mT6_P12ihipStream_tbENKUlT_T0_E_clISt17integral_constantIbLb0EESX_IbLb1EEEEDaST_SU_EUlST_E_NS1_11comp_targetILNS1_3genE8ELNS1_11target_archE1030ELNS1_3gpuE2ELNS1_3repE0EEENS1_30default_config_static_selectorELNS0_4arch9wavefront6targetE0EEEvT1_.kd
    .uniform_work_group_size: 1
    .uses_dynamic_stack: false
    .vgpr_count:     67
    .vgpr_spill_count: 0
    .wavefront_size: 32
    .workgroup_processor_mode: 1
  - .args:
      - .offset:         0
        .size:           32
        .value_kind:     by_value
    .group_segment_fixed_size: 0
    .kernarg_segment_align: 8
    .kernarg_segment_size: 32
    .language:       OpenCL C
    .language_version:
      - 2
      - 0
    .max_flat_workgroup_size: 128
    .name:           _ZN7rocprim17ROCPRIM_400000_NS6detail17trampoline_kernelINS0_14default_configENS1_20scan_config_selectorIN3c108BFloat16EEEZZNS1_9scan_implILNS1_25lookback_scan_determinismE0ELb0ELb0ES3_PKS6_PS6_S6_ZZZN2at6native31launch_logcumsumexp_cuda_kernelERKNSD_10TensorBaseESH_lENKUlvE_clEvENKUlvE4_clEvEUlS6_S6_E_S6_EEDaPvRmT3_T4_T5_mT6_P12ihipStream_tbENKUlT_T0_E_clISt17integral_constantIbLb0EESX_IbLb1EEEEDaST_SU_EUlST_E0_NS1_11comp_targetILNS1_3genE0ELNS1_11target_archE4294967295ELNS1_3gpuE0ELNS1_3repE0EEENS1_30default_config_static_selectorELNS0_4arch9wavefront6targetE0EEEvT1_
    .private_segment_fixed_size: 0
    .sgpr_count:     0
    .sgpr_spill_count: 0
    .symbol:         _ZN7rocprim17ROCPRIM_400000_NS6detail17trampoline_kernelINS0_14default_configENS1_20scan_config_selectorIN3c108BFloat16EEEZZNS1_9scan_implILNS1_25lookback_scan_determinismE0ELb0ELb0ES3_PKS6_PS6_S6_ZZZN2at6native31launch_logcumsumexp_cuda_kernelERKNSD_10TensorBaseESH_lENKUlvE_clEvENKUlvE4_clEvEUlS6_S6_E_S6_EEDaPvRmT3_T4_T5_mT6_P12ihipStream_tbENKUlT_T0_E_clISt17integral_constantIbLb0EESX_IbLb1EEEEDaST_SU_EUlST_E0_NS1_11comp_targetILNS1_3genE0ELNS1_11target_archE4294967295ELNS1_3gpuE0ELNS1_3repE0EEENS1_30default_config_static_selectorELNS0_4arch9wavefront6targetE0EEEvT1_.kd
    .uniform_work_group_size: 1
    .uses_dynamic_stack: false
    .vgpr_count:     0
    .vgpr_spill_count: 0
    .wavefront_size: 32
    .workgroup_processor_mode: 1
  - .args:
      - .offset:         0
        .size:           32
        .value_kind:     by_value
    .group_segment_fixed_size: 0
    .kernarg_segment_align: 8
    .kernarg_segment_size: 32
    .language:       OpenCL C
    .language_version:
      - 2
      - 0
    .max_flat_workgroup_size: 256
    .name:           _ZN7rocprim17ROCPRIM_400000_NS6detail17trampoline_kernelINS0_14default_configENS1_20scan_config_selectorIN3c108BFloat16EEEZZNS1_9scan_implILNS1_25lookback_scan_determinismE0ELb0ELb0ES3_PKS6_PS6_S6_ZZZN2at6native31launch_logcumsumexp_cuda_kernelERKNSD_10TensorBaseESH_lENKUlvE_clEvENKUlvE4_clEvEUlS6_S6_E_S6_EEDaPvRmT3_T4_T5_mT6_P12ihipStream_tbENKUlT_T0_E_clISt17integral_constantIbLb0EESX_IbLb1EEEEDaST_SU_EUlST_E0_NS1_11comp_targetILNS1_3genE5ELNS1_11target_archE942ELNS1_3gpuE9ELNS1_3repE0EEENS1_30default_config_static_selectorELNS0_4arch9wavefront6targetE0EEEvT1_
    .private_segment_fixed_size: 0
    .sgpr_count:     0
    .sgpr_spill_count: 0
    .symbol:         _ZN7rocprim17ROCPRIM_400000_NS6detail17trampoline_kernelINS0_14default_configENS1_20scan_config_selectorIN3c108BFloat16EEEZZNS1_9scan_implILNS1_25lookback_scan_determinismE0ELb0ELb0ES3_PKS6_PS6_S6_ZZZN2at6native31launch_logcumsumexp_cuda_kernelERKNSD_10TensorBaseESH_lENKUlvE_clEvENKUlvE4_clEvEUlS6_S6_E_S6_EEDaPvRmT3_T4_T5_mT6_P12ihipStream_tbENKUlT_T0_E_clISt17integral_constantIbLb0EESX_IbLb1EEEEDaST_SU_EUlST_E0_NS1_11comp_targetILNS1_3genE5ELNS1_11target_archE942ELNS1_3gpuE9ELNS1_3repE0EEENS1_30default_config_static_selectorELNS0_4arch9wavefront6targetE0EEEvT1_.kd
    .uniform_work_group_size: 1
    .uses_dynamic_stack: false
    .vgpr_count:     0
    .vgpr_spill_count: 0
    .wavefront_size: 32
    .workgroup_processor_mode: 1
  - .args:
      - .offset:         0
        .size:           32
        .value_kind:     by_value
    .group_segment_fixed_size: 0
    .kernarg_segment_align: 8
    .kernarg_segment_size: 32
    .language:       OpenCL C
    .language_version:
      - 2
      - 0
    .max_flat_workgroup_size: 64
    .name:           _ZN7rocprim17ROCPRIM_400000_NS6detail17trampoline_kernelINS0_14default_configENS1_20scan_config_selectorIN3c108BFloat16EEEZZNS1_9scan_implILNS1_25lookback_scan_determinismE0ELb0ELb0ES3_PKS6_PS6_S6_ZZZN2at6native31launch_logcumsumexp_cuda_kernelERKNSD_10TensorBaseESH_lENKUlvE_clEvENKUlvE4_clEvEUlS6_S6_E_S6_EEDaPvRmT3_T4_T5_mT6_P12ihipStream_tbENKUlT_T0_E_clISt17integral_constantIbLb0EESX_IbLb1EEEEDaST_SU_EUlST_E0_NS1_11comp_targetILNS1_3genE4ELNS1_11target_archE910ELNS1_3gpuE8ELNS1_3repE0EEENS1_30default_config_static_selectorELNS0_4arch9wavefront6targetE0EEEvT1_
    .private_segment_fixed_size: 0
    .sgpr_count:     0
    .sgpr_spill_count: 0
    .symbol:         _ZN7rocprim17ROCPRIM_400000_NS6detail17trampoline_kernelINS0_14default_configENS1_20scan_config_selectorIN3c108BFloat16EEEZZNS1_9scan_implILNS1_25lookback_scan_determinismE0ELb0ELb0ES3_PKS6_PS6_S6_ZZZN2at6native31launch_logcumsumexp_cuda_kernelERKNSD_10TensorBaseESH_lENKUlvE_clEvENKUlvE4_clEvEUlS6_S6_E_S6_EEDaPvRmT3_T4_T5_mT6_P12ihipStream_tbENKUlT_T0_E_clISt17integral_constantIbLb0EESX_IbLb1EEEEDaST_SU_EUlST_E0_NS1_11comp_targetILNS1_3genE4ELNS1_11target_archE910ELNS1_3gpuE8ELNS1_3repE0EEENS1_30default_config_static_selectorELNS0_4arch9wavefront6targetE0EEEvT1_.kd
    .uniform_work_group_size: 1
    .uses_dynamic_stack: false
    .vgpr_count:     0
    .vgpr_spill_count: 0
    .wavefront_size: 32
    .workgroup_processor_mode: 1
  - .args:
      - .offset:         0
        .size:           32
        .value_kind:     by_value
    .group_segment_fixed_size: 0
    .kernarg_segment_align: 8
    .kernarg_segment_size: 32
    .language:       OpenCL C
    .language_version:
      - 2
      - 0
    .max_flat_workgroup_size: 128
    .name:           _ZN7rocprim17ROCPRIM_400000_NS6detail17trampoline_kernelINS0_14default_configENS1_20scan_config_selectorIN3c108BFloat16EEEZZNS1_9scan_implILNS1_25lookback_scan_determinismE0ELb0ELb0ES3_PKS6_PS6_S6_ZZZN2at6native31launch_logcumsumexp_cuda_kernelERKNSD_10TensorBaseESH_lENKUlvE_clEvENKUlvE4_clEvEUlS6_S6_E_S6_EEDaPvRmT3_T4_T5_mT6_P12ihipStream_tbENKUlT_T0_E_clISt17integral_constantIbLb0EESX_IbLb1EEEEDaST_SU_EUlST_E0_NS1_11comp_targetILNS1_3genE3ELNS1_11target_archE908ELNS1_3gpuE7ELNS1_3repE0EEENS1_30default_config_static_selectorELNS0_4arch9wavefront6targetE0EEEvT1_
    .private_segment_fixed_size: 0
    .sgpr_count:     0
    .sgpr_spill_count: 0
    .symbol:         _ZN7rocprim17ROCPRIM_400000_NS6detail17trampoline_kernelINS0_14default_configENS1_20scan_config_selectorIN3c108BFloat16EEEZZNS1_9scan_implILNS1_25lookback_scan_determinismE0ELb0ELb0ES3_PKS6_PS6_S6_ZZZN2at6native31launch_logcumsumexp_cuda_kernelERKNSD_10TensorBaseESH_lENKUlvE_clEvENKUlvE4_clEvEUlS6_S6_E_S6_EEDaPvRmT3_T4_T5_mT6_P12ihipStream_tbENKUlT_T0_E_clISt17integral_constantIbLb0EESX_IbLb1EEEEDaST_SU_EUlST_E0_NS1_11comp_targetILNS1_3genE3ELNS1_11target_archE908ELNS1_3gpuE7ELNS1_3repE0EEENS1_30default_config_static_selectorELNS0_4arch9wavefront6targetE0EEEvT1_.kd
    .uniform_work_group_size: 1
    .uses_dynamic_stack: false
    .vgpr_count:     0
    .vgpr_spill_count: 0
    .wavefront_size: 32
    .workgroup_processor_mode: 1
  - .args:
      - .offset:         0
        .size:           32
        .value_kind:     by_value
    .group_segment_fixed_size: 0
    .kernarg_segment_align: 8
    .kernarg_segment_size: 32
    .language:       OpenCL C
    .language_version:
      - 2
      - 0
    .max_flat_workgroup_size: 256
    .name:           _ZN7rocprim17ROCPRIM_400000_NS6detail17trampoline_kernelINS0_14default_configENS1_20scan_config_selectorIN3c108BFloat16EEEZZNS1_9scan_implILNS1_25lookback_scan_determinismE0ELb0ELb0ES3_PKS6_PS6_S6_ZZZN2at6native31launch_logcumsumexp_cuda_kernelERKNSD_10TensorBaseESH_lENKUlvE_clEvENKUlvE4_clEvEUlS6_S6_E_S6_EEDaPvRmT3_T4_T5_mT6_P12ihipStream_tbENKUlT_T0_E_clISt17integral_constantIbLb0EESX_IbLb1EEEEDaST_SU_EUlST_E0_NS1_11comp_targetILNS1_3genE2ELNS1_11target_archE906ELNS1_3gpuE6ELNS1_3repE0EEENS1_30default_config_static_selectorELNS0_4arch9wavefront6targetE0EEEvT1_
    .private_segment_fixed_size: 0
    .sgpr_count:     0
    .sgpr_spill_count: 0
    .symbol:         _ZN7rocprim17ROCPRIM_400000_NS6detail17trampoline_kernelINS0_14default_configENS1_20scan_config_selectorIN3c108BFloat16EEEZZNS1_9scan_implILNS1_25lookback_scan_determinismE0ELb0ELb0ES3_PKS6_PS6_S6_ZZZN2at6native31launch_logcumsumexp_cuda_kernelERKNSD_10TensorBaseESH_lENKUlvE_clEvENKUlvE4_clEvEUlS6_S6_E_S6_EEDaPvRmT3_T4_T5_mT6_P12ihipStream_tbENKUlT_T0_E_clISt17integral_constantIbLb0EESX_IbLb1EEEEDaST_SU_EUlST_E0_NS1_11comp_targetILNS1_3genE2ELNS1_11target_archE906ELNS1_3gpuE6ELNS1_3repE0EEENS1_30default_config_static_selectorELNS0_4arch9wavefront6targetE0EEEvT1_.kd
    .uniform_work_group_size: 1
    .uses_dynamic_stack: false
    .vgpr_count:     0
    .vgpr_spill_count: 0
    .wavefront_size: 32
    .workgroup_processor_mode: 1
  - .args:
      - .offset:         0
        .size:           32
        .value_kind:     by_value
    .group_segment_fixed_size: 0
    .kernarg_segment_align: 8
    .kernarg_segment_size: 32
    .language:       OpenCL C
    .language_version:
      - 2
      - 0
    .max_flat_workgroup_size: 256
    .name:           _ZN7rocprim17ROCPRIM_400000_NS6detail17trampoline_kernelINS0_14default_configENS1_20scan_config_selectorIN3c108BFloat16EEEZZNS1_9scan_implILNS1_25lookback_scan_determinismE0ELb0ELb0ES3_PKS6_PS6_S6_ZZZN2at6native31launch_logcumsumexp_cuda_kernelERKNSD_10TensorBaseESH_lENKUlvE_clEvENKUlvE4_clEvEUlS6_S6_E_S6_EEDaPvRmT3_T4_T5_mT6_P12ihipStream_tbENKUlT_T0_E_clISt17integral_constantIbLb0EESX_IbLb1EEEEDaST_SU_EUlST_E0_NS1_11comp_targetILNS1_3genE10ELNS1_11target_archE1201ELNS1_3gpuE5ELNS1_3repE0EEENS1_30default_config_static_selectorELNS0_4arch9wavefront6targetE0EEEvT1_
    .private_segment_fixed_size: 0
    .sgpr_count:     0
    .sgpr_spill_count: 0
    .symbol:         _ZN7rocprim17ROCPRIM_400000_NS6detail17trampoline_kernelINS0_14default_configENS1_20scan_config_selectorIN3c108BFloat16EEEZZNS1_9scan_implILNS1_25lookback_scan_determinismE0ELb0ELb0ES3_PKS6_PS6_S6_ZZZN2at6native31launch_logcumsumexp_cuda_kernelERKNSD_10TensorBaseESH_lENKUlvE_clEvENKUlvE4_clEvEUlS6_S6_E_S6_EEDaPvRmT3_T4_T5_mT6_P12ihipStream_tbENKUlT_T0_E_clISt17integral_constantIbLb0EESX_IbLb1EEEEDaST_SU_EUlST_E0_NS1_11comp_targetILNS1_3genE10ELNS1_11target_archE1201ELNS1_3gpuE5ELNS1_3repE0EEENS1_30default_config_static_selectorELNS0_4arch9wavefront6targetE0EEEvT1_.kd
    .uniform_work_group_size: 1
    .uses_dynamic_stack: false
    .vgpr_count:     0
    .vgpr_spill_count: 0
    .wavefront_size: 32
    .workgroup_processor_mode: 1
  - .args:
      - .offset:         0
        .size:           32
        .value_kind:     by_value
    .group_segment_fixed_size: 0
    .kernarg_segment_align: 8
    .kernarg_segment_size: 32
    .language:       OpenCL C
    .language_version:
      - 2
      - 0
    .max_flat_workgroup_size: 256
    .name:           _ZN7rocprim17ROCPRIM_400000_NS6detail17trampoline_kernelINS0_14default_configENS1_20scan_config_selectorIN3c108BFloat16EEEZZNS1_9scan_implILNS1_25lookback_scan_determinismE0ELb0ELb0ES3_PKS6_PS6_S6_ZZZN2at6native31launch_logcumsumexp_cuda_kernelERKNSD_10TensorBaseESH_lENKUlvE_clEvENKUlvE4_clEvEUlS6_S6_E_S6_EEDaPvRmT3_T4_T5_mT6_P12ihipStream_tbENKUlT_T0_E_clISt17integral_constantIbLb0EESX_IbLb1EEEEDaST_SU_EUlST_E0_NS1_11comp_targetILNS1_3genE10ELNS1_11target_archE1200ELNS1_3gpuE4ELNS1_3repE0EEENS1_30default_config_static_selectorELNS0_4arch9wavefront6targetE0EEEvT1_
    .private_segment_fixed_size: 0
    .sgpr_count:     0
    .sgpr_spill_count: 0
    .symbol:         _ZN7rocprim17ROCPRIM_400000_NS6detail17trampoline_kernelINS0_14default_configENS1_20scan_config_selectorIN3c108BFloat16EEEZZNS1_9scan_implILNS1_25lookback_scan_determinismE0ELb0ELb0ES3_PKS6_PS6_S6_ZZZN2at6native31launch_logcumsumexp_cuda_kernelERKNSD_10TensorBaseESH_lENKUlvE_clEvENKUlvE4_clEvEUlS6_S6_E_S6_EEDaPvRmT3_T4_T5_mT6_P12ihipStream_tbENKUlT_T0_E_clISt17integral_constantIbLb0EESX_IbLb1EEEEDaST_SU_EUlST_E0_NS1_11comp_targetILNS1_3genE10ELNS1_11target_archE1200ELNS1_3gpuE4ELNS1_3repE0EEENS1_30default_config_static_selectorELNS0_4arch9wavefront6targetE0EEEvT1_.kd
    .uniform_work_group_size: 1
    .uses_dynamic_stack: false
    .vgpr_count:     0
    .vgpr_spill_count: 0
    .wavefront_size: 32
    .workgroup_processor_mode: 1
  - .args:
      - .offset:         0
        .size:           32
        .value_kind:     by_value
    .group_segment_fixed_size: 0
    .kernarg_segment_align: 8
    .kernarg_segment_size: 32
    .language:       OpenCL C
    .language_version:
      - 2
      - 0
    .max_flat_workgroup_size: 64
    .name:           _ZN7rocprim17ROCPRIM_400000_NS6detail17trampoline_kernelINS0_14default_configENS1_20scan_config_selectorIN3c108BFloat16EEEZZNS1_9scan_implILNS1_25lookback_scan_determinismE0ELb0ELb0ES3_PKS6_PS6_S6_ZZZN2at6native31launch_logcumsumexp_cuda_kernelERKNSD_10TensorBaseESH_lENKUlvE_clEvENKUlvE4_clEvEUlS6_S6_E_S6_EEDaPvRmT3_T4_T5_mT6_P12ihipStream_tbENKUlT_T0_E_clISt17integral_constantIbLb0EESX_IbLb1EEEEDaST_SU_EUlST_E0_NS1_11comp_targetILNS1_3genE9ELNS1_11target_archE1100ELNS1_3gpuE3ELNS1_3repE0EEENS1_30default_config_static_selectorELNS0_4arch9wavefront6targetE0EEEvT1_
    .private_segment_fixed_size: 0
    .sgpr_count:     0
    .sgpr_spill_count: 0
    .symbol:         _ZN7rocprim17ROCPRIM_400000_NS6detail17trampoline_kernelINS0_14default_configENS1_20scan_config_selectorIN3c108BFloat16EEEZZNS1_9scan_implILNS1_25lookback_scan_determinismE0ELb0ELb0ES3_PKS6_PS6_S6_ZZZN2at6native31launch_logcumsumexp_cuda_kernelERKNSD_10TensorBaseESH_lENKUlvE_clEvENKUlvE4_clEvEUlS6_S6_E_S6_EEDaPvRmT3_T4_T5_mT6_P12ihipStream_tbENKUlT_T0_E_clISt17integral_constantIbLb0EESX_IbLb1EEEEDaST_SU_EUlST_E0_NS1_11comp_targetILNS1_3genE9ELNS1_11target_archE1100ELNS1_3gpuE3ELNS1_3repE0EEENS1_30default_config_static_selectorELNS0_4arch9wavefront6targetE0EEEvT1_.kd
    .uniform_work_group_size: 1
    .uses_dynamic_stack: false
    .vgpr_count:     0
    .vgpr_spill_count: 0
    .wavefront_size: 32
    .workgroup_processor_mode: 1
  - .args:
      - .offset:         0
        .size:           32
        .value_kind:     by_value
    .group_segment_fixed_size: 1536
    .kernarg_segment_align: 8
    .kernarg_segment_size: 32
    .language:       OpenCL C
    .language_version:
      - 2
      - 0
    .max_flat_workgroup_size: 64
    .name:           _ZN7rocprim17ROCPRIM_400000_NS6detail17trampoline_kernelINS0_14default_configENS1_20scan_config_selectorIN3c108BFloat16EEEZZNS1_9scan_implILNS1_25lookback_scan_determinismE0ELb0ELb0ES3_PKS6_PS6_S6_ZZZN2at6native31launch_logcumsumexp_cuda_kernelERKNSD_10TensorBaseESH_lENKUlvE_clEvENKUlvE4_clEvEUlS6_S6_E_S6_EEDaPvRmT3_T4_T5_mT6_P12ihipStream_tbENKUlT_T0_E_clISt17integral_constantIbLb0EESX_IbLb1EEEEDaST_SU_EUlST_E0_NS1_11comp_targetILNS1_3genE8ELNS1_11target_archE1030ELNS1_3gpuE2ELNS1_3repE0EEENS1_30default_config_static_selectorELNS0_4arch9wavefront6targetE0EEEvT1_
    .private_segment_fixed_size: 0
    .sgpr_count:     33
    .sgpr_spill_count: 0
    .symbol:         _ZN7rocprim17ROCPRIM_400000_NS6detail17trampoline_kernelINS0_14default_configENS1_20scan_config_selectorIN3c108BFloat16EEEZZNS1_9scan_implILNS1_25lookback_scan_determinismE0ELb0ELb0ES3_PKS6_PS6_S6_ZZZN2at6native31launch_logcumsumexp_cuda_kernelERKNSD_10TensorBaseESH_lENKUlvE_clEvENKUlvE4_clEvEUlS6_S6_E_S6_EEDaPvRmT3_T4_T5_mT6_P12ihipStream_tbENKUlT_T0_E_clISt17integral_constantIbLb0EESX_IbLb1EEEEDaST_SU_EUlST_E0_NS1_11comp_targetILNS1_3genE8ELNS1_11target_archE1030ELNS1_3gpuE2ELNS1_3repE0EEENS1_30default_config_static_selectorELNS0_4arch9wavefront6targetE0EEEvT1_.kd
    .uniform_work_group_size: 1
    .uses_dynamic_stack: false
    .vgpr_count:     49
    .vgpr_spill_count: 0
    .wavefront_size: 32
    .workgroup_processor_mode: 1
  - .args:
      - .address_space:  global
        .offset:         0
        .size:           8
        .value_kind:     global_buffer
      - .address_space:  global
        .offset:         8
        .size:           8
        .value_kind:     global_buffer
      - .offset:         16
        .size:           4
        .value_kind:     by_value
      - .offset:         20
        .size:           4
        .value_kind:     by_value
      - .offset:         24
        .size:           4
        .value_kind:     by_value
      - .offset:         28
        .size:           2
        .value_kind:     by_value
      - .offset:         30
        .size:           1
        .value_kind:     by_value
      - .offset:         32
        .size:           4
        .value_kind:     hidden_block_count_x
      - .offset:         36
        .size:           4
        .value_kind:     hidden_block_count_y
      - .offset:         40
        .size:           4
        .value_kind:     hidden_block_count_z
      - .offset:         44
        .size:           2
        .value_kind:     hidden_group_size_x
      - .offset:         46
        .size:           2
        .value_kind:     hidden_group_size_y
      - .offset:         48
        .size:           2
        .value_kind:     hidden_group_size_z
      - .offset:         50
        .size:           2
        .value_kind:     hidden_remainder_x
      - .offset:         52
        .size:           2
        .value_kind:     hidden_remainder_y
      - .offset:         54
        .size:           2
        .value_kind:     hidden_remainder_z
      - .offset:         72
        .size:           8
        .value_kind:     hidden_global_offset_x
      - .offset:         80
        .size:           8
        .value_kind:     hidden_global_offset_y
      - .offset:         88
        .size:           8
        .value_kind:     hidden_global_offset_z
      - .offset:         96
        .size:           2
        .value_kind:     hidden_grid_dims
      - .offset:         152
        .size:           4
        .value_kind:     hidden_dynamic_lds_size
    .group_segment_fixed_size: 0
    .kernarg_segment_align: 8
    .kernarg_segment_size: 288
    .language:       OpenCL C
    .language_version:
      - 2
      - 0
    .max_flat_workgroup_size: 1024
    .name:           _ZN2at6native32tensor_kernel_scan_innermost_dimIN3c108BFloat16EZZZNS0_31launch_logcumsumexp_cuda_kernelERKNS_10TensorBaseES6_lENKUlvE_clEvENKUlvE4_clEvEUlS3_S3_E_EEvPT_PKSA_jjjSA_T0_
    .private_segment_fixed_size: 0
    .sgpr_count:     30
    .sgpr_spill_count: 0
    .symbol:         _ZN2at6native32tensor_kernel_scan_innermost_dimIN3c108BFloat16EZZZNS0_31launch_logcumsumexp_cuda_kernelERKNS_10TensorBaseES6_lENKUlvE_clEvENKUlvE4_clEvEUlS3_S3_E_EEvPT_PKSA_jjjSA_T0_.kd
    .uniform_work_group_size: 1
    .uses_dynamic_stack: false
    .vgpr_count:     32
    .vgpr_spill_count: 0
    .wavefront_size: 32
    .workgroup_processor_mode: 1
  - .args:
      - .address_space:  global
        .offset:         0
        .size:           8
        .value_kind:     global_buffer
      - .address_space:  global
        .offset:         8
        .size:           8
        .value_kind:     global_buffer
      - .offset:         16
        .size:           4
        .value_kind:     by_value
      - .offset:         20
        .size:           4
        .value_kind:     by_value
      - .offset:         24
        .size:           4
        .value_kind:     by_value
      - .offset:         28
        .size:           2
        .value_kind:     by_value
      - .offset:         30
        .size:           1
        .value_kind:     by_value
      - .offset:         32
        .size:           4
        .value_kind:     hidden_block_count_x
      - .offset:         36
        .size:           4
        .value_kind:     hidden_block_count_y
      - .offset:         40
        .size:           4
        .value_kind:     hidden_block_count_z
      - .offset:         44
        .size:           2
        .value_kind:     hidden_group_size_x
      - .offset:         46
        .size:           2
        .value_kind:     hidden_group_size_y
      - .offset:         48
        .size:           2
        .value_kind:     hidden_group_size_z
      - .offset:         50
        .size:           2
        .value_kind:     hidden_remainder_x
      - .offset:         52
        .size:           2
        .value_kind:     hidden_remainder_y
      - .offset:         54
        .size:           2
        .value_kind:     hidden_remainder_z
      - .offset:         72
        .size:           8
        .value_kind:     hidden_global_offset_x
      - .offset:         80
        .size:           8
        .value_kind:     hidden_global_offset_y
      - .offset:         88
        .size:           8
        .value_kind:     hidden_global_offset_z
      - .offset:         96
        .size:           2
        .value_kind:     hidden_grid_dims
    .group_segment_fixed_size: 0
    .kernarg_segment_align: 8
    .kernarg_segment_size: 288
    .language:       OpenCL C
    .language_version:
      - 2
      - 0
    .max_flat_workgroup_size: 1024
    .name:           _ZN2at6native28tensor_kernel_scan_outer_dimIN3c108BFloat16EjZZZNS0_31launch_logcumsumexp_cuda_kernelERKNS_10TensorBaseES6_lENKUlvE_clEvENKUlvE4_clEvEUlS3_S3_E_EEvPT_PKSA_jjjSA_T1_
    .private_segment_fixed_size: 0
    .sgpr_count:     31
    .sgpr_spill_count: 0
    .symbol:         _ZN2at6native28tensor_kernel_scan_outer_dimIN3c108BFloat16EjZZZNS0_31launch_logcumsumexp_cuda_kernelERKNS_10TensorBaseES6_lENKUlvE_clEvENKUlvE4_clEvEUlS3_S3_E_EEvPT_PKSA_jjjSA_T1_.kd
    .uniform_work_group_size: 1
    .uses_dynamic_stack: false
    .vgpr_count:     20
    .vgpr_spill_count: 0
    .wavefront_size: 32
    .workgroup_processor_mode: 1
  - .args:
      - .address_space:  global
        .offset:         0
        .size:           8
        .value_kind:     global_buffer
      - .address_space:  global
        .offset:         8
        .size:           8
        .value_kind:     global_buffer
      - .offset:         16
        .size:           4
        .value_kind:     by_value
      - .offset:         20
        .size:           4
        .value_kind:     by_value
      - .offset:         24
        .size:           4
        .value_kind:     by_value
      - .offset:         28
        .size:           2
        .value_kind:     by_value
      - .offset:         30
        .size:           1
        .value_kind:     by_value
      - .offset:         32
        .size:           4
        .value_kind:     hidden_block_count_x
      - .offset:         36
        .size:           4
        .value_kind:     hidden_block_count_y
      - .offset:         40
        .size:           4
        .value_kind:     hidden_block_count_z
      - .offset:         44
        .size:           2
        .value_kind:     hidden_group_size_x
      - .offset:         46
        .size:           2
        .value_kind:     hidden_group_size_y
      - .offset:         48
        .size:           2
        .value_kind:     hidden_group_size_z
      - .offset:         50
        .size:           2
        .value_kind:     hidden_remainder_x
      - .offset:         52
        .size:           2
        .value_kind:     hidden_remainder_y
      - .offset:         54
        .size:           2
        .value_kind:     hidden_remainder_z
      - .offset:         72
        .size:           8
        .value_kind:     hidden_global_offset_x
      - .offset:         80
        .size:           8
        .value_kind:     hidden_global_offset_y
      - .offset:         88
        .size:           8
        .value_kind:     hidden_global_offset_z
      - .offset:         96
        .size:           2
        .value_kind:     hidden_grid_dims
    .group_segment_fixed_size: 0
    .kernarg_segment_align: 8
    .kernarg_segment_size: 288
    .language:       OpenCL C
    .language_version:
      - 2
      - 0
    .max_flat_workgroup_size: 1024
    .name:           _ZN2at6native28tensor_kernel_scan_outer_dimIN3c108BFloat16EmZZZNS0_31launch_logcumsumexp_cuda_kernelERKNS_10TensorBaseES6_lENKUlvE_clEvENKUlvE4_clEvEUlS3_S3_E_EEvPT_PKSA_jjjSA_T1_
    .private_segment_fixed_size: 0
    .sgpr_count:     30
    .sgpr_spill_count: 0
    .symbol:         _ZN2at6native28tensor_kernel_scan_outer_dimIN3c108BFloat16EmZZZNS0_31launch_logcumsumexp_cuda_kernelERKNS_10TensorBaseES6_lENKUlvE_clEvENKUlvE4_clEvEUlS3_S3_E_EEvPT_PKSA_jjjSA_T1_.kd
    .uniform_work_group_size: 1
    .uses_dynamic_stack: false
    .vgpr_count:     20
    .vgpr_spill_count: 0
    .wavefront_size: 32
    .workgroup_processor_mode: 1
amdhsa.target:   amdgcn-amd-amdhsa--gfx1030
amdhsa.version:
  - 1
  - 2
...

	.end_amdgpu_metadata
